;; amdgpu-corpus repo=ROCm/vllm kind=compiled arch=gfx950 opt=O3
	.amdgcn_target "amdgcn-amd-amdhsa--gfx950"
	.amdhsa_code_object_version 6
	.section	.text._ZN4vllm25paged_attention_v1_kernelIffLi32ELi8ELi128ELNS_18Fp8KVCacheDataTypeE0ELb1EEEvPT_PKS2_PKT0_S8_ifPKiSA_iPKfiiiSC_SC_iiiii,"axG",@progbits,_ZN4vllm25paged_attention_v1_kernelIffLi32ELi8ELi128ELNS_18Fp8KVCacheDataTypeE0ELb1EEEvPT_PKS2_PKT0_S8_ifPKiSA_iPKfiiiSC_SC_iiiii,comdat
	.protected	_ZN4vllm25paged_attention_v1_kernelIffLi32ELi8ELi128ELNS_18Fp8KVCacheDataTypeE0ELb1EEEvPT_PKS2_PKT0_S8_ifPKiSA_iPKfiiiSC_SC_iiiii ; -- Begin function _ZN4vllm25paged_attention_v1_kernelIffLi32ELi8ELi128ELNS_18Fp8KVCacheDataTypeE0ELb1EEEvPT_PKS2_PKT0_S8_ifPKiSA_iPKfiiiSC_SC_iiiii
	.globl	_ZN4vllm25paged_attention_v1_kernelIffLi32ELi8ELi128ELNS_18Fp8KVCacheDataTypeE0ELb1EEEvPT_PKS2_PKT0_S8_ifPKiSA_iPKfiiiSC_SC_iiiii
	.p2align	8
	.type	_ZN4vllm25paged_attention_v1_kernelIffLi32ELi8ELi128ELNS_18Fp8KVCacheDataTypeE0ELb1EEEvPT_PKS2_PKT0_S8_ifPKiSA_iPKfiiiSC_SC_iiiii,@function
_ZN4vllm25paged_attention_v1_kernelIffLi32ELi8ELi128ELNS_18Fp8KVCacheDataTypeE0ELb1EEEvPT_PKS2_PKT0_S8_ifPKiSA_iPKfiiiSC_SC_iiiii: ; @_ZN4vllm25paged_attention_v1_kernelIffLi32ELi8ELi128ELNS_18Fp8KVCacheDataTypeE0ELb1EEEvPT_PKS2_PKT0_S8_ifPKiSA_iPKfiiiSC_SC_iiiii
; %bb.0:
	s_load_dword s5, s[0:1], 0x80
	s_load_dwordx2 s[6:7], s[0:1], 0x30
	s_load_dwordx2 s[30:31], s[0:1], 0x20
	s_mov_b32 s10, s3
	s_ashr_i32 s11, s3, 31
	s_lshl_b64 s[8:9], s[10:11], 2
	s_waitcnt lgkmcnt(0)
	s_add_u32 s6, s6, s8
	s_addc_u32 s7, s7, s9
	s_abs_i32 s3, s30
	v_cvt_f32_u32_e32 v1, s3
	s_sub_i32 s11, 0, s3
	s_abs_i32 s9, s5
	s_xor_b32 s8, s5, s30
	v_rcp_iflag_f32_e32 v1, v1
	s_ashr_i32 s8, s8, 31
	s_mov_b32 s42, 0
	v_mul_f32_e32 v1, 0x4f7ffffe, v1
	v_cvt_u32_f32_e32 v1, v1
	s_nop 0
	v_readfirstlane_b32 s12, v1
	s_mul_i32 s11, s11, s12
	s_mul_hi_u32 s11, s12, s11
	s_add_i32 s12, s12, s11
	s_mul_hi_u32 s11, s9, s12
	s_mul_i32 s12, s11, s3
	s_sub_i32 s9, s9, s12
	s_add_i32 s12, s11, 1
	s_sub_i32 s13, s9, s3
	s_cmp_ge_u32 s9, s3
	s_cselect_b32 s11, s12, s11
	s_cselect_b32 s9, s13, s9
	s_add_i32 s12, s11, 1
	s_cmp_ge_u32 s9, s3
	s_cselect_b32 s3, s12, s11
	s_xor_b32 s3, s3, s8
	s_sub_i32 s12, s3, s8
	s_abs_i32 s22, s12
	v_cvt_f32_u32_e32 v1, s22
	s_load_dwordx2 s[8:9], s[0:1], 0x40
	s_sub_i32 s3, 0, s22
	s_abs_i32 s23, s2
	v_rcp_iflag_f32_e32 v1, v1
	s_nop 0
	v_mul_f32_e32 v1, 0x4f7ffffe, v1
	v_cvt_u32_f32_e32 v1, v1
	s_nop 0
	v_readfirstlane_b32 s11, v1
	s_mul_i32 s3, s3, s11
	s_mul_hi_u32 s3, s11, s3
	s_add_i32 s11, s11, s3
	s_waitcnt lgkmcnt(0)
	s_cmp_eq_u64 s[8:9], 0
	s_mul_hi_u32 s24, s23, s11
	s_cbranch_scc1 .LBB0_2
; %bb.1:
	s_ashr_i32 s3, s2, 31
	s_lshl_b64 s[14:15], s[2:3], 2
	s_add_u32 s8, s8, s14
	s_addc_u32 s9, s9, s15
	s_load_dword s42, s[8:9], 0x0
.LBB0_2:
	s_load_dword s11, s[6:7], 0x0
	s_ashr_i32 s9, s12, 31
	s_load_dwordx4 s[12:15], s[0:1], 0x48
	s_ashr_i32 s8, s2, 31
	v_and_b32_e32 v2, 7, v0
	s_lshl_b32 s20, s2, 5
	v_cmp_gt_u32_e32 vcc, 32, v0
	v_lshlrev_b32_e32 v6, 2, v0
	v_lshrrev_b32_e32 v1, 1, v0
	s_and_saveexec_b64 s[6:7], vcc
	s_cbranch_execz .LBB0_4
; %bb.3:
	s_load_dwordx2 s[16:17], s[0:1], 0x8
	s_waitcnt lgkmcnt(0)
	s_mul_i32 s18, s12, s10
	s_ashr_i32 s19, s18, 31
	s_lshl_b64 s[18:19], s[18:19], 2
	v_and_b32_e32 v4, 0x1fc, v1
	s_add_u32 s3, s16, s18
	s_addc_u32 s12, s17, s19
	s_ashr_i32 s21, s20, 31
	s_lshl_b64 s[16:17], s[20:21], 2
	s_add_u32 s16, s3, s16
	s_addc_u32 s17, s12, s17
	global_load_dword v3, v6, s[16:17]
	v_lshl_add_u32 v4, v2, 4, v4
	s_waitcnt vmcnt(0)
	ds_write_b32 v4, v3
.LBB0_4:
	s_or_b64 exec, exec, s[6:7]
	s_mul_i32 s7, s24, s22
	s_sub_i32 s7, s23, s7
	s_xor_b32 s6, s8, s9
	s_add_i32 s8, s24, 1
	s_sub_i32 s9, s7, s22
	s_load_dwordx4 s[16:19], s[0:1], 0x68
	s_load_dword s3, s[0:1], 0x78
	s_cmp_ge_u32 s7, s22
	s_cselect_b32 s8, s8, s24
	s_cselect_b32 s7, s9, s7
	s_add_i32 s9, s8, 1
	s_cmp_ge_u32 s7, s22
	s_cselect_b32 s7, s9, s8
	s_waitcnt lgkmcnt(0)
	s_abs_i32 s21, s19
	v_cvt_f32_u32_e32 v3, s21
	s_xor_b32 s7, s7, s6
	s_sub_i32 s8, s7, s6
	s_sub_i32 s6, 0, s21
	v_rcp_iflag_f32_e32 v3, v3
	s_add_i32 s12, s11, -1
	s_abs_i32 s9, s12
	v_mul_f32_e32 v3, 0x4f7ffffe, v3
	v_cvt_u32_f32_e32 v3, v3
	s_barrier
	v_readfirstlane_b32 s33, v3
	s_mul_i32 s6, s6, s33
	s_mul_hi_u32 s6, s33, s6
	s_add_i32 s33, s33, s6
	s_cmp_lt_i32 s3, 0
	s_mul_hi_u32 s15, s9, s33
	s_cbranch_scc0 .LBB0_6
; %bb.5:
	s_mul_i32 s6, s16, s30
	s_add_i32 s6, s8, s6
	s_mul_i32 s6, s6, s3
	s_sub_i32 s40, 1, s6
	s_mov_b64 s[6:7], 0
	s_branch .LBB0_7
.LBB0_6:
	s_mov_b64 s[6:7], -1
                                        ; implicit-def: $sgpr40
.LBB0_7:
	s_load_dwordx2 s[24:25], s[0:1], 0x28
	s_ashr_i32 s26, s12, 31
	s_andn2_b64 vcc, exec, s[6:7]
	s_ashr_i32 s19, s19, 31
	s_cbranch_vccnz .LBB0_9
; %bb.8:
	s_mul_i32 s6, s5, s16
	s_add_i32 s2, s6, s2
	s_mul_i32 s2, s2, s3
	s_add_i32 s40, s2, 1
.LBB0_9:
	s_load_dword s2, s[0:1], 0x38
	s_load_dwordx2 s[22:23], s[0:1], 0x0
	s_load_dwordx2 s[28:29], s[0:1], 0x18
	s_load_dword s12, s[0:1], 0x88
	s_xor_b32 s3, s26, s19
	s_waitcnt lgkmcnt(0)
	s_mul_i32 s26, s2, s10
	s_mul_i32 s2, s15, s21
	s_sub_i32 s2, s9, s2
	s_ashr_i32 s27, s26, 31
	s_add_i32 s6, s15, 1
	s_sub_i32 s7, s2, s21
	s_cmp_ge_u32 s2, s21
	s_cselect_b32 s6, s6, s15
	s_cselect_b32 s2, s7, s2
	s_add_i32 s7, s6, 1
	s_cmp_ge_u32 s2, s21
	s_cselect_b32 s2, s7, s6
	s_xor_b32 s2, s2, s3
	s_sub_i32 s41, s2, s3
	s_add_i32 s2, s11, 7
	s_ashr_i32 s3, s2, 31
	s_lshr_b32 s3, s3, 29
	s_add_i32 s2, s2, s3
	s_ashr_i32 s16, s2, 3
	v_lshrrev_b32_e32 v16, 6, v0
	v_cmp_gt_i32_e64 s[2:3], s16, v16
	v_mov_b32_e32 v11, 0xff7fffff
	s_mul_i32 s14, s8, s14
	v_lshrrev_b32_e32 v7, 4, v0
	v_lshlrev_b32_e32 v17, 3, v16
	v_mbcnt_lo_u32_b32 v8, -1, 0
	s_and_saveexec_b64 s[34:35], s[2:3]
	s_cbranch_execz .LBB0_21
; %bb.10:
	s_load_dwordx2 s[0:1], s[0:1], 0x10
	s_ashr_i32 s15, s14, 31
	s_sub_i32 s30, s41, s17
	s_lshl_b64 s[6:7], s[14:15], 2
	v_bfe_u32 v9, v0, 3, 3
	s_waitcnt lgkmcnt(0)
	s_add_u32 s0, s0, s6
	s_addc_u32 s1, s1, s7
	s_abs_i32 s15, s18
	v_cvt_f32_u32_e32 v3, s15
	v_lshlrev_b32_e32 v4, 4, v9
	v_mov_b32_e32 v5, 0
	v_lshl_add_u64 v[10:11], s[0:1], 0, v[4:5]
	v_rcp_iflag_f32_e32 v3, v3
	v_and_b32_e32 v4, 3, v0
	v_lshlrev_b32_e32 v4, 2, v4
	v_lshl_add_u64 v[12:13], v[10:11], 0, v[4:5]
	v_mul_f32_e32 v3, 0x4f7ffffe, v3
	v_cvt_u32_f32_e32 v11, v3
	v_cmp_eq_u32_e32 vcc, 0, v2
	v_lshlrev_b32_e32 v10, 4, v2
	v_lshlrev_b32_e32 v2, 5, v0
	v_and_b32_e32 v4, 0x80, v2
	s_sub_i32 s6, 0, s15
	v_lshl_add_u64 v[2:3], v[12:13], 0, v[4:5]
	v_mul_lo_u32 v4, s6, v11
	v_mul_hi_u32 v4, v11, v4
	v_lshlrev_b32_e32 v15, 2, v9
	v_add_u32_e32 v12, v11, v4
	s_lshl_b64 s[6:7], s[26:27], 2
	v_subrev_u32_e32 v11, s11, v9
	s_add_u32 s6, s24, s6
	v_add_u32_e32 v14, 1, v11
	v_lshl_or_b32 v11, v16, 5, v15
	v_mbcnt_hi_u32_b32 v19, -1, v8
	v_and_b32_e32 v4, 60, v7
	s_addc_u32 s7, s25, s7
	v_add_u32_e32 v15, 0x90, v11
	v_and_b32_e32 v11, 64, v19
	s_mov_b32 s43, s13
	v_cmp_neq_f32_e64 s[0:1], s42, 0
	v_lshl_add_u64 v[4:5], s[6:7], 0, v[4:5]
	v_lshlrev_b32_e32 v13, 3, v16
	v_mov_b32_e32 v18, 0xff7fffff
	s_mov_b64 s[36:37], 0
	v_add_u32_e32 v20, 64, v11
	v_xor_b32_e32 v21, 4, v19
	v_xor_b32_e32 v22, 2, v19
	;; [unrolled: 1-line block ×3, first 2 shown]
	v_mov_b32_e32 v11, 0xff7fffff
	v_mov_b32_e32 v24, v16
	s_branch .LBB0_13
.LBB0_11:                               ;   in Loop: Header=BB0_13 Depth=1
	s_or_b64 exec, exec, s[38:39]
.LBB0_12:                               ;   in Loop: Header=BB0_13 Depth=1
	s_or_b64 exec, exec, s[8:9]
	v_add_u32_e32 v24, 2, v24
	v_cmp_le_i32_e64 s[6:7], s16, v24
	v_lshl_add_u64 v[4:5], v[4:5], 0, 8
	v_add_u32_e32 v13, 16, v13
	s_or_b64 s[36:37], s[6:7], s[36:37]
	v_add_u32_e32 v15, 64, v15
	s_andn2_b64 exec, exec, s[36:37]
	s_cbranch_execz .LBB0_20
.LBB0_13:                               ; =>This Inner Loop Header: Depth=1
	v_mul_hi_u32 v25, v13, s33
	s_waitcnt lgkmcnt(0)
	v_mul_lo_u32 v26, v25, s21
	v_sub_u32_e32 v26, v13, v26
	v_add_u32_e32 v27, 1, v25
	v_cmp_le_u32_e64 s[6:7], s21, v26
	s_nop 1
	v_cndmask_b32_e64 v25, v25, v27, s[6:7]
	v_subrev_u32_e32 v27, s21, v26
	v_cndmask_b32_e64 v26, v26, v27, s[6:7]
	v_add_u32_e32 v27, 1, v25
	v_cmp_le_u32_e64 s[6:7], s21, v26
	s_nop 1
	v_cndmask_b32_e64 v25, v25, v27, s[6:7]
	v_xor_b32_e32 v25, s19, v25
	v_subrev_u32_e32 v25, s19, v25
	v_add_u32_e32 v26, s40, v25
	v_sub_u32_e32 v28, 0, v26
	v_ashrrev_i32_e32 v27, 31, v26
	v_max_i32_e32 v26, v26, v28
	v_mul_hi_u32 v28, v26, v12
	v_mul_lo_u32 v28, v28, s15
	v_sub_u32_e32 v26, v26, v28
	v_subrev_u32_e32 v28, s15, v26
	v_cmp_le_u32_e64 s[6:7], s15, v26
	v_cmp_ge_i32_e64 s[8:9], s30, v25
	s_nop 0
	v_cndmask_b32_e64 v26, v26, v28, s[6:7]
	v_subrev_u32_e32 v28, s15, v26
	v_cmp_le_u32_e64 s[6:7], s15, v26
	s_nop 1
	v_cndmask_b32_e64 v26, v26, v28, s[6:7]
	v_xor_b32_e32 v26, v26, v27
	v_sub_u32_e32 v26, v26, v27
	v_cmp_ne_u32_e64 s[6:7], 0, v26
	s_and_b64 s[6:7], s[6:7], s[8:9]
	s_and_saveexec_b64 s[8:9], s[6:7]
	s_xor_b64 s[6:7], exec, s[8:9]
	s_cbranch_execz .LBB0_17
; %bb.14:                               ;   in Loop: Header=BB0_13 Depth=1
	s_and_saveexec_b64 s[8:9], vcc
; %bb.15:                               ;   in Loop: Header=BB0_13 Depth=1
	ds_write_b32 v15, v18
; %bb.16:                               ;   in Loop: Header=BB0_13 Depth=1
	s_or_b64 exec, exec, s[8:9]
.LBB0_17:                               ;   in Loop: Header=BB0_13 Depth=1
	s_andn2_saveexec_b64 s[8:9], s[6:7]
	s_cbranch_execz .LBB0_12
; %bb.18:                               ;   in Loop: Header=BB0_13 Depth=1
	global_load_dword v25, v[4:5], off
	s_waitcnt vmcnt(0)
	v_mad_i64_i32 v[26:27], s[6:7], v25, s43, 0
	v_lshl_add_u64 v[26:27], v[26:27], 2, v[2:3]
	global_load_dword v25, v[26:27], off offset:256
	global_load_dword v30, v[26:27], off
	global_load_dword v31, v[26:27], off offset:512
	global_load_dword v32, v[26:27], off offset:768
	ds_read_b128 v[26:29], v10
	v_cmp_lt_i32_e64 s[6:7], v21, v20
	s_waitcnt vmcnt(3) lgkmcnt(0)
	v_mul_f32_e32 v25, v27, v25
	s_waitcnt vmcnt(2)
	v_fmac_f32_e32 v25, v26, v30
	v_cndmask_b32_e64 v33, v19, v21, s[6:7]
	s_waitcnt vmcnt(1)
	v_fmac_f32_e32 v25, v28, v31
	v_lshlrev_b32_e32 v33, 2, v33
	s_waitcnt vmcnt(0)
	v_fmac_f32_e32 v25, v29, v32
	ds_bpermute_b32 v26, v33, v25
	v_cmp_lt_i32_e64 s[6:7], v22, v20
	s_waitcnt lgkmcnt(0)
	v_add_f32_e32 v25, v25, v26
	v_cndmask_b32_e64 v27, v19, v22, s[6:7]
	v_lshlrev_b32_e32 v27, 2, v27
	ds_bpermute_b32 v26, v27, v25
	v_cmp_lt_i32_e64 s[6:7], v23, v20
	s_waitcnt lgkmcnt(0)
	v_add_f32_e32 v25, v25, v26
	v_cndmask_b32_e64 v27, v19, v23, s[6:7]
	v_lshlrev_b32_e32 v27, 2, v27
	ds_bpermute_b32 v26, v27, v25
	s_and_saveexec_b64 s[38:39], vcc
	s_cbranch_execz .LBB0_11
; %bb.19:                               ;   in Loop: Header=BB0_13 Depth=1
	v_add_u32_e32 v27, v14, v13
	v_cvt_f32_i32_e32 v27, v27
	s_waitcnt lgkmcnt(0)
	v_add_f32_e32 v25, v25, v26
	v_add_u32_e32 v28, v9, v13
	v_cmp_gt_i32_e64 s[6:7], s11, v28
	v_mul_f32_e32 v26, s42, v27
	v_cndmask_b32_e64 v26, 0, v26, s[0:1]
	v_fmac_f32_e32 v26, s31, v25
	v_cndmask_b32_e64 v25, 0, v26, s[6:7]
	ds_write_b32 v15, v25
	v_max_f32_e32 v25, v11, v11
	v_max_f32_e32 v25, v25, v26
	v_cndmask_b32_e64 v11, v11, v25, s[6:7]
	s_branch .LBB0_11
.LBB0_20:
	s_or_b64 exec, exec, s[36:37]
.LBB0_21:
	s_or_b64 exec, exec, s[34:35]
	v_mbcnt_hi_u32_b32 v2, -1, v8
	v_and_b32_e32 v12, 64, v2
	v_add_u32_e32 v3, 64, v12
	v_xor_b32_e32 v4, 32, v2
	v_cmp_lt_i32_e32 vcc, v4, v3
	v_xor_b32_e32 v9, 16, v2
	v_max_f32_e32 v8, v11, v11
	v_cndmask_b32_e32 v4, v2, v4, vcc
	v_lshlrev_b32_e32 v5, 2, v4
	ds_bpermute_b32 v4, v5, v11
	v_cmp_lt_i32_e32 vcc, v9, v3
	v_xor_b32_e32 v10, 8, v2
	v_and_b32_e32 v18, 63, v0
	s_waitcnt lgkmcnt(0)
	v_max_f32_e32 v4, v4, v4
	v_max_f32_e32 v4, v8, v4
	v_cndmask_b32_e32 v8, v2, v9, vcc
	v_lshlrev_b32_e32 v9, 2, v8
	ds_bpermute_b32 v8, v9, v4
	v_cmp_lt_i32_e32 vcc, v10, v3
	s_waitcnt lgkmcnt(0)
	v_max_f32_e32 v8, v8, v8
	v_max_f32_e32 v8, v4, v8
	v_cndmask_b32_e32 v4, v2, v10, vcc
	v_lshlrev_b32_e32 v10, 2, v4
	ds_bpermute_b32 v11, v10, v8
	v_cmp_eq_u32_e32 vcc, 0, v18
	v_lshlrev_b32_e32 v4, 2, v16
	s_and_saveexec_b64 s[0:1], vcc
	s_cbranch_execz .LBB0_23
; %bb.22:
	s_waitcnt lgkmcnt(0)
	v_max_f32_e32 v11, v11, v11
	v_max_f32_e32 v8, v8, v8
	;; [unrolled: 1-line block ×3, first 2 shown]
	ds_write_b32 v4, v8 offset:128
.LBB0_23:
	s_or_b64 exec, exec, s[0:1]
	v_cmp_gt_u32_e64 s[0:1], 2, v18
	s_waitcnt lgkmcnt(0)
	v_mov_b32_e32 v11, 0xff7fffff
	v_lshlrev_b32_e32 v8, 2, v18
	s_barrier
	s_and_saveexec_b64 s[6:7], s[0:1]
; %bb.24:
	ds_read_b32 v11, v8 offset:128
; %bb.25:
	s_or_b64 exec, exec, s[6:7]
	v_xor_b32_e32 v13, 1, v2
	v_cmp_lt_i32_e64 s[6:7], v13, v3
	v_lshlrev_b32_e32 v12, 2, v12
	s_nop 0
	v_cndmask_b32_e64 v13, v2, v13, s[6:7]
	v_lshlrev_b32_e32 v19, 2, v13
	s_waitcnt lgkmcnt(0)
	ds_bpermute_b32 v13, v19, v11
	v_max_f32_e32 v11, v11, v11
	s_lshl_b32 s6, s16, 3
	s_min_i32 s15, s6, s11
	v_cmp_gt_i32_e64 s[6:7], s15, v0
	s_waitcnt lgkmcnt(0)
	v_max_f32_e32 v13, v13, v13
	v_max_f32_e32 v11, v11, v13
	ds_bpermute_b32 v12, v12, v11
	v_mov_b32_e32 v11, 0
	s_and_saveexec_b64 s[30:31], s[6:7]
	s_cbranch_execz .LBB0_29
; %bb.26:
	v_mov_b32_e32 v11, 0x90
	v_lshl_add_u32 v13, v0, 2, v11
	v_mov_b32_e32 v11, 0
	s_mov_b64 s[34:35], 0
	v_mov_b32_e32 v14, v0
.LBB0_27:                               ; =>This Inner Loop Header: Depth=1
	ds_read_b32 v15, v13
	v_add_u32_e32 v14, 0x80, v14
	v_cmp_le_i32_e64 s[8:9], s15, v14
	s_or_b64 s[34:35], s[8:9], s[34:35]
	s_waitcnt lgkmcnt(0)
	v_sub_f32_e32 v15, v15, v12
	v_mul_f32_e32 v15, 0x3fb8aa3b, v15
	v_exp_f32_e32 v15, v15
	ds_write_b32 v13, v15
	v_add_f32_e32 v11, v11, v15
	v_add_u32_e32 v13, 0x200, v13
	s_andn2_b64 exec, exec, s[34:35]
	s_cbranch_execnz .LBB0_27
; %bb.28:
	s_or_b64 exec, exec, s[34:35]
.LBB0_29:
	s_or_b64 exec, exec, s[30:31]
	ds_bpermute_b32 v5, v5, v11
	s_waitcnt lgkmcnt(0)
	v_add_f32_e32 v5, v11, v5
	ds_bpermute_b32 v9, v9, v5
	s_waitcnt lgkmcnt(0)
	v_add_f32_e32 v5, v5, v9
	ds_bpermute_b32 v9, v10, v5
	v_xor_b32_e32 v10, 4, v2
	v_cmp_lt_i32_e64 s[8:9], v10, v3
	s_waitcnt lgkmcnt(0)
	v_add_f32_e32 v5, v5, v9
	v_cndmask_b32_e64 v10, v2, v10, s[8:9]
	v_lshlrev_b32_e32 v10, 2, v10
	ds_bpermute_b32 v9, v10, v5
	v_xor_b32_e32 v10, 2, v2
	v_cmp_lt_i32_e64 s[8:9], v10, v3
	s_waitcnt lgkmcnt(0)
	v_add_f32_e32 v5, v5, v9
	v_cndmask_b32_e64 v3, v2, v10, s[8:9]
	v_lshlrev_b32_e32 v3, 2, v3
	ds_bpermute_b32 v3, v3, v5
	s_waitcnt lgkmcnt(0)
	v_add_f32_e32 v3, v5, v3
	ds_bpermute_b32 v5, v19, v3
	s_waitcnt lgkmcnt(0)
	v_add_f32_e32 v3, v3, v5
	s_and_saveexec_b64 s[8:9], vcc
; %bb.30:
	ds_write_b32 v4, v3 offset:136
; %bb.31:
	s_or_b64 exec, exec, s[8:9]
	s_waitcnt lgkmcnt(0)
	s_barrier
	s_and_saveexec_b64 s[8:9], s[0:1]
; %bb.32:
	ds_read_b32 v3, v8 offset:136
; %bb.33:
	s_or_b64 exec, exec, s[8:9]
	s_waitcnt lgkmcnt(0)
	ds_bpermute_b32 v4, v19, v3
	v_lshlrev_b32_e32 v2, 2, v2
	v_and_b32_e32 v2, 0x100, v2
	s_waitcnt lgkmcnt(0)
	v_add_f32_e32 v3, v3, v4
	ds_bpermute_b32 v2, v2, v3
	s_and_saveexec_b64 s[0:1], s[6:7]
	s_cbranch_execz .LBB0_46
; %bb.34:
	s_waitcnt lgkmcnt(0)
	v_add_f32_e32 v2, 0x358637bd, v2
	v_div_scale_f32 v3, s[6:7], v2, v2, 1.0
	v_rcp_f32_e32 v4, v3
	v_div_scale_f32 v5, vcc, 1.0, v2, 1.0
	s_movk_i32 s6, 0x7f
	v_fma_f32 v8, -v3, v4, 1.0
	v_fmac_f32_e32 v4, v8, v4
	v_mul_f32_e32 v8, v5, v4
	v_fma_f32 v9, -v3, v8, v5
	v_fmac_f32_e32 v8, v9, v4
	v_fma_f32 v3, -v3, v8, v5
	v_div_fmas_f32 v3, v3, v4, v8
	v_xad_u32 v4, v0, -1, s15
	v_div_fixup_f32 v2, v3, v2, 1.0
	v_cmp_lt_u32_e32 vcc, s6, v4
	s_mov_b64 s[8:9], -1
	v_mov_b32_e32 v3, v0
	s_and_saveexec_b64 s[6:7], vcc
	s_cbranch_execz .LBB0_43
; %bb.35:
	v_lshrrev_b32_e32 v4, 7, v4
	v_add_u32_e32 v8, -1, v4
	v_lshrrev_b32_e32 v5, 1, v8
	v_mov_b32_e32 v3, v2
	v_add_u32_e32 v5, 1, v5
	v_cmp_lt_u32_e32 vcc, 13, v8
	v_mov_b32_e32 v10, 0
	s_and_saveexec_b64 s[8:9], vcc
	s_cbranch_execz .LBB0_39
; %bb.36:
	v_mov_b32_e32 v9, 0x90
	v_and_b32_e32 v8, -8, v5
	v_lshl_add_u32 v9, v0, 2, v9
	s_mov_b32 s34, 0
	s_mov_b64 s[30:31], 0
.LBB0_37:                               ; =>This Inner Loop Header: Depth=1
	ds_read2st64_b32 v[10:11], v9 offset1:2
	ds_read2st64_b32 v[12:13], v9 offset0:4 offset1:6
	ds_read2st64_b32 v[14:15], v9 offset0:8 offset1:10
	;; [unrolled: 1-line block ×3, first 2 shown]
	v_add_u32_e32 v8, -8, v8
	s_waitcnt lgkmcnt(3)
	v_pk_mul_f32 v[10:11], v[2:3], v[10:11]
	s_waitcnt lgkmcnt(2)
	v_pk_mul_f32 v[12:13], v[2:3], v[12:13]
	ds_write2st64_b32 v9, v10, v11 offset1:2
	ds_write2st64_b32 v9, v12, v13 offset0:4 offset1:6
	ds_read2st64_b32 v[12:13], v9 offset0:16 offset1:18
	s_waitcnt lgkmcnt(4)
	v_pk_mul_f32 v[10:11], v[2:3], v[14:15]
	ds_write2st64_b32 v9, v10, v11 offset0:8 offset1:10
	s_waitcnt lgkmcnt(4)
	v_pk_mul_f32 v[10:11], v[2:3], v[20:21]
	ds_write2st64_b32 v9, v10, v11 offset0:12 offset1:14
	ds_read2st64_b32 v[10:11], v9 offset0:20 offset1:22
	s_waitcnt lgkmcnt(3)
	v_pk_mul_f32 v[12:13], v[2:3], v[12:13]
	ds_read2st64_b32 v[14:15], v9 offset0:24 offset1:26
	ds_write2st64_b32 v9, v12, v13 offset0:16 offset1:18
	ds_read2st64_b32 v[12:13], v9 offset0:28 offset1:30
	s_waitcnt lgkmcnt(3)
	v_pk_mul_f32 v[10:11], v[2:3], v[10:11]
	ds_write2st64_b32 v9, v10, v11 offset0:20 offset1:22
	s_waitcnt lgkmcnt(3)
	v_pk_mul_f32 v[10:11], v[2:3], v[14:15]
	ds_write2st64_b32 v9, v10, v11 offset0:24 offset1:26
	s_waitcnt lgkmcnt(2)
	v_pk_mul_f32 v[10:11], v[2:3], v[12:13]
	s_add_i32 s34, s34, 16
	v_cmp_eq_u32_e32 vcc, 0, v8
	ds_write2st64_b32 v9, v10, v11 offset0:28 offset1:30
	v_add_u32_e32 v9, 0x2000, v9
	s_or_b64 s[30:31], vcc, s[30:31]
	v_mov_b32_e32 v10, s34
	s_andn2_b64 exec, exec, s[30:31]
	s_cbranch_execnz .LBB0_37
; %bb.38:
	s_or_b64 exec, exec, s[30:31]
.LBB0_39:
	s_or_b64 exec, exec, s[8:9]
	v_and_b32_e32 v5, 7, v5
	v_cmp_ne_u32_e32 vcc, 0, v5
	s_and_saveexec_b64 s[8:9], vcc
	s_cbranch_execz .LBB0_42
; %bb.40:
	v_lshlrev_b32_e32 v8, 9, v10
	s_movk_i32 s30, 0x90
	v_add3_u32 v8, v8, v6, s30
	s_mov_b64 s[30:31], 0
.LBB0_41:                               ; =>This Inner Loop Header: Depth=1
	ds_read2st64_b32 v[10:11], v8 offset1:2
	v_add_u32_e32 v5, -1, v5
	v_cmp_eq_u32_e32 vcc, 0, v5
	s_or_b64 s[30:31], vcc, s[30:31]
	s_waitcnt lgkmcnt(0)
	v_pk_mul_f32 v[10:11], v[2:3], v[10:11]
	ds_write2st64_b32 v8, v10, v11 offset1:2
	v_add_u32_e32 v8, 0x400, v8
	s_andn2_b64 exec, exec, s[30:31]
	s_cbranch_execnz .LBB0_41
.LBB0_42:
	s_or_b64 exec, exec, s[8:9]
	v_add_u32_e32 v4, 1, v4
	v_and_b32_e32 v5, 0x3fffffe, v4
	v_cmp_ne_u32_e32 vcc, v4, v5
	v_lshl_add_u32 v3, v5, 7, v0
	s_orn2_b64 s[8:9], vcc, exec
.LBB0_43:
	s_or_b64 exec, exec, s[6:7]
	s_and_b64 exec, exec, s[8:9]
	s_cbranch_execz .LBB0_46
; %bb.44:
	v_mov_b32_e32 v4, 0x90
	v_lshl_add_u32 v4, v3, 2, v4
	s_mov_b64 s[6:7], 0
.LBB0_45:                               ; =>This Inner Loop Header: Depth=1
	ds_read_b32 v5, v4
	v_add_u32_e32 v3, 0x80, v3
	v_cmp_le_i32_e32 vcc, s15, v3
	s_or_b64 s[6:7], vcc, s[6:7]
	s_waitcnt lgkmcnt(0)
	v_mul_f32_e32 v5, v2, v5
	ds_write_b32 v4, v5
	v_add_u32_e32 v4, 0x200, v4
	s_andn2_b64 exec, exec, s[6:7]
	s_cbranch_execnz .LBB0_45
.LBB0_46:
	s_or_b64 exec, exec, s[0:1]
	v_mov_b32_e32 v11, 0
	s_waitcnt lgkmcnt(0)
	s_barrier
	s_and_saveexec_b64 s[6:7], s[2:3]
	s_cbranch_execz .LBB0_54
; %bb.47:
	s_ashr_i32 s15, s14, 31
	s_sub_i32 s17, s41, s17
	s_lshl_b64 s[0:1], s[14:15], 2
	s_add_u32 s0, s28, s0
	s_addc_u32 s1, s29, s1
	s_abs_i32 s14, s18
	v_cvt_f32_u32_e32 v2, s14
	v_lshlrev_b32_e32 v3, 4, v0
	v_and_b32_e32 v10, 0x3f0, v3
	v_mov_b32_e32 v11, 0
	v_rcp_iflag_f32_e32 v2, v2
	v_lshl_add_u64 v[12:13], s[0:1], 0, v[10:11]
	s_sub_i32 s0, 0, s14
	s_add_i32 s15, s16, -1
	v_mul_f32_e32 v2, 0x4f7ffffe, v2
	v_cvt_u32_f32_e32 v2, v2
	v_and_b32_e32 v10, 60, v7
	v_and_b32_e32 v20, 4, v6
	s_mov_b32 s18, s11
	v_mul_lo_u32 v3, s0, v2
	v_mul_hi_u32 v3, v2, v3
	v_add_u32_e32 v21, v2, v3
	s_lshl_b64 s[0:1], s[26:27], 2
	v_and_b32_e32 v2, 1, v0
	s_add_u32 s0, s24, s0
	v_lshlrev_b32_e32 v2, 4, v2
	s_addc_u32 s1, s25, s1
	v_lshl_or_b32 v2, v16, 5, v2
	v_lshl_add_u64 v[14:15], s[0:1], 0, v[10:11]
	v_add_u32_e32 v10, 0x90, v2
	s_mov_b64 s[2:3], 0
	s_branch .LBB0_50
.LBB0_48:                               ;   in Loop: Header=BB0_50 Depth=1
	s_or_b64 exec, exec, s[8:9]
	s_waitcnt vmcnt(0) lgkmcnt(0)
	v_pk_mul_f32 v[2:3], v[6:7], v[2:3]
	v_pk_mul_f32 v[4:5], v[8:9], v[4:5]
	v_add_f32_e32 v2, v3, v2
	v_add_f32_e32 v2, v4, v2
	;; [unrolled: 1-line block ×4, first 2 shown]
.LBB0_49:                               ;   in Loop: Header=BB0_50 Depth=1
	s_or_b64 exec, exec, s[0:1]
	v_add_u32_e32 v16, 2, v16
	v_cmp_le_i32_e32 vcc, s16, v16
	v_lshl_add_u64 v[14:15], v[14:15], 0, 8
	v_add_u32_e32 v17, 16, v17
	s_or_b64 s[2:3], vcc, s[2:3]
	v_add_u32_e32 v10, 64, v10
	s_andn2_b64 exec, exec, s[2:3]
	s_cbranch_execz .LBB0_53
.LBB0_50:                               ; =>This Inner Loop Header: Depth=1
	v_mul_hi_u32 v2, v17, s33
	v_mul_lo_u32 v3, v2, s21
	v_sub_u32_e32 v3, v17, v3
	v_add_u32_e32 v4, 1, v2
	v_cmp_le_u32_e32 vcc, s21, v3
	s_nop 1
	v_cndmask_b32_e32 v2, v2, v4, vcc
	v_subrev_u32_e32 v4, s21, v3
	v_cndmask_b32_e32 v3, v3, v4, vcc
	v_add_u32_e32 v4, 1, v2
	v_cmp_le_u32_e32 vcc, s21, v3
	s_nop 1
	v_cndmask_b32_e32 v2, v2, v4, vcc
	v_xor_b32_e32 v2, s19, v2
	v_subrev_u32_e32 v2, s19, v2
	v_add_u32_e32 v3, s40, v2
	v_sub_u32_e32 v5, 0, v3
	v_ashrrev_i32_e32 v4, 31, v3
	v_max_i32_e32 v3, v3, v5
	v_mul_hi_u32 v5, v3, v21
	v_mul_lo_u32 v5, v5, s14
	v_sub_u32_e32 v3, v3, v5
	v_subrev_u32_e32 v5, s14, v3
	v_cmp_le_u32_e32 vcc, s14, v3
	v_cmp_lt_i32_e64 s[0:1], s17, v2
	s_nop 0
	v_cndmask_b32_e32 v3, v3, v5, vcc
	v_subrev_u32_e32 v5, s14, v3
	v_cmp_le_u32_e32 vcc, s14, v3
	s_nop 1
	v_cndmask_b32_e32 v3, v3, v5, vcc
	v_xor_b32_e32 v3, v3, v4
	v_sub_u32_e32 v3, v3, v4
	v_cmp_eq_u32_e32 vcc, 0, v3
	s_or_b64 s[8:9], vcc, s[0:1]
	s_and_saveexec_b64 s[0:1], s[8:9]
	s_cbranch_execz .LBB0_49
; %bb.51:                               ;   in Loop: Header=BB0_50 Depth=1
	global_load_dword v2, v[14:15], off
	ds_read_b128 v[6:9], v10
	v_cmp_eq_u32_e32 vcc, s15, v16
	s_waitcnt vmcnt(0)
	v_mad_i64_i32 v[2:3], s[8:9], v2, s13, 0
	v_lshl_add_u64 v[2:3], v[2:3], 2, v[12:13]
	global_load_dwordx4 v[2:5], v[2:3], off
	s_and_saveexec_b64 s[8:9], vcc
	s_cbranch_execz .LBB0_48
; %bb.52:                               ;   in Loop: Header=BB0_50 Depth=1
	v_add_u32_e32 v22, v20, v17
	v_add_u32_e32 v23, 1, v22
	v_cmp_gt_i32_e32 vcc, s11, v22
	s_waitcnt vmcnt(0)
	s_nop 0
	v_cndmask_b32_e32 v2, 0, v2, vcc
	v_cmp_gt_i32_e32 vcc, s18, v23
	v_or_b32_e32 v23, 3, v22
	v_or_b32_e32 v22, 2, v22
	v_cndmask_b32_e32 v3, 0, v3, vcc
	v_cmp_gt_i32_e32 vcc, s18, v23
	s_nop 1
	v_cndmask_b32_e32 v5, 0, v5, vcc
	v_cmp_gt_i32_e32 vcc, s11, v22
	s_nop 1
	v_cndmask_b32_e32 v4, 0, v4, vcc
	s_branch .LBB0_48
.LBB0_53:
	s_or_b64 exec, exec, s[2:3]
.LBB0_54:
	s_or_b64 exec, exec, s[6:7]
	ds_bpermute_b32 v3, v19, v11
	v_and_b32_e32 v2, 0x3c1, v0
	v_cmp_eq_u32_e32 vcc, 64, v2
	s_waitcnt lgkmcnt(0)
	s_barrier
	v_add_f32_e32 v0, v11, v3
	s_and_saveexec_b64 s[0:1], vcc
; %bb.55:
	v_mov_b32_e32 v3, 0x90
	v_lshl_add_u32 v3, v18, 1, v3
	ds_write_b32 v3, v0
; %bb.56:
	s_or_b64 exec, exec, s[0:1]
	v_cmp_eq_u32_e32 vcc, 0, v2
	s_waitcnt lgkmcnt(0)
	s_barrier
	s_and_saveexec_b64 s[0:1], vcc
	s_cbranch_execz .LBB0_58
; %bb.57:
	v_mov_b32_e32 v2, 0x90
	v_lshl_add_u32 v2, v1, 2, v2
	ds_read_b32 v2, v2
	s_waitcnt lgkmcnt(0)
	v_add_f32_e32 v0, v0, v2
.LBB0_58:
	s_or_b64 exec, exec, s[0:1]
	s_barrier
	s_and_saveexec_b64 s[0:1], vcc
	s_cbranch_execz .LBB0_60
; %bb.59:
	s_mul_i32 s0, s10, s12
	s_mul_i32 s0, s0, s5
	s_lshl_b32 s0, s0, 5
	s_ashr_i32 s1, s0, 31
	s_lshl_b64 s[0:1], s[0:1], 2
	s_add_u32 s2, s22, s0
	s_mul_i32 s0, s12, s20
	s_addc_u32 s3, s23, s1
	s_ashr_i32 s1, s0, 31
	s_lshl_b64 s[0:1], s[0:1], 2
	s_add_u32 s2, s2, s0
	s_addc_u32 s3, s3, s1
	s_lshl_b32 s0, s4, 5
	s_ashr_i32 s1, s0, 31
	s_lshl_b64 s[0:1], s[0:1], 2
	s_add_u32 s0, s2, s0
	s_addc_u32 s1, s3, s1
	v_lshlrev_b32_e32 v1, 2, v1
	global_store_dword v1, v0, s[0:1]
.LBB0_60:
	s_endpgm
	.section	.rodata,"a",@progbits
	.p2align	6, 0x0
	.amdhsa_kernel _ZN4vllm25paged_attention_v1_kernelIffLi32ELi8ELi128ELNS_18Fp8KVCacheDataTypeE0ELb1EEEvPT_PKS2_PKT0_S8_ifPKiSA_iPKfiiiSC_SC_iiiii
		.amdhsa_group_segment_fixed_size 144
		.amdhsa_private_segment_fixed_size 0
		.amdhsa_kernarg_size 384
		.amdhsa_user_sgpr_count 2
		.amdhsa_user_sgpr_dispatch_ptr 0
		.amdhsa_user_sgpr_queue_ptr 0
		.amdhsa_user_sgpr_kernarg_segment_ptr 1
		.amdhsa_user_sgpr_dispatch_id 0
		.amdhsa_user_sgpr_kernarg_preload_length 0
		.amdhsa_user_sgpr_kernarg_preload_offset 0
		.amdhsa_user_sgpr_private_segment_size 0
		.amdhsa_uses_dynamic_stack 0
		.amdhsa_enable_private_segment 0
		.amdhsa_system_sgpr_workgroup_id_x 1
		.amdhsa_system_sgpr_workgroup_id_y 1
		.amdhsa_system_sgpr_workgroup_id_z 1
		.amdhsa_system_sgpr_workgroup_info 0
		.amdhsa_system_vgpr_workitem_id 0
		.amdhsa_next_free_vgpr 34
		.amdhsa_next_free_sgpr 44
		.amdhsa_accum_offset 36
		.amdhsa_reserve_vcc 1
		.amdhsa_float_round_mode_32 0
		.amdhsa_float_round_mode_16_64 0
		.amdhsa_float_denorm_mode_32 3
		.amdhsa_float_denorm_mode_16_64 3
		.amdhsa_dx10_clamp 1
		.amdhsa_ieee_mode 1
		.amdhsa_fp16_overflow 0
		.amdhsa_tg_split 0
		.amdhsa_exception_fp_ieee_invalid_op 0
		.amdhsa_exception_fp_denorm_src 0
		.amdhsa_exception_fp_ieee_div_zero 0
		.amdhsa_exception_fp_ieee_overflow 0
		.amdhsa_exception_fp_ieee_underflow 0
		.amdhsa_exception_fp_ieee_inexact 0
		.amdhsa_exception_int_div_zero 0
	.end_amdhsa_kernel
	.section	.text._ZN4vllm25paged_attention_v1_kernelIffLi32ELi8ELi128ELNS_18Fp8KVCacheDataTypeE0ELb1EEEvPT_PKS2_PKT0_S8_ifPKiSA_iPKfiiiSC_SC_iiiii,"axG",@progbits,_ZN4vllm25paged_attention_v1_kernelIffLi32ELi8ELi128ELNS_18Fp8KVCacheDataTypeE0ELb1EEEvPT_PKS2_PKT0_S8_ifPKiSA_iPKfiiiSC_SC_iiiii,comdat
.Lfunc_end0:
	.size	_ZN4vllm25paged_attention_v1_kernelIffLi32ELi8ELi128ELNS_18Fp8KVCacheDataTypeE0ELb1EEEvPT_PKS2_PKT0_S8_ifPKiSA_iPKfiiiSC_SC_iiiii, .Lfunc_end0-_ZN4vllm25paged_attention_v1_kernelIffLi32ELi8ELi128ELNS_18Fp8KVCacheDataTypeE0ELb1EEEvPT_PKS2_PKT0_S8_ifPKiSA_iPKfiiiSC_SC_iiiii
                                        ; -- End function
	.set _ZN4vllm25paged_attention_v1_kernelIffLi32ELi8ELi128ELNS_18Fp8KVCacheDataTypeE0ELb1EEEvPT_PKS2_PKT0_S8_ifPKiSA_iPKfiiiSC_SC_iiiii.num_vgpr, 34
	.set _ZN4vllm25paged_attention_v1_kernelIffLi32ELi8ELi128ELNS_18Fp8KVCacheDataTypeE0ELb1EEEvPT_PKS2_PKT0_S8_ifPKiSA_iPKfiiiSC_SC_iiiii.num_agpr, 0
	.set _ZN4vllm25paged_attention_v1_kernelIffLi32ELi8ELi128ELNS_18Fp8KVCacheDataTypeE0ELb1EEEvPT_PKS2_PKT0_S8_ifPKiSA_iPKfiiiSC_SC_iiiii.numbered_sgpr, 44
	.set _ZN4vllm25paged_attention_v1_kernelIffLi32ELi8ELi128ELNS_18Fp8KVCacheDataTypeE0ELb1EEEvPT_PKS2_PKT0_S8_ifPKiSA_iPKfiiiSC_SC_iiiii.num_named_barrier, 0
	.set _ZN4vllm25paged_attention_v1_kernelIffLi32ELi8ELi128ELNS_18Fp8KVCacheDataTypeE0ELb1EEEvPT_PKS2_PKT0_S8_ifPKiSA_iPKfiiiSC_SC_iiiii.private_seg_size, 0
	.set _ZN4vllm25paged_attention_v1_kernelIffLi32ELi8ELi128ELNS_18Fp8KVCacheDataTypeE0ELb1EEEvPT_PKS2_PKT0_S8_ifPKiSA_iPKfiiiSC_SC_iiiii.uses_vcc, 1
	.set _ZN4vllm25paged_attention_v1_kernelIffLi32ELi8ELi128ELNS_18Fp8KVCacheDataTypeE0ELb1EEEvPT_PKS2_PKT0_S8_ifPKiSA_iPKfiiiSC_SC_iiiii.uses_flat_scratch, 0
	.set _ZN4vllm25paged_attention_v1_kernelIffLi32ELi8ELi128ELNS_18Fp8KVCacheDataTypeE0ELb1EEEvPT_PKS2_PKT0_S8_ifPKiSA_iPKfiiiSC_SC_iiiii.has_dyn_sized_stack, 0
	.set _ZN4vllm25paged_attention_v1_kernelIffLi32ELi8ELi128ELNS_18Fp8KVCacheDataTypeE0ELb1EEEvPT_PKS2_PKT0_S8_ifPKiSA_iPKfiiiSC_SC_iiiii.has_recursion, 0
	.set _ZN4vllm25paged_attention_v1_kernelIffLi32ELi8ELi128ELNS_18Fp8KVCacheDataTypeE0ELb1EEEvPT_PKS2_PKT0_S8_ifPKiSA_iPKfiiiSC_SC_iiiii.has_indirect_call, 0
	.section	.AMDGPU.csdata,"",@progbits
; Kernel info:
; codeLenInByte = 3724
; TotalNumSgprs: 50
; NumVgprs: 34
; NumAgprs: 0
; TotalNumVgprs: 34
; ScratchSize: 0
; MemoryBound: 0
; FloatMode: 240
; IeeeMode: 1
; LDSByteSize: 144 bytes/workgroup (compile time only)
; SGPRBlocks: 6
; VGPRBlocks: 4
; NumSGPRsForWavesPerEU: 50
; NumVGPRsForWavesPerEU: 34
; AccumOffset: 36
; Occupancy: 8
; WaveLimiterHint : 1
; COMPUTE_PGM_RSRC2:SCRATCH_EN: 0
; COMPUTE_PGM_RSRC2:USER_SGPR: 2
; COMPUTE_PGM_RSRC2:TRAP_HANDLER: 0
; COMPUTE_PGM_RSRC2:TGID_X_EN: 1
; COMPUTE_PGM_RSRC2:TGID_Y_EN: 1
; COMPUTE_PGM_RSRC2:TGID_Z_EN: 1
; COMPUTE_PGM_RSRC2:TIDIG_COMP_CNT: 0
; COMPUTE_PGM_RSRC3_GFX90A:ACCUM_OFFSET: 8
; COMPUTE_PGM_RSRC3_GFX90A:TG_SPLIT: 0
	.section	.text._ZN4vllm25paged_attention_v1_kernelIffLi64ELi8ELi128ELNS_18Fp8KVCacheDataTypeE0ELb1EEEvPT_PKS2_PKT0_S8_ifPKiSA_iPKfiiiSC_SC_iiiii,"axG",@progbits,_ZN4vllm25paged_attention_v1_kernelIffLi64ELi8ELi128ELNS_18Fp8KVCacheDataTypeE0ELb1EEEvPT_PKS2_PKT0_S8_ifPKiSA_iPKfiiiSC_SC_iiiii,comdat
	.protected	_ZN4vllm25paged_attention_v1_kernelIffLi64ELi8ELi128ELNS_18Fp8KVCacheDataTypeE0ELb1EEEvPT_PKS2_PKT0_S8_ifPKiSA_iPKfiiiSC_SC_iiiii ; -- Begin function _ZN4vllm25paged_attention_v1_kernelIffLi64ELi8ELi128ELNS_18Fp8KVCacheDataTypeE0ELb1EEEvPT_PKS2_PKT0_S8_ifPKiSA_iPKfiiiSC_SC_iiiii
	.globl	_ZN4vllm25paged_attention_v1_kernelIffLi64ELi8ELi128ELNS_18Fp8KVCacheDataTypeE0ELb1EEEvPT_PKS2_PKT0_S8_ifPKiSA_iPKfiiiSC_SC_iiiii
	.p2align	8
	.type	_ZN4vllm25paged_attention_v1_kernelIffLi64ELi8ELi128ELNS_18Fp8KVCacheDataTypeE0ELb1EEEvPT_PKS2_PKT0_S8_ifPKiSA_iPKfiiiSC_SC_iiiii,@function
_ZN4vllm25paged_attention_v1_kernelIffLi64ELi8ELi128ELNS_18Fp8KVCacheDataTypeE0ELb1EEEvPT_PKS2_PKT0_S8_ifPKiSA_iPKfiiiSC_SC_iiiii: ; @_ZN4vllm25paged_attention_v1_kernelIffLi64ELi8ELi128ELNS_18Fp8KVCacheDataTypeE0ELb1EEEvPT_PKS2_PKT0_S8_ifPKiSA_iPKfiiiSC_SC_iiiii
; %bb.0:
	s_load_dword s5, s[0:1], 0x80
	s_load_dwordx2 s[6:7], s[0:1], 0x30
	s_load_dwordx2 s[34:35], s[0:1], 0x20
	s_mov_b32 s20, s3
	s_ashr_i32 s21, s3, 31
	s_lshl_b64 s[8:9], s[20:21], 2
	s_waitcnt lgkmcnt(0)
	s_add_u32 s6, s6, s8
	s_addc_u32 s7, s7, s9
	s_abs_i32 s3, s34
	v_cvt_f32_u32_e32 v1, s3
	s_sub_i32 s10, 0, s3
	s_abs_i32 s9, s5
	s_xor_b32 s8, s5, s34
	v_rcp_iflag_f32_e32 v1, v1
	s_ashr_i32 s8, s8, 31
	s_mov_b32 s44, 0
	v_mul_f32_e32 v1, 0x4f7ffffe, v1
	v_cvt_u32_f32_e32 v1, v1
	s_nop 0
	v_readfirstlane_b32 s11, v1
	s_mul_i32 s10, s10, s11
	s_mul_hi_u32 s10, s11, s10
	s_add_i32 s11, s11, s10
	s_mul_hi_u32 s10, s9, s11
	s_mul_i32 s11, s10, s3
	s_sub_i32 s9, s9, s11
	s_add_i32 s11, s10, 1
	s_sub_i32 s12, s9, s3
	s_cmp_ge_u32 s9, s3
	s_cselect_b32 s10, s11, s10
	s_cselect_b32 s9, s12, s9
	s_add_i32 s11, s10, 1
	s_cmp_ge_u32 s9, s3
	s_cselect_b32 s3, s11, s10
	s_xor_b32 s3, s3, s8
	s_sub_i32 s12, s3, s8
	s_abs_i32 s10, s12
	v_cvt_f32_u32_e32 v1, s10
	s_load_dwordx2 s[8:9], s[0:1], 0x40
	s_sub_i32 s3, 0, s10
	s_abs_i32 s11, s2
	v_rcp_iflag_f32_e32 v1, v1
	s_nop 0
	v_mul_f32_e32 v1, 0x4f7ffffe, v1
	v_cvt_u32_f32_e32 v1, v1
	s_nop 0
	v_readfirstlane_b32 s13, v1
	s_mul_i32 s3, s3, s13
	s_mul_hi_u32 s3, s13, s3
	s_add_i32 s13, s13, s3
	s_waitcnt lgkmcnt(0)
	s_cmp_eq_u64 s[8:9], 0
	s_mul_hi_u32 s24, s11, s13
	s_cbranch_scc1 .LBB1_2
; %bb.1:
	s_ashr_i32 s3, s2, 31
	s_lshl_b64 s[14:15], s[2:3], 2
	s_add_u32 s8, s8, s14
	s_addc_u32 s9, s9, s15
	s_load_dword s44, s[8:9], 0x0
.LBB1_2:
	s_load_dword s21, s[6:7], 0x0
	s_ashr_i32 s26, s12, 31
	s_load_dwordx4 s[12:15], s[0:1], 0x48
	s_ashr_i32 s25, s2, 31
	v_and_b32_e32 v2, 7, v0
	s_lshl_b32 s22, s2, 6
	v_cmp_gt_u32_e64 s[8:9], 64, v0
	v_lshlrev_b32_e32 v6, 2, v0
	v_lshrrev_b32_e32 v1, 1, v0
	s_and_saveexec_b64 s[6:7], s[8:9]
	s_cbranch_execz .LBB1_4
; %bb.3:
	s_load_dwordx2 s[16:17], s[0:1], 0x8
	s_waitcnt lgkmcnt(0)
	s_mul_i32 s18, s12, s20
	s_ashr_i32 s19, s18, 31
	s_lshl_b64 s[18:19], s[18:19], 2
	v_and_b32_e32 v4, 0x1fc, v1
	s_add_u32 s3, s16, s18
	s_addc_u32 s12, s17, s19
	s_ashr_i32 s23, s22, 31
	s_lshl_b64 s[16:17], s[22:23], 2
	s_add_u32 s16, s3, s16
	s_addc_u32 s17, s12, s17
	global_load_dword v3, v6, s[16:17]
	v_lshl_add_u32 v4, v2, 5, v4
	s_waitcnt vmcnt(0)
	ds_write_b32 v4, v3
.LBB1_4:
	s_or_b64 exec, exec, s[6:7]
	s_mul_i32 s7, s24, s10
	s_sub_i32 s7, s11, s7
	s_xor_b32 s6, s25, s26
	s_add_i32 s11, s24, 1
	s_waitcnt lgkmcnt(0)
	s_sub_i32 s12, s7, s10
	s_load_dwordx4 s[16:19], s[0:1], 0x68
	s_load_dword s3, s[0:1], 0x78
	s_cmp_ge_u32 s7, s10
	s_cselect_b32 s11, s11, s24
	s_cselect_b32 s7, s12, s7
	s_add_i32 s12, s11, 1
	s_cmp_ge_u32 s7, s10
	s_cselect_b32 s7, s12, s11
	s_waitcnt lgkmcnt(0)
	s_abs_i32 s23, s19
	v_cvt_f32_u32_e32 v3, s23
	s_xor_b32 s7, s7, s6
	s_sub_i32 s10, s7, s6
	s_sub_i32 s6, 0, s23
	v_rcp_iflag_f32_e32 v3, v3
	s_add_i32 s15, s21, -1
	s_abs_i32 s11, s15
	v_mul_f32_e32 v3, 0x4f7ffffe, v3
	v_cvt_u32_f32_e32 v3, v3
	s_barrier
	v_readfirstlane_b32 s33, v3
	s_mul_i32 s6, s6, s33
	s_mul_hi_u32 s6, s33, s6
	s_add_i32 s33, s33, s6
	s_cmp_lt_i32 s3, 0
	s_mul_hi_u32 s12, s11, s33
	s_cbranch_scc0 .LBB1_6
; %bb.5:
	s_mul_i32 s6, s16, s34
	s_add_i32 s6, s10, s6
	s_mul_i32 s6, s6, s3
	s_sub_i32 s42, 1, s6
	s_mov_b64 s[6:7], 0
	s_branch .LBB1_7
.LBB1_6:
	s_mov_b64 s[6:7], -1
                                        ; implicit-def: $sgpr42
.LBB1_7:
	s_load_dwordx2 s[26:27], s[0:1], 0x28
	s_ashr_i32 s15, s15, 31
	s_andn2_b64 vcc, exec, s[6:7]
	s_ashr_i32 s19, s19, 31
	s_cbranch_vccnz .LBB1_9
; %bb.8:
	s_mul_i32 s6, s5, s16
	s_add_i32 s2, s6, s2
	s_mul_i32 s2, s2, s3
	s_add_i32 s42, s2, 1
.LBB1_9:
	s_load_dword s2, s[0:1], 0x38
	s_load_dwordx2 s[24:25], s[0:1], 0x0
	s_load_dwordx2 s[30:31], s[0:1], 0x18
	s_load_dword s16, s[0:1], 0x88
	s_xor_b32 s3, s15, s19
	s_waitcnt lgkmcnt(0)
	s_mul_i32 s28, s2, s20
	s_mul_i32 s2, s12, s23
	s_sub_i32 s2, s11, s2
	s_ashr_i32 s29, s28, 31
	s_add_i32 s6, s12, 1
	s_sub_i32 s7, s2, s23
	s_cmp_ge_u32 s2, s23
	s_cselect_b32 s6, s6, s12
	s_cselect_b32 s2, s7, s2
	s_add_i32 s7, s6, 1
	s_cmp_ge_u32 s2, s23
	s_cselect_b32 s2, s7, s6
	s_xor_b32 s2, s2, s3
	s_sub_i32 s12, s2, s3
	s_add_i32 s2, s21, 7
	s_ashr_i32 s3, s2, 31
	s_lshr_b32 s3, s3, 29
	s_add_i32 s2, s2, s3
	s_ashr_i32 s43, s2, 3
	v_lshrrev_b32_e32 v20, 6, v0
	v_cmp_gt_i32_e64 s[2:3], s43, v20
	v_mov_b32_e32 v11, 0xff7fffff
	s_mul_i32 s14, s10, s14
	v_lshrrev_b32_e32 v7, 4, v0
	v_lshlrev_b32_e32 v21, 3, v20
	v_mbcnt_lo_u32_b32 v8, -1, 0
	s_and_saveexec_b64 s[36:37], s[2:3]
	s_cbranch_execz .LBB1_21
; %bb.10:
	s_load_dwordx2 s[0:1], s[0:1], 0x10
	s_ashr_i32 s15, s14, 31
	s_sub_i32 s34, s12, s17
	s_lshl_b64 s[6:7], s[14:15], 2
	v_bfe_u32 v9, v0, 3, 3
	s_waitcnt lgkmcnt(0)
	s_add_u32 s0, s0, s6
	s_addc_u32 s1, s1, s7
	s_abs_i32 s15, s18
	v_cvt_f32_u32_e32 v3, s15
	v_lshlrev_b32_e32 v4, 4, v9
	v_mov_b32_e32 v5, 0
	v_lshl_add_u64 v[10:11], s[0:1], 0, v[4:5]
	v_rcp_iflag_f32_e32 v3, v3
	v_and_b32_e32 v4, 3, v0
	v_lshlrev_b32_e32 v4, 2, v4
	v_lshl_add_u64 v[12:13], v[10:11], 0, v[4:5]
	v_mul_f32_e32 v3, 0x4f7ffffe, v3
	v_cvt_u32_f32_e32 v11, v3
	v_cmp_eq_u32_e32 vcc, 0, v2
	v_lshlrev_b32_e32 v10, 5, v2
	v_lshlrev_b32_e32 v2, 5, v0
	v_and_b32_e32 v4, 0x80, v2
	s_sub_i32 s6, 0, s15
	v_lshl_add_u64 v[2:3], v[12:13], 0, v[4:5]
	v_mul_lo_u32 v4, s6, v11
	v_mul_hi_u32 v4, v11, v4
	v_lshlrev_b32_e32 v15, 2, v9
	v_add_u32_e32 v12, v11, v4
	s_lshl_b64 s[6:7], s[28:29], 2
	v_subrev_u32_e32 v11, s21, v9
	s_add_u32 s6, s26, s6
	v_add_u32_e32 v14, 1, v11
	v_lshl_or_b32 v11, v20, 5, v15
	v_mbcnt_hi_u32_b32 v17, -1, v8
	v_and_b32_e32 v4, 60, v7
	s_addc_u32 s7, s27, s7
	v_add_u32_e32 v15, 0x110, v11
	v_and_b32_e32 v11, 64, v17
	s_mov_b32 s45, s13
	v_cmp_neq_f32_e64 s[0:1], s44, 0
	v_lshl_add_u64 v[4:5], s[6:7], 0, v[4:5]
	v_lshlrev_b32_e32 v13, 3, v20
	v_mov_b32_e32 v16, 0xff7fffff
	s_mov_b64 s[38:39], 0
	v_add_u32_e32 v18, 64, v11
	v_xor_b32_e32 v19, 4, v17
	v_xor_b32_e32 v22, 2, v17
	;; [unrolled: 1-line block ×3, first 2 shown]
	v_mov_b32_e32 v11, 0xff7fffff
	v_mov_b32_e32 v24, v20
	s_branch .LBB1_13
.LBB1_11:                               ;   in Loop: Header=BB1_13 Depth=1
	s_or_b64 exec, exec, s[40:41]
.LBB1_12:                               ;   in Loop: Header=BB1_13 Depth=1
	s_or_b64 exec, exec, s[10:11]
	v_add_u32_e32 v24, 2, v24
	v_cmp_le_i32_e64 s[6:7], s43, v24
	v_lshl_add_u64 v[4:5], v[4:5], 0, 8
	v_add_u32_e32 v13, 16, v13
	s_or_b64 s[38:39], s[6:7], s[38:39]
	v_add_u32_e32 v15, 64, v15
	s_andn2_b64 exec, exec, s[38:39]
	s_cbranch_execz .LBB1_20
.LBB1_13:                               ; =>This Inner Loop Header: Depth=1
	v_mul_hi_u32 v25, v13, s33
	s_waitcnt lgkmcnt(0)
	v_mul_lo_u32 v26, v25, s23
	v_sub_u32_e32 v26, v13, v26
	v_add_u32_e32 v27, 1, v25
	v_cmp_le_u32_e64 s[6:7], s23, v26
	s_nop 1
	v_cndmask_b32_e64 v25, v25, v27, s[6:7]
	v_subrev_u32_e32 v27, s23, v26
	v_cndmask_b32_e64 v26, v26, v27, s[6:7]
	v_add_u32_e32 v27, 1, v25
	v_cmp_le_u32_e64 s[6:7], s23, v26
	s_nop 1
	v_cndmask_b32_e64 v25, v25, v27, s[6:7]
	v_xor_b32_e32 v25, s19, v25
	v_subrev_u32_e32 v25, s19, v25
	v_add_u32_e32 v26, s42, v25
	v_sub_u32_e32 v28, 0, v26
	v_ashrrev_i32_e32 v27, 31, v26
	v_max_i32_e32 v26, v26, v28
	v_mul_hi_u32 v28, v26, v12
	v_mul_lo_u32 v28, v28, s15
	v_sub_u32_e32 v26, v26, v28
	v_subrev_u32_e32 v28, s15, v26
	v_cmp_le_u32_e64 s[6:7], s15, v26
	v_cmp_ge_i32_e64 s[10:11], s34, v25
	s_nop 0
	v_cndmask_b32_e64 v26, v26, v28, s[6:7]
	v_subrev_u32_e32 v28, s15, v26
	v_cmp_le_u32_e64 s[6:7], s15, v26
	s_nop 1
	v_cndmask_b32_e64 v26, v26, v28, s[6:7]
	v_xor_b32_e32 v26, v26, v27
	v_sub_u32_e32 v26, v26, v27
	v_cmp_ne_u32_e64 s[6:7], 0, v26
	s_and_b64 s[6:7], s[6:7], s[10:11]
	s_and_saveexec_b64 s[10:11], s[6:7]
	s_xor_b64 s[6:7], exec, s[10:11]
	s_cbranch_execz .LBB1_17
; %bb.14:                               ;   in Loop: Header=BB1_13 Depth=1
	s_and_saveexec_b64 s[10:11], vcc
; %bb.15:                               ;   in Loop: Header=BB1_13 Depth=1
	ds_write_b32 v15, v16
; %bb.16:                               ;   in Loop: Header=BB1_13 Depth=1
	s_or_b64 exec, exec, s[10:11]
.LBB1_17:                               ;   in Loop: Header=BB1_13 Depth=1
	s_andn2_saveexec_b64 s[10:11], s[6:7]
	s_cbranch_execz .LBB1_12
; %bb.18:                               ;   in Loop: Header=BB1_13 Depth=1
	global_load_dword v25, v[4:5], off
	s_waitcnt vmcnt(0)
	v_mad_i64_i32 v[26:27], s[6:7], v25, s45, 0
	v_lshl_add_u64 v[26:27], v[26:27], 2, v[2:3]
	global_load_dword v25, v[26:27], off offset:256
	global_load_dword v34, v[26:27], off
	global_load_dword v35, v[26:27], off offset:512
	global_load_dword v36, v[26:27], off offset:768
	;; [unrolled: 1-line block ×6, first 2 shown]
	ds_read_b128 v[26:29], v10
	ds_read_b128 v[30:33], v10 offset:16
	v_cmp_lt_i32_e64 s[6:7], v19, v18
	s_waitcnt vmcnt(7) lgkmcnt(1)
	v_mul_f32_e32 v25, v27, v25
	s_waitcnt vmcnt(6)
	v_fmac_f32_e32 v25, v26, v34
	s_waitcnt vmcnt(5)
	v_fmac_f32_e32 v25, v28, v35
	;; [unrolled: 2-line block ×3, first 2 shown]
	s_waitcnt vmcnt(3) lgkmcnt(0)
	v_fmac_f32_e32 v25, v30, v37
	s_waitcnt vmcnt(2)
	v_fmac_f32_e32 v25, v31, v38
	v_cndmask_b32_e64 v41, v17, v19, s[6:7]
	s_waitcnt vmcnt(1)
	v_fmac_f32_e32 v25, v32, v39
	v_lshlrev_b32_e32 v41, 2, v41
	s_waitcnt vmcnt(0)
	v_fmac_f32_e32 v25, v33, v40
	ds_bpermute_b32 v26, v41, v25
	v_cmp_lt_i32_e64 s[6:7], v22, v18
	s_waitcnt lgkmcnt(0)
	v_add_f32_e32 v25, v25, v26
	v_cndmask_b32_e64 v27, v17, v22, s[6:7]
	v_lshlrev_b32_e32 v27, 2, v27
	ds_bpermute_b32 v26, v27, v25
	v_cmp_lt_i32_e64 s[6:7], v23, v18
	s_waitcnt lgkmcnt(0)
	v_add_f32_e32 v25, v25, v26
	v_cndmask_b32_e64 v27, v17, v23, s[6:7]
	v_lshlrev_b32_e32 v27, 2, v27
	ds_bpermute_b32 v26, v27, v25
	s_and_saveexec_b64 s[40:41], vcc
	s_cbranch_execz .LBB1_11
; %bb.19:                               ;   in Loop: Header=BB1_13 Depth=1
	v_add_u32_e32 v27, v14, v13
	v_cvt_f32_i32_e32 v27, v27
	s_waitcnt lgkmcnt(0)
	v_add_f32_e32 v25, v25, v26
	v_add_u32_e32 v28, v9, v13
	v_cmp_gt_i32_e64 s[6:7], s21, v28
	v_mul_f32_e32 v26, s44, v27
	v_cndmask_b32_e64 v26, 0, v26, s[0:1]
	v_fmac_f32_e32 v26, s35, v25
	v_cndmask_b32_e64 v25, 0, v26, s[6:7]
	ds_write_b32 v15, v25
	v_max_f32_e32 v25, v11, v11
	v_max_f32_e32 v25, v25, v26
	v_cndmask_b32_e64 v11, v11, v25, s[6:7]
	s_branch .LBB1_11
.LBB1_20:
	s_or_b64 exec, exec, s[38:39]
.LBB1_21:
	s_or_b64 exec, exec, s[36:37]
	v_mbcnt_hi_u32_b32 v2, -1, v8
	v_and_b32_e32 v12, 64, v2
	v_add_u32_e32 v3, 64, v12
	v_xor_b32_e32 v4, 32, v2
	v_cmp_lt_i32_e32 vcc, v4, v3
	v_xor_b32_e32 v9, 16, v2
	v_max_f32_e32 v8, v11, v11
	v_cndmask_b32_e32 v4, v2, v4, vcc
	v_lshlrev_b32_e32 v5, 2, v4
	ds_bpermute_b32 v4, v5, v11
	v_cmp_lt_i32_e32 vcc, v9, v3
	v_xor_b32_e32 v10, 8, v2
	v_and_b32_e32 v22, 63, v0
	s_waitcnt lgkmcnt(0)
	v_max_f32_e32 v4, v4, v4
	v_max_f32_e32 v4, v8, v4
	v_cndmask_b32_e32 v8, v2, v9, vcc
	v_lshlrev_b32_e32 v9, 2, v8
	ds_bpermute_b32 v8, v9, v4
	v_cmp_lt_i32_e32 vcc, v10, v3
	s_waitcnt lgkmcnt(0)
	v_max_f32_e32 v8, v8, v8
	v_max_f32_e32 v8, v4, v8
	v_cndmask_b32_e32 v4, v2, v10, vcc
	v_lshlrev_b32_e32 v10, 2, v4
	ds_bpermute_b32 v11, v10, v8
	v_cmp_eq_u32_e32 vcc, 0, v22
	v_lshlrev_b32_e32 v4, 2, v20
	s_and_saveexec_b64 s[0:1], vcc
	s_cbranch_execz .LBB1_23
; %bb.22:
	s_waitcnt lgkmcnt(0)
	v_max_f32_e32 v11, v11, v11
	v_max_f32_e32 v8, v8, v8
	;; [unrolled: 1-line block ×3, first 2 shown]
	ds_write_b32 v4, v8 offset:256
.LBB1_23:
	s_or_b64 exec, exec, s[0:1]
	v_cmp_gt_u32_e64 s[0:1], 2, v22
	s_waitcnt lgkmcnt(0)
	v_mov_b32_e32 v11, 0xff7fffff
	v_lshlrev_b32_e32 v8, 2, v22
	s_barrier
	s_and_saveexec_b64 s[6:7], s[0:1]
; %bb.24:
	ds_read_b32 v11, v8 offset:256
; %bb.25:
	s_or_b64 exec, exec, s[6:7]
	v_xor_b32_e32 v13, 1, v2
	v_cmp_lt_i32_e64 s[6:7], v13, v3
	v_lshlrev_b32_e32 v12, 2, v12
	s_nop 0
	v_cndmask_b32_e64 v13, v2, v13, s[6:7]
	v_lshlrev_b32_e32 v23, 2, v13
	s_waitcnt lgkmcnt(0)
	ds_bpermute_b32 v13, v23, v11
	v_max_f32_e32 v11, v11, v11
	s_lshl_b32 s6, s43, 3
	s_min_i32 s15, s6, s21
	v_cmp_gt_i32_e64 s[6:7], s15, v0
	s_waitcnt lgkmcnt(0)
	v_max_f32_e32 v13, v13, v13
	v_max_f32_e32 v11, v11, v13
	ds_bpermute_b32 v12, v12, v11
	v_mov_b32_e32 v11, 0
	s_and_saveexec_b64 s[34:35], s[6:7]
	s_cbranch_execz .LBB1_29
; %bb.26:
	v_mov_b32_e32 v11, 0x110
	v_lshl_add_u32 v13, v0, 2, v11
	v_mov_b32_e32 v11, 0
	s_mov_b64 s[36:37], 0
	v_mov_b32_e32 v14, v0
.LBB1_27:                               ; =>This Inner Loop Header: Depth=1
	ds_read_b32 v15, v13
	v_add_u32_e32 v14, 0x80, v14
	v_cmp_le_i32_e64 s[10:11], s15, v14
	s_or_b64 s[36:37], s[10:11], s[36:37]
	s_waitcnt lgkmcnt(0)
	v_sub_f32_e32 v15, v15, v12
	v_mul_f32_e32 v15, 0x3fb8aa3b, v15
	v_exp_f32_e32 v15, v15
	ds_write_b32 v13, v15
	v_add_f32_e32 v11, v11, v15
	v_add_u32_e32 v13, 0x200, v13
	s_andn2_b64 exec, exec, s[36:37]
	s_cbranch_execnz .LBB1_27
; %bb.28:
	s_or_b64 exec, exec, s[36:37]
.LBB1_29:
	s_or_b64 exec, exec, s[34:35]
	ds_bpermute_b32 v5, v5, v11
	s_waitcnt lgkmcnt(0)
	v_add_f32_e32 v5, v11, v5
	ds_bpermute_b32 v9, v9, v5
	s_waitcnt lgkmcnt(0)
	v_add_f32_e32 v5, v5, v9
	ds_bpermute_b32 v9, v10, v5
	v_xor_b32_e32 v10, 4, v2
	v_cmp_lt_i32_e64 s[10:11], v10, v3
	s_waitcnt lgkmcnt(0)
	v_add_f32_e32 v5, v5, v9
	v_cndmask_b32_e64 v10, v2, v10, s[10:11]
	v_lshlrev_b32_e32 v10, 2, v10
	ds_bpermute_b32 v9, v10, v5
	v_xor_b32_e32 v10, 2, v2
	v_cmp_lt_i32_e64 s[10:11], v10, v3
	s_waitcnt lgkmcnt(0)
	v_add_f32_e32 v5, v5, v9
	v_cndmask_b32_e64 v3, v2, v10, s[10:11]
	v_lshlrev_b32_e32 v3, 2, v3
	ds_bpermute_b32 v3, v3, v5
	s_waitcnt lgkmcnt(0)
	v_add_f32_e32 v3, v5, v3
	ds_bpermute_b32 v5, v23, v3
	s_waitcnt lgkmcnt(0)
	v_add_f32_e32 v3, v3, v5
	s_and_saveexec_b64 s[10:11], vcc
; %bb.30:
	ds_write_b32 v4, v3 offset:264
; %bb.31:
	s_or_b64 exec, exec, s[10:11]
	s_waitcnt lgkmcnt(0)
	s_barrier
	s_and_saveexec_b64 s[10:11], s[0:1]
; %bb.32:
	ds_read_b32 v3, v8 offset:264
; %bb.33:
	s_or_b64 exec, exec, s[10:11]
	s_waitcnt lgkmcnt(0)
	ds_bpermute_b32 v4, v23, v3
	v_lshlrev_b32_e32 v2, 2, v2
	v_and_b32_e32 v2, 0x100, v2
	s_waitcnt lgkmcnt(0)
	v_add_f32_e32 v3, v3, v4
	ds_bpermute_b32 v2, v2, v3
	s_and_saveexec_b64 s[0:1], s[6:7]
	s_cbranch_execz .LBB1_46
; %bb.34:
	s_waitcnt lgkmcnt(0)
	v_add_f32_e32 v2, 0x358637bd, v2
	v_div_scale_f32 v3, s[6:7], v2, v2, 1.0
	v_rcp_f32_e32 v4, v3
	v_div_scale_f32 v5, vcc, 1.0, v2, 1.0
	s_movk_i32 s6, 0x7f
	v_fma_f32 v8, -v3, v4, 1.0
	v_fmac_f32_e32 v4, v8, v4
	v_mul_f32_e32 v8, v5, v4
	v_fma_f32 v9, -v3, v8, v5
	v_fmac_f32_e32 v8, v9, v4
	v_fma_f32 v3, -v3, v8, v5
	v_div_fmas_f32 v3, v3, v4, v8
	v_xad_u32 v4, v0, -1, s15
	v_div_fixup_f32 v2, v3, v2, 1.0
	v_cmp_lt_u32_e32 vcc, s6, v4
	s_mov_b64 s[10:11], -1
	v_mov_b32_e32 v3, v0
	s_and_saveexec_b64 s[6:7], vcc
	s_cbranch_execz .LBB1_43
; %bb.35:
	v_lshrrev_b32_e32 v4, 7, v4
	v_add_u32_e32 v8, -1, v4
	v_lshrrev_b32_e32 v5, 1, v8
	v_mov_b32_e32 v3, v2
	v_add_u32_e32 v5, 1, v5
	v_cmp_lt_u32_e32 vcc, 13, v8
	v_mov_b32_e32 v10, 0
	s_and_saveexec_b64 s[10:11], vcc
	s_cbranch_execz .LBB1_39
; %bb.36:
	v_mov_b32_e32 v9, 0x110
	v_and_b32_e32 v8, -8, v5
	v_lshl_add_u32 v9, v0, 2, v9
	s_mov_b32 s36, 0
	s_mov_b64 s[34:35], 0
.LBB1_37:                               ; =>This Inner Loop Header: Depth=1
	ds_read2st64_b32 v[10:11], v9 offset1:2
	ds_read2st64_b32 v[12:13], v9 offset0:4 offset1:6
	ds_read2st64_b32 v[14:15], v9 offset0:8 offset1:10
	;; [unrolled: 1-line block ×3, first 2 shown]
	v_add_u32_e32 v8, -8, v8
	s_waitcnt lgkmcnt(3)
	v_pk_mul_f32 v[10:11], v[2:3], v[10:11]
	s_waitcnt lgkmcnt(2)
	v_pk_mul_f32 v[12:13], v[2:3], v[12:13]
	ds_write2st64_b32 v9, v10, v11 offset1:2
	ds_write2st64_b32 v9, v12, v13 offset0:4 offset1:6
	ds_read2st64_b32 v[12:13], v9 offset0:16 offset1:18
	s_waitcnt lgkmcnt(4)
	v_pk_mul_f32 v[10:11], v[2:3], v[14:15]
	ds_write2st64_b32 v9, v10, v11 offset0:8 offset1:10
	s_waitcnt lgkmcnt(4)
	v_pk_mul_f32 v[10:11], v[2:3], v[16:17]
	ds_write2st64_b32 v9, v10, v11 offset0:12 offset1:14
	ds_read2st64_b32 v[10:11], v9 offset0:20 offset1:22
	s_waitcnt lgkmcnt(3)
	v_pk_mul_f32 v[12:13], v[2:3], v[12:13]
	ds_read2st64_b32 v[14:15], v9 offset0:24 offset1:26
	ds_write2st64_b32 v9, v12, v13 offset0:16 offset1:18
	ds_read2st64_b32 v[12:13], v9 offset0:28 offset1:30
	s_waitcnt lgkmcnt(3)
	v_pk_mul_f32 v[10:11], v[2:3], v[10:11]
	ds_write2st64_b32 v9, v10, v11 offset0:20 offset1:22
	s_waitcnt lgkmcnt(3)
	v_pk_mul_f32 v[10:11], v[2:3], v[14:15]
	ds_write2st64_b32 v9, v10, v11 offset0:24 offset1:26
	s_waitcnt lgkmcnt(2)
	v_pk_mul_f32 v[10:11], v[2:3], v[12:13]
	s_add_i32 s36, s36, 16
	v_cmp_eq_u32_e32 vcc, 0, v8
	ds_write2st64_b32 v9, v10, v11 offset0:28 offset1:30
	v_add_u32_e32 v9, 0x2000, v9
	s_or_b64 s[34:35], vcc, s[34:35]
	v_mov_b32_e32 v10, s36
	s_andn2_b64 exec, exec, s[34:35]
	s_cbranch_execnz .LBB1_37
; %bb.38:
	s_or_b64 exec, exec, s[34:35]
.LBB1_39:
	s_or_b64 exec, exec, s[10:11]
	v_and_b32_e32 v5, 7, v5
	v_cmp_ne_u32_e32 vcc, 0, v5
	s_and_saveexec_b64 s[10:11], vcc
	s_cbranch_execz .LBB1_42
; %bb.40:
	v_lshlrev_b32_e32 v8, 9, v10
	s_movk_i32 s34, 0x110
	v_add3_u32 v8, v8, v6, s34
	s_mov_b64 s[34:35], 0
.LBB1_41:                               ; =>This Inner Loop Header: Depth=1
	ds_read2st64_b32 v[10:11], v8 offset1:2
	v_add_u32_e32 v5, -1, v5
	v_cmp_eq_u32_e32 vcc, 0, v5
	s_or_b64 s[34:35], vcc, s[34:35]
	s_waitcnt lgkmcnt(0)
	v_pk_mul_f32 v[10:11], v[2:3], v[10:11]
	ds_write2st64_b32 v8, v10, v11 offset1:2
	v_add_u32_e32 v8, 0x400, v8
	s_andn2_b64 exec, exec, s[34:35]
	s_cbranch_execnz .LBB1_41
.LBB1_42:
	s_or_b64 exec, exec, s[10:11]
	v_add_u32_e32 v4, 1, v4
	v_and_b32_e32 v5, 0x3fffffe, v4
	v_cmp_ne_u32_e32 vcc, v4, v5
	v_lshl_add_u32 v3, v5, 7, v0
	s_orn2_b64 s[10:11], vcc, exec
.LBB1_43:
	s_or_b64 exec, exec, s[6:7]
	s_and_b64 exec, exec, s[10:11]
	s_cbranch_execz .LBB1_46
; %bb.44:
	v_mov_b32_e32 v4, 0x110
	v_lshl_add_u32 v4, v3, 2, v4
	s_mov_b64 s[6:7], 0
.LBB1_45:                               ; =>This Inner Loop Header: Depth=1
	ds_read_b32 v5, v4
	v_add_u32_e32 v3, 0x80, v3
	v_cmp_le_i32_e32 vcc, s15, v3
	s_or_b64 s[6:7], vcc, s[6:7]
	s_waitcnt lgkmcnt(0)
	v_mul_f32_e32 v5, v2, v5
	ds_write_b32 v4, v5
	v_add_u32_e32 v4, 0x200, v4
	s_andn2_b64 exec, exec, s[6:7]
	s_cbranch_execnz .LBB1_45
.LBB1_46:
	s_or_b64 exec, exec, s[0:1]
	v_mov_b32_e32 v15, 0
	v_and_b32_e32 v24, 1, v0
	v_mov_b32_e32 v14, 0
	s_waitcnt lgkmcnt(0)
	s_barrier
	s_and_saveexec_b64 s[6:7], s[2:3]
	s_cbranch_execz .LBB1_56
; %bb.47:
	s_ashr_i32 s15, s14, 31
	s_sub_i32 s17, s12, s17
	s_lshl_b64 s[0:1], s[14:15], 2
	s_add_u32 s0, s30, s0
	s_addc_u32 s1, s31, s1
	s_abs_i32 s14, s18
	v_cvt_f32_u32_e32 v2, s14
	v_lshlrev_b32_e32 v3, 4, v0
	v_and_b32_e32 v14, 0x3f0, v3
	v_mov_b32_e32 v15, 0
	v_rcp_iflag_f32_e32 v2, v2
	v_lshl_add_u64 v[16:17], s[0:1], 0, v[14:15]
	s_sub_i32 s0, 0, s14
	s_add_i32 s18, s43, -1
	v_mul_f32_e32 v2, 0x4f7ffffe, v2
	v_cvt_u32_f32_e32 v2, v2
	v_and_b32_e32 v14, 60, v7
	v_and_b32_e32 v25, 4, v6
	s_mov_b32 s15, s13
	v_mul_lo_u32 v3, s0, v2
	v_mul_hi_u32 v3, v2, v3
	s_lshl_b64 s[0:1], s[28:29], 2
	v_add_u32_e32 v26, v2, v3
	s_add_u32 s0, s26, s0
	v_lshlrev_b32_e32 v2, 4, v24
	s_addc_u32 s1, s27, s1
	v_lshl_or_b32 v2, v20, 5, v2
	s_mov_b32 s30, s21
	v_lshl_add_u64 v[18:19], s[0:1], 0, v[14:15]
	v_add_u32_e32 v27, 0x110, v2
	s_mov_b64 s[2:3], 0
	v_mov_b32_e32 v14, v15
	s_branch .LBB1_50
.LBB1_48:                               ;   in Loop: Header=BB1_50 Depth=1
	s_or_b64 exec, exec, s[0:1]
	s_waitcnt vmcnt(1) lgkmcnt(0)
	v_mul_f32_e32 v6, v2, v6
	v_fmac_f32_e32 v6, v3, v7
	v_fmac_f32_e32 v6, v4, v8
	s_waitcnt vmcnt(0)
	v_pk_mul_f32 v[2:3], v[2:3], v[10:11]
	v_fmac_f32_e32 v6, v5, v9
	v_pk_mul_f32 v[4:5], v[4:5], v[12:13]
	v_add_f32_e32 v2, v3, v2
	v_add_f32_e32 v2, v4, v2
	;; [unrolled: 1-line block ×5, first 2 shown]
.LBB1_49:                               ;   in Loop: Header=BB1_50 Depth=1
	s_or_b64 exec, exec, s[10:11]
	v_add_u32_e32 v20, 2, v20
	v_cmp_le_i32_e32 vcc, s43, v20
	v_lshl_add_u64 v[18:19], v[18:19], 0, 8
	v_add_u32_e32 v21, 16, v21
	s_or_b64 s[2:3], vcc, s[2:3]
	v_add_u32_e32 v27, 64, v27
	s_andn2_b64 exec, exec, s[2:3]
	s_cbranch_execz .LBB1_55
.LBB1_50:                               ; =>This Inner Loop Header: Depth=1
	v_mul_hi_u32 v2, v21, s33
	v_mul_lo_u32 v3, v2, s23
	v_sub_u32_e32 v3, v21, v3
	v_add_u32_e32 v4, 1, v2
	v_cmp_le_u32_e32 vcc, s23, v3
	s_nop 1
	v_cndmask_b32_e32 v2, v2, v4, vcc
	v_subrev_u32_e32 v4, s23, v3
	v_cndmask_b32_e32 v3, v3, v4, vcc
	v_add_u32_e32 v4, 1, v2
	v_cmp_le_u32_e32 vcc, s23, v3
	s_nop 1
	v_cndmask_b32_e32 v2, v2, v4, vcc
	v_xor_b32_e32 v2, s19, v2
	v_subrev_u32_e32 v2, s19, v2
	v_add_u32_e32 v3, s42, v2
	v_sub_u32_e32 v5, 0, v3
	v_ashrrev_i32_e32 v4, 31, v3
	v_max_i32_e32 v3, v3, v5
	v_mul_hi_u32 v5, v3, v26
	v_mul_lo_u32 v5, v5, s14
	v_sub_u32_e32 v3, v3, v5
	v_subrev_u32_e32 v5, s14, v3
	v_cmp_le_u32_e32 vcc, s14, v3
	v_cmp_lt_i32_e64 s[0:1], s17, v2
	s_nop 0
	v_cndmask_b32_e32 v3, v3, v5, vcc
	v_subrev_u32_e32 v5, s14, v3
	v_cmp_le_u32_e32 vcc, s14, v3
	s_nop 1
	v_cndmask_b32_e32 v3, v3, v5, vcc
	v_xor_b32_e32 v3, v3, v4
	v_sub_u32_e32 v3, v3, v4
	v_cmp_eq_u32_e32 vcc, 0, v3
	s_or_b64 s[0:1], vcc, s[0:1]
	s_and_saveexec_b64 s[10:11], s[0:1]
	s_cbranch_execz .LBB1_49
; %bb.51:                               ;   in Loop: Header=BB1_50 Depth=1
	global_load_dword v2, v[18:19], off
	v_add_u32_e32 v28, v25, v21
	v_cmp_eq_u32_e32 vcc, s18, v20
	v_add_u32_e32 v31, 1, v28
	v_or_b32_e32 v30, 3, v28
	v_or_b32_e32 v29, 2, v28
	s_waitcnt vmcnt(0)
	v_mad_i64_i32 v[2:3], s[0:1], v2, s15, 0
	v_lshl_add_u64 v[10:11], v[2:3], 2, v[16:17]
	global_load_dwordx4 v[6:9], v[10:11], off
	ds_read_b128 v[2:5], v27
	s_and_saveexec_b64 s[12:13], vcc
	s_cbranch_execz .LBB1_53
; %bb.52:                               ;   in Loop: Header=BB1_50 Depth=1
	v_cmp_gt_i32_e64 s[0:1], s30, v31
	s_waitcnt vmcnt(0)
	s_nop 0
	v_cndmask_b32_e64 v7, 0, v7, s[0:1]
	v_cmp_gt_i32_e64 s[0:1], s21, v28
	s_nop 1
	v_cndmask_b32_e64 v6, 0, v6, s[0:1]
	v_cmp_gt_i32_e64 s[0:1], s30, v30
	;; [unrolled: 3-line block ×3, first 2 shown]
	s_nop 1
	v_cndmask_b32_e64 v8, 0, v8, s[0:1]
.LBB1_53:                               ;   in Loop: Header=BB1_50 Depth=1
	s_or_b64 exec, exec, s[12:13]
	global_load_dwordx4 v[10:13], v[10:11], off offset:1024
	s_and_saveexec_b64 s[0:1], vcc
	s_cbranch_execz .LBB1_48
; %bb.54:                               ;   in Loop: Header=BB1_50 Depth=1
	v_cmp_gt_i32_e32 vcc, s30, v31
	s_waitcnt vmcnt(0)
	s_nop 0
	v_cndmask_b32_e32 v11, 0, v11, vcc
	v_cmp_gt_i32_e32 vcc, s21, v28
	s_nop 1
	v_cndmask_b32_e32 v10, 0, v10, vcc
	v_cmp_gt_i32_e32 vcc, s30, v30
	;; [unrolled: 3-line block ×3, first 2 shown]
	s_nop 1
	v_cndmask_b32_e32 v12, 0, v12, vcc
	s_branch .LBB1_48
.LBB1_55:
	s_or_b64 exec, exec, s[2:3]
.LBB1_56:
	s_or_b64 exec, exec, s[6:7]
	ds_bpermute_b32 v2, v23, v14
	ds_bpermute_b32 v3, v23, v15
	v_and_b32_e32 v0, 0x3c1, v0
	v_cmp_eq_u32_e32 vcc, 64, v0
	s_waitcnt lgkmcnt(0)
	s_barrier
	v_pk_add_f32 v[2:3], v[14:15], v[2:3]
	s_and_saveexec_b64 s[0:1], vcc
; %bb.57:
	v_mov_b32_e32 v4, 0x110
	v_lshl_add_u32 v4, v22, 1, v4
	ds_write2_b32 v4, v2, v3 offset1:32
; %bb.58:
	s_or_b64 exec, exec, s[0:1]
	s_waitcnt lgkmcnt(0)
	s_barrier
	s_and_saveexec_b64 s[0:1], s[8:9]
	s_cbranch_execz .LBB1_64
; %bb.59:
	v_mov_b32_e32 v4, 0x110
	v_cmp_eq_u32_e32 vcc, 0, v24
	v_lshl_add_u32 v4, v1, 2, v4
	s_and_saveexec_b64 s[2:3], vcc
	s_cbranch_execz .LBB1_61
; %bb.60:
	ds_read_b32 v5, v4
	s_waitcnt lgkmcnt(0)
	v_add_f32_e32 v2, v2, v5
.LBB1_61:
	s_or_b64 exec, exec, s[2:3]
	s_and_saveexec_b64 s[2:3], vcc
	s_cbranch_execz .LBB1_63
; %bb.62:
	ds_read_b32 v4, v4 offset:128
	s_waitcnt lgkmcnt(0)
	v_add_f32_e32 v3, v3, v4
.LBB1_63:
	s_or_b64 exec, exec, s[2:3]
.LBB1_64:
	s_or_b64 exec, exec, s[0:1]
	v_cmp_eq_u32_e32 vcc, 0, v0
	s_barrier
	s_and_saveexec_b64 s[0:1], vcc
	s_cbranch_execz .LBB1_66
; %bb.65:
	s_mul_i32 s0, s20, s16
	s_mul_i32 s0, s0, s5
	s_lshl_b32 s0, s0, 6
	s_ashr_i32 s1, s0, 31
	s_lshl_b64 s[0:1], s[0:1], 2
	s_add_u32 s2, s24, s0
	s_mul_i32 s0, s16, s22
	s_addc_u32 s3, s25, s1
	s_ashr_i32 s1, s0, 31
	s_lshl_b64 s[0:1], s[0:1], 2
	s_add_u32 s2, s2, s0
	s_addc_u32 s3, s3, s1
	s_lshl_b32 s0, s4, 6
	s_ashr_i32 s1, s0, 31
	s_lshl_b64 s[0:1], s[0:1], 2
	s_add_u32 s0, s2, s0
	s_addc_u32 s1, s3, s1
	v_lshlrev_b32_e32 v0, 2, v1
	global_store_dword v0, v2, s[0:1]
	global_store_dword v0, v3, s[0:1] offset:128
.LBB1_66:
	s_endpgm
	.section	.rodata,"a",@progbits
	.p2align	6, 0x0
	.amdhsa_kernel _ZN4vllm25paged_attention_v1_kernelIffLi64ELi8ELi128ELNS_18Fp8KVCacheDataTypeE0ELb1EEEvPT_PKS2_PKT0_S8_ifPKiSA_iPKfiiiSC_SC_iiiii
		.amdhsa_group_segment_fixed_size 272
		.amdhsa_private_segment_fixed_size 0
		.amdhsa_kernarg_size 384
		.amdhsa_user_sgpr_count 2
		.amdhsa_user_sgpr_dispatch_ptr 0
		.amdhsa_user_sgpr_queue_ptr 0
		.amdhsa_user_sgpr_kernarg_segment_ptr 1
		.amdhsa_user_sgpr_dispatch_id 0
		.amdhsa_user_sgpr_kernarg_preload_length 0
		.amdhsa_user_sgpr_kernarg_preload_offset 0
		.amdhsa_user_sgpr_private_segment_size 0
		.amdhsa_uses_dynamic_stack 0
		.amdhsa_enable_private_segment 0
		.amdhsa_system_sgpr_workgroup_id_x 1
		.amdhsa_system_sgpr_workgroup_id_y 1
		.amdhsa_system_sgpr_workgroup_id_z 1
		.amdhsa_system_sgpr_workgroup_info 0
		.amdhsa_system_vgpr_workitem_id 0
		.amdhsa_next_free_vgpr 42
		.amdhsa_next_free_sgpr 46
		.amdhsa_accum_offset 44
		.amdhsa_reserve_vcc 1
		.amdhsa_float_round_mode_32 0
		.amdhsa_float_round_mode_16_64 0
		.amdhsa_float_denorm_mode_32 3
		.amdhsa_float_denorm_mode_16_64 3
		.amdhsa_dx10_clamp 1
		.amdhsa_ieee_mode 1
		.amdhsa_fp16_overflow 0
		.amdhsa_tg_split 0
		.amdhsa_exception_fp_ieee_invalid_op 0
		.amdhsa_exception_fp_denorm_src 0
		.amdhsa_exception_fp_ieee_div_zero 0
		.amdhsa_exception_fp_ieee_overflow 0
		.amdhsa_exception_fp_ieee_underflow 0
		.amdhsa_exception_fp_ieee_inexact 0
		.amdhsa_exception_int_div_zero 0
	.end_amdhsa_kernel
	.section	.text._ZN4vllm25paged_attention_v1_kernelIffLi64ELi8ELi128ELNS_18Fp8KVCacheDataTypeE0ELb1EEEvPT_PKS2_PKT0_S8_ifPKiSA_iPKfiiiSC_SC_iiiii,"axG",@progbits,_ZN4vllm25paged_attention_v1_kernelIffLi64ELi8ELi128ELNS_18Fp8KVCacheDataTypeE0ELb1EEEvPT_PKS2_PKT0_S8_ifPKiSA_iPKfiiiSC_SC_iiiii,comdat
.Lfunc_end1:
	.size	_ZN4vllm25paged_attention_v1_kernelIffLi64ELi8ELi128ELNS_18Fp8KVCacheDataTypeE0ELb1EEEvPT_PKS2_PKT0_S8_ifPKiSA_iPKfiiiSC_SC_iiiii, .Lfunc_end1-_ZN4vllm25paged_attention_v1_kernelIffLi64ELi8ELi128ELNS_18Fp8KVCacheDataTypeE0ELb1EEEvPT_PKS2_PKT0_S8_ifPKiSA_iPKfiiiSC_SC_iiiii
                                        ; -- End function
	.set _ZN4vllm25paged_attention_v1_kernelIffLi64ELi8ELi128ELNS_18Fp8KVCacheDataTypeE0ELb1EEEvPT_PKS2_PKT0_S8_ifPKiSA_iPKfiiiSC_SC_iiiii.num_vgpr, 42
	.set _ZN4vllm25paged_attention_v1_kernelIffLi64ELi8ELi128ELNS_18Fp8KVCacheDataTypeE0ELb1EEEvPT_PKS2_PKT0_S8_ifPKiSA_iPKfiiiSC_SC_iiiii.num_agpr, 0
	.set _ZN4vllm25paged_attention_v1_kernelIffLi64ELi8ELi128ELNS_18Fp8KVCacheDataTypeE0ELb1EEEvPT_PKS2_PKT0_S8_ifPKiSA_iPKfiiiSC_SC_iiiii.numbered_sgpr, 46
	.set _ZN4vllm25paged_attention_v1_kernelIffLi64ELi8ELi128ELNS_18Fp8KVCacheDataTypeE0ELb1EEEvPT_PKS2_PKT0_S8_ifPKiSA_iPKfiiiSC_SC_iiiii.num_named_barrier, 0
	.set _ZN4vllm25paged_attention_v1_kernelIffLi64ELi8ELi128ELNS_18Fp8KVCacheDataTypeE0ELb1EEEvPT_PKS2_PKT0_S8_ifPKiSA_iPKfiiiSC_SC_iiiii.private_seg_size, 0
	.set _ZN4vllm25paged_attention_v1_kernelIffLi64ELi8ELi128ELNS_18Fp8KVCacheDataTypeE0ELb1EEEvPT_PKS2_PKT0_S8_ifPKiSA_iPKfiiiSC_SC_iiiii.uses_vcc, 1
	.set _ZN4vllm25paged_attention_v1_kernelIffLi64ELi8ELi128ELNS_18Fp8KVCacheDataTypeE0ELb1EEEvPT_PKS2_PKT0_S8_ifPKiSA_iPKfiiiSC_SC_iiiii.uses_flat_scratch, 0
	.set _ZN4vllm25paged_attention_v1_kernelIffLi64ELi8ELi128ELNS_18Fp8KVCacheDataTypeE0ELb1EEEvPT_PKS2_PKT0_S8_ifPKiSA_iPKfiiiSC_SC_iiiii.has_dyn_sized_stack, 0
	.set _ZN4vllm25paged_attention_v1_kernelIffLi64ELi8ELi128ELNS_18Fp8KVCacheDataTypeE0ELb1EEEvPT_PKS2_PKT0_S8_ifPKiSA_iPKfiiiSC_SC_iiiii.has_recursion, 0
	.set _ZN4vllm25paged_attention_v1_kernelIffLi64ELi8ELi128ELNS_18Fp8KVCacheDataTypeE0ELb1EEEvPT_PKS2_PKT0_S8_ifPKiSA_iPKfiiiSC_SC_iiiii.has_indirect_call, 0
	.section	.AMDGPU.csdata,"",@progbits
; Kernel info:
; codeLenInByte = 4012
; TotalNumSgprs: 52
; NumVgprs: 42
; NumAgprs: 0
; TotalNumVgprs: 42
; ScratchSize: 0
; MemoryBound: 0
; FloatMode: 240
; IeeeMode: 1
; LDSByteSize: 272 bytes/workgroup (compile time only)
; SGPRBlocks: 6
; VGPRBlocks: 5
; NumSGPRsForWavesPerEU: 52
; NumVGPRsForWavesPerEU: 42
; AccumOffset: 44
; Occupancy: 8
; WaveLimiterHint : 1
; COMPUTE_PGM_RSRC2:SCRATCH_EN: 0
; COMPUTE_PGM_RSRC2:USER_SGPR: 2
; COMPUTE_PGM_RSRC2:TRAP_HANDLER: 0
; COMPUTE_PGM_RSRC2:TGID_X_EN: 1
; COMPUTE_PGM_RSRC2:TGID_Y_EN: 1
; COMPUTE_PGM_RSRC2:TGID_Z_EN: 1
; COMPUTE_PGM_RSRC2:TIDIG_COMP_CNT: 0
; COMPUTE_PGM_RSRC3_GFX90A:ACCUM_OFFSET: 10
; COMPUTE_PGM_RSRC3_GFX90A:TG_SPLIT: 0
	.section	.text._ZN4vllm25paged_attention_v1_kernelIffLi80ELi8ELi128ELNS_18Fp8KVCacheDataTypeE0ELb1EEEvPT_PKS2_PKT0_S8_ifPKiSA_iPKfiiiSC_SC_iiiii,"axG",@progbits,_ZN4vllm25paged_attention_v1_kernelIffLi80ELi8ELi128ELNS_18Fp8KVCacheDataTypeE0ELb1EEEvPT_PKS2_PKT0_S8_ifPKiSA_iPKfiiiSC_SC_iiiii,comdat
	.protected	_ZN4vllm25paged_attention_v1_kernelIffLi80ELi8ELi128ELNS_18Fp8KVCacheDataTypeE0ELb1EEEvPT_PKS2_PKT0_S8_ifPKiSA_iPKfiiiSC_SC_iiiii ; -- Begin function _ZN4vllm25paged_attention_v1_kernelIffLi80ELi8ELi128ELNS_18Fp8KVCacheDataTypeE0ELb1EEEvPT_PKS2_PKT0_S8_ifPKiSA_iPKfiiiSC_SC_iiiii
	.globl	_ZN4vllm25paged_attention_v1_kernelIffLi80ELi8ELi128ELNS_18Fp8KVCacheDataTypeE0ELb1EEEvPT_PKS2_PKT0_S8_ifPKiSA_iPKfiiiSC_SC_iiiii
	.p2align	8
	.type	_ZN4vllm25paged_attention_v1_kernelIffLi80ELi8ELi128ELNS_18Fp8KVCacheDataTypeE0ELb1EEEvPT_PKS2_PKT0_S8_ifPKiSA_iPKfiiiSC_SC_iiiii,@function
_ZN4vllm25paged_attention_v1_kernelIffLi80ELi8ELi128ELNS_18Fp8KVCacheDataTypeE0ELb1EEEvPT_PKS2_PKT0_S8_ifPKiSA_iPKfiiiSC_SC_iiiii: ; @_ZN4vllm25paged_attention_v1_kernelIffLi80ELi8ELi128ELNS_18Fp8KVCacheDataTypeE0ELb1EEEvPT_PKS2_PKT0_S8_ifPKiSA_iPKfiiiSC_SC_iiiii
; %bb.0:
	s_load_dword s5, s[0:1], 0x80
	s_load_dwordx2 s[6:7], s[0:1], 0x30
	s_load_dwordx2 s[30:31], s[0:1], 0x20
	s_mov_b32 s10, s3
	s_ashr_i32 s11, s3, 31
	s_lshl_b64 s[8:9], s[10:11], 2
	s_waitcnt lgkmcnt(0)
	s_add_u32 s6, s6, s8
	s_addc_u32 s7, s7, s9
	s_abs_i32 s3, s30
	v_cvt_f32_u32_e32 v1, s3
	s_sub_i32 s11, 0, s3
	s_abs_i32 s9, s5
	s_xor_b32 s8, s5, s30
	v_rcp_iflag_f32_e32 v1, v1
	s_ashr_i32 s8, s8, 31
	s_mov_b32 s43, 0
	v_mul_f32_e32 v1, 0x4f7ffffe, v1
	v_cvt_u32_f32_e32 v1, v1
	s_nop 0
	v_readfirstlane_b32 s12, v1
	s_mul_i32 s11, s11, s12
	s_mul_hi_u32 s11, s12, s11
	s_add_i32 s12, s12, s11
	s_mul_hi_u32 s11, s9, s12
	s_mul_i32 s12, s11, s3
	s_sub_i32 s9, s9, s12
	s_add_i32 s12, s11, 1
	s_sub_i32 s13, s9, s3
	s_cmp_ge_u32 s9, s3
	s_cselect_b32 s11, s12, s11
	s_cselect_b32 s9, s13, s9
	s_add_i32 s12, s11, 1
	s_cmp_ge_u32 s9, s3
	s_cselect_b32 s3, s12, s11
	s_xor_b32 s3, s3, s8
	s_sub_i32 s12, s3, s8
	s_abs_i32 s11, s12
	v_cvt_f32_u32_e32 v1, s11
	s_load_dwordx2 s[8:9], s[0:1], 0x40
	s_sub_i32 s3, 0, s11
	s_abs_i32 s22, s2
	v_rcp_iflag_f32_e32 v1, v1
	s_nop 0
	v_mul_f32_e32 v1, 0x4f7ffffe, v1
	v_cvt_u32_f32_e32 v1, v1
	s_nop 0
	v_readfirstlane_b32 s13, v1
	s_mul_i32 s3, s3, s13
	s_mul_hi_u32 s3, s13, s3
	s_add_i32 s13, s13, s3
	s_waitcnt lgkmcnt(0)
	s_cmp_eq_u64 s[8:9], 0
	s_mul_hi_u32 s23, s22, s13
	s_cbranch_scc1 .LBB2_2
; %bb.1:
	s_ashr_i32 s3, s2, 31
	s_lshl_b64 s[14:15], s[2:3], 2
	s_add_u32 s8, s8, s14
	s_addc_u32 s9, s9, s15
	s_load_dword s43, s[8:9], 0x0
.LBB2_2:
	s_load_dword s33, s[6:7], 0x0
	s_ashr_i32 s9, s12, 31
	s_load_dwordx4 s[12:15], s[0:1], 0x48
	s_movk_i32 s3, 0x50
	s_ashr_i32 s8, s2, 31
	v_and_b32_e32 v2, 7, v0
	s_mul_i32 s20, s2, 0x50
	v_cmp_gt_u32_e32 vcc, s3, v0
	v_lshlrev_b32_e32 v6, 2, v0
	v_lshrrev_b32_e32 v1, 1, v0
	s_and_saveexec_b64 s[6:7], vcc
	s_cbranch_execz .LBB2_4
; %bb.3:
	s_load_dwordx2 s[16:17], s[0:1], 0x8
	s_waitcnt lgkmcnt(0)
	s_mul_i32 s18, s12, s10
	s_ashr_i32 s19, s18, 31
	s_lshl_b64 s[18:19], s[18:19], 2
	v_and_b32_e32 v4, 0x1fc, v1
	s_add_u32 s3, s16, s18
	s_addc_u32 s12, s17, s19
	s_ashr_i32 s21, s20, 31
	s_lshl_b64 s[16:17], s[20:21], 2
	s_add_u32 s16, s3, s16
	s_addc_u32 s17, s12, s17
	global_load_dword v3, v6, s[16:17]
	v_mad_u32_u24 v4, v2, 40, v4
	s_waitcnt vmcnt(0)
	ds_write_b32 v4, v3
.LBB2_4:
	s_or_b64 exec, exec, s[6:7]
	s_mul_i32 s7, s23, s11
	s_sub_i32 s7, s22, s7
	s_xor_b32 s6, s8, s9
	s_add_i32 s8, s23, 1
	s_sub_i32 s9, s7, s11
	s_load_dwordx4 s[16:19], s[0:1], 0x68
	s_load_dword s3, s[0:1], 0x78
	s_cmp_ge_u32 s7, s11
	s_cselect_b32 s8, s8, s23
	s_cselect_b32 s7, s9, s7
	s_add_i32 s9, s8, 1
	s_cmp_ge_u32 s7, s11
	s_cselect_b32 s7, s9, s8
	s_waitcnt lgkmcnt(0)
	s_abs_i32 s21, s19
	v_cvt_f32_u32_e32 v3, s21
	s_xor_b32 s7, s7, s6
	s_sub_i32 s8, s7, s6
	s_sub_i32 s6, 0, s21
	v_rcp_iflag_f32_e32 v3, v3
	s_add_i32 s11, s33, -1
	s_abs_i32 s9, s11
	v_mul_f32_e32 v3, 0x4f7ffffe, v3
	v_cvt_u32_f32_e32 v3, v3
	s_barrier
	v_readfirstlane_b32 s40, v3
	s_mul_i32 s6, s6, s40
	s_mul_hi_u32 s6, s40, s6
	s_add_i32 s40, s40, s6
	s_cmp_lt_i32 s3, 0
	s_mul_hi_u32 s12, s9, s40
	s_cbranch_scc0 .LBB2_6
; %bb.5:
	s_mul_i32 s6, s16, s30
	s_add_i32 s6, s8, s6
	s_mul_i32 s6, s6, s3
	s_sub_i32 s41, 1, s6
	s_mov_b64 s[6:7], 0
	s_branch .LBB2_7
.LBB2_6:
	s_mov_b64 s[6:7], -1
                                        ; implicit-def: $sgpr41
.LBB2_7:
	s_load_dwordx2 s[24:25], s[0:1], 0x28
	s_ashr_i32 s15, s11, 31
	s_andn2_b64 vcc, exec, s[6:7]
	s_ashr_i32 s19, s19, 31
	s_cbranch_vccnz .LBB2_9
; %bb.8:
	s_mul_i32 s6, s5, s16
	s_add_i32 s2, s6, s2
	s_mul_i32 s2, s2, s3
	s_add_i32 s41, s2, 1
.LBB2_9:
	s_load_dword s2, s[0:1], 0x38
	s_load_dwordx2 s[22:23], s[0:1], 0x0
	s_load_dwordx2 s[28:29], s[0:1], 0x18
	s_load_dword s11, s[0:1], 0x88
	s_xor_b32 s3, s15, s19
	s_waitcnt lgkmcnt(0)
	s_mul_i32 s26, s2, s10
	s_mul_i32 s2, s12, s21
	s_sub_i32 s2, s9, s2
	s_ashr_i32 s27, s26, 31
	s_add_i32 s6, s12, 1
	s_sub_i32 s7, s2, s21
	s_cmp_ge_u32 s2, s21
	s_cselect_b32 s6, s6, s12
	s_cselect_b32 s2, s7, s2
	s_add_i32 s7, s6, 1
	s_cmp_ge_u32 s2, s21
	s_cselect_b32 s2, s7, s6
	s_xor_b32 s2, s2, s3
	s_sub_i32 s12, s2, s3
	s_add_i32 s2, s33, 7
	s_ashr_i32 s3, s2, 31
	s_lshr_b32 s3, s3, 29
	s_add_i32 s2, s2, s3
	s_ashr_i32 s42, s2, 3
	v_lshrrev_b32_e32 v26, 6, v0
	v_cmp_le_i32_e64 s[2:3], s42, v26
	v_cmp_gt_i32_e32 vcc, s42, v26
	v_mov_b32_e32 v11, 0xff7fffff
	s_mul_i32 s14, s8, s14
	v_lshrrev_b32_e32 v7, 4, v0
	v_lshlrev_b32_e32 v27, 3, v26
	v_mbcnt_lo_u32_b32 v8, -1, 0
	s_and_saveexec_b64 s[34:35], vcc
	s_cbranch_execz .LBB2_21
; %bb.10:
	s_load_dwordx2 s[0:1], s[0:1], 0x10
	s_ashr_i32 s15, s14, 31
	s_sub_i32 s16, s12, s17
	s_lshl_b64 s[6:7], s[14:15], 2
	v_bfe_u32 v9, v0, 3, 3
	s_waitcnt lgkmcnt(0)
	s_add_u32 s0, s0, s6
	s_addc_u32 s1, s1, s7
	s_abs_i32 s15, s18
	v_cvt_f32_u32_e32 v3, s15
	v_lshlrev_b32_e32 v4, 4, v9
	v_mov_b32_e32 v5, 0
	v_lshl_add_u64 v[10:11], s[0:1], 0, v[4:5]
	v_rcp_iflag_f32_e32 v3, v3
	v_and_b32_e32 v4, 3, v0
	v_lshlrev_b32_e32 v4, 2, v4
	v_lshl_add_u64 v[12:13], v[10:11], 0, v[4:5]
	v_mul_f32_e32 v3, 0x4f7ffffe, v3
	v_cvt_u32_f32_e32 v11, v3
	v_cmp_eq_u32_e32 vcc, 0, v2
	v_mul_u32_u24_e32 v10, 40, v2
	v_lshlrev_b32_e32 v2, 5, v0
	v_and_b32_e32 v4, 0x80, v2
	s_sub_i32 s6, 0, s15
	v_lshl_add_u64 v[2:3], v[12:13], 0, v[4:5]
	v_mul_lo_u32 v4, s6, v11
	v_mul_hi_u32 v4, v11, v4
	v_lshlrev_b32_e32 v15, 2, v9
	v_add_u32_e32 v12, v11, v4
	s_lshl_b64 s[6:7], s[26:27], 2
	v_subrev_u32_e32 v11, s33, v9
	s_add_u32 s6, s24, s6
	v_add_u32_e32 v14, 1, v11
	v_lshl_or_b32 v11, v26, 5, v15
	v_mbcnt_hi_u32_b32 v17, -1, v8
	v_and_b32_e32 v4, 60, v7
	s_addc_u32 s7, s25, s7
	v_add_u32_e32 v15, 0x150, v11
	v_and_b32_e32 v11, 64, v17
	s_mov_b32 s30, s13
	v_cmp_neq_f32_e64 s[0:1], s43, 0
	v_lshl_add_u64 v[4:5], s[6:7], 0, v[4:5]
	v_lshlrev_b32_e32 v13, 3, v26
	v_mov_b32_e32 v16, 0xff7fffff
	s_mov_b64 s[36:37], 0
	v_add_u32_e32 v18, 64, v11
	v_xor_b32_e32 v19, 4, v17
	v_xor_b32_e32 v20, 2, v17
	;; [unrolled: 1-line block ×3, first 2 shown]
	v_mov_b32_e32 v11, 0xff7fffff
	v_mov_b32_e32 v22, v26
	s_branch .LBB2_13
.LBB2_11:                               ;   in Loop: Header=BB2_13 Depth=1
	s_or_b64 exec, exec, s[38:39]
.LBB2_12:                               ;   in Loop: Header=BB2_13 Depth=1
	s_or_b64 exec, exec, s[8:9]
	v_add_u32_e32 v22, 2, v22
	v_cmp_le_i32_e64 s[6:7], s42, v22
	v_lshl_add_u64 v[4:5], v[4:5], 0, 8
	v_add_u32_e32 v13, 16, v13
	s_or_b64 s[36:37], s[6:7], s[36:37]
	v_add_u32_e32 v15, 64, v15
	s_andn2_b64 exec, exec, s[36:37]
	s_cbranch_execz .LBB2_20
.LBB2_13:                               ; =>This Inner Loop Header: Depth=1
	v_mul_hi_u32 v23, v13, s40
	s_waitcnt lgkmcnt(0)
	v_mul_lo_u32 v24, v23, s21
	v_sub_u32_e32 v24, v13, v24
	v_add_u32_e32 v25, 1, v23
	v_cmp_le_u32_e64 s[6:7], s21, v24
	s_nop 1
	v_cndmask_b32_e64 v23, v23, v25, s[6:7]
	v_subrev_u32_e32 v25, s21, v24
	v_cndmask_b32_e64 v24, v24, v25, s[6:7]
	v_add_u32_e32 v25, 1, v23
	v_cmp_le_u32_e64 s[6:7], s21, v24
	s_nop 1
	v_cndmask_b32_e64 v23, v23, v25, s[6:7]
	v_xor_b32_e32 v23, s19, v23
	v_subrev_u32_e32 v23, s19, v23
	v_add_u32_e32 v24, s41, v23
	v_sub_u32_e32 v28, 0, v24
	v_ashrrev_i32_e32 v25, 31, v24
	v_max_i32_e32 v24, v24, v28
	v_mul_hi_u32 v28, v24, v12
	v_mul_lo_u32 v28, v28, s15
	v_sub_u32_e32 v24, v24, v28
	v_subrev_u32_e32 v28, s15, v24
	v_cmp_le_u32_e64 s[6:7], s15, v24
	v_cmp_ge_i32_e64 s[8:9], s16, v23
	s_nop 0
	v_cndmask_b32_e64 v24, v24, v28, s[6:7]
	v_subrev_u32_e32 v28, s15, v24
	v_cmp_le_u32_e64 s[6:7], s15, v24
	s_nop 1
	v_cndmask_b32_e64 v24, v24, v28, s[6:7]
	v_xor_b32_e32 v24, v24, v25
	v_sub_u32_e32 v24, v24, v25
	v_cmp_ne_u32_e64 s[6:7], 0, v24
	s_and_b64 s[6:7], s[6:7], s[8:9]
	s_and_saveexec_b64 s[8:9], s[6:7]
	s_xor_b64 s[6:7], exec, s[8:9]
	s_cbranch_execz .LBB2_17
; %bb.14:                               ;   in Loop: Header=BB2_13 Depth=1
	s_and_saveexec_b64 s[8:9], vcc
; %bb.15:                               ;   in Loop: Header=BB2_13 Depth=1
	ds_write_b32 v15, v16
; %bb.16:                               ;   in Loop: Header=BB2_13 Depth=1
	s_or_b64 exec, exec, s[8:9]
.LBB2_17:                               ;   in Loop: Header=BB2_13 Depth=1
	s_andn2_saveexec_b64 s[8:9], s[6:7]
	s_cbranch_execz .LBB2_12
; %bb.18:                               ;   in Loop: Header=BB2_13 Depth=1
	global_load_dword v23, v[4:5], off
	s_waitcnt vmcnt(0)
	v_mad_i64_i32 v[24:25], s[6:7], v23, s30, 0
	v_lshl_add_u64 v[24:25], v[24:25], 2, v[2:3]
	global_load_dword v23, v[24:25], off offset:256
	global_load_dword v36, v[24:25], off
	global_load_dword v37, v[24:25], off offset:512
	global_load_dword v38, v[24:25], off offset:768
	;; [unrolled: 1-line block ×8, first 2 shown]
	ds_read2_b64 v[28:31], v10 offset1:1
	ds_read2_b64 v[32:35], v10 offset0:2 offset1:3
	ds_read_b64 v[24:25], v10 offset:32
	v_cmp_lt_i32_e64 s[6:7], v19, v18
	s_waitcnt vmcnt(9) lgkmcnt(2)
	v_mul_f32_e32 v23, v29, v23
	s_waitcnt vmcnt(8)
	v_fmac_f32_e32 v23, v28, v36
	s_waitcnt vmcnt(7)
	v_fmac_f32_e32 v23, v30, v37
	;; [unrolled: 2-line block ×3, first 2 shown]
	s_waitcnt vmcnt(5) lgkmcnt(1)
	v_fmac_f32_e32 v23, v32, v39
	s_waitcnt vmcnt(4)
	v_fmac_f32_e32 v23, v33, v40
	s_waitcnt vmcnt(3)
	;; [unrolled: 2-line block ×3, first 2 shown]
	v_fmac_f32_e32 v23, v35, v42
	v_cndmask_b32_e64 v45, v17, v19, s[6:7]
	s_waitcnt vmcnt(1) lgkmcnt(0)
	v_fmac_f32_e32 v23, v24, v43
	v_lshlrev_b32_e32 v45, 2, v45
	s_waitcnt vmcnt(0)
	v_fmac_f32_e32 v23, v25, v44
	ds_bpermute_b32 v24, v45, v23
	v_cmp_lt_i32_e64 s[6:7], v20, v18
	s_waitcnt lgkmcnt(0)
	v_add_f32_e32 v23, v23, v24
	v_cndmask_b32_e64 v25, v17, v20, s[6:7]
	v_lshlrev_b32_e32 v25, 2, v25
	ds_bpermute_b32 v24, v25, v23
	v_cmp_lt_i32_e64 s[6:7], v21, v18
	s_waitcnt lgkmcnt(0)
	v_add_f32_e32 v23, v23, v24
	v_cndmask_b32_e64 v25, v17, v21, s[6:7]
	v_lshlrev_b32_e32 v25, 2, v25
	ds_bpermute_b32 v24, v25, v23
	s_and_saveexec_b64 s[38:39], vcc
	s_cbranch_execz .LBB2_11
; %bb.19:                               ;   in Loop: Header=BB2_13 Depth=1
	v_add_u32_e32 v25, v14, v13
	v_cvt_f32_i32_e32 v25, v25
	s_waitcnt lgkmcnt(0)
	v_add_f32_e32 v23, v23, v24
	v_add_u32_e32 v28, v9, v13
	v_cmp_gt_i32_e64 s[6:7], s33, v28
	v_mul_f32_e32 v24, s43, v25
	v_cndmask_b32_e64 v24, 0, v24, s[0:1]
	v_fmac_f32_e32 v24, s31, v23
	v_cndmask_b32_e64 v23, 0, v24, s[6:7]
	ds_write_b32 v15, v23
	v_max_f32_e32 v23, v11, v11
	v_max_f32_e32 v23, v23, v24
	v_cndmask_b32_e64 v11, v11, v23, s[6:7]
	s_branch .LBB2_11
.LBB2_20:
	s_or_b64 exec, exec, s[36:37]
.LBB2_21:
	s_or_b64 exec, exec, s[34:35]
	v_mbcnt_hi_u32_b32 v2, -1, v8
	v_and_b32_e32 v12, 64, v2
	v_add_u32_e32 v3, 64, v12
	v_xor_b32_e32 v4, 32, v2
	v_cmp_lt_i32_e32 vcc, v4, v3
	v_xor_b32_e32 v9, 16, v2
	v_max_f32_e32 v5, v11, v11
	v_cndmask_b32_e32 v4, v2, v4, vcc
	v_lshlrev_b32_e32 v8, 2, v4
	ds_bpermute_b32 v4, v8, v11
	v_cmp_lt_i32_e32 vcc, v9, v3
	v_xor_b32_e32 v11, 8, v2
	s_waitcnt lgkmcnt(0)
	v_max_f32_e32 v4, v4, v4
	v_max_f32_e32 v4, v5, v4
	v_cndmask_b32_e32 v5, v2, v9, vcc
	v_lshlrev_b32_e32 v10, 2, v5
	ds_bpermute_b32 v5, v10, v4
	v_cmp_lt_i32_e32 vcc, v11, v3
	s_waitcnt lgkmcnt(0)
	v_max_f32_e32 v5, v5, v5
	v_max_f32_e32 v9, v4, v5
	v_cndmask_b32_e32 v4, v2, v11, vcc
	v_lshlrev_b32_e32 v11, 2, v4
	ds_bpermute_b32 v13, v11, v9
	v_and_b32_e32 v4, 63, v0
	v_cmp_eq_u32_e32 vcc, 0, v4
	v_lshlrev_b32_e32 v5, 2, v26
	s_and_saveexec_b64 s[0:1], vcc
	s_cbranch_execz .LBB2_23
; %bb.22:
	s_waitcnt lgkmcnt(0)
	v_max_f32_e32 v13, v13, v13
	v_max_f32_e32 v9, v9, v9
	;; [unrolled: 1-line block ×3, first 2 shown]
	ds_write_b32 v5, v9 offset:320
.LBB2_23:
	s_or_b64 exec, exec, s[0:1]
	v_cmp_gt_u32_e64 s[0:1], 2, v4
	s_waitcnt lgkmcnt(0)
	v_mov_b32_e32 v13, 0xff7fffff
	v_lshlrev_b32_e32 v9, 2, v4
	s_barrier
	s_and_saveexec_b64 s[6:7], s[0:1]
; %bb.24:
	ds_read_b32 v13, v9 offset:320
; %bb.25:
	s_or_b64 exec, exec, s[6:7]
	v_xor_b32_e32 v14, 1, v2
	v_cmp_lt_i32_e64 s[6:7], v14, v3
	v_lshlrev_b32_e32 v12, 2, v12
	s_nop 0
	v_cndmask_b32_e64 v14, v2, v14, s[6:7]
	v_lshlrev_b32_e32 v28, 2, v14
	s_waitcnt lgkmcnt(0)
	ds_bpermute_b32 v14, v28, v13
	v_max_f32_e32 v13, v13, v13
	s_lshl_b32 s6, s42, 3
	s_min_i32 s15, s6, s33
	v_cmp_gt_i32_e64 s[6:7], s15, v0
	s_waitcnt lgkmcnt(0)
	v_max_f32_e32 v14, v14, v14
	v_max_f32_e32 v13, v13, v14
	ds_bpermute_b32 v13, v12, v13
	v_mov_b32_e32 v12, 0
	s_and_saveexec_b64 s[30:31], s[6:7]
	s_cbranch_execz .LBB2_29
; %bb.26:
	v_mov_b32_e32 v12, 0x150
	v_lshl_add_u32 v14, v0, 2, v12
	v_mov_b32_e32 v12, 0
	s_mov_b64 s[34:35], 0
	v_mov_b32_e32 v15, v0
.LBB2_27:                               ; =>This Inner Loop Header: Depth=1
	ds_read_b32 v16, v14
	v_add_u32_e32 v15, 0x80, v15
	v_cmp_le_i32_e64 s[8:9], s15, v15
	s_or_b64 s[34:35], s[8:9], s[34:35]
	s_waitcnt lgkmcnt(0)
	v_sub_f32_e32 v16, v16, v13
	v_mul_f32_e32 v16, 0x3fb8aa3b, v16
	v_exp_f32_e32 v16, v16
	ds_write_b32 v14, v16
	v_add_f32_e32 v12, v12, v16
	v_add_u32_e32 v14, 0x200, v14
	s_andn2_b64 exec, exec, s[34:35]
	s_cbranch_execnz .LBB2_27
; %bb.28:
	s_or_b64 exec, exec, s[34:35]
.LBB2_29:
	s_or_b64 exec, exec, s[30:31]
	ds_bpermute_b32 v8, v8, v12
	s_waitcnt lgkmcnt(0)
	v_add_f32_e32 v8, v12, v8
	ds_bpermute_b32 v10, v10, v8
	s_waitcnt lgkmcnt(0)
	v_add_f32_e32 v8, v8, v10
	ds_bpermute_b32 v10, v11, v8
	v_xor_b32_e32 v11, 4, v2
	v_cmp_lt_i32_e64 s[8:9], v11, v3
	s_waitcnt lgkmcnt(0)
	v_add_f32_e32 v8, v8, v10
	v_cndmask_b32_e64 v11, v2, v11, s[8:9]
	v_lshlrev_b32_e32 v11, 2, v11
	ds_bpermute_b32 v10, v11, v8
	v_xor_b32_e32 v11, 2, v2
	v_cmp_lt_i32_e64 s[8:9], v11, v3
	s_waitcnt lgkmcnt(0)
	v_add_f32_e32 v8, v8, v10
	v_cndmask_b32_e64 v3, v2, v11, s[8:9]
	v_lshlrev_b32_e32 v3, 2, v3
	ds_bpermute_b32 v3, v3, v8
	s_waitcnt lgkmcnt(0)
	v_add_f32_e32 v3, v8, v3
	ds_bpermute_b32 v8, v28, v3
	s_waitcnt lgkmcnt(0)
	v_add_f32_e32 v3, v3, v8
	s_and_saveexec_b64 s[8:9], vcc
; %bb.30:
	ds_write_b32 v5, v3 offset:328
; %bb.31:
	s_or_b64 exec, exec, s[8:9]
	s_waitcnt lgkmcnt(0)
	s_barrier
	s_and_saveexec_b64 s[8:9], s[0:1]
; %bb.32:
	ds_read_b32 v3, v9 offset:328
; %bb.33:
	s_or_b64 exec, exec, s[8:9]
	s_waitcnt lgkmcnt(0)
	ds_bpermute_b32 v5, v28, v3
	v_lshlrev_b32_e32 v2, 2, v2
	v_and_b32_e32 v2, 0x100, v2
	s_waitcnt lgkmcnt(0)
	v_add_f32_e32 v3, v3, v5
	ds_bpermute_b32 v2, v2, v3
	s_and_saveexec_b64 s[0:1], s[6:7]
	s_cbranch_execz .LBB2_46
; %bb.34:
	s_waitcnt lgkmcnt(0)
	v_add_f32_e32 v2, 0x358637bd, v2
	v_div_scale_f32 v3, s[6:7], v2, v2, 1.0
	v_rcp_f32_e32 v5, v3
	v_div_scale_f32 v8, vcc, 1.0, v2, 1.0
	s_movk_i32 s6, 0x7f
	v_fma_f32 v9, -v3, v5, 1.0
	v_fmac_f32_e32 v5, v9, v5
	v_mul_f32_e32 v9, v8, v5
	v_fma_f32 v10, -v3, v9, v8
	v_fmac_f32_e32 v9, v10, v5
	v_fma_f32 v3, -v3, v9, v8
	v_div_fmas_f32 v3, v3, v5, v9
	v_xad_u32 v5, v0, -1, s15
	v_div_fixup_f32 v2, v3, v2, 1.0
	v_cmp_lt_u32_e32 vcc, s6, v5
	s_mov_b64 s[8:9], -1
	v_mov_b32_e32 v3, v0
	s_and_saveexec_b64 s[6:7], vcc
	s_cbranch_execz .LBB2_43
; %bb.35:
	v_lshrrev_b32_e32 v5, 7, v5
	v_add_u32_e32 v9, -1, v5
	v_lshrrev_b32_e32 v8, 1, v9
	v_mov_b32_e32 v3, v2
	v_add_u32_e32 v8, 1, v8
	v_cmp_lt_u32_e32 vcc, 13, v9
	v_mov_b32_e32 v11, 0
	s_and_saveexec_b64 s[8:9], vcc
	s_cbranch_execz .LBB2_39
; %bb.36:
	v_mov_b32_e32 v10, 0x150
	v_and_b32_e32 v9, -8, v8
	v_lshl_add_u32 v10, v0, 2, v10
	s_mov_b32 s16, 0
	s_mov_b64 s[30:31], 0
.LBB2_37:                               ; =>This Inner Loop Header: Depth=1
	ds_read2st64_b32 v[12:13], v10 offset1:2
	ds_read2st64_b32 v[14:15], v10 offset0:4 offset1:6
	ds_read2st64_b32 v[16:17], v10 offset0:8 offset1:10
	;; [unrolled: 1-line block ×3, first 2 shown]
	v_add_u32_e32 v9, -8, v9
	s_waitcnt lgkmcnt(3)
	v_pk_mul_f32 v[12:13], v[2:3], v[12:13]
	s_waitcnt lgkmcnt(2)
	v_pk_mul_f32 v[14:15], v[2:3], v[14:15]
	ds_write2st64_b32 v10, v12, v13 offset1:2
	ds_write2st64_b32 v10, v14, v15 offset0:4 offset1:6
	ds_read2st64_b32 v[14:15], v10 offset0:16 offset1:18
	s_waitcnt lgkmcnt(4)
	v_pk_mul_f32 v[12:13], v[2:3], v[16:17]
	ds_write2st64_b32 v10, v12, v13 offset0:8 offset1:10
	s_waitcnt lgkmcnt(4)
	v_pk_mul_f32 v[12:13], v[2:3], v[18:19]
	ds_write2st64_b32 v10, v12, v13 offset0:12 offset1:14
	ds_read2st64_b32 v[12:13], v10 offset0:20 offset1:22
	s_waitcnt lgkmcnt(3)
	v_pk_mul_f32 v[14:15], v[2:3], v[14:15]
	ds_read2st64_b32 v[16:17], v10 offset0:24 offset1:26
	ds_write2st64_b32 v10, v14, v15 offset0:16 offset1:18
	ds_read2st64_b32 v[14:15], v10 offset0:28 offset1:30
	s_waitcnt lgkmcnt(3)
	v_pk_mul_f32 v[12:13], v[2:3], v[12:13]
	ds_write2st64_b32 v10, v12, v13 offset0:20 offset1:22
	s_waitcnt lgkmcnt(3)
	v_pk_mul_f32 v[12:13], v[2:3], v[16:17]
	ds_write2st64_b32 v10, v12, v13 offset0:24 offset1:26
	s_waitcnt lgkmcnt(2)
	v_pk_mul_f32 v[12:13], v[2:3], v[14:15]
	s_add_i32 s16, s16, 16
	v_cmp_eq_u32_e32 vcc, 0, v9
	ds_write2st64_b32 v10, v12, v13 offset0:28 offset1:30
	v_add_u32_e32 v10, 0x2000, v10
	s_or_b64 s[30:31], vcc, s[30:31]
	v_mov_b32_e32 v11, s16
	s_andn2_b64 exec, exec, s[30:31]
	s_cbranch_execnz .LBB2_37
; %bb.38:
	s_or_b64 exec, exec, s[30:31]
.LBB2_39:
	s_or_b64 exec, exec, s[8:9]
	v_and_b32_e32 v8, 7, v8
	v_cmp_ne_u32_e32 vcc, 0, v8
	s_and_saveexec_b64 s[8:9], vcc
	s_cbranch_execz .LBB2_42
; %bb.40:
	v_lshlrev_b32_e32 v9, 9, v11
	s_movk_i32 s16, 0x150
	v_add3_u32 v9, v9, v6, s16
	s_mov_b64 s[30:31], 0
.LBB2_41:                               ; =>This Inner Loop Header: Depth=1
	ds_read2st64_b32 v[10:11], v9 offset1:2
	v_add_u32_e32 v8, -1, v8
	v_cmp_eq_u32_e32 vcc, 0, v8
	s_or_b64 s[30:31], vcc, s[30:31]
	s_waitcnt lgkmcnt(0)
	v_pk_mul_f32 v[10:11], v[2:3], v[10:11]
	ds_write2st64_b32 v9, v10, v11 offset1:2
	v_add_u32_e32 v9, 0x400, v9
	s_andn2_b64 exec, exec, s[30:31]
	s_cbranch_execnz .LBB2_41
.LBB2_42:
	s_or_b64 exec, exec, s[8:9]
	v_add_u32_e32 v5, 1, v5
	v_and_b32_e32 v8, 0x3fffffe, v5
	v_cmp_ne_u32_e32 vcc, v5, v8
	v_lshl_add_u32 v3, v8, 7, v0
	s_orn2_b64 s[8:9], vcc, exec
.LBB2_43:
	s_or_b64 exec, exec, s[6:7]
	s_and_b64 exec, exec, s[8:9]
	s_cbranch_execz .LBB2_46
; %bb.44:
	v_mov_b32_e32 v5, 0x150
	v_lshl_add_u32 v5, v3, 2, v5
	s_mov_b64 s[6:7], 0
.LBB2_45:                               ; =>This Inner Loop Header: Depth=1
	ds_read_b32 v8, v5
	v_add_u32_e32 v3, 0x80, v3
	v_cmp_le_i32_e32 vcc, s15, v3
	s_or_b64 s[6:7], vcc, s[6:7]
	s_waitcnt lgkmcnt(0)
	v_mul_f32_e32 v8, v2, v8
	ds_write_b32 v5, v8
	v_add_u32_e32 v5, 0x200, v5
	s_andn2_b64 exec, exec, s[6:7]
	s_cbranch_execnz .LBB2_45
.LBB2_46:
	s_or_b64 exec, exec, s[0:1]
	v_lshrrev_b32_e32 v29, 1, v4
	s_waitcnt lgkmcnt(0)
	s_barrier
	s_and_saveexec_b64 s[0:1], s[2:3]
	s_xor_b64 s[0:1], exec, s[0:1]
; %bb.47:
	v_lshrrev_b32_e32 v29, 1, v4
                                        ; implicit-def: $vgpr27
                                        ; implicit-def: $vgpr26
                                        ; implicit-def: $vgpr6
                                        ; implicit-def: $vgpr7
; %bb.48:
	s_or_saveexec_b64 s[6:7], s[0:1]
	v_mov_b32_e32 v19, 0
	v_and_b32_e32 v30, 1, v0
	v_mov_b32_e32 v18, 0
	v_mov_b32_e32 v32, 0
	s_xor_b64 exec, exec, s[6:7]
	s_cbranch_execz .LBB2_62
; %bb.49:
	s_ashr_i32 s15, s14, 31
	s_sub_i32 s30, s12, s17
	s_lshl_b64 s[0:1], s[14:15], 2
	s_add_u32 s8, s28, s0
	s_addc_u32 s9, s29, s1
	s_abs_i32 s18, s18
	v_cvt_f32_u32_e32 v3, s18
	v_or_b32_e32 v4, 64, v29
	s_movk_i32 s0, 0x50
	v_cmp_gt_u32_e32 vcc, s0, v4
	v_rcp_iflag_f32_e32 v3, v3
	s_sub_i32 s0, 0, s18
	s_add_i32 s28, s42, -1
	v_and_b32_e32 v31, 4, v6
	v_mul_f32_e32 v3, 0x4f7ffffe, v3
	v_cvt_u32_f32_e32 v3, v3
	v_lshl_or_b32 v2, v29, 3, v31
	v_mov_b32_e32 v21, 0
	v_lshl_or_b32 v4, v4, 3, v31
	v_mul_lo_u32 v5, s0, v3
	v_mul_hi_u32 v5, v3, v5
	s_lshl_b64 s[0:1], s[26:27], 2
	v_add_u32_e32 v33, v3, v5
	s_add_u32 s0, s24, s0
	v_lshlrev_b32_e32 v3, 4, v30
	v_and_b32_e32 v20, 60, v7
	s_addc_u32 s1, s25, s1
	v_lshl_or_b32 v3, v26, 5, v3
	s_mov_b32 s31, s13
	s_mov_b32 s29, s33
	v_lshl_add_u64 v[22:23], s[0:1], 0, v[20:21]
	v_add_u32_e32 v34, 0x150, v3
	s_mov_b64 s[12:13], 0
	v_lshlrev_b32_e32 v20, 2, v2
	v_lshlrev_b32_e32 v24, 2, v4
	v_mov_b32_e32 v32, v21
	v_mov_b32_e32 v18, v21
	;; [unrolled: 1-line block ×3, first 2 shown]
	s_branch .LBB2_53
.LBB2_50:                               ;   in Loop: Header=BB2_53 Depth=1
	s_or_b64 exec, exec, s[16:17]
	s_waitcnt vmcnt(0) lgkmcnt(0)
	v_pk_mul_f32 v[14:15], v[6:7], v[14:15]
	v_pk_mul_f32 v[16:17], v[8:9], v[16:17]
	v_add_f32_e32 v14, v15, v14
	v_add_f32_e32 v14, v16, v14
	;; [unrolled: 1-line block ×4, first 2 shown]
.LBB2_51:                               ;   in Loop: Header=BB2_53 Depth=1
	s_or_b64 exec, exec, s[2:3]
	s_waitcnt vmcnt(0) lgkmcnt(0)
	v_mul_f32_e32 v10, v6, v10
	v_mul_f32_e32 v2, v6, v2
	v_fmac_f32_e32 v10, v7, v11
	v_fmac_f32_e32 v2, v7, v3
	;; [unrolled: 1-line block ×6, first 2 shown]
	v_add_f32_e32 v19, v19, v10
	v_add_f32_e32 v18, v18, v2
.LBB2_52:                               ;   in Loop: Header=BB2_53 Depth=1
	s_or_b64 exec, exec, s[14:15]
	v_add_u32_e32 v26, 2, v26
	v_cmp_le_i32_e64 s[0:1], s42, v26
	v_lshl_add_u64 v[22:23], v[22:23], 0, 8
	v_add_u32_e32 v27, 16, v27
	s_or_b64 s[12:13], s[0:1], s[12:13]
	v_add_u32_e32 v34, 64, v34
	s_andn2_b64 exec, exec, s[12:13]
	s_cbranch_execz .LBB2_61
.LBB2_53:                               ; =>This Inner Loop Header: Depth=1
	v_mul_hi_u32 v2, v27, s40
	v_mul_lo_u32 v3, v2, s21
	v_sub_u32_e32 v3, v27, v3
	v_add_u32_e32 v4, 1, v2
	v_cmp_le_u32_e64 s[0:1], s21, v3
	s_nop 1
	v_cndmask_b32_e64 v2, v2, v4, s[0:1]
	v_subrev_u32_e32 v4, s21, v3
	v_cndmask_b32_e64 v3, v3, v4, s[0:1]
	v_add_u32_e32 v4, 1, v2
	v_cmp_le_u32_e64 s[0:1], s21, v3
	s_nop 1
	v_cndmask_b32_e64 v2, v2, v4, s[0:1]
	v_xor_b32_e32 v2, s19, v2
	v_subrev_u32_e32 v2, s19, v2
	v_add_u32_e32 v3, s41, v2
	v_sub_u32_e32 v5, 0, v3
	v_ashrrev_i32_e32 v4, 31, v3
	v_max_i32_e32 v3, v3, v5
	v_mul_hi_u32 v5, v3, v33
	v_mul_lo_u32 v5, v5, s18
	v_sub_u32_e32 v3, v3, v5
	v_subrev_u32_e32 v5, s18, v3
	v_cmp_le_u32_e64 s[0:1], s18, v3
	v_cmp_lt_i32_e64 s[2:3], s30, v2
	s_nop 0
	v_cndmask_b32_e64 v3, v3, v5, s[0:1]
	v_subrev_u32_e32 v5, s18, v3
	v_cmp_le_u32_e64 s[0:1], s18, v3
	s_nop 1
	v_cndmask_b32_e64 v3, v3, v5, s[0:1]
	v_xor_b32_e32 v3, v3, v4
	v_sub_u32_e32 v3, v3, v4
	v_cmp_eq_u32_e64 s[0:1], 0, v3
	s_or_b64 s[0:1], s[0:1], s[2:3]
	s_and_saveexec_b64 s[14:15], s[0:1]
	s_cbranch_execz .LBB2_52
; %bb.54:                               ;   in Loop: Header=BB2_53 Depth=1
	global_load_dword v2, v[22:23], off
	ds_read_b128 v[6:9], v34
	v_add_u32_e32 v35, v31, v27
	s_waitcnt vmcnt(0)
	v_mad_i64_i32 v[2:3], s[0:1], v2, s31, 0
	v_lshl_add_u64 v[14:15], v[2:3], 2, s[8:9]
	v_lshl_add_u64 v[10:11], v[14:15], 0, v[20:21]
	global_load_dwordx4 v[2:5], v[10:11], off
	v_cmp_eq_u32_e64 s[0:1], s28, v26
	s_and_saveexec_b64 s[16:17], s[0:1]
	s_cbranch_execnz .LBB2_57
; %bb.55:                               ;   in Loop: Header=BB2_53 Depth=1
	s_or_b64 exec, exec, s[16:17]
	global_load_dwordx4 v[10:13], v[10:11], off offset:1024
	s_and_saveexec_b64 s[16:17], s[0:1]
	s_cbranch_execnz .LBB2_58
.LBB2_56:                               ;   in Loop: Header=BB2_53 Depth=1
	s_or_b64 exec, exec, s[16:17]
	s_and_saveexec_b64 s[2:3], vcc
	s_cbranch_execz .LBB2_51
	s_branch .LBB2_59
.LBB2_57:                               ;   in Loop: Header=BB2_53 Depth=1
	v_add_u32_e32 v12, 1, v35
	v_cmp_gt_i32_e64 s[2:3], s29, v12
	v_or_b32_e32 v12, 3, v35
	v_or_b32_e32 v13, 2, v35
	s_waitcnt vmcnt(0)
	v_cndmask_b32_e64 v3, 0, v3, s[2:3]
	v_cmp_gt_i32_e64 s[2:3], s33, v35
	s_nop 1
	v_cndmask_b32_e64 v2, 0, v2, s[2:3]
	v_cmp_gt_i32_e64 s[2:3], s29, v12
	s_nop 1
	;; [unrolled: 3-line block ×3, first 2 shown]
	v_cndmask_b32_e64 v4, 0, v4, s[2:3]
	s_or_b64 exec, exec, s[16:17]
	global_load_dwordx4 v[10:13], v[10:11], off offset:1024
	s_and_saveexec_b64 s[16:17], s[0:1]
	s_cbranch_execz .LBB2_56
.LBB2_58:                               ;   in Loop: Header=BB2_53 Depth=1
	v_add_u32_e32 v16, 1, v35
	v_cmp_gt_i32_e64 s[2:3], s29, v16
	v_or_b32_e32 v16, 3, v35
	v_or_b32_e32 v17, 2, v35
	s_waitcnt vmcnt(0)
	v_cndmask_b32_e64 v11, 0, v11, s[2:3]
	v_cmp_gt_i32_e64 s[2:3], s33, v35
	s_nop 1
	v_cndmask_b32_e64 v10, 0, v10, s[2:3]
	v_cmp_gt_i32_e64 s[2:3], s29, v16
	s_nop 1
	;; [unrolled: 3-line block ×3, first 2 shown]
	v_cndmask_b32_e64 v12, 0, v12, s[2:3]
	s_or_b64 exec, exec, s[16:17]
	s_and_saveexec_b64 s[2:3], vcc
	s_cbranch_execz .LBB2_51
.LBB2_59:                               ;   in Loop: Header=BB2_53 Depth=1
	v_mov_b32_e32 v25, v21
	v_lshl_add_u64 v[14:15], v[14:15], 0, v[24:25]
	global_load_dwordx4 v[14:17], v[14:15], off
	s_and_saveexec_b64 s[16:17], s[0:1]
	s_cbranch_execz .LBB2_50
; %bb.60:                               ;   in Loop: Header=BB2_53 Depth=1
	v_add_u32_e32 v25, 1, v35
	v_cmp_gt_i32_e64 s[0:1], s29, v25
	v_or_b32_e32 v25, 3, v35
	s_waitcnt vmcnt(0)
	v_cndmask_b32_e64 v15, 0, v15, s[0:1]
	v_cmp_gt_i32_e64 s[0:1], s33, v35
	v_or_b32_e32 v35, 2, v35
	s_nop 0
	v_cndmask_b32_e64 v14, 0, v14, s[0:1]
	v_cmp_gt_i32_e64 s[0:1], s29, v25
	s_nop 1
	v_cndmask_b32_e64 v17, 0, v17, s[0:1]
	v_cmp_gt_i32_e64 s[0:1], s33, v35
	s_nop 1
	v_cndmask_b32_e64 v16, 0, v16, s[0:1]
	s_branch .LBB2_50
.LBB2_61:
	s_or_b64 exec, exec, s[12:13]
.LBB2_62:
	s_or_b64 exec, exec, s[6:7]
	ds_bpermute_b32 v2, v28, v18
	ds_bpermute_b32 v3, v28, v19
	;; [unrolled: 1-line block ×3, first 2 shown]
	v_and_b32_e32 v5, 0x3c0, v0
	v_cmp_eq_u32_e64 s[0:1], 64, v5
	v_cmp_eq_u32_e32 vcc, 0, v30
	s_waitcnt lgkmcnt(1)
	v_pk_add_f32 v[2:3], v[18:19], v[2:3]
	s_waitcnt lgkmcnt(0)
	v_add_f32_e32 v4, v32, v4
	s_barrier
	s_and_saveexec_b64 s[2:3], s[0:1]
	s_cbranch_execz .LBB2_67
; %bb.63:
	s_and_saveexec_b64 s[0:1], vcc
; %bb.64:
	v_mov_b32_e32 v5, 0x150
	v_lshl_add_u32 v5, v29, 2, v5
	ds_write2_b32 v5, v2, v3 offset1:32
; %bb.65:
	s_or_b64 exec, exec, s[0:1]
	v_or_b32_e32 v5, 64, v29
	s_movk_i32 s0, 0x50
	v_cmp_gt_u32_e64 s[0:1], s0, v5
	s_and_b64 s[0:1], vcc, s[0:1]
	s_and_b64 exec, exec, s[0:1]
; %bb.66:
	v_mov_b32_e32 v5, 0x150
	v_lshl_add_u32 v5, v29, 2, v5
	ds_write_b32 v5, v4 offset:256
.LBB2_67:
	s_or_b64 exec, exec, s[2:3]
	v_cmp_gt_u32_e64 s[0:1], 64, v0
	s_waitcnt lgkmcnt(0)
	s_barrier
	s_and_saveexec_b64 s[6:7], s[0:1]
	s_cbranch_execz .LBB2_75
; %bb.68:
	s_and_saveexec_b64 s[2:3], vcc
	s_cbranch_execz .LBB2_70
; %bb.69:
	v_mov_b32_e32 v0, 0x150
	v_lshl_add_u32 v0, v1, 2, v0
	ds_read_b32 v0, v0
	s_waitcnt lgkmcnt(0)
	v_add_f32_e32 v2, v2, v0
.LBB2_70:
	s_or_b64 exec, exec, s[2:3]
	v_or_b32_e32 v0, 32, v1
	s_movk_i32 s8, 0x50
	v_cmp_gt_u32_e64 s[2:3], s8, v0
	s_and_b64 s[12:13], vcc, s[2:3]
	s_and_saveexec_b64 s[2:3], s[12:13]
	s_cbranch_execz .LBB2_72
; %bb.71:
	v_mov_b32_e32 v0, 0x150
	v_lshl_add_u32 v0, v1, 2, v0
	ds_read_b32 v0, v0 offset:128
	s_waitcnt lgkmcnt(0)
	v_add_f32_e32 v3, v3, v0
.LBB2_72:
	s_or_b64 exec, exec, s[2:3]
	v_or_b32_e32 v0, 64, v1
	v_cmp_gt_u32_e64 s[2:3], s8, v0
	s_and_b64 s[8:9], vcc, s[2:3]
	s_and_saveexec_b64 s[2:3], s[8:9]
	s_cbranch_execz .LBB2_74
; %bb.73:
	v_mov_b32_e32 v0, 0x150
	v_lshl_add_u32 v0, v1, 2, v0
	ds_read_b32 v0, v0 offset:256
	s_waitcnt lgkmcnt(0)
	v_add_f32_e32 v4, v4, v0
.LBB2_74:
	s_or_b64 exec, exec, s[2:3]
.LBB2_75:
	s_or_b64 exec, exec, s[6:7]
	s_barrier
	s_and_saveexec_b64 s[2:3], s[0:1]
	s_cbranch_execz .LBB2_82
; %bb.76:
	s_mul_i32 s0, s10, s11
	s_mul_i32 s0, s0, s5
	s_mulk_i32 s0, 0x50
	s_ashr_i32 s1, s0, 31
	s_lshl_b64 s[0:1], s[0:1], 2
	s_add_u32 s2, s22, s0
	s_mul_i32 s0, s11, s20
	s_addc_u32 s3, s23, s1
	s_ashr_i32 s1, s0, 31
	s_lshl_b64 s[0:1], s[0:1], 2
	s_add_u32 s2, s2, s0
	s_mul_i32 s0, s4, 0x50
	s_addc_u32 s3, s3, s1
	s_ashr_i32 s1, s0, 31
	s_lshl_b64 s[0:1], s[0:1], 2
	s_add_u32 s2, s2, s0
	s_movk_i32 s5, 0x50
	s_addc_u32 s3, s3, s1
	v_lshlrev_b32_e32 v0, 2, v1
	s_and_saveexec_b64 s[0:1], vcc
	s_cbranch_execz .LBB2_78
; %bb.77:
	global_store_dword v0, v2, s[2:3]
.LBB2_78:
	s_or_b64 exec, exec, s[0:1]
	v_or_b32_e32 v2, 32, v1
	v_cmp_gt_u32_e64 s[0:1], s5, v2
	s_and_b64 s[4:5], vcc, s[0:1]
	s_and_saveexec_b64 s[0:1], s[4:5]
	s_cbranch_execz .LBB2_80
; %bb.79:
	global_store_dword v0, v3, s[2:3] offset:128
.LBB2_80:
	s_or_b64 exec, exec, s[0:1]
	v_or_b32_e32 v1, 64, v1
	s_movk_i32 s0, 0x50
	v_cmp_gt_u32_e64 s[0:1], s0, v1
	s_and_b64 s[0:1], vcc, s[0:1]
	s_and_b64 exec, exec, s[0:1]
	s_cbranch_execz .LBB2_82
; %bb.81:
	global_store_dword v0, v4, s[2:3] offset:256
.LBB2_82:
	s_endpgm
	.section	.rodata,"a",@progbits
	.p2align	6, 0x0
	.amdhsa_kernel _ZN4vllm25paged_attention_v1_kernelIffLi80ELi8ELi128ELNS_18Fp8KVCacheDataTypeE0ELb1EEEvPT_PKS2_PKT0_S8_ifPKiSA_iPKfiiiSC_SC_iiiii
		.amdhsa_group_segment_fixed_size 336
		.amdhsa_private_segment_fixed_size 0
		.amdhsa_kernarg_size 384
		.amdhsa_user_sgpr_count 2
		.amdhsa_user_sgpr_dispatch_ptr 0
		.amdhsa_user_sgpr_queue_ptr 0
		.amdhsa_user_sgpr_kernarg_segment_ptr 1
		.amdhsa_user_sgpr_dispatch_id 0
		.amdhsa_user_sgpr_kernarg_preload_length 0
		.amdhsa_user_sgpr_kernarg_preload_offset 0
		.amdhsa_user_sgpr_private_segment_size 0
		.amdhsa_uses_dynamic_stack 0
		.amdhsa_enable_private_segment 0
		.amdhsa_system_sgpr_workgroup_id_x 1
		.amdhsa_system_sgpr_workgroup_id_y 1
		.amdhsa_system_sgpr_workgroup_id_z 1
		.amdhsa_system_sgpr_workgroup_info 0
		.amdhsa_system_vgpr_workitem_id 0
		.amdhsa_next_free_vgpr 46
		.amdhsa_next_free_sgpr 44
		.amdhsa_accum_offset 48
		.amdhsa_reserve_vcc 1
		.amdhsa_float_round_mode_32 0
		.amdhsa_float_round_mode_16_64 0
		.amdhsa_float_denorm_mode_32 3
		.amdhsa_float_denorm_mode_16_64 3
		.amdhsa_dx10_clamp 1
		.amdhsa_ieee_mode 1
		.amdhsa_fp16_overflow 0
		.amdhsa_tg_split 0
		.amdhsa_exception_fp_ieee_invalid_op 0
		.amdhsa_exception_fp_denorm_src 0
		.amdhsa_exception_fp_ieee_div_zero 0
		.amdhsa_exception_fp_ieee_overflow 0
		.amdhsa_exception_fp_ieee_underflow 0
		.amdhsa_exception_fp_ieee_inexact 0
		.amdhsa_exception_int_div_zero 0
	.end_amdhsa_kernel
	.section	.text._ZN4vllm25paged_attention_v1_kernelIffLi80ELi8ELi128ELNS_18Fp8KVCacheDataTypeE0ELb1EEEvPT_PKS2_PKT0_S8_ifPKiSA_iPKfiiiSC_SC_iiiii,"axG",@progbits,_ZN4vllm25paged_attention_v1_kernelIffLi80ELi8ELi128ELNS_18Fp8KVCacheDataTypeE0ELb1EEEvPT_PKS2_PKT0_S8_ifPKiSA_iPKfiiiSC_SC_iiiii,comdat
.Lfunc_end2:
	.size	_ZN4vllm25paged_attention_v1_kernelIffLi80ELi8ELi128ELNS_18Fp8KVCacheDataTypeE0ELb1EEEvPT_PKS2_PKT0_S8_ifPKiSA_iPKfiiiSC_SC_iiiii, .Lfunc_end2-_ZN4vllm25paged_attention_v1_kernelIffLi80ELi8ELi128ELNS_18Fp8KVCacheDataTypeE0ELb1EEEvPT_PKS2_PKT0_S8_ifPKiSA_iPKfiiiSC_SC_iiiii
                                        ; -- End function
	.set _ZN4vllm25paged_attention_v1_kernelIffLi80ELi8ELi128ELNS_18Fp8KVCacheDataTypeE0ELb1EEEvPT_PKS2_PKT0_S8_ifPKiSA_iPKfiiiSC_SC_iiiii.num_vgpr, 46
	.set _ZN4vllm25paged_attention_v1_kernelIffLi80ELi8ELi128ELNS_18Fp8KVCacheDataTypeE0ELb1EEEvPT_PKS2_PKT0_S8_ifPKiSA_iPKfiiiSC_SC_iiiii.num_agpr, 0
	.set _ZN4vllm25paged_attention_v1_kernelIffLi80ELi8ELi128ELNS_18Fp8KVCacheDataTypeE0ELb1EEEvPT_PKS2_PKT0_S8_ifPKiSA_iPKfiiiSC_SC_iiiii.numbered_sgpr, 44
	.set _ZN4vllm25paged_attention_v1_kernelIffLi80ELi8ELi128ELNS_18Fp8KVCacheDataTypeE0ELb1EEEvPT_PKS2_PKT0_S8_ifPKiSA_iPKfiiiSC_SC_iiiii.num_named_barrier, 0
	.set _ZN4vllm25paged_attention_v1_kernelIffLi80ELi8ELi128ELNS_18Fp8KVCacheDataTypeE0ELb1EEEvPT_PKS2_PKT0_S8_ifPKiSA_iPKfiiiSC_SC_iiiii.private_seg_size, 0
	.set _ZN4vllm25paged_attention_v1_kernelIffLi80ELi8ELi128ELNS_18Fp8KVCacheDataTypeE0ELb1EEEvPT_PKS2_PKT0_S8_ifPKiSA_iPKfiiiSC_SC_iiiii.uses_vcc, 1
	.set _ZN4vllm25paged_attention_v1_kernelIffLi80ELi8ELi128ELNS_18Fp8KVCacheDataTypeE0ELb1EEEvPT_PKS2_PKT0_S8_ifPKiSA_iPKfiiiSC_SC_iiiii.uses_flat_scratch, 0
	.set _ZN4vllm25paged_attention_v1_kernelIffLi80ELi8ELi128ELNS_18Fp8KVCacheDataTypeE0ELb1EEEvPT_PKS2_PKT0_S8_ifPKiSA_iPKfiiiSC_SC_iiiii.has_dyn_sized_stack, 0
	.set _ZN4vllm25paged_attention_v1_kernelIffLi80ELi8ELi128ELNS_18Fp8KVCacheDataTypeE0ELb1EEEvPT_PKS2_PKT0_S8_ifPKiSA_iPKfiiiSC_SC_iiiii.has_recursion, 0
	.set _ZN4vllm25paged_attention_v1_kernelIffLi80ELi8ELi128ELNS_18Fp8KVCacheDataTypeE0ELb1EEEvPT_PKS2_PKT0_S8_ifPKiSA_iPKfiiiSC_SC_iiiii.has_indirect_call, 0
	.section	.AMDGPU.csdata,"",@progbits
; Kernel info:
; codeLenInByte = 4652
; TotalNumSgprs: 50
; NumVgprs: 46
; NumAgprs: 0
; TotalNumVgprs: 46
; ScratchSize: 0
; MemoryBound: 0
; FloatMode: 240
; IeeeMode: 1
; LDSByteSize: 336 bytes/workgroup (compile time only)
; SGPRBlocks: 6
; VGPRBlocks: 5
; NumSGPRsForWavesPerEU: 50
; NumVGPRsForWavesPerEU: 46
; AccumOffset: 48
; Occupancy: 8
; WaveLimiterHint : 1
; COMPUTE_PGM_RSRC2:SCRATCH_EN: 0
; COMPUTE_PGM_RSRC2:USER_SGPR: 2
; COMPUTE_PGM_RSRC2:TRAP_HANDLER: 0
; COMPUTE_PGM_RSRC2:TGID_X_EN: 1
; COMPUTE_PGM_RSRC2:TGID_Y_EN: 1
; COMPUTE_PGM_RSRC2:TGID_Z_EN: 1
; COMPUTE_PGM_RSRC2:TIDIG_COMP_CNT: 0
; COMPUTE_PGM_RSRC3_GFX90A:ACCUM_OFFSET: 11
; COMPUTE_PGM_RSRC3_GFX90A:TG_SPLIT: 0
	.section	.text._ZN4vllm25paged_attention_v1_kernelIffLi96ELi8ELi128ELNS_18Fp8KVCacheDataTypeE0ELb1EEEvPT_PKS2_PKT0_S8_ifPKiSA_iPKfiiiSC_SC_iiiii,"axG",@progbits,_ZN4vllm25paged_attention_v1_kernelIffLi96ELi8ELi128ELNS_18Fp8KVCacheDataTypeE0ELb1EEEvPT_PKS2_PKT0_S8_ifPKiSA_iPKfiiiSC_SC_iiiii,comdat
	.protected	_ZN4vllm25paged_attention_v1_kernelIffLi96ELi8ELi128ELNS_18Fp8KVCacheDataTypeE0ELb1EEEvPT_PKS2_PKT0_S8_ifPKiSA_iPKfiiiSC_SC_iiiii ; -- Begin function _ZN4vllm25paged_attention_v1_kernelIffLi96ELi8ELi128ELNS_18Fp8KVCacheDataTypeE0ELb1EEEvPT_PKS2_PKT0_S8_ifPKiSA_iPKfiiiSC_SC_iiiii
	.globl	_ZN4vllm25paged_attention_v1_kernelIffLi96ELi8ELi128ELNS_18Fp8KVCacheDataTypeE0ELb1EEEvPT_PKS2_PKT0_S8_ifPKiSA_iPKfiiiSC_SC_iiiii
	.p2align	8
	.type	_ZN4vllm25paged_attention_v1_kernelIffLi96ELi8ELi128ELNS_18Fp8KVCacheDataTypeE0ELb1EEEvPT_PKS2_PKT0_S8_ifPKiSA_iPKfiiiSC_SC_iiiii,@function
_ZN4vllm25paged_attention_v1_kernelIffLi96ELi8ELi128ELNS_18Fp8KVCacheDataTypeE0ELb1EEEvPT_PKS2_PKT0_S8_ifPKiSA_iPKfiiiSC_SC_iiiii: ; @_ZN4vllm25paged_attention_v1_kernelIffLi96ELi8ELi128ELNS_18Fp8KVCacheDataTypeE0ELb1EEEvPT_PKS2_PKT0_S8_ifPKiSA_iPKfiiiSC_SC_iiiii
; %bb.0:
	s_load_dword s5, s[0:1], 0x80
	s_load_dwordx2 s[6:7], s[0:1], 0x30
	s_load_dwordx2 s[30:31], s[0:1], 0x20
	s_mov_b32 s10, s3
	s_ashr_i32 s11, s3, 31
	s_lshl_b64 s[8:9], s[10:11], 2
	s_waitcnt lgkmcnt(0)
	s_add_u32 s6, s6, s8
	s_addc_u32 s7, s7, s9
	s_abs_i32 s3, s30
	v_cvt_f32_u32_e32 v1, s3
	s_sub_i32 s11, 0, s3
	s_abs_i32 s9, s5
	s_xor_b32 s8, s5, s30
	v_rcp_iflag_f32_e32 v1, v1
	s_ashr_i32 s8, s8, 31
	s_mov_b32 s42, 0
	v_mul_f32_e32 v1, 0x4f7ffffe, v1
	v_cvt_u32_f32_e32 v1, v1
	s_nop 0
	v_readfirstlane_b32 s12, v1
	s_mul_i32 s11, s11, s12
	s_mul_hi_u32 s11, s12, s11
	s_add_i32 s12, s12, s11
	s_mul_hi_u32 s11, s9, s12
	s_mul_i32 s12, s11, s3
	s_sub_i32 s9, s9, s12
	s_add_i32 s12, s11, 1
	s_sub_i32 s13, s9, s3
	s_cmp_ge_u32 s9, s3
	s_cselect_b32 s11, s12, s11
	s_cselect_b32 s9, s13, s9
	s_add_i32 s12, s11, 1
	s_cmp_ge_u32 s9, s3
	s_cselect_b32 s3, s12, s11
	s_xor_b32 s3, s3, s8
	s_sub_i32 s12, s3, s8
	s_abs_i32 s11, s12
	v_cvt_f32_u32_e32 v1, s11
	s_load_dwordx2 s[8:9], s[0:1], 0x40
	s_sub_i32 s3, 0, s11
	s_abs_i32 s22, s2
	v_rcp_iflag_f32_e32 v1, v1
	s_nop 0
	v_mul_f32_e32 v1, 0x4f7ffffe, v1
	v_cvt_u32_f32_e32 v1, v1
	s_nop 0
	v_readfirstlane_b32 s13, v1
	s_mul_i32 s3, s3, s13
	s_mul_hi_u32 s3, s13, s3
	s_add_i32 s13, s13, s3
	s_waitcnt lgkmcnt(0)
	s_cmp_eq_u64 s[8:9], 0
	s_mul_hi_u32 s23, s22, s13
	s_cbranch_scc1 .LBB3_2
; %bb.1:
	s_ashr_i32 s3, s2, 31
	s_lshl_b64 s[14:15], s[2:3], 2
	s_add_u32 s8, s8, s14
	s_addc_u32 s9, s9, s15
	s_load_dword s42, s[8:9], 0x0
.LBB3_2:
	s_load_dword s33, s[6:7], 0x0
	s_ashr_i32 s9, s12, 31
	s_load_dwordx4 s[12:15], s[0:1], 0x48
	s_movk_i32 s3, 0x60
	s_ashr_i32 s8, s2, 31
	v_and_b32_e32 v2, 7, v0
	s_mul_i32 s20, s2, 0x60
	v_cmp_gt_u32_e32 vcc, s3, v0
	v_lshlrev_b32_e32 v6, 2, v0
	v_lshrrev_b32_e32 v1, 1, v0
	s_and_saveexec_b64 s[6:7], vcc
	s_cbranch_execz .LBB3_4
; %bb.3:
	s_load_dwordx2 s[16:17], s[0:1], 0x8
	s_waitcnt lgkmcnt(0)
	s_mul_i32 s18, s12, s10
	s_ashr_i32 s19, s18, 31
	s_lshl_b64 s[18:19], s[18:19], 2
	v_and_b32_e32 v4, 0x1fc, v1
	s_add_u32 s3, s16, s18
	s_addc_u32 s12, s17, s19
	s_ashr_i32 s21, s20, 31
	s_lshl_b64 s[16:17], s[20:21], 2
	s_add_u32 s16, s3, s16
	s_addc_u32 s17, s12, s17
	global_load_dword v3, v6, s[16:17]
	v_mad_u32_u24 v4, v2, 48, v4
	s_waitcnt vmcnt(0)
	ds_write_b32 v4, v3
.LBB3_4:
	s_or_b64 exec, exec, s[6:7]
	s_mul_i32 s7, s23, s11
	s_sub_i32 s7, s22, s7
	s_xor_b32 s6, s8, s9
	s_add_i32 s8, s23, 1
	s_sub_i32 s9, s7, s11
	s_load_dwordx4 s[16:19], s[0:1], 0x68
	s_load_dword s3, s[0:1], 0x78
	s_cmp_ge_u32 s7, s11
	s_cselect_b32 s8, s8, s23
	s_cselect_b32 s7, s9, s7
	s_add_i32 s9, s8, 1
	s_cmp_ge_u32 s7, s11
	s_cselect_b32 s7, s9, s8
	s_waitcnt lgkmcnt(0)
	s_abs_i32 s21, s19
	v_cvt_f32_u32_e32 v3, s21
	s_xor_b32 s7, s7, s6
	s_sub_i32 s8, s7, s6
	s_sub_i32 s6, 0, s21
	v_rcp_iflag_f32_e32 v3, v3
	s_add_i32 s11, s33, -1
	s_abs_i32 s9, s11
	v_mul_f32_e32 v3, 0x4f7ffffe, v3
	v_cvt_u32_f32_e32 v3, v3
	s_barrier
	v_readfirstlane_b32 s40, v3
	s_mul_i32 s6, s6, s40
	s_mul_hi_u32 s6, s40, s6
	s_add_i32 s40, s40, s6
	s_cmp_lt_i32 s3, 0
	s_mul_hi_u32 s12, s9, s40
	s_cbranch_scc0 .LBB3_6
; %bb.5:
	s_mul_i32 s6, s16, s30
	s_add_i32 s6, s8, s6
	s_mul_i32 s6, s6, s3
	s_sub_i32 s41, 1, s6
	s_mov_b64 s[6:7], 0
	s_branch .LBB3_7
.LBB3_6:
	s_mov_b64 s[6:7], -1
                                        ; implicit-def: $sgpr41
.LBB3_7:
	s_load_dwordx2 s[24:25], s[0:1], 0x28
	s_ashr_i32 s15, s11, 31
	s_andn2_b64 vcc, exec, s[6:7]
	s_ashr_i32 s19, s19, 31
	s_cbranch_vccnz .LBB3_9
; %bb.8:
	s_mul_i32 s6, s5, s16
	s_add_i32 s2, s6, s2
	s_mul_i32 s2, s2, s3
	s_add_i32 s41, s2, 1
.LBB3_9:
	s_load_dword s2, s[0:1], 0x38
	s_load_dwordx2 s[22:23], s[0:1], 0x0
	s_load_dwordx2 s[28:29], s[0:1], 0x18
	s_load_dword s11, s[0:1], 0x88
	s_xor_b32 s3, s15, s19
	s_waitcnt lgkmcnt(0)
	s_mul_i32 s26, s2, s10
	s_mul_i32 s2, s12, s21
	s_sub_i32 s2, s9, s2
	s_ashr_i32 s27, s26, 31
	s_add_i32 s6, s12, 1
	s_sub_i32 s7, s2, s21
	s_cmp_ge_u32 s2, s21
	s_cselect_b32 s6, s6, s12
	s_cselect_b32 s2, s7, s2
	s_add_i32 s7, s6, 1
	s_cmp_ge_u32 s2, s21
	s_cselect_b32 s2, s7, s6
	s_xor_b32 s2, s2, s3
	s_sub_i32 s12, s2, s3
	s_add_i32 s2, s33, 7
	s_ashr_i32 s3, s2, 31
	s_lshr_b32 s3, s3, 29
	s_add_i32 s2, s2, s3
	s_ashr_i32 s16, s2, 3
	v_lshrrev_b32_e32 v26, 6, v0
	v_cmp_gt_i32_e64 s[2:3], s16, v26
	v_mov_b32_e32 v11, 0xff7fffff
	s_mul_i32 s14, s8, s14
	v_lshrrev_b32_e32 v7, 4, v0
	v_lshlrev_b32_e32 v27, 3, v26
	v_mbcnt_lo_u32_b32 v8, -1, 0
	s_and_saveexec_b64 s[34:35], s[2:3]
	s_cbranch_execz .LBB3_21
; %bb.10:
	s_load_dwordx2 s[0:1], s[0:1], 0x10
	s_ashr_i32 s15, s14, 31
	s_sub_i32 s30, s12, s17
	s_lshl_b64 s[6:7], s[14:15], 2
	v_bfe_u32 v9, v0, 3, 3
	s_waitcnt lgkmcnt(0)
	s_add_u32 s0, s0, s6
	s_addc_u32 s1, s1, s7
	s_abs_i32 s15, s18
	v_cvt_f32_u32_e32 v3, s15
	v_lshlrev_b32_e32 v4, 4, v9
	v_mov_b32_e32 v5, 0
	v_lshl_add_u64 v[10:11], s[0:1], 0, v[4:5]
	v_rcp_iflag_f32_e32 v3, v3
	v_and_b32_e32 v4, 3, v0
	v_lshlrev_b32_e32 v4, 2, v4
	v_lshl_add_u64 v[12:13], v[10:11], 0, v[4:5]
	v_mul_f32_e32 v3, 0x4f7ffffe, v3
	v_cvt_u32_f32_e32 v11, v3
	v_cmp_eq_u32_e32 vcc, 0, v2
	v_mul_u32_u24_e32 v10, 48, v2
	v_lshlrev_b32_e32 v2, 5, v0
	v_and_b32_e32 v4, 0x80, v2
	s_sub_i32 s6, 0, s15
	v_lshl_add_u64 v[2:3], v[12:13], 0, v[4:5]
	v_mul_lo_u32 v4, s6, v11
	v_mul_hi_u32 v4, v11, v4
	v_lshlrev_b32_e32 v15, 2, v9
	v_add_u32_e32 v12, v11, v4
	s_lshl_b64 s[6:7], s[26:27], 2
	v_subrev_u32_e32 v11, s33, v9
	s_add_u32 s6, s24, s6
	v_add_u32_e32 v14, 1, v11
	v_lshl_or_b32 v11, v26, 5, v15
	v_mbcnt_hi_u32_b32 v17, -1, v8
	v_and_b32_e32 v4, 60, v7
	s_addc_u32 s7, s25, s7
	v_add_u32_e32 v15, 0x190, v11
	v_and_b32_e32 v11, 64, v17
	s_mov_b32 s43, s13
	v_cmp_neq_f32_e64 s[0:1], s42, 0
	v_lshl_add_u64 v[4:5], s[6:7], 0, v[4:5]
	v_lshlrev_b32_e32 v13, 3, v26
	v_mov_b32_e32 v16, 0xff7fffff
	s_mov_b64 s[36:37], 0
	v_add_u32_e32 v18, 64, v11
	v_xor_b32_e32 v19, 4, v17
	v_xor_b32_e32 v20, 2, v17
	v_xor_b32_e32 v21, 1, v17
	v_mov_b32_e32 v11, 0xff7fffff
	v_mov_b32_e32 v22, v26
	s_branch .LBB3_13
.LBB3_11:                               ;   in Loop: Header=BB3_13 Depth=1
	s_or_b64 exec, exec, s[38:39]
.LBB3_12:                               ;   in Loop: Header=BB3_13 Depth=1
	s_or_b64 exec, exec, s[8:9]
	v_add_u32_e32 v22, 2, v22
	v_cmp_le_i32_e64 s[6:7], s16, v22
	v_lshl_add_u64 v[4:5], v[4:5], 0, 8
	v_add_u32_e32 v13, 16, v13
	s_or_b64 s[36:37], s[6:7], s[36:37]
	v_add_u32_e32 v15, 64, v15
	s_andn2_b64 exec, exec, s[36:37]
	s_cbranch_execz .LBB3_20
.LBB3_13:                               ; =>This Inner Loop Header: Depth=1
	v_mul_hi_u32 v23, v13, s40
	s_waitcnt lgkmcnt(0)
	v_mul_lo_u32 v24, v23, s21
	v_sub_u32_e32 v24, v13, v24
	v_add_u32_e32 v25, 1, v23
	v_cmp_le_u32_e64 s[6:7], s21, v24
	s_nop 1
	v_cndmask_b32_e64 v23, v23, v25, s[6:7]
	v_subrev_u32_e32 v25, s21, v24
	v_cndmask_b32_e64 v24, v24, v25, s[6:7]
	v_add_u32_e32 v25, 1, v23
	v_cmp_le_u32_e64 s[6:7], s21, v24
	s_nop 1
	v_cndmask_b32_e64 v23, v23, v25, s[6:7]
	v_xor_b32_e32 v23, s19, v23
	v_subrev_u32_e32 v23, s19, v23
	v_add_u32_e32 v24, s41, v23
	v_sub_u32_e32 v28, 0, v24
	v_ashrrev_i32_e32 v25, 31, v24
	v_max_i32_e32 v24, v24, v28
	v_mul_hi_u32 v28, v24, v12
	v_mul_lo_u32 v28, v28, s15
	v_sub_u32_e32 v24, v24, v28
	v_subrev_u32_e32 v28, s15, v24
	v_cmp_le_u32_e64 s[6:7], s15, v24
	v_cmp_ge_i32_e64 s[8:9], s30, v23
	s_nop 0
	v_cndmask_b32_e64 v24, v24, v28, s[6:7]
	v_subrev_u32_e32 v28, s15, v24
	v_cmp_le_u32_e64 s[6:7], s15, v24
	s_nop 1
	v_cndmask_b32_e64 v24, v24, v28, s[6:7]
	v_xor_b32_e32 v24, v24, v25
	v_sub_u32_e32 v24, v24, v25
	v_cmp_ne_u32_e64 s[6:7], 0, v24
	s_and_b64 s[6:7], s[6:7], s[8:9]
	s_and_saveexec_b64 s[8:9], s[6:7]
	s_xor_b64 s[6:7], exec, s[8:9]
	s_cbranch_execz .LBB3_17
; %bb.14:                               ;   in Loop: Header=BB3_13 Depth=1
	s_and_saveexec_b64 s[8:9], vcc
; %bb.15:                               ;   in Loop: Header=BB3_13 Depth=1
	ds_write_b32 v15, v16
; %bb.16:                               ;   in Loop: Header=BB3_13 Depth=1
	s_or_b64 exec, exec, s[8:9]
.LBB3_17:                               ;   in Loop: Header=BB3_13 Depth=1
	s_andn2_saveexec_b64 s[8:9], s[6:7]
	s_cbranch_execz .LBB3_12
; %bb.18:                               ;   in Loop: Header=BB3_13 Depth=1
	global_load_dword v23, v[4:5], off
	s_waitcnt vmcnt(0)
	v_mad_i64_i32 v[24:25], s[6:7], v23, s43, 0
	v_lshl_add_u64 v[24:25], v[24:25], 2, v[2:3]
	global_load_dword v23, v[24:25], off offset:256
	global_load_dword v40, v[24:25], off
	global_load_dword v41, v[24:25], off offset:512
	global_load_dword v42, v[24:25], off offset:768
	global_load_dword v43, v[24:25], off offset:1024
	global_load_dword v44, v[24:25], off offset:1280
	global_load_dword v45, v[24:25], off offset:1536
	global_load_dword v46, v[24:25], off offset:1792
	global_load_dword v47, v[24:25], off offset:2048
	global_load_dword v48, v[24:25], off offset:2304
	global_load_dword v49, v[24:25], off offset:2560
	global_load_dword v50, v[24:25], off offset:2816
	ds_read_b128 v[28:31], v10
	ds_read_b128 v[32:35], v10 offset:16
	ds_read_b128 v[36:39], v10 offset:32
	v_cmp_lt_i32_e64 s[6:7], v19, v18
	s_waitcnt vmcnt(11) lgkmcnt(2)
	v_mul_f32_e32 v23, v29, v23
	s_waitcnt vmcnt(10)
	v_fmac_f32_e32 v23, v28, v40
	s_waitcnt vmcnt(9)
	v_fmac_f32_e32 v23, v30, v41
	;; [unrolled: 2-line block ×3, first 2 shown]
	s_waitcnt vmcnt(7) lgkmcnt(1)
	v_fmac_f32_e32 v23, v32, v43
	s_waitcnt vmcnt(6)
	v_fmac_f32_e32 v23, v33, v44
	s_waitcnt vmcnt(5)
	;; [unrolled: 2-line block ×3, first 2 shown]
	v_fmac_f32_e32 v23, v35, v46
	s_waitcnt vmcnt(3) lgkmcnt(0)
	v_fmac_f32_e32 v23, v36, v47
	s_waitcnt vmcnt(2)
	v_fmac_f32_e32 v23, v37, v48
	v_cndmask_b32_e64 v24, v17, v19, s[6:7]
	s_waitcnt vmcnt(1)
	v_fmac_f32_e32 v23, v38, v49
	v_lshlrev_b32_e32 v24, 2, v24
	s_waitcnt vmcnt(0)
	v_fmac_f32_e32 v23, v39, v50
	ds_bpermute_b32 v24, v24, v23
	v_cmp_lt_i32_e64 s[6:7], v20, v18
	s_waitcnt lgkmcnt(0)
	v_add_f32_e32 v23, v23, v24
	v_cndmask_b32_e64 v25, v17, v20, s[6:7]
	v_lshlrev_b32_e32 v25, 2, v25
	ds_bpermute_b32 v24, v25, v23
	v_cmp_lt_i32_e64 s[6:7], v21, v18
	s_waitcnt lgkmcnt(0)
	v_add_f32_e32 v23, v23, v24
	v_cndmask_b32_e64 v25, v17, v21, s[6:7]
	v_lshlrev_b32_e32 v25, 2, v25
	ds_bpermute_b32 v24, v25, v23
	s_and_saveexec_b64 s[38:39], vcc
	s_cbranch_execz .LBB3_11
; %bb.19:                               ;   in Loop: Header=BB3_13 Depth=1
	v_add_u32_e32 v25, v14, v13
	v_cvt_f32_i32_e32 v25, v25
	s_waitcnt lgkmcnt(0)
	v_add_f32_e32 v23, v23, v24
	v_add_u32_e32 v28, v9, v13
	v_cmp_gt_i32_e64 s[6:7], s33, v28
	v_mul_f32_e32 v24, s42, v25
	v_cndmask_b32_e64 v24, 0, v24, s[0:1]
	v_fmac_f32_e32 v24, s31, v23
	v_cndmask_b32_e64 v23, 0, v24, s[6:7]
	ds_write_b32 v15, v23
	v_max_f32_e32 v23, v11, v11
	v_max_f32_e32 v23, v23, v24
	v_cndmask_b32_e64 v11, v11, v23, s[6:7]
	s_branch .LBB3_11
.LBB3_20:
	s_or_b64 exec, exec, s[36:37]
.LBB3_21:
	s_or_b64 exec, exec, s[34:35]
	v_mbcnt_hi_u32_b32 v2, -1, v8
	v_and_b32_e32 v12, 64, v2
	v_add_u32_e32 v3, 64, v12
	v_xor_b32_e32 v4, 32, v2
	v_cmp_lt_i32_e32 vcc, v4, v3
	v_xor_b32_e32 v9, 16, v2
	v_max_f32_e32 v8, v11, v11
	v_cndmask_b32_e32 v4, v2, v4, vcc
	v_lshlrev_b32_e32 v5, 2, v4
	ds_bpermute_b32 v4, v5, v11
	v_cmp_lt_i32_e32 vcc, v9, v3
	v_xor_b32_e32 v10, 8, v2
	v_and_b32_e32 v28, 63, v0
	s_waitcnt lgkmcnt(0)
	v_max_f32_e32 v4, v4, v4
	v_max_f32_e32 v4, v8, v4
	v_cndmask_b32_e32 v8, v2, v9, vcc
	v_lshlrev_b32_e32 v9, 2, v8
	ds_bpermute_b32 v8, v9, v4
	v_cmp_lt_i32_e32 vcc, v10, v3
	s_waitcnt lgkmcnt(0)
	v_max_f32_e32 v8, v8, v8
	v_max_f32_e32 v8, v4, v8
	v_cndmask_b32_e32 v4, v2, v10, vcc
	v_lshlrev_b32_e32 v10, 2, v4
	ds_bpermute_b32 v11, v10, v8
	v_cmp_eq_u32_e32 vcc, 0, v28
	v_lshlrev_b32_e32 v4, 2, v26
	s_and_saveexec_b64 s[0:1], vcc
	s_cbranch_execz .LBB3_23
; %bb.22:
	s_waitcnt lgkmcnt(0)
	v_max_f32_e32 v11, v11, v11
	v_max_f32_e32 v8, v8, v8
	;; [unrolled: 1-line block ×3, first 2 shown]
	ds_write_b32 v4, v8 offset:384
.LBB3_23:
	s_or_b64 exec, exec, s[0:1]
	v_cmp_gt_u32_e64 s[0:1], 2, v28
	s_waitcnt lgkmcnt(0)
	v_mov_b32_e32 v11, 0xff7fffff
	v_lshlrev_b32_e32 v8, 2, v28
	s_barrier
	s_and_saveexec_b64 s[6:7], s[0:1]
; %bb.24:
	ds_read_b32 v11, v8 offset:384
; %bb.25:
	s_or_b64 exec, exec, s[6:7]
	v_xor_b32_e32 v13, 1, v2
	v_cmp_lt_i32_e64 s[6:7], v13, v3
	v_lshlrev_b32_e32 v12, 2, v12
	s_nop 0
	v_cndmask_b32_e64 v13, v2, v13, s[6:7]
	v_lshlrev_b32_e32 v29, 2, v13
	s_waitcnt lgkmcnt(0)
	ds_bpermute_b32 v13, v29, v11
	v_max_f32_e32 v11, v11, v11
	s_lshl_b32 s6, s16, 3
	s_min_i32 s15, s6, s33
	v_cmp_gt_i32_e64 s[6:7], s15, v0
	s_waitcnt lgkmcnt(0)
	v_max_f32_e32 v13, v13, v13
	v_max_f32_e32 v11, v11, v13
	ds_bpermute_b32 v12, v12, v11
	v_mov_b32_e32 v11, 0
	s_and_saveexec_b64 s[30:31], s[6:7]
	s_cbranch_execz .LBB3_29
; %bb.26:
	v_mov_b32_e32 v11, 0x190
	v_lshl_add_u32 v13, v0, 2, v11
	v_mov_b32_e32 v11, 0
	s_mov_b64 s[34:35], 0
	v_mov_b32_e32 v14, v0
.LBB3_27:                               ; =>This Inner Loop Header: Depth=1
	ds_read_b32 v15, v13
	v_add_u32_e32 v14, 0x80, v14
	v_cmp_le_i32_e64 s[8:9], s15, v14
	s_or_b64 s[34:35], s[8:9], s[34:35]
	s_waitcnt lgkmcnt(0)
	v_sub_f32_e32 v15, v15, v12
	v_mul_f32_e32 v15, 0x3fb8aa3b, v15
	v_exp_f32_e32 v15, v15
	ds_write_b32 v13, v15
	v_add_f32_e32 v11, v11, v15
	v_add_u32_e32 v13, 0x200, v13
	s_andn2_b64 exec, exec, s[34:35]
	s_cbranch_execnz .LBB3_27
; %bb.28:
	s_or_b64 exec, exec, s[34:35]
.LBB3_29:
	s_or_b64 exec, exec, s[30:31]
	ds_bpermute_b32 v5, v5, v11
	s_waitcnt lgkmcnt(0)
	v_add_f32_e32 v5, v11, v5
	ds_bpermute_b32 v9, v9, v5
	s_waitcnt lgkmcnt(0)
	v_add_f32_e32 v5, v5, v9
	ds_bpermute_b32 v9, v10, v5
	v_xor_b32_e32 v10, 4, v2
	v_cmp_lt_i32_e64 s[8:9], v10, v3
	s_waitcnt lgkmcnt(0)
	v_add_f32_e32 v5, v5, v9
	v_cndmask_b32_e64 v10, v2, v10, s[8:9]
	v_lshlrev_b32_e32 v10, 2, v10
	ds_bpermute_b32 v9, v10, v5
	v_xor_b32_e32 v10, 2, v2
	v_cmp_lt_i32_e64 s[8:9], v10, v3
	s_waitcnt lgkmcnt(0)
	v_add_f32_e32 v5, v5, v9
	v_cndmask_b32_e64 v3, v2, v10, s[8:9]
	v_lshlrev_b32_e32 v3, 2, v3
	ds_bpermute_b32 v3, v3, v5
	s_waitcnt lgkmcnt(0)
	v_add_f32_e32 v3, v5, v3
	ds_bpermute_b32 v5, v29, v3
	s_waitcnt lgkmcnt(0)
	v_add_f32_e32 v3, v3, v5
	s_and_saveexec_b64 s[8:9], vcc
; %bb.30:
	ds_write_b32 v4, v3 offset:392
; %bb.31:
	s_or_b64 exec, exec, s[8:9]
	s_waitcnt lgkmcnt(0)
	s_barrier
	s_and_saveexec_b64 s[8:9], s[0:1]
; %bb.32:
	ds_read_b32 v3, v8 offset:392
; %bb.33:
	s_or_b64 exec, exec, s[8:9]
	s_waitcnt lgkmcnt(0)
	ds_bpermute_b32 v4, v29, v3
	v_lshlrev_b32_e32 v2, 2, v2
	v_and_b32_e32 v2, 0x100, v2
	s_waitcnt lgkmcnt(0)
	v_add_f32_e32 v3, v3, v4
	ds_bpermute_b32 v2, v2, v3
	s_and_saveexec_b64 s[0:1], s[6:7]
	s_cbranch_execz .LBB3_46
; %bb.34:
	s_waitcnt lgkmcnt(0)
	v_add_f32_e32 v2, 0x358637bd, v2
	v_div_scale_f32 v3, s[6:7], v2, v2, 1.0
	v_rcp_f32_e32 v4, v3
	v_div_scale_f32 v5, vcc, 1.0, v2, 1.0
	s_movk_i32 s6, 0x7f
	v_fma_f32 v8, -v3, v4, 1.0
	v_fmac_f32_e32 v4, v8, v4
	v_mul_f32_e32 v8, v5, v4
	v_fma_f32 v9, -v3, v8, v5
	v_fmac_f32_e32 v8, v9, v4
	v_fma_f32 v3, -v3, v8, v5
	v_div_fmas_f32 v3, v3, v4, v8
	v_xad_u32 v4, v0, -1, s15
	v_div_fixup_f32 v2, v3, v2, 1.0
	v_cmp_lt_u32_e32 vcc, s6, v4
	s_mov_b64 s[8:9], -1
	v_mov_b32_e32 v3, v0
	s_and_saveexec_b64 s[6:7], vcc
	s_cbranch_execz .LBB3_43
; %bb.35:
	v_lshrrev_b32_e32 v4, 7, v4
	v_add_u32_e32 v8, -1, v4
	v_lshrrev_b32_e32 v5, 1, v8
	v_mov_b32_e32 v3, v2
	v_add_u32_e32 v5, 1, v5
	v_cmp_lt_u32_e32 vcc, 13, v8
	v_mov_b32_e32 v10, 0
	s_and_saveexec_b64 s[8:9], vcc
	s_cbranch_execz .LBB3_39
; %bb.36:
	v_mov_b32_e32 v9, 0x190
	v_and_b32_e32 v8, -8, v5
	v_lshl_add_u32 v9, v0, 2, v9
	s_mov_b32 s34, 0
	s_mov_b64 s[30:31], 0
.LBB3_37:                               ; =>This Inner Loop Header: Depth=1
	ds_read2st64_b32 v[10:11], v9 offset1:2
	ds_read2st64_b32 v[12:13], v9 offset0:4 offset1:6
	ds_read2st64_b32 v[14:15], v9 offset0:8 offset1:10
	;; [unrolled: 1-line block ×3, first 2 shown]
	v_add_u32_e32 v8, -8, v8
	s_waitcnt lgkmcnt(3)
	v_pk_mul_f32 v[10:11], v[2:3], v[10:11]
	s_waitcnt lgkmcnt(2)
	v_pk_mul_f32 v[12:13], v[2:3], v[12:13]
	ds_write2st64_b32 v9, v10, v11 offset1:2
	ds_write2st64_b32 v9, v12, v13 offset0:4 offset1:6
	ds_read2st64_b32 v[12:13], v9 offset0:16 offset1:18
	s_waitcnt lgkmcnt(4)
	v_pk_mul_f32 v[10:11], v[2:3], v[14:15]
	ds_write2st64_b32 v9, v10, v11 offset0:8 offset1:10
	s_waitcnt lgkmcnt(4)
	v_pk_mul_f32 v[10:11], v[2:3], v[16:17]
	ds_write2st64_b32 v9, v10, v11 offset0:12 offset1:14
	ds_read2st64_b32 v[10:11], v9 offset0:20 offset1:22
	s_waitcnt lgkmcnt(3)
	v_pk_mul_f32 v[12:13], v[2:3], v[12:13]
	ds_read2st64_b32 v[14:15], v9 offset0:24 offset1:26
	ds_write2st64_b32 v9, v12, v13 offset0:16 offset1:18
	ds_read2st64_b32 v[12:13], v9 offset0:28 offset1:30
	s_waitcnt lgkmcnt(3)
	v_pk_mul_f32 v[10:11], v[2:3], v[10:11]
	ds_write2st64_b32 v9, v10, v11 offset0:20 offset1:22
	s_waitcnt lgkmcnt(3)
	v_pk_mul_f32 v[10:11], v[2:3], v[14:15]
	ds_write2st64_b32 v9, v10, v11 offset0:24 offset1:26
	s_waitcnt lgkmcnt(2)
	v_pk_mul_f32 v[10:11], v[2:3], v[12:13]
	s_add_i32 s34, s34, 16
	v_cmp_eq_u32_e32 vcc, 0, v8
	ds_write2st64_b32 v9, v10, v11 offset0:28 offset1:30
	v_add_u32_e32 v9, 0x2000, v9
	s_or_b64 s[30:31], vcc, s[30:31]
	v_mov_b32_e32 v10, s34
	s_andn2_b64 exec, exec, s[30:31]
	s_cbranch_execnz .LBB3_37
; %bb.38:
	s_or_b64 exec, exec, s[30:31]
.LBB3_39:
	s_or_b64 exec, exec, s[8:9]
	v_and_b32_e32 v5, 7, v5
	v_cmp_ne_u32_e32 vcc, 0, v5
	s_and_saveexec_b64 s[8:9], vcc
	s_cbranch_execz .LBB3_42
; %bb.40:
	v_lshlrev_b32_e32 v8, 9, v10
	s_movk_i32 s30, 0x190
	v_add3_u32 v8, v8, v6, s30
	s_mov_b64 s[30:31], 0
.LBB3_41:                               ; =>This Inner Loop Header: Depth=1
	ds_read2st64_b32 v[10:11], v8 offset1:2
	v_add_u32_e32 v5, -1, v5
	v_cmp_eq_u32_e32 vcc, 0, v5
	s_or_b64 s[30:31], vcc, s[30:31]
	s_waitcnt lgkmcnt(0)
	v_pk_mul_f32 v[10:11], v[2:3], v[10:11]
	ds_write2st64_b32 v8, v10, v11 offset1:2
	v_add_u32_e32 v8, 0x400, v8
	s_andn2_b64 exec, exec, s[30:31]
	s_cbranch_execnz .LBB3_41
.LBB3_42:
	s_or_b64 exec, exec, s[8:9]
	v_add_u32_e32 v4, 1, v4
	v_and_b32_e32 v5, 0x3fffffe, v4
	v_cmp_ne_u32_e32 vcc, v4, v5
	v_lshl_add_u32 v3, v5, 7, v0
	s_orn2_b64 s[8:9], vcc, exec
.LBB3_43:
	s_or_b64 exec, exec, s[6:7]
	s_and_b64 exec, exec, s[8:9]
	s_cbranch_execz .LBB3_46
; %bb.44:
	v_mov_b32_e32 v4, 0x190
	v_lshl_add_u32 v4, v3, 2, v4
	s_mov_b64 s[6:7], 0
.LBB3_45:                               ; =>This Inner Loop Header: Depth=1
	ds_read_b32 v5, v4
	v_add_u32_e32 v3, 0x80, v3
	v_cmp_le_i32_e32 vcc, s15, v3
	s_or_b64 s[6:7], vcc, s[6:7]
	s_waitcnt lgkmcnt(0)
	v_mul_f32_e32 v5, v2, v5
	ds_write_b32 v4, v5
	v_add_u32_e32 v4, 0x200, v4
	s_andn2_b64 exec, exec, s[6:7]
	s_cbranch_execnz .LBB3_45
.LBB3_46:
	s_or_b64 exec, exec, s[0:1]
	v_mov_b32_e32 v21, 0
	v_and_b32_e32 v30, 1, v0
	v_mov_b32_e32 v20, 0
	v_mov_b32_e32 v19, 0
	s_waitcnt lgkmcnt(0)
	s_barrier
	s_and_saveexec_b64 s[6:7], s[2:3]
	s_cbranch_execz .LBB3_58
; %bb.47:
	s_ashr_i32 s15, s14, 31
	s_sub_i32 s17, s12, s17
	s_lshl_b64 s[0:1], s[14:15], 2
	s_add_u32 s0, s28, s0
	s_addc_u32 s1, s29, s1
	s_abs_i32 s14, s18
	v_cvt_f32_u32_e32 v2, s14
	v_lshlrev_b32_e32 v3, 4, v0
	v_and_b32_e32 v18, 0x3f0, v3
	v_mov_b32_e32 v19, 0
	v_rcp_iflag_f32_e32 v2, v2
	v_lshl_add_u64 v[22:23], s[0:1], 0, v[18:19]
	s_sub_i32 s0, 0, s14
	s_add_i32 s18, s16, -1
	v_mul_f32_e32 v2, 0x4f7ffffe, v2
	v_cvt_u32_f32_e32 v2, v2
	v_and_b32_e32 v18, 60, v7
	v_and_b32_e32 v31, 4, v6
	s_mov_b32 s15, s13
	v_mul_lo_u32 v3, s0, v2
	v_mul_hi_u32 v3, v2, v3
	s_lshl_b64 s[0:1], s[26:27], 2
	v_add_u32_e32 v32, v2, v3
	s_add_u32 s0, s24, s0
	v_lshlrev_b32_e32 v2, 4, v30
	s_addc_u32 s1, s25, s1
	v_lshl_or_b32 v2, v26, 5, v2
	s_mov_b32 s28, s33
	v_lshl_add_u64 v[24:25], s[0:1], 0, v[18:19]
	v_add_u32_e32 v18, 0x190, v2
	s_mov_b64 s[2:3], 0
	v_mov_b32_e32 v20, v19
	v_mov_b32_e32 v21, v19
	s_branch .LBB3_50
.LBB3_48:                               ;   in Loop: Header=BB3_50 Depth=1
	s_or_b64 exec, exec, s[0:1]
	s_waitcnt vmcnt(1) lgkmcnt(0)
	v_mul_f32_e32 v10, v2, v10
	v_mul_f32_e32 v6, v2, v6
	v_fmac_f32_e32 v10, v3, v11
	v_fmac_f32_e32 v6, v3, v7
	;; [unrolled: 1-line block ×4, first 2 shown]
	s_waitcnt vmcnt(0)
	v_pk_mul_f32 v[2:3], v[2:3], v[14:15]
	v_fmac_f32_e32 v10, v5, v13
	v_fmac_f32_e32 v6, v5, v9
	v_pk_mul_f32 v[4:5], v[4:5], v[16:17]
	v_add_f32_e32 v2, v3, v2
	v_add_f32_e32 v2, v4, v2
	;; [unrolled: 1-line block ×6, first 2 shown]
.LBB3_49:                               ;   in Loop: Header=BB3_50 Depth=1
	s_or_b64 exec, exec, s[8:9]
	v_add_u32_e32 v26, 2, v26
	v_cmp_le_i32_e32 vcc, s16, v26
	v_lshl_add_u64 v[24:25], v[24:25], 0, 8
	v_add_u32_e32 v27, 16, v27
	s_or_b64 s[2:3], vcc, s[2:3]
	v_add_u32_e32 v18, 64, v18
	s_andn2_b64 exec, exec, s[2:3]
	s_cbranch_execz .LBB3_57
.LBB3_50:                               ; =>This Inner Loop Header: Depth=1
	v_mul_hi_u32 v2, v27, s40
	v_mul_lo_u32 v3, v2, s21
	v_sub_u32_e32 v3, v27, v3
	v_add_u32_e32 v4, 1, v2
	v_cmp_le_u32_e32 vcc, s21, v3
	s_nop 1
	v_cndmask_b32_e32 v2, v2, v4, vcc
	v_subrev_u32_e32 v4, s21, v3
	v_cndmask_b32_e32 v3, v3, v4, vcc
	v_add_u32_e32 v4, 1, v2
	v_cmp_le_u32_e32 vcc, s21, v3
	s_nop 1
	v_cndmask_b32_e32 v2, v2, v4, vcc
	v_xor_b32_e32 v2, s19, v2
	v_subrev_u32_e32 v2, s19, v2
	v_add_u32_e32 v3, s41, v2
	v_sub_u32_e32 v5, 0, v3
	v_ashrrev_i32_e32 v4, 31, v3
	v_max_i32_e32 v3, v3, v5
	v_mul_hi_u32 v5, v3, v32
	v_mul_lo_u32 v5, v5, s14
	v_sub_u32_e32 v3, v3, v5
	v_subrev_u32_e32 v5, s14, v3
	v_cmp_le_u32_e32 vcc, s14, v3
	v_cmp_lt_i32_e64 s[0:1], s17, v2
	s_nop 0
	v_cndmask_b32_e32 v3, v3, v5, vcc
	v_subrev_u32_e32 v5, s14, v3
	v_cmp_le_u32_e32 vcc, s14, v3
	s_nop 1
	v_cndmask_b32_e32 v3, v3, v5, vcc
	v_xor_b32_e32 v3, v3, v4
	v_sub_u32_e32 v3, v3, v4
	v_cmp_eq_u32_e32 vcc, 0, v3
	s_or_b64 s[0:1], vcc, s[0:1]
	s_and_saveexec_b64 s[8:9], s[0:1]
	s_cbranch_execz .LBB3_49
; %bb.51:                               ;   in Loop: Header=BB3_50 Depth=1
	global_load_dword v2, v[24:25], off
	v_add_u32_e32 v33, v31, v27
	v_cmp_eq_u32_e32 vcc, s18, v26
	v_add_u32_e32 v36, 1, v33
	v_or_b32_e32 v35, 3, v33
	v_or_b32_e32 v34, 2, v33
	s_waitcnt vmcnt(0)
	v_mad_i64_i32 v[2:3], s[0:1], v2, s15, 0
	v_lshl_add_u64 v[14:15], v[2:3], 2, v[22:23]
	global_load_dwordx4 v[6:9], v[14:15], off
	ds_read_b128 v[2:5], v18
	s_and_saveexec_b64 s[12:13], vcc
	s_cbranch_execnz .LBB3_54
; %bb.52:                               ;   in Loop: Header=BB3_50 Depth=1
	s_or_b64 exec, exec, s[12:13]
	global_load_dwordx4 v[10:13], v[14:15], off offset:1024
	s_and_saveexec_b64 s[12:13], vcc
	s_cbranch_execnz .LBB3_55
.LBB3_53:                               ;   in Loop: Header=BB3_50 Depth=1
	s_or_b64 exec, exec, s[12:13]
	global_load_dwordx4 v[14:17], v[14:15], off offset:2048
	s_and_saveexec_b64 s[0:1], vcc
	s_cbranch_execz .LBB3_48
	s_branch .LBB3_56
.LBB3_54:                               ;   in Loop: Header=BB3_50 Depth=1
	v_cmp_gt_i32_e64 s[0:1], s28, v36
	s_waitcnt vmcnt(0)
	s_nop 0
	v_cndmask_b32_e64 v7, 0, v7, s[0:1]
	v_cmp_gt_i32_e64 s[0:1], s33, v33
	s_nop 1
	v_cndmask_b32_e64 v6, 0, v6, s[0:1]
	v_cmp_gt_i32_e64 s[0:1], s28, v35
	;; [unrolled: 3-line block ×3, first 2 shown]
	s_nop 1
	v_cndmask_b32_e64 v8, 0, v8, s[0:1]
	s_or_b64 exec, exec, s[12:13]
	global_load_dwordx4 v[10:13], v[14:15], off offset:1024
	s_and_saveexec_b64 s[12:13], vcc
	s_cbranch_execz .LBB3_53
.LBB3_55:                               ;   in Loop: Header=BB3_50 Depth=1
	v_cmp_gt_i32_e64 s[0:1], s28, v36
	s_waitcnt vmcnt(0)
	s_nop 0
	v_cndmask_b32_e64 v11, 0, v11, s[0:1]
	v_cmp_gt_i32_e64 s[0:1], s33, v33
	s_nop 1
	v_cndmask_b32_e64 v10, 0, v10, s[0:1]
	v_cmp_gt_i32_e64 s[0:1], s28, v35
	;; [unrolled: 3-line block ×3, first 2 shown]
	s_nop 1
	v_cndmask_b32_e64 v12, 0, v12, s[0:1]
	s_or_b64 exec, exec, s[12:13]
	global_load_dwordx4 v[14:17], v[14:15], off offset:2048
	s_and_saveexec_b64 s[0:1], vcc
	s_cbranch_execz .LBB3_48
.LBB3_56:                               ;   in Loop: Header=BB3_50 Depth=1
	v_cmp_gt_i32_e32 vcc, s28, v36
	s_waitcnt vmcnt(0)
	s_nop 0
	v_cndmask_b32_e32 v15, 0, v15, vcc
	v_cmp_gt_i32_e32 vcc, s33, v33
	s_nop 1
	v_cndmask_b32_e32 v14, 0, v14, vcc
	v_cmp_gt_i32_e32 vcc, s28, v35
	;; [unrolled: 3-line block ×3, first 2 shown]
	s_nop 1
	v_cndmask_b32_e32 v16, 0, v16, vcc
	s_branch .LBB3_48
.LBB3_57:
	s_or_b64 exec, exec, s[2:3]
.LBB3_58:
	s_or_b64 exec, exec, s[6:7]
	ds_bpermute_b32 v2, v29, v20
	ds_bpermute_b32 v3, v29, v21
	ds_bpermute_b32 v4, v29, v19
	v_and_b32_e32 v5, 0x3c1, v0
	v_cmp_ne_u32_e32 vcc, 64, v5
	s_waitcnt lgkmcnt(0)
	v_pk_add_f32 v[2:3], v[20:21], v[2:3]
	s_barrier
	s_and_saveexec_b64 s[0:1], vcc
	s_xor_b64 s[0:1], exec, s[0:1]
; %bb.59:
                                        ; implicit-def: $vgpr28
; %bb.60:
	s_or_saveexec_b64 s[0:1], s[0:1]
	v_add_f32_e32 v4, v19, v4
	s_xor_b64 exec, exec, s[0:1]
	s_cbranch_execz .LBB3_62
; %bb.61:
	v_mov_b32_e32 v6, 0x190
	v_lshl_add_u32 v6, v28, 1, v6
	ds_write2_b32 v6, v2, v3 offset1:32
	ds_write_b32 v6, v4 offset:256
.LBB3_62:
	s_or_b64 exec, exec, s[0:1]
	v_cmp_gt_u32_e32 vcc, 64, v0
	s_waitcnt lgkmcnt(0)
	s_barrier
	s_and_saveexec_b64 s[0:1], vcc
	s_cbranch_execz .LBB3_68
; %bb.63:
	v_mov_b32_e32 v0, 0x190
	v_cmp_eq_u32_e32 vcc, 0, v30
	v_lshl_add_u32 v0, v1, 2, v0
	s_and_saveexec_b64 s[2:3], vcc
	s_cbranch_execnz .LBB3_71
; %bb.64:
	s_or_b64 exec, exec, s[2:3]
	s_and_saveexec_b64 s[2:3], vcc
	s_cbranch_execnz .LBB3_72
.LBB3_65:
	s_or_b64 exec, exec, s[2:3]
	s_and_saveexec_b64 s[2:3], vcc
	s_cbranch_execz .LBB3_67
.LBB3_66:
	ds_read_b32 v0, v0 offset:256
	s_waitcnt lgkmcnt(0)
	v_add_f32_e32 v4, v4, v0
.LBB3_67:
	s_or_b64 exec, exec, s[2:3]
.LBB3_68:
	s_or_b64 exec, exec, s[0:1]
	v_cmp_eq_u32_e32 vcc, 0, v5
	s_barrier
	s_and_saveexec_b64 s[0:1], vcc
	s_cbranch_execz .LBB3_70
; %bb.69:
	s_mul_i32 s0, s10, s11
	s_mul_i32 s0, s0, s5
	s_mulk_i32 s0, 0x60
	s_ashr_i32 s1, s0, 31
	s_lshl_b64 s[0:1], s[0:1], 2
	s_add_u32 s2, s22, s0
	s_mul_i32 s0, s11, s20
	s_addc_u32 s3, s23, s1
	s_ashr_i32 s1, s0, 31
	s_lshl_b64 s[0:1], s[0:1], 2
	s_add_u32 s2, s2, s0
	s_mul_i32 s0, s4, 0x60
	s_addc_u32 s3, s3, s1
	s_ashr_i32 s1, s0, 31
	s_lshl_b64 s[0:1], s[0:1], 2
	s_add_u32 s0, s2, s0
	s_addc_u32 s1, s3, s1
	v_lshlrev_b32_e32 v0, 2, v1
	global_store_dword v0, v2, s[0:1]
	global_store_dword v0, v3, s[0:1] offset:128
	global_store_dword v0, v4, s[0:1] offset:256
.LBB3_70:
	s_endpgm
.LBB3_71:
	ds_read_b32 v6, v0
	s_waitcnt lgkmcnt(0)
	v_add_f32_e32 v2, v2, v6
	s_or_b64 exec, exec, s[2:3]
	s_and_saveexec_b64 s[2:3], vcc
	s_cbranch_execz .LBB3_65
.LBB3_72:
	ds_read_b32 v6, v0 offset:128
	s_waitcnt lgkmcnt(0)
	v_add_f32_e32 v3, v3, v6
	s_or_b64 exec, exec, s[2:3]
	s_and_saveexec_b64 s[2:3], vcc
	s_cbranch_execnz .LBB3_66
	s_branch .LBB3_67
	.section	.rodata,"a",@progbits
	.p2align	6, 0x0
	.amdhsa_kernel _ZN4vllm25paged_attention_v1_kernelIffLi96ELi8ELi128ELNS_18Fp8KVCacheDataTypeE0ELb1EEEvPT_PKS2_PKT0_S8_ifPKiSA_iPKfiiiSC_SC_iiiii
		.amdhsa_group_segment_fixed_size 400
		.amdhsa_private_segment_fixed_size 0
		.amdhsa_kernarg_size 384
		.amdhsa_user_sgpr_count 2
		.amdhsa_user_sgpr_dispatch_ptr 0
		.amdhsa_user_sgpr_queue_ptr 0
		.amdhsa_user_sgpr_kernarg_segment_ptr 1
		.amdhsa_user_sgpr_dispatch_id 0
		.amdhsa_user_sgpr_kernarg_preload_length 0
		.amdhsa_user_sgpr_kernarg_preload_offset 0
		.amdhsa_user_sgpr_private_segment_size 0
		.amdhsa_uses_dynamic_stack 0
		.amdhsa_enable_private_segment 0
		.amdhsa_system_sgpr_workgroup_id_x 1
		.amdhsa_system_sgpr_workgroup_id_y 1
		.amdhsa_system_sgpr_workgroup_id_z 1
		.amdhsa_system_sgpr_workgroup_info 0
		.amdhsa_system_vgpr_workitem_id 0
		.amdhsa_next_free_vgpr 51
		.amdhsa_next_free_sgpr 44
		.amdhsa_accum_offset 52
		.amdhsa_reserve_vcc 1
		.amdhsa_float_round_mode_32 0
		.amdhsa_float_round_mode_16_64 0
		.amdhsa_float_denorm_mode_32 3
		.amdhsa_float_denorm_mode_16_64 3
		.amdhsa_dx10_clamp 1
		.amdhsa_ieee_mode 1
		.amdhsa_fp16_overflow 0
		.amdhsa_tg_split 0
		.amdhsa_exception_fp_ieee_invalid_op 0
		.amdhsa_exception_fp_denorm_src 0
		.amdhsa_exception_fp_ieee_div_zero 0
		.amdhsa_exception_fp_ieee_overflow 0
		.amdhsa_exception_fp_ieee_underflow 0
		.amdhsa_exception_fp_ieee_inexact 0
		.amdhsa_exception_int_div_zero 0
	.end_amdhsa_kernel
	.section	.text._ZN4vllm25paged_attention_v1_kernelIffLi96ELi8ELi128ELNS_18Fp8KVCacheDataTypeE0ELb1EEEvPT_PKS2_PKT0_S8_ifPKiSA_iPKfiiiSC_SC_iiiii,"axG",@progbits,_ZN4vllm25paged_attention_v1_kernelIffLi96ELi8ELi128ELNS_18Fp8KVCacheDataTypeE0ELb1EEEvPT_PKS2_PKT0_S8_ifPKiSA_iPKfiiiSC_SC_iiiii,comdat
.Lfunc_end3:
	.size	_ZN4vllm25paged_attention_v1_kernelIffLi96ELi8ELi128ELNS_18Fp8KVCacheDataTypeE0ELb1EEEvPT_PKS2_PKT0_S8_ifPKiSA_iPKfiiiSC_SC_iiiii, .Lfunc_end3-_ZN4vllm25paged_attention_v1_kernelIffLi96ELi8ELi128ELNS_18Fp8KVCacheDataTypeE0ELb1EEEvPT_PKS2_PKT0_S8_ifPKiSA_iPKfiiiSC_SC_iiiii
                                        ; -- End function
	.set _ZN4vllm25paged_attention_v1_kernelIffLi96ELi8ELi128ELNS_18Fp8KVCacheDataTypeE0ELb1EEEvPT_PKS2_PKT0_S8_ifPKiSA_iPKfiiiSC_SC_iiiii.num_vgpr, 51
	.set _ZN4vllm25paged_attention_v1_kernelIffLi96ELi8ELi128ELNS_18Fp8KVCacheDataTypeE0ELb1EEEvPT_PKS2_PKT0_S8_ifPKiSA_iPKfiiiSC_SC_iiiii.num_agpr, 0
	.set _ZN4vllm25paged_attention_v1_kernelIffLi96ELi8ELi128ELNS_18Fp8KVCacheDataTypeE0ELb1EEEvPT_PKS2_PKT0_S8_ifPKiSA_iPKfiiiSC_SC_iiiii.numbered_sgpr, 44
	.set _ZN4vllm25paged_attention_v1_kernelIffLi96ELi8ELi128ELNS_18Fp8KVCacheDataTypeE0ELb1EEEvPT_PKS2_PKT0_S8_ifPKiSA_iPKfiiiSC_SC_iiiii.num_named_barrier, 0
	.set _ZN4vllm25paged_attention_v1_kernelIffLi96ELi8ELi128ELNS_18Fp8KVCacheDataTypeE0ELb1EEEvPT_PKS2_PKT0_S8_ifPKiSA_iPKfiiiSC_SC_iiiii.private_seg_size, 0
	.set _ZN4vllm25paged_attention_v1_kernelIffLi96ELi8ELi128ELNS_18Fp8KVCacheDataTypeE0ELb1EEEvPT_PKS2_PKT0_S8_ifPKiSA_iPKfiiiSC_SC_iiiii.uses_vcc, 1
	.set _ZN4vllm25paged_attention_v1_kernelIffLi96ELi8ELi128ELNS_18Fp8KVCacheDataTypeE0ELb1EEEvPT_PKS2_PKT0_S8_ifPKiSA_iPKfiiiSC_SC_iiiii.uses_flat_scratch, 0
	.set _ZN4vllm25paged_attention_v1_kernelIffLi96ELi8ELi128ELNS_18Fp8KVCacheDataTypeE0ELb1EEEvPT_PKS2_PKT0_S8_ifPKiSA_iPKfiiiSC_SC_iiiii.has_dyn_sized_stack, 0
	.set _ZN4vllm25paged_attention_v1_kernelIffLi96ELi8ELi128ELNS_18Fp8KVCacheDataTypeE0ELb1EEEvPT_PKS2_PKT0_S8_ifPKiSA_iPKfiiiSC_SC_iiiii.has_recursion, 0
	.set _ZN4vllm25paged_attention_v1_kernelIffLi96ELi8ELi128ELNS_18Fp8KVCacheDataTypeE0ELb1EEEvPT_PKS2_PKT0_S8_ifPKiSA_iPKfiiiSC_SC_iiiii.has_indirect_call, 0
	.section	.AMDGPU.csdata,"",@progbits
; Kernel info:
; codeLenInByte = 4368
; TotalNumSgprs: 50
; NumVgprs: 51
; NumAgprs: 0
; TotalNumVgprs: 51
; ScratchSize: 0
; MemoryBound: 0
; FloatMode: 240
; IeeeMode: 1
; LDSByteSize: 400 bytes/workgroup (compile time only)
; SGPRBlocks: 6
; VGPRBlocks: 6
; NumSGPRsForWavesPerEU: 50
; NumVGPRsForWavesPerEU: 51
; AccumOffset: 52
; Occupancy: 8
; WaveLimiterHint : 1
; COMPUTE_PGM_RSRC2:SCRATCH_EN: 0
; COMPUTE_PGM_RSRC2:USER_SGPR: 2
; COMPUTE_PGM_RSRC2:TRAP_HANDLER: 0
; COMPUTE_PGM_RSRC2:TGID_X_EN: 1
; COMPUTE_PGM_RSRC2:TGID_Y_EN: 1
; COMPUTE_PGM_RSRC2:TGID_Z_EN: 1
; COMPUTE_PGM_RSRC2:TIDIG_COMP_CNT: 0
; COMPUTE_PGM_RSRC3_GFX90A:ACCUM_OFFSET: 12
; COMPUTE_PGM_RSRC3_GFX90A:TG_SPLIT: 0
	.section	.text._ZN4vllm25paged_attention_v1_kernelIffLi112ELi8ELi128ELNS_18Fp8KVCacheDataTypeE0ELb1EEEvPT_PKS2_PKT0_S8_ifPKiSA_iPKfiiiSC_SC_iiiii,"axG",@progbits,_ZN4vllm25paged_attention_v1_kernelIffLi112ELi8ELi128ELNS_18Fp8KVCacheDataTypeE0ELb1EEEvPT_PKS2_PKT0_S8_ifPKiSA_iPKfiiiSC_SC_iiiii,comdat
	.protected	_ZN4vllm25paged_attention_v1_kernelIffLi112ELi8ELi128ELNS_18Fp8KVCacheDataTypeE0ELb1EEEvPT_PKS2_PKT0_S8_ifPKiSA_iPKfiiiSC_SC_iiiii ; -- Begin function _ZN4vllm25paged_attention_v1_kernelIffLi112ELi8ELi128ELNS_18Fp8KVCacheDataTypeE0ELb1EEEvPT_PKS2_PKT0_S8_ifPKiSA_iPKfiiiSC_SC_iiiii
	.globl	_ZN4vllm25paged_attention_v1_kernelIffLi112ELi8ELi128ELNS_18Fp8KVCacheDataTypeE0ELb1EEEvPT_PKS2_PKT0_S8_ifPKiSA_iPKfiiiSC_SC_iiiii
	.p2align	8
	.type	_ZN4vllm25paged_attention_v1_kernelIffLi112ELi8ELi128ELNS_18Fp8KVCacheDataTypeE0ELb1EEEvPT_PKS2_PKT0_S8_ifPKiSA_iPKfiiiSC_SC_iiiii,@function
_ZN4vllm25paged_attention_v1_kernelIffLi112ELi8ELi128ELNS_18Fp8KVCacheDataTypeE0ELb1EEEvPT_PKS2_PKT0_S8_ifPKiSA_iPKfiiiSC_SC_iiiii: ; @_ZN4vllm25paged_attention_v1_kernelIffLi112ELi8ELi128ELNS_18Fp8KVCacheDataTypeE0ELb1EEEvPT_PKS2_PKT0_S8_ifPKiSA_iPKfiiiSC_SC_iiiii
; %bb.0:
	s_load_dword s5, s[0:1], 0x80
	s_load_dwordx2 s[6:7], s[0:1], 0x30
	s_load_dwordx2 s[30:31], s[0:1], 0x20
	s_mov_b32 s10, s3
	s_ashr_i32 s11, s3, 31
	s_lshl_b64 s[8:9], s[10:11], 2
	s_waitcnt lgkmcnt(0)
	s_add_u32 s6, s6, s8
	s_addc_u32 s7, s7, s9
	s_abs_i32 s3, s30
	v_cvt_f32_u32_e32 v1, s3
	s_sub_i32 s11, 0, s3
	s_abs_i32 s9, s5
	s_xor_b32 s8, s5, s30
	v_rcp_iflag_f32_e32 v1, v1
	s_ashr_i32 s8, s8, 31
	s_mov_b32 s43, 0
	v_mul_f32_e32 v1, 0x4f7ffffe, v1
	v_cvt_u32_f32_e32 v1, v1
	s_nop 0
	v_readfirstlane_b32 s12, v1
	s_mul_i32 s11, s11, s12
	s_mul_hi_u32 s11, s12, s11
	s_add_i32 s12, s12, s11
	s_mul_hi_u32 s11, s9, s12
	s_mul_i32 s12, s11, s3
	s_sub_i32 s9, s9, s12
	s_add_i32 s12, s11, 1
	s_sub_i32 s13, s9, s3
	s_cmp_ge_u32 s9, s3
	s_cselect_b32 s11, s12, s11
	s_cselect_b32 s9, s13, s9
	s_add_i32 s12, s11, 1
	s_cmp_ge_u32 s9, s3
	s_cselect_b32 s3, s12, s11
	s_xor_b32 s3, s3, s8
	s_sub_i32 s12, s3, s8
	s_abs_i32 s11, s12
	v_cvt_f32_u32_e32 v1, s11
	s_load_dwordx2 s[8:9], s[0:1], 0x40
	s_sub_i32 s3, 0, s11
	s_abs_i32 s22, s2
	v_rcp_iflag_f32_e32 v1, v1
	s_nop 0
	v_mul_f32_e32 v1, 0x4f7ffffe, v1
	v_cvt_u32_f32_e32 v1, v1
	s_nop 0
	v_readfirstlane_b32 s13, v1
	s_mul_i32 s3, s3, s13
	s_mul_hi_u32 s3, s13, s3
	s_add_i32 s13, s13, s3
	s_waitcnt lgkmcnt(0)
	s_cmp_eq_u64 s[8:9], 0
	s_mul_hi_u32 s23, s22, s13
	s_cbranch_scc1 .LBB4_2
; %bb.1:
	s_ashr_i32 s3, s2, 31
	s_lshl_b64 s[14:15], s[2:3], 2
	s_add_u32 s8, s8, s14
	s_addc_u32 s9, s9, s15
	s_load_dword s43, s[8:9], 0x0
.LBB4_2:
	s_load_dword s33, s[6:7], 0x0
	s_ashr_i32 s9, s12, 31
	s_load_dwordx4 s[12:15], s[0:1], 0x48
	s_movk_i32 s3, 0x70
	s_ashr_i32 s8, s2, 31
	v_and_b32_e32 v2, 7, v0
	s_mul_i32 s20, s2, 0x70
	v_cmp_gt_u32_e32 vcc, s3, v0
	v_lshlrev_b32_e32 v6, 2, v0
	v_lshrrev_b32_e32 v1, 1, v0
	s_and_saveexec_b64 s[6:7], vcc
	s_cbranch_execz .LBB4_4
; %bb.3:
	s_load_dwordx2 s[16:17], s[0:1], 0x8
	s_waitcnt lgkmcnt(0)
	s_mul_i32 s18, s12, s10
	s_ashr_i32 s19, s18, 31
	s_lshl_b64 s[18:19], s[18:19], 2
	v_and_b32_e32 v4, 0x1fc, v1
	s_add_u32 s3, s16, s18
	s_addc_u32 s12, s17, s19
	s_ashr_i32 s21, s20, 31
	s_lshl_b64 s[16:17], s[20:21], 2
	s_add_u32 s16, s3, s16
	s_addc_u32 s17, s12, s17
	global_load_dword v3, v6, s[16:17]
	v_mad_u32_u24 v4, v2, 56, v4
	s_waitcnt vmcnt(0)
	ds_write_b32 v4, v3
.LBB4_4:
	s_or_b64 exec, exec, s[6:7]
	s_mul_i32 s7, s23, s11
	s_sub_i32 s7, s22, s7
	s_xor_b32 s6, s8, s9
	s_add_i32 s8, s23, 1
	s_sub_i32 s9, s7, s11
	s_load_dwordx4 s[16:19], s[0:1], 0x68
	s_load_dword s3, s[0:1], 0x78
	s_cmp_ge_u32 s7, s11
	s_cselect_b32 s8, s8, s23
	s_cselect_b32 s7, s9, s7
	s_add_i32 s9, s8, 1
	s_cmp_ge_u32 s7, s11
	s_cselect_b32 s7, s9, s8
	s_waitcnt lgkmcnt(0)
	s_abs_i32 s21, s19
	v_cvt_f32_u32_e32 v3, s21
	s_xor_b32 s7, s7, s6
	s_sub_i32 s8, s7, s6
	s_sub_i32 s6, 0, s21
	v_rcp_iflag_f32_e32 v3, v3
	s_add_i32 s11, s33, -1
	s_abs_i32 s9, s11
	v_mul_f32_e32 v3, 0x4f7ffffe, v3
	v_cvt_u32_f32_e32 v3, v3
	s_barrier
	v_readfirstlane_b32 s40, v3
	s_mul_i32 s6, s6, s40
	s_mul_hi_u32 s6, s40, s6
	s_add_i32 s40, s40, s6
	s_cmp_lt_i32 s3, 0
	s_mul_hi_u32 s12, s9, s40
	s_cbranch_scc0 .LBB4_6
; %bb.5:
	s_mul_i32 s6, s16, s30
	s_add_i32 s6, s8, s6
	s_mul_i32 s6, s6, s3
	s_sub_i32 s41, 1, s6
	s_mov_b64 s[6:7], 0
	s_branch .LBB4_7
.LBB4_6:
	s_mov_b64 s[6:7], -1
                                        ; implicit-def: $sgpr41
.LBB4_7:
	s_load_dwordx2 s[24:25], s[0:1], 0x28
	s_ashr_i32 s15, s11, 31
	s_andn2_b64 vcc, exec, s[6:7]
	s_ashr_i32 s19, s19, 31
	s_cbranch_vccnz .LBB4_9
; %bb.8:
	s_mul_i32 s6, s5, s16
	s_add_i32 s2, s6, s2
	s_mul_i32 s2, s2, s3
	s_add_i32 s41, s2, 1
.LBB4_9:
	s_load_dword s2, s[0:1], 0x38
	s_load_dwordx2 s[22:23], s[0:1], 0x0
	s_load_dwordx2 s[28:29], s[0:1], 0x18
	s_load_dword s11, s[0:1], 0x88
	s_xor_b32 s3, s15, s19
	s_waitcnt lgkmcnt(0)
	s_mul_i32 s26, s2, s10
	s_mul_i32 s2, s12, s21
	s_sub_i32 s2, s9, s2
	s_ashr_i32 s27, s26, 31
	s_add_i32 s6, s12, 1
	s_sub_i32 s7, s2, s21
	s_cmp_ge_u32 s2, s21
	s_cselect_b32 s6, s6, s12
	s_cselect_b32 s2, s7, s2
	s_add_i32 s7, s6, 1
	s_cmp_ge_u32 s2, s21
	s_cselect_b32 s2, s7, s6
	s_xor_b32 s2, s2, s3
	s_sub_i32 s12, s2, s3
	s_add_i32 s2, s33, 7
	s_ashr_i32 s3, s2, 31
	s_lshr_b32 s3, s3, 29
	s_add_i32 s2, s2, s3
	s_ashr_i32 s42, s2, 3
	v_lshrrev_b32_e32 v32, 6, v0
	v_cmp_le_i32_e64 s[2:3], s42, v32
	v_cmp_gt_i32_e32 vcc, s42, v32
	v_mov_b32_e32 v11, 0xff7fffff
	s_mul_i32 s14, s8, s14
	v_lshrrev_b32_e32 v7, 4, v0
	v_lshlrev_b32_e32 v33, 3, v32
	v_mbcnt_lo_u32_b32 v8, -1, 0
	s_and_saveexec_b64 s[34:35], vcc
	s_cbranch_execz .LBB4_21
; %bb.10:
	s_load_dwordx2 s[0:1], s[0:1], 0x10
	s_ashr_i32 s15, s14, 31
	s_sub_i32 s16, s12, s17
	s_lshl_b64 s[6:7], s[14:15], 2
	v_bfe_u32 v9, v0, 3, 3
	s_waitcnt lgkmcnt(0)
	s_add_u32 s0, s0, s6
	s_addc_u32 s1, s1, s7
	s_abs_i32 s15, s18
	v_cvt_f32_u32_e32 v3, s15
	v_lshlrev_b32_e32 v4, 4, v9
	v_mov_b32_e32 v5, 0
	v_lshl_add_u64 v[10:11], s[0:1], 0, v[4:5]
	v_rcp_iflag_f32_e32 v3, v3
	v_and_b32_e32 v4, 3, v0
	v_lshlrev_b32_e32 v4, 2, v4
	v_lshl_add_u64 v[12:13], v[10:11], 0, v[4:5]
	v_mul_f32_e32 v3, 0x4f7ffffe, v3
	v_cvt_u32_f32_e32 v11, v3
	v_cmp_eq_u32_e32 vcc, 0, v2
	v_mul_u32_u24_e32 v10, 56, v2
	v_lshlrev_b32_e32 v2, 5, v0
	v_and_b32_e32 v4, 0x80, v2
	s_sub_i32 s6, 0, s15
	v_lshl_add_u64 v[2:3], v[12:13], 0, v[4:5]
	v_mul_lo_u32 v4, s6, v11
	v_mul_hi_u32 v4, v11, v4
	v_lshlrev_b32_e32 v15, 2, v9
	v_add_u32_e32 v12, v11, v4
	s_lshl_b64 s[6:7], s[26:27], 2
	v_subrev_u32_e32 v11, s33, v9
	s_add_u32 s6, s24, s6
	v_add_u32_e32 v14, 1, v11
	v_lshl_or_b32 v11, v32, 5, v15
	v_mbcnt_hi_u32_b32 v17, -1, v8
	v_and_b32_e32 v4, 60, v7
	s_addc_u32 s7, s25, s7
	v_add_u32_e32 v15, 0x1d0, v11
	v_and_b32_e32 v11, 64, v17
	s_mov_b32 s30, s13
	v_cmp_neq_f32_e64 s[0:1], s43, 0
	v_lshl_add_u64 v[4:5], s[6:7], 0, v[4:5]
	v_lshlrev_b32_e32 v13, 3, v32
	v_mov_b32_e32 v16, 0xff7fffff
	s_mov_b64 s[36:37], 0
	v_add_u32_e32 v18, 64, v11
	v_xor_b32_e32 v19, 4, v17
	v_xor_b32_e32 v20, 2, v17
	;; [unrolled: 1-line block ×3, first 2 shown]
	v_mov_b32_e32 v11, 0xff7fffff
	v_mov_b32_e32 v22, v32
	s_branch .LBB4_13
.LBB4_11:                               ;   in Loop: Header=BB4_13 Depth=1
	s_or_b64 exec, exec, s[38:39]
.LBB4_12:                               ;   in Loop: Header=BB4_13 Depth=1
	s_or_b64 exec, exec, s[8:9]
	v_add_u32_e32 v22, 2, v22
	v_cmp_le_i32_e64 s[6:7], s42, v22
	v_lshl_add_u64 v[4:5], v[4:5], 0, 8
	v_add_u32_e32 v13, 16, v13
	s_or_b64 s[36:37], s[6:7], s[36:37]
	v_add_u32_e32 v15, 64, v15
	s_andn2_b64 exec, exec, s[36:37]
	s_cbranch_execz .LBB4_20
.LBB4_13:                               ; =>This Inner Loop Header: Depth=1
	v_mul_hi_u32 v23, v13, s40
	s_waitcnt lgkmcnt(0)
	v_mul_lo_u32 v24, v23, s21
	v_sub_u32_e32 v24, v13, v24
	v_add_u32_e32 v25, 1, v23
	v_cmp_le_u32_e64 s[6:7], s21, v24
	s_nop 1
	v_cndmask_b32_e64 v23, v23, v25, s[6:7]
	v_subrev_u32_e32 v25, s21, v24
	v_cndmask_b32_e64 v24, v24, v25, s[6:7]
	v_add_u32_e32 v25, 1, v23
	v_cmp_le_u32_e64 s[6:7], s21, v24
	s_nop 1
	v_cndmask_b32_e64 v23, v23, v25, s[6:7]
	v_xor_b32_e32 v23, s19, v23
	v_subrev_u32_e32 v23, s19, v23
	v_add_u32_e32 v24, s41, v23
	v_sub_u32_e32 v26, 0, v24
	v_ashrrev_i32_e32 v25, 31, v24
	v_max_i32_e32 v24, v24, v26
	v_mul_hi_u32 v26, v24, v12
	v_mul_lo_u32 v26, v26, s15
	v_sub_u32_e32 v24, v24, v26
	v_subrev_u32_e32 v26, s15, v24
	v_cmp_le_u32_e64 s[6:7], s15, v24
	v_cmp_ge_i32_e64 s[8:9], s16, v23
	s_nop 0
	v_cndmask_b32_e64 v24, v24, v26, s[6:7]
	v_subrev_u32_e32 v26, s15, v24
	v_cmp_le_u32_e64 s[6:7], s15, v24
	s_nop 1
	v_cndmask_b32_e64 v24, v24, v26, s[6:7]
	v_xor_b32_e32 v24, v24, v25
	v_sub_u32_e32 v24, v24, v25
	v_cmp_ne_u32_e64 s[6:7], 0, v24
	s_and_b64 s[6:7], s[6:7], s[8:9]
	s_and_saveexec_b64 s[8:9], s[6:7]
	s_xor_b64 s[6:7], exec, s[8:9]
	s_cbranch_execz .LBB4_17
; %bb.14:                               ;   in Loop: Header=BB4_13 Depth=1
	s_and_saveexec_b64 s[8:9], vcc
; %bb.15:                               ;   in Loop: Header=BB4_13 Depth=1
	ds_write_b32 v15, v16
; %bb.16:                               ;   in Loop: Header=BB4_13 Depth=1
	s_or_b64 exec, exec, s[8:9]
.LBB4_17:                               ;   in Loop: Header=BB4_13 Depth=1
	s_andn2_saveexec_b64 s[8:9], s[6:7]
	s_cbranch_execz .LBB4_12
; %bb.18:                               ;   in Loop: Header=BB4_13 Depth=1
	global_load_dword v23, v[4:5], off
	s_waitcnt vmcnt(0)
	v_mad_i64_i32 v[24:25], s[6:7], v23, s30, 0
	v_lshl_add_u64 v[24:25], v[24:25], 2, v[2:3]
	global_load_dword v23, v[24:25], off offset:256
	global_load_dword v40, v[24:25], off
	global_load_dword v41, v[24:25], off offset:512
	global_load_dword v42, v[24:25], off offset:768
	;; [unrolled: 1-line block ×12, first 2 shown]
	ds_read2_b64 v[24:27], v10 offset1:1
	ds_read2_b64 v[28:31], v10 offset0:2 offset1:3
	ds_read2_b64 v[34:37], v10 offset0:4 offset1:5
	ds_read_b64 v[38:39], v10 offset:48
	v_cmp_lt_i32_e64 s[6:7], v19, v18
	s_waitcnt vmcnt(13) lgkmcnt(3)
	v_mul_f32_e32 v23, v25, v23
	s_waitcnt vmcnt(12)
	v_fmac_f32_e32 v23, v24, v40
	s_waitcnt vmcnt(11)
	v_fmac_f32_e32 v23, v26, v41
	;; [unrolled: 2-line block ×3, first 2 shown]
	s_waitcnt vmcnt(9) lgkmcnt(2)
	v_fmac_f32_e32 v23, v28, v43
	s_waitcnt vmcnt(8)
	v_fmac_f32_e32 v23, v29, v44
	s_waitcnt vmcnt(7)
	;; [unrolled: 2-line block ×3, first 2 shown]
	v_fmac_f32_e32 v23, v31, v46
	s_waitcnt vmcnt(5) lgkmcnt(1)
	v_fmac_f32_e32 v23, v34, v47
	s_waitcnt vmcnt(4)
	v_fmac_f32_e32 v23, v35, v48
	s_waitcnt vmcnt(3)
	v_fmac_f32_e32 v23, v36, v49
	s_waitcnt vmcnt(2)
	v_fmac_f32_e32 v23, v37, v50
	v_cndmask_b32_e64 v53, v17, v19, s[6:7]
	s_waitcnt vmcnt(1) lgkmcnt(0)
	v_fmac_f32_e32 v23, v38, v51
	v_lshlrev_b32_e32 v53, 2, v53
	s_waitcnt vmcnt(0)
	v_fmac_f32_e32 v23, v39, v52
	ds_bpermute_b32 v24, v53, v23
	v_cmp_lt_i32_e64 s[6:7], v20, v18
	s_waitcnt lgkmcnt(0)
	v_add_f32_e32 v23, v23, v24
	v_cndmask_b32_e64 v25, v17, v20, s[6:7]
	v_lshlrev_b32_e32 v25, 2, v25
	ds_bpermute_b32 v24, v25, v23
	v_cmp_lt_i32_e64 s[6:7], v21, v18
	s_waitcnt lgkmcnt(0)
	v_add_f32_e32 v23, v23, v24
	v_cndmask_b32_e64 v25, v17, v21, s[6:7]
	v_lshlrev_b32_e32 v25, 2, v25
	ds_bpermute_b32 v24, v25, v23
	s_and_saveexec_b64 s[38:39], vcc
	s_cbranch_execz .LBB4_11
; %bb.19:                               ;   in Loop: Header=BB4_13 Depth=1
	v_add_u32_e32 v25, v14, v13
	v_cvt_f32_i32_e32 v25, v25
	s_waitcnt lgkmcnt(0)
	v_add_f32_e32 v23, v23, v24
	v_add_u32_e32 v26, v9, v13
	v_cmp_gt_i32_e64 s[6:7], s33, v26
	v_mul_f32_e32 v24, s43, v25
	v_cndmask_b32_e64 v24, 0, v24, s[0:1]
	v_fmac_f32_e32 v24, s31, v23
	v_cndmask_b32_e64 v23, 0, v24, s[6:7]
	ds_write_b32 v15, v23
	v_max_f32_e32 v23, v11, v11
	v_max_f32_e32 v23, v23, v24
	v_cndmask_b32_e64 v11, v11, v23, s[6:7]
	s_branch .LBB4_11
.LBB4_20:
	s_or_b64 exec, exec, s[36:37]
.LBB4_21:
	s_or_b64 exec, exec, s[34:35]
	v_mbcnt_hi_u32_b32 v2, -1, v8
	v_and_b32_e32 v12, 64, v2
	v_add_u32_e32 v3, 64, v12
	v_xor_b32_e32 v4, 32, v2
	v_cmp_lt_i32_e32 vcc, v4, v3
	v_xor_b32_e32 v9, 16, v2
	v_max_f32_e32 v5, v11, v11
	v_cndmask_b32_e32 v4, v2, v4, vcc
	v_lshlrev_b32_e32 v8, 2, v4
	ds_bpermute_b32 v4, v8, v11
	v_cmp_lt_i32_e32 vcc, v9, v3
	v_xor_b32_e32 v11, 8, v2
	s_waitcnt lgkmcnt(0)
	v_max_f32_e32 v4, v4, v4
	v_max_f32_e32 v4, v5, v4
	v_cndmask_b32_e32 v5, v2, v9, vcc
	v_lshlrev_b32_e32 v10, 2, v5
	ds_bpermute_b32 v5, v10, v4
	v_cmp_lt_i32_e32 vcc, v11, v3
	s_waitcnt lgkmcnt(0)
	v_max_f32_e32 v5, v5, v5
	v_max_f32_e32 v9, v4, v5
	v_cndmask_b32_e32 v4, v2, v11, vcc
	v_lshlrev_b32_e32 v11, 2, v4
	ds_bpermute_b32 v13, v11, v9
	v_and_b32_e32 v4, 63, v0
	v_cmp_eq_u32_e32 vcc, 0, v4
	v_lshlrev_b32_e32 v5, 2, v32
	s_and_saveexec_b64 s[0:1], vcc
	s_cbranch_execz .LBB4_23
; %bb.22:
	s_waitcnt lgkmcnt(0)
	v_max_f32_e32 v13, v13, v13
	v_max_f32_e32 v9, v9, v9
	;; [unrolled: 1-line block ×3, first 2 shown]
	ds_write_b32 v5, v9 offset:448
.LBB4_23:
	s_or_b64 exec, exec, s[0:1]
	v_cmp_gt_u32_e64 s[0:1], 2, v4
	s_waitcnt lgkmcnt(0)
	v_mov_b32_e32 v13, 0xff7fffff
	v_lshlrev_b32_e32 v9, 2, v4
	s_barrier
	s_and_saveexec_b64 s[6:7], s[0:1]
; %bb.24:
	ds_read_b32 v13, v9 offset:448
; %bb.25:
	s_or_b64 exec, exec, s[6:7]
	v_xor_b32_e32 v14, 1, v2
	v_cmp_lt_i32_e64 s[6:7], v14, v3
	v_lshlrev_b32_e32 v12, 2, v12
	s_nop 0
	v_cndmask_b32_e64 v14, v2, v14, s[6:7]
	v_lshlrev_b32_e32 v34, 2, v14
	s_waitcnt lgkmcnt(0)
	ds_bpermute_b32 v14, v34, v13
	v_max_f32_e32 v13, v13, v13
	s_lshl_b32 s6, s42, 3
	s_min_i32 s15, s6, s33
	v_cmp_gt_i32_e64 s[6:7], s15, v0
	s_waitcnt lgkmcnt(0)
	v_max_f32_e32 v14, v14, v14
	v_max_f32_e32 v13, v13, v14
	ds_bpermute_b32 v13, v12, v13
	v_mov_b32_e32 v12, 0
	s_and_saveexec_b64 s[30:31], s[6:7]
	s_cbranch_execz .LBB4_29
; %bb.26:
	v_mov_b32_e32 v12, 0x1d0
	v_lshl_add_u32 v14, v0, 2, v12
	v_mov_b32_e32 v12, 0
	s_mov_b64 s[34:35], 0
	v_mov_b32_e32 v15, v0
.LBB4_27:                               ; =>This Inner Loop Header: Depth=1
	ds_read_b32 v16, v14
	v_add_u32_e32 v15, 0x80, v15
	v_cmp_le_i32_e64 s[8:9], s15, v15
	s_or_b64 s[34:35], s[8:9], s[34:35]
	s_waitcnt lgkmcnt(0)
	v_sub_f32_e32 v16, v16, v13
	v_mul_f32_e32 v16, 0x3fb8aa3b, v16
	v_exp_f32_e32 v16, v16
	ds_write_b32 v14, v16
	v_add_f32_e32 v12, v12, v16
	v_add_u32_e32 v14, 0x200, v14
	s_andn2_b64 exec, exec, s[34:35]
	s_cbranch_execnz .LBB4_27
; %bb.28:
	s_or_b64 exec, exec, s[34:35]
.LBB4_29:
	s_or_b64 exec, exec, s[30:31]
	ds_bpermute_b32 v8, v8, v12
	s_waitcnt lgkmcnt(0)
	v_add_f32_e32 v8, v12, v8
	ds_bpermute_b32 v10, v10, v8
	s_waitcnt lgkmcnt(0)
	v_add_f32_e32 v8, v8, v10
	ds_bpermute_b32 v10, v11, v8
	v_xor_b32_e32 v11, 4, v2
	v_cmp_lt_i32_e64 s[8:9], v11, v3
	s_waitcnt lgkmcnt(0)
	v_add_f32_e32 v8, v8, v10
	v_cndmask_b32_e64 v11, v2, v11, s[8:9]
	v_lshlrev_b32_e32 v11, 2, v11
	ds_bpermute_b32 v10, v11, v8
	v_xor_b32_e32 v11, 2, v2
	v_cmp_lt_i32_e64 s[8:9], v11, v3
	s_waitcnt lgkmcnt(0)
	v_add_f32_e32 v8, v8, v10
	v_cndmask_b32_e64 v3, v2, v11, s[8:9]
	v_lshlrev_b32_e32 v3, 2, v3
	ds_bpermute_b32 v3, v3, v8
	s_waitcnt lgkmcnt(0)
	v_add_f32_e32 v3, v8, v3
	ds_bpermute_b32 v8, v34, v3
	s_waitcnt lgkmcnt(0)
	v_add_f32_e32 v3, v3, v8
	s_and_saveexec_b64 s[8:9], vcc
; %bb.30:
	ds_write_b32 v5, v3 offset:456
; %bb.31:
	s_or_b64 exec, exec, s[8:9]
	s_waitcnt lgkmcnt(0)
	s_barrier
	s_and_saveexec_b64 s[8:9], s[0:1]
; %bb.32:
	ds_read_b32 v3, v9 offset:456
; %bb.33:
	s_or_b64 exec, exec, s[8:9]
	s_waitcnt lgkmcnt(0)
	ds_bpermute_b32 v5, v34, v3
	v_lshlrev_b32_e32 v2, 2, v2
	v_and_b32_e32 v2, 0x100, v2
	s_waitcnt lgkmcnt(0)
	v_add_f32_e32 v3, v3, v5
	ds_bpermute_b32 v2, v2, v3
	s_and_saveexec_b64 s[0:1], s[6:7]
	s_cbranch_execz .LBB4_46
; %bb.34:
	s_waitcnt lgkmcnt(0)
	v_add_f32_e32 v2, 0x358637bd, v2
	v_div_scale_f32 v3, s[6:7], v2, v2, 1.0
	v_rcp_f32_e32 v5, v3
	v_div_scale_f32 v8, vcc, 1.0, v2, 1.0
	s_movk_i32 s6, 0x7f
	v_fma_f32 v9, -v3, v5, 1.0
	v_fmac_f32_e32 v5, v9, v5
	v_mul_f32_e32 v9, v8, v5
	v_fma_f32 v10, -v3, v9, v8
	v_fmac_f32_e32 v9, v10, v5
	v_fma_f32 v3, -v3, v9, v8
	v_div_fmas_f32 v3, v3, v5, v9
	v_xad_u32 v5, v0, -1, s15
	v_div_fixup_f32 v2, v3, v2, 1.0
	v_cmp_lt_u32_e32 vcc, s6, v5
	s_mov_b64 s[8:9], -1
	v_mov_b32_e32 v3, v0
	s_and_saveexec_b64 s[6:7], vcc
	s_cbranch_execz .LBB4_43
; %bb.35:
	v_lshrrev_b32_e32 v5, 7, v5
	v_add_u32_e32 v9, -1, v5
	v_lshrrev_b32_e32 v8, 1, v9
	v_mov_b32_e32 v3, v2
	v_add_u32_e32 v8, 1, v8
	v_cmp_lt_u32_e32 vcc, 13, v9
	v_mov_b32_e32 v11, 0
	s_and_saveexec_b64 s[8:9], vcc
	s_cbranch_execz .LBB4_39
; %bb.36:
	v_mov_b32_e32 v10, 0x1d0
	v_and_b32_e32 v9, -8, v8
	v_lshl_add_u32 v10, v0, 2, v10
	s_mov_b32 s16, 0
	s_mov_b64 s[30:31], 0
.LBB4_37:                               ; =>This Inner Loop Header: Depth=1
	ds_read2st64_b32 v[12:13], v10 offset1:2
	ds_read2st64_b32 v[14:15], v10 offset0:4 offset1:6
	ds_read2st64_b32 v[16:17], v10 offset0:8 offset1:10
	;; [unrolled: 1-line block ×3, first 2 shown]
	v_add_u32_e32 v9, -8, v9
	s_waitcnt lgkmcnt(3)
	v_pk_mul_f32 v[12:13], v[2:3], v[12:13]
	s_waitcnt lgkmcnt(2)
	v_pk_mul_f32 v[14:15], v[2:3], v[14:15]
	ds_write2st64_b32 v10, v12, v13 offset1:2
	ds_write2st64_b32 v10, v14, v15 offset0:4 offset1:6
	ds_read2st64_b32 v[14:15], v10 offset0:16 offset1:18
	s_waitcnt lgkmcnt(4)
	v_pk_mul_f32 v[12:13], v[2:3], v[16:17]
	ds_write2st64_b32 v10, v12, v13 offset0:8 offset1:10
	s_waitcnt lgkmcnt(4)
	v_pk_mul_f32 v[12:13], v[2:3], v[18:19]
	ds_write2st64_b32 v10, v12, v13 offset0:12 offset1:14
	ds_read2st64_b32 v[12:13], v10 offset0:20 offset1:22
	s_waitcnt lgkmcnt(3)
	v_pk_mul_f32 v[14:15], v[2:3], v[14:15]
	ds_read2st64_b32 v[16:17], v10 offset0:24 offset1:26
	ds_write2st64_b32 v10, v14, v15 offset0:16 offset1:18
	ds_read2st64_b32 v[14:15], v10 offset0:28 offset1:30
	s_waitcnt lgkmcnt(3)
	v_pk_mul_f32 v[12:13], v[2:3], v[12:13]
	ds_write2st64_b32 v10, v12, v13 offset0:20 offset1:22
	s_waitcnt lgkmcnt(3)
	v_pk_mul_f32 v[12:13], v[2:3], v[16:17]
	ds_write2st64_b32 v10, v12, v13 offset0:24 offset1:26
	s_waitcnt lgkmcnt(2)
	v_pk_mul_f32 v[12:13], v[2:3], v[14:15]
	s_add_i32 s16, s16, 16
	v_cmp_eq_u32_e32 vcc, 0, v9
	ds_write2st64_b32 v10, v12, v13 offset0:28 offset1:30
	v_add_u32_e32 v10, 0x2000, v10
	s_or_b64 s[30:31], vcc, s[30:31]
	v_mov_b32_e32 v11, s16
	s_andn2_b64 exec, exec, s[30:31]
	s_cbranch_execnz .LBB4_37
; %bb.38:
	s_or_b64 exec, exec, s[30:31]
.LBB4_39:
	s_or_b64 exec, exec, s[8:9]
	v_and_b32_e32 v8, 7, v8
	v_cmp_ne_u32_e32 vcc, 0, v8
	s_and_saveexec_b64 s[8:9], vcc
	s_cbranch_execz .LBB4_42
; %bb.40:
	v_lshlrev_b32_e32 v9, 9, v11
	s_movk_i32 s16, 0x1d0
	v_add3_u32 v9, v9, v6, s16
	s_mov_b64 s[30:31], 0
.LBB4_41:                               ; =>This Inner Loop Header: Depth=1
	ds_read2st64_b32 v[10:11], v9 offset1:2
	v_add_u32_e32 v8, -1, v8
	v_cmp_eq_u32_e32 vcc, 0, v8
	s_or_b64 s[30:31], vcc, s[30:31]
	s_waitcnt lgkmcnt(0)
	v_pk_mul_f32 v[10:11], v[2:3], v[10:11]
	ds_write2st64_b32 v9, v10, v11 offset1:2
	v_add_u32_e32 v9, 0x400, v9
	s_andn2_b64 exec, exec, s[30:31]
	s_cbranch_execnz .LBB4_41
.LBB4_42:
	s_or_b64 exec, exec, s[8:9]
	v_add_u32_e32 v5, 1, v5
	v_and_b32_e32 v8, 0x3fffffe, v5
	v_cmp_ne_u32_e32 vcc, v5, v8
	v_lshl_add_u32 v3, v8, 7, v0
	s_orn2_b64 s[8:9], vcc, exec
.LBB4_43:
	s_or_b64 exec, exec, s[6:7]
	s_and_b64 exec, exec, s[8:9]
	s_cbranch_execz .LBB4_46
; %bb.44:
	v_mov_b32_e32 v5, 0x1d0
	v_lshl_add_u32 v5, v3, 2, v5
	s_mov_b64 s[6:7], 0
.LBB4_45:                               ; =>This Inner Loop Header: Depth=1
	ds_read_b32 v8, v5
	v_add_u32_e32 v3, 0x80, v3
	v_cmp_le_i32_e32 vcc, s15, v3
	s_or_b64 s[6:7], vcc, s[6:7]
	s_waitcnt lgkmcnt(0)
	v_mul_f32_e32 v8, v2, v8
	ds_write_b32 v5, v8
	v_add_u32_e32 v5, 0x200, v5
	s_andn2_b64 exec, exec, s[6:7]
	s_cbranch_execnz .LBB4_45
.LBB4_46:
	s_or_b64 exec, exec, s[0:1]
	v_lshrrev_b32_e32 v35, 1, v4
	s_waitcnt lgkmcnt(0)
	s_barrier
	s_and_saveexec_b64 s[0:1], s[2:3]
	s_xor_b64 s[0:1], exec, s[0:1]
; %bb.47:
	v_lshrrev_b32_e32 v35, 1, v4
                                        ; implicit-def: $vgpr33
                                        ; implicit-def: $vgpr32
                                        ; implicit-def: $vgpr6
                                        ; implicit-def: $vgpr7
; %bb.48:
	s_or_saveexec_b64 s[6:7], s[0:1]
	v_mov_b32_e32 v23, 0
	v_and_b32_e32 v36, 1, v0
	v_mov_b32_e32 v22, 0
	v_mov_b32_e32 v25, 0
	;; [unrolled: 1-line block ×3, first 2 shown]
	s_xor_b64 exec, exec, s[6:7]
	s_cbranch_execz .LBB4_64
; %bb.49:
	s_ashr_i32 s15, s14, 31
	s_sub_i32 s30, s12, s17
	s_lshl_b64 s[0:1], s[14:15], 2
	s_add_u32 s8, s28, s0
	s_addc_u32 s9, s29, s1
	s_abs_i32 s18, s18
	v_cvt_f32_u32_e32 v3, s18
	v_or_b32_e32 v4, 0x60, v35
	s_movk_i32 s0, 0x70
	v_cmp_gt_u32_e32 vcc, s0, v4
	v_rcp_iflag_f32_e32 v3, v3
	s_sub_i32 s0, 0, s18
	s_add_i32 s28, s42, -1
	v_and_b32_e32 v37, 4, v6
	v_mul_f32_e32 v3, 0x4f7ffffe, v3
	v_cvt_u32_f32_e32 v3, v3
	v_lshl_or_b32 v2, v35, 3, v37
	v_mov_b32_e32 v27, 0
	v_lshl_or_b32 v4, v4, 3, v37
	v_mul_lo_u32 v5, s0, v3
	v_mul_hi_u32 v5, v3, v5
	s_lshl_b64 s[0:1], s[26:27], 2
	v_add_u32_e32 v38, v3, v5
	s_add_u32 s0, s24, s0
	v_lshlrev_b32_e32 v3, 4, v36
	v_and_b32_e32 v26, 60, v7
	s_addc_u32 s1, s25, s1
	v_lshl_or_b32 v3, v32, 5, v3
	s_mov_b32 s31, s13
	s_mov_b32 s29, s33
	v_lshl_add_u64 v[28:29], s[0:1], 0, v[26:27]
	v_add_u32_e32 v39, 0x1d0, v3
	s_mov_b64 s[12:13], 0
	v_lshlrev_b32_e32 v26, 2, v2
	v_lshlrev_b32_e32 v30, 2, v4
	v_mov_b32_e32 v24, v27
	v_mov_b32_e32 v25, v27
	;; [unrolled: 1-line block ×4, first 2 shown]
	s_branch .LBB4_53
.LBB4_50:                               ;   in Loop: Header=BB4_53 Depth=1
	s_or_b64 exec, exec, s[16:17]
	s_waitcnt vmcnt(0) lgkmcnt(0)
	v_pk_mul_f32 v[18:19], v[6:7], v[18:19]
	v_pk_mul_f32 v[20:21], v[8:9], v[20:21]
	v_add_f32_e32 v18, v19, v18
	v_add_f32_e32 v18, v20, v18
	;; [unrolled: 1-line block ×4, first 2 shown]
.LBB4_51:                               ;   in Loop: Header=BB4_53 Depth=1
	s_or_b64 exec, exec, s[2:3]
	s_waitcnt vmcnt(0) lgkmcnt(0)
	v_mul_f32_e32 v14, v6, v14
	v_mul_f32_e32 v10, v6, v10
	;; [unrolled: 1-line block ×3, first 2 shown]
	v_fmac_f32_e32 v14, v7, v15
	v_fmac_f32_e32 v10, v7, v11
	v_fmac_f32_e32 v2, v7, v3
	v_fmac_f32_e32 v14, v8, v16
	v_fmac_f32_e32 v10, v8, v12
	v_fmac_f32_e32 v2, v8, v4
	v_fmac_f32_e32 v14, v9, v17
	v_fmac_f32_e32 v10, v9, v13
	v_fmac_f32_e32 v2, v9, v5
	v_add_f32_e32 v22, v22, v14
	v_add_f32_e32 v25, v25, v10
	v_add_f32_e32 v24, v24, v2
.LBB4_52:                               ;   in Loop: Header=BB4_53 Depth=1
	s_or_b64 exec, exec, s[14:15]
	v_add_u32_e32 v32, 2, v32
	v_cmp_le_i32_e64 s[0:1], s42, v32
	v_lshl_add_u64 v[28:29], v[28:29], 0, 8
	v_add_u32_e32 v33, 16, v33
	s_or_b64 s[12:13], s[0:1], s[12:13]
	v_add_u32_e32 v39, 64, v39
	s_andn2_b64 exec, exec, s[12:13]
	s_cbranch_execz .LBB4_63
.LBB4_53:                               ; =>This Inner Loop Header: Depth=1
	v_mul_hi_u32 v2, v33, s40
	v_mul_lo_u32 v3, v2, s21
	v_sub_u32_e32 v3, v33, v3
	v_add_u32_e32 v4, 1, v2
	v_cmp_le_u32_e64 s[0:1], s21, v3
	s_nop 1
	v_cndmask_b32_e64 v2, v2, v4, s[0:1]
	v_subrev_u32_e32 v4, s21, v3
	v_cndmask_b32_e64 v3, v3, v4, s[0:1]
	v_add_u32_e32 v4, 1, v2
	v_cmp_le_u32_e64 s[0:1], s21, v3
	s_nop 1
	v_cndmask_b32_e64 v2, v2, v4, s[0:1]
	v_xor_b32_e32 v2, s19, v2
	v_subrev_u32_e32 v2, s19, v2
	v_add_u32_e32 v3, s41, v2
	v_sub_u32_e32 v5, 0, v3
	v_ashrrev_i32_e32 v4, 31, v3
	v_max_i32_e32 v3, v3, v5
	v_mul_hi_u32 v5, v3, v38
	v_mul_lo_u32 v5, v5, s18
	v_sub_u32_e32 v3, v3, v5
	v_subrev_u32_e32 v5, s18, v3
	v_cmp_le_u32_e64 s[0:1], s18, v3
	v_cmp_lt_i32_e64 s[2:3], s30, v2
	s_nop 0
	v_cndmask_b32_e64 v3, v3, v5, s[0:1]
	v_subrev_u32_e32 v5, s18, v3
	v_cmp_le_u32_e64 s[0:1], s18, v3
	s_nop 1
	v_cndmask_b32_e64 v3, v3, v5, s[0:1]
	v_xor_b32_e32 v3, v3, v4
	v_sub_u32_e32 v3, v3, v4
	v_cmp_eq_u32_e64 s[0:1], 0, v3
	s_or_b64 s[0:1], s[0:1], s[2:3]
	s_and_saveexec_b64 s[14:15], s[0:1]
	s_cbranch_execz .LBB4_52
; %bb.54:                               ;   in Loop: Header=BB4_53 Depth=1
	global_load_dword v2, v[28:29], off
	ds_read_b128 v[6:9], v39
	v_add_u32_e32 v40, v37, v33
	s_waitcnt vmcnt(0)
	v_mad_i64_i32 v[2:3], s[0:1], v2, s31, 0
	v_lshl_add_u64 v[18:19], v[2:3], 2, s[8:9]
	v_lshl_add_u64 v[14:15], v[18:19], 0, v[26:27]
	global_load_dwordx4 v[2:5], v[14:15], off
	v_cmp_eq_u32_e64 s[0:1], s28, v32
	s_and_saveexec_b64 s[16:17], s[0:1]
	s_cbranch_execnz .LBB4_58
; %bb.55:                               ;   in Loop: Header=BB4_53 Depth=1
	s_or_b64 exec, exec, s[16:17]
	global_load_dwordx4 v[10:13], v[14:15], off offset:1024
	s_and_saveexec_b64 s[16:17], s[0:1]
	s_cbranch_execnz .LBB4_59
.LBB4_56:                               ;   in Loop: Header=BB4_53 Depth=1
	s_or_b64 exec, exec, s[16:17]
	global_load_dwordx4 v[14:17], v[14:15], off offset:2048
	s_and_saveexec_b64 s[16:17], s[0:1]
	s_cbranch_execnz .LBB4_60
.LBB4_57:                               ;   in Loop: Header=BB4_53 Depth=1
	s_or_b64 exec, exec, s[16:17]
	s_and_saveexec_b64 s[2:3], vcc
	s_cbranch_execz .LBB4_51
	s_branch .LBB4_61
.LBB4_58:                               ;   in Loop: Header=BB4_53 Depth=1
	v_add_u32_e32 v10, 1, v40
	v_cmp_gt_i32_e64 s[2:3], s29, v10
	v_or_b32_e32 v10, 3, v40
	v_or_b32_e32 v11, 2, v40
	s_waitcnt vmcnt(0)
	v_cndmask_b32_e64 v3, 0, v3, s[2:3]
	v_cmp_gt_i32_e64 s[2:3], s33, v40
	s_nop 1
	v_cndmask_b32_e64 v2, 0, v2, s[2:3]
	v_cmp_gt_i32_e64 s[2:3], s29, v10
	s_nop 1
	;; [unrolled: 3-line block ×3, first 2 shown]
	v_cndmask_b32_e64 v4, 0, v4, s[2:3]
	s_or_b64 exec, exec, s[16:17]
	global_load_dwordx4 v[10:13], v[14:15], off offset:1024
	s_and_saveexec_b64 s[16:17], s[0:1]
	s_cbranch_execz .LBB4_56
.LBB4_59:                               ;   in Loop: Header=BB4_53 Depth=1
	v_add_u32_e32 v16, 1, v40
	v_cmp_gt_i32_e64 s[2:3], s29, v16
	v_or_b32_e32 v16, 3, v40
	v_or_b32_e32 v17, 2, v40
	s_waitcnt vmcnt(0)
	v_cndmask_b32_e64 v11, 0, v11, s[2:3]
	v_cmp_gt_i32_e64 s[2:3], s33, v40
	s_nop 1
	v_cndmask_b32_e64 v10, 0, v10, s[2:3]
	v_cmp_gt_i32_e64 s[2:3], s29, v16
	s_nop 1
	;; [unrolled: 3-line block ×3, first 2 shown]
	v_cndmask_b32_e64 v12, 0, v12, s[2:3]
	s_or_b64 exec, exec, s[16:17]
	global_load_dwordx4 v[14:17], v[14:15], off offset:2048
	s_and_saveexec_b64 s[16:17], s[0:1]
	s_cbranch_execz .LBB4_57
.LBB4_60:                               ;   in Loop: Header=BB4_53 Depth=1
	v_add_u32_e32 v20, 1, v40
	v_cmp_gt_i32_e64 s[2:3], s29, v20
	v_or_b32_e32 v20, 3, v40
	v_or_b32_e32 v21, 2, v40
	s_waitcnt vmcnt(0)
	v_cndmask_b32_e64 v15, 0, v15, s[2:3]
	v_cmp_gt_i32_e64 s[2:3], s33, v40
	s_nop 1
	v_cndmask_b32_e64 v14, 0, v14, s[2:3]
	v_cmp_gt_i32_e64 s[2:3], s29, v20
	s_nop 1
	;; [unrolled: 3-line block ×3, first 2 shown]
	v_cndmask_b32_e64 v16, 0, v16, s[2:3]
	s_or_b64 exec, exec, s[16:17]
	s_and_saveexec_b64 s[2:3], vcc
	s_cbranch_execz .LBB4_51
.LBB4_61:                               ;   in Loop: Header=BB4_53 Depth=1
	v_mov_b32_e32 v31, v27
	v_lshl_add_u64 v[18:19], v[18:19], 0, v[30:31]
	global_load_dwordx4 v[18:21], v[18:19], off
	s_and_saveexec_b64 s[16:17], s[0:1]
	s_cbranch_execz .LBB4_50
; %bb.62:                               ;   in Loop: Header=BB4_53 Depth=1
	v_add_u32_e32 v31, 1, v40
	v_cmp_gt_i32_e64 s[0:1], s29, v31
	v_or_b32_e32 v31, 3, v40
	s_waitcnt vmcnt(0)
	v_cndmask_b32_e64 v19, 0, v19, s[0:1]
	v_cmp_gt_i32_e64 s[0:1], s33, v40
	v_or_b32_e32 v40, 2, v40
	s_nop 0
	v_cndmask_b32_e64 v18, 0, v18, s[0:1]
	v_cmp_gt_i32_e64 s[0:1], s29, v31
	s_nop 1
	v_cndmask_b32_e64 v21, 0, v21, s[0:1]
	v_cmp_gt_i32_e64 s[0:1], s33, v40
	s_nop 1
	v_cndmask_b32_e64 v20, 0, v20, s[0:1]
	s_branch .LBB4_50
.LBB4_63:
	s_or_b64 exec, exec, s[12:13]
.LBB4_64:
	s_or_b64 exec, exec, s[6:7]
	ds_bpermute_b32 v2, v34, v24
	ds_bpermute_b32 v3, v34, v25
	;; [unrolled: 1-line block ×4, first 2 shown]
	v_cmp_eq_u32_e32 vcc, 0, v36
	s_waitcnt lgkmcnt(0)
	v_pk_add_f32 v[4:5], v[24:25], v[2:3]
	s_barrier
	v_pk_add_f32 v[2:3], v[22:23], v[6:7]
	v_and_b32_e32 v6, 0x3c0, v0
	v_cmp_eq_u32_e64 s[0:1], 64, v6
	s_and_saveexec_b64 s[2:3], s[0:1]
	s_cbranch_execz .LBB4_69
; %bb.65:
	s_and_saveexec_b64 s[0:1], vcc
	s_cbranch_execz .LBB4_67
; %bb.66:
	v_mov_b32_e32 v6, 0x1d0
	v_lshl_add_u32 v6, v35, 2, v6
	ds_write2_b32 v6, v4, v5 offset1:32
	ds_write_b32 v6, v2 offset:256
.LBB4_67:
	s_or_b64 exec, exec, s[0:1]
	v_or_b32_e32 v6, 0x60, v35
	s_movk_i32 s0, 0x70
	v_cmp_gt_u32_e64 s[0:1], s0, v6
	s_and_b64 s[0:1], vcc, s[0:1]
	s_and_b64 exec, exec, s[0:1]
; %bb.68:
	v_mov_b32_e32 v6, 0x1d0
	v_lshl_add_u32 v6, v35, 2, v6
	ds_write_b32 v6, v3 offset:384
.LBB4_69:
	s_or_b64 exec, exec, s[2:3]
	v_cmp_gt_u32_e64 s[0:1], 64, v0
	s_waitcnt lgkmcnt(0)
	s_barrier
	s_and_saveexec_b64 s[6:7], s[0:1]
	s_cbranch_execz .LBB4_79
; %bb.70:
	s_and_saveexec_b64 s[2:3], vcc
	s_cbranch_execz .LBB4_72
; %bb.71:
	v_mov_b32_e32 v0, 0x1d0
	v_lshl_add_u32 v0, v1, 2, v0
	ds_read_b32 v0, v0
	s_waitcnt lgkmcnt(0)
	v_add_f32_e32 v4, v4, v0
.LBB4_72:
	s_or_b64 exec, exec, s[2:3]
	v_or_b32_e32 v0, 32, v1
	s_movk_i32 s8, 0x70
	v_cmp_gt_u32_e64 s[2:3], s8, v0
	s_and_b64 s[12:13], vcc, s[2:3]
	s_and_saveexec_b64 s[2:3], s[12:13]
	s_cbranch_execz .LBB4_74
; %bb.73:
	v_mov_b32_e32 v0, 0x1d0
	v_lshl_add_u32 v0, v1, 2, v0
	ds_read_b32 v0, v0 offset:128
	s_waitcnt lgkmcnt(0)
	v_add_f32_e32 v5, v5, v0
.LBB4_74:
	s_or_b64 exec, exec, s[2:3]
	v_or_b32_e32 v0, 64, v1
	v_cmp_gt_u32_e64 s[2:3], s8, v0
	s_and_b64 s[8:9], vcc, s[2:3]
	s_and_saveexec_b64 s[2:3], s[8:9]
	s_cbranch_execz .LBB4_76
; %bb.75:
	v_mov_b32_e32 v0, 0x1d0
	v_lshl_add_u32 v0, v1, 2, v0
	ds_read_b32 v0, v0 offset:256
	s_waitcnt lgkmcnt(0)
	v_add_f32_e32 v2, v2, v0
.LBB4_76:
	s_or_b64 exec, exec, s[2:3]
	v_or_b32_e32 v0, 0x60, v1
	s_movk_i32 s2, 0x70
	v_cmp_gt_u32_e64 s[2:3], s2, v0
	s_and_b64 s[8:9], vcc, s[2:3]
	s_and_saveexec_b64 s[2:3], s[8:9]
	s_cbranch_execz .LBB4_78
; %bb.77:
	v_mov_b32_e32 v0, 0x1d0
	v_lshl_add_u32 v0, v1, 2, v0
	ds_read_b32 v0, v0 offset:384
	s_waitcnt lgkmcnt(0)
	v_add_f32_e32 v3, v3, v0
.LBB4_78:
	s_or_b64 exec, exec, s[2:3]
.LBB4_79:
	s_or_b64 exec, exec, s[6:7]
	s_barrier
	s_and_saveexec_b64 s[2:3], s[0:1]
	s_cbranch_execz .LBB4_88
; %bb.80:
	s_mul_i32 s0, s10, s11
	s_mul_i32 s0, s0, s5
	s_mulk_i32 s0, 0x70
	s_ashr_i32 s1, s0, 31
	s_lshl_b64 s[0:1], s[0:1], 2
	s_add_u32 s2, s22, s0
	s_mul_i32 s0, s11, s20
	s_addc_u32 s3, s23, s1
	s_ashr_i32 s1, s0, 31
	s_lshl_b64 s[0:1], s[0:1], 2
	s_add_u32 s2, s2, s0
	s_mul_i32 s0, s4, 0x70
	s_addc_u32 s3, s3, s1
	s_ashr_i32 s1, s0, 31
	s_lshl_b64 s[0:1], s[0:1], 2
	s_add_u32 s2, s2, s0
	s_movk_i32 s5, 0x70
	s_addc_u32 s3, s3, s1
	v_lshlrev_b32_e32 v0, 2, v1
	s_and_saveexec_b64 s[0:1], vcc
	s_cbranch_execz .LBB4_82
; %bb.81:
	global_store_dword v0, v4, s[2:3]
.LBB4_82:
	s_or_b64 exec, exec, s[0:1]
	v_or_b32_e32 v4, 32, v1
	v_cmp_gt_u32_e64 s[0:1], s5, v4
	s_and_b64 s[4:5], vcc, s[0:1]
	s_and_saveexec_b64 s[0:1], s[4:5]
	s_cbranch_execz .LBB4_84
; %bb.83:
	global_store_dword v0, v5, s[2:3] offset:128
.LBB4_84:
	s_or_b64 exec, exec, s[0:1]
	v_or_b32_e32 v4, 64, v1
	s_movk_i32 s4, 0x70
	v_cmp_gt_u32_e64 s[0:1], s4, v4
	s_and_b64 s[6:7], vcc, s[0:1]
	s_and_saveexec_b64 s[0:1], s[6:7]
	s_cbranch_execz .LBB4_86
; %bb.85:
	global_store_dword v0, v2, s[2:3] offset:256
.LBB4_86:
	s_or_b64 exec, exec, s[0:1]
	v_or_b32_e32 v1, 0x60, v1
	v_cmp_gt_u32_e64 s[0:1], s4, v1
	s_and_b64 s[0:1], vcc, s[0:1]
	s_and_b64 exec, exec, s[0:1]
	s_cbranch_execz .LBB4_88
; %bb.87:
	global_store_dword v0, v3, s[2:3] offset:384
.LBB4_88:
	s_endpgm
	.section	.rodata,"a",@progbits
	.p2align	6, 0x0
	.amdhsa_kernel _ZN4vllm25paged_attention_v1_kernelIffLi112ELi8ELi128ELNS_18Fp8KVCacheDataTypeE0ELb1EEEvPT_PKS2_PKT0_S8_ifPKiSA_iPKfiiiSC_SC_iiiii
		.amdhsa_group_segment_fixed_size 464
		.amdhsa_private_segment_fixed_size 0
		.amdhsa_kernarg_size 384
		.amdhsa_user_sgpr_count 2
		.amdhsa_user_sgpr_dispatch_ptr 0
		.amdhsa_user_sgpr_queue_ptr 0
		.amdhsa_user_sgpr_kernarg_segment_ptr 1
		.amdhsa_user_sgpr_dispatch_id 0
		.amdhsa_user_sgpr_kernarg_preload_length 0
		.amdhsa_user_sgpr_kernarg_preload_offset 0
		.amdhsa_user_sgpr_private_segment_size 0
		.amdhsa_uses_dynamic_stack 0
		.amdhsa_enable_private_segment 0
		.amdhsa_system_sgpr_workgroup_id_x 1
		.amdhsa_system_sgpr_workgroup_id_y 1
		.amdhsa_system_sgpr_workgroup_id_z 1
		.amdhsa_system_sgpr_workgroup_info 0
		.amdhsa_system_vgpr_workitem_id 0
		.amdhsa_next_free_vgpr 54
		.amdhsa_next_free_sgpr 44
		.amdhsa_accum_offset 56
		.amdhsa_reserve_vcc 1
		.amdhsa_float_round_mode_32 0
		.amdhsa_float_round_mode_16_64 0
		.amdhsa_float_denorm_mode_32 3
		.amdhsa_float_denorm_mode_16_64 3
		.amdhsa_dx10_clamp 1
		.amdhsa_ieee_mode 1
		.amdhsa_fp16_overflow 0
		.amdhsa_tg_split 0
		.amdhsa_exception_fp_ieee_invalid_op 0
		.amdhsa_exception_fp_denorm_src 0
		.amdhsa_exception_fp_ieee_div_zero 0
		.amdhsa_exception_fp_ieee_overflow 0
		.amdhsa_exception_fp_ieee_underflow 0
		.amdhsa_exception_fp_ieee_inexact 0
		.amdhsa_exception_int_div_zero 0
	.end_amdhsa_kernel
	.section	.text._ZN4vllm25paged_attention_v1_kernelIffLi112ELi8ELi128ELNS_18Fp8KVCacheDataTypeE0ELb1EEEvPT_PKS2_PKT0_S8_ifPKiSA_iPKfiiiSC_SC_iiiii,"axG",@progbits,_ZN4vllm25paged_attention_v1_kernelIffLi112ELi8ELi128ELNS_18Fp8KVCacheDataTypeE0ELb1EEEvPT_PKS2_PKT0_S8_ifPKiSA_iPKfiiiSC_SC_iiiii,comdat
.Lfunc_end4:
	.size	_ZN4vllm25paged_attention_v1_kernelIffLi112ELi8ELi128ELNS_18Fp8KVCacheDataTypeE0ELb1EEEvPT_PKS2_PKT0_S8_ifPKiSA_iPKfiiiSC_SC_iiiii, .Lfunc_end4-_ZN4vllm25paged_attention_v1_kernelIffLi112ELi8ELi128ELNS_18Fp8KVCacheDataTypeE0ELb1EEEvPT_PKS2_PKT0_S8_ifPKiSA_iPKfiiiSC_SC_iiiii
                                        ; -- End function
	.set _ZN4vllm25paged_attention_v1_kernelIffLi112ELi8ELi128ELNS_18Fp8KVCacheDataTypeE0ELb1EEEvPT_PKS2_PKT0_S8_ifPKiSA_iPKfiiiSC_SC_iiiii.num_vgpr, 54
	.set _ZN4vllm25paged_attention_v1_kernelIffLi112ELi8ELi128ELNS_18Fp8KVCacheDataTypeE0ELb1EEEvPT_PKS2_PKT0_S8_ifPKiSA_iPKfiiiSC_SC_iiiii.num_agpr, 0
	.set _ZN4vllm25paged_attention_v1_kernelIffLi112ELi8ELi128ELNS_18Fp8KVCacheDataTypeE0ELb1EEEvPT_PKS2_PKT0_S8_ifPKiSA_iPKfiiiSC_SC_iiiii.numbered_sgpr, 44
	.set _ZN4vllm25paged_attention_v1_kernelIffLi112ELi8ELi128ELNS_18Fp8KVCacheDataTypeE0ELb1EEEvPT_PKS2_PKT0_S8_ifPKiSA_iPKfiiiSC_SC_iiiii.num_named_barrier, 0
	.set _ZN4vllm25paged_attention_v1_kernelIffLi112ELi8ELi128ELNS_18Fp8KVCacheDataTypeE0ELb1EEEvPT_PKS2_PKT0_S8_ifPKiSA_iPKfiiiSC_SC_iiiii.private_seg_size, 0
	.set _ZN4vllm25paged_attention_v1_kernelIffLi112ELi8ELi128ELNS_18Fp8KVCacheDataTypeE0ELb1EEEvPT_PKS2_PKT0_S8_ifPKiSA_iPKfiiiSC_SC_iiiii.uses_vcc, 1
	.set _ZN4vllm25paged_attention_v1_kernelIffLi112ELi8ELi128ELNS_18Fp8KVCacheDataTypeE0ELb1EEEvPT_PKS2_PKT0_S8_ifPKiSA_iPKfiiiSC_SC_iiiii.uses_flat_scratch, 0
	.set _ZN4vllm25paged_attention_v1_kernelIffLi112ELi8ELi128ELNS_18Fp8KVCacheDataTypeE0ELb1EEEvPT_PKS2_PKT0_S8_ifPKiSA_iPKfiiiSC_SC_iiiii.has_dyn_sized_stack, 0
	.set _ZN4vllm25paged_attention_v1_kernelIffLi112ELi8ELi128ELNS_18Fp8KVCacheDataTypeE0ELb1EEEvPT_PKS2_PKT0_S8_ifPKiSA_iPKfiiiSC_SC_iiiii.has_recursion, 0
	.set _ZN4vllm25paged_attention_v1_kernelIffLi112ELi8ELi128ELNS_18Fp8KVCacheDataTypeE0ELb1EEEvPT_PKS2_PKT0_S8_ifPKiSA_iPKfiiiSC_SC_iiiii.has_indirect_call, 0
	.section	.AMDGPU.csdata,"",@progbits
; Kernel info:
; codeLenInByte = 5020
; TotalNumSgprs: 50
; NumVgprs: 54
; NumAgprs: 0
; TotalNumVgprs: 54
; ScratchSize: 0
; MemoryBound: 0
; FloatMode: 240
; IeeeMode: 1
; LDSByteSize: 464 bytes/workgroup (compile time only)
; SGPRBlocks: 6
; VGPRBlocks: 6
; NumSGPRsForWavesPerEU: 50
; NumVGPRsForWavesPerEU: 54
; AccumOffset: 56
; Occupancy: 8
; WaveLimiterHint : 1
; COMPUTE_PGM_RSRC2:SCRATCH_EN: 0
; COMPUTE_PGM_RSRC2:USER_SGPR: 2
; COMPUTE_PGM_RSRC2:TRAP_HANDLER: 0
; COMPUTE_PGM_RSRC2:TGID_X_EN: 1
; COMPUTE_PGM_RSRC2:TGID_Y_EN: 1
; COMPUTE_PGM_RSRC2:TGID_Z_EN: 1
; COMPUTE_PGM_RSRC2:TIDIG_COMP_CNT: 0
; COMPUTE_PGM_RSRC3_GFX90A:ACCUM_OFFSET: 13
; COMPUTE_PGM_RSRC3_GFX90A:TG_SPLIT: 0
	.section	.text._ZN4vllm25paged_attention_v1_kernelIffLi120ELi8ELi128ELNS_18Fp8KVCacheDataTypeE0ELb1EEEvPT_PKS2_PKT0_S8_ifPKiSA_iPKfiiiSC_SC_iiiii,"axG",@progbits,_ZN4vllm25paged_attention_v1_kernelIffLi120ELi8ELi128ELNS_18Fp8KVCacheDataTypeE0ELb1EEEvPT_PKS2_PKT0_S8_ifPKiSA_iPKfiiiSC_SC_iiiii,comdat
	.protected	_ZN4vllm25paged_attention_v1_kernelIffLi120ELi8ELi128ELNS_18Fp8KVCacheDataTypeE0ELb1EEEvPT_PKS2_PKT0_S8_ifPKiSA_iPKfiiiSC_SC_iiiii ; -- Begin function _ZN4vllm25paged_attention_v1_kernelIffLi120ELi8ELi128ELNS_18Fp8KVCacheDataTypeE0ELb1EEEvPT_PKS2_PKT0_S8_ifPKiSA_iPKfiiiSC_SC_iiiii
	.globl	_ZN4vllm25paged_attention_v1_kernelIffLi120ELi8ELi128ELNS_18Fp8KVCacheDataTypeE0ELb1EEEvPT_PKS2_PKT0_S8_ifPKiSA_iPKfiiiSC_SC_iiiii
	.p2align	8
	.type	_ZN4vllm25paged_attention_v1_kernelIffLi120ELi8ELi128ELNS_18Fp8KVCacheDataTypeE0ELb1EEEvPT_PKS2_PKT0_S8_ifPKiSA_iPKfiiiSC_SC_iiiii,@function
_ZN4vllm25paged_attention_v1_kernelIffLi120ELi8ELi128ELNS_18Fp8KVCacheDataTypeE0ELb1EEEvPT_PKS2_PKT0_S8_ifPKiSA_iPKfiiiSC_SC_iiiii: ; @_ZN4vllm25paged_attention_v1_kernelIffLi120ELi8ELi128ELNS_18Fp8KVCacheDataTypeE0ELb1EEEvPT_PKS2_PKT0_S8_ifPKiSA_iPKfiiiSC_SC_iiiii
; %bb.0:
	s_load_dword s5, s[0:1], 0x80
	s_load_dwordx2 s[6:7], s[0:1], 0x30
	s_load_dwordx2 s[30:31], s[0:1], 0x20
	s_mov_b32 s10, s3
	s_ashr_i32 s11, s3, 31
	s_lshl_b64 s[8:9], s[10:11], 2
	s_waitcnt lgkmcnt(0)
	s_add_u32 s6, s6, s8
	s_addc_u32 s7, s7, s9
	s_abs_i32 s3, s30
	v_cvt_f32_u32_e32 v1, s3
	s_sub_i32 s11, 0, s3
	s_abs_i32 s9, s5
	s_xor_b32 s8, s5, s30
	v_rcp_iflag_f32_e32 v1, v1
	s_ashr_i32 s8, s8, 31
	s_mov_b32 s43, 0
	v_mul_f32_e32 v1, 0x4f7ffffe, v1
	v_cvt_u32_f32_e32 v1, v1
	s_nop 0
	v_readfirstlane_b32 s12, v1
	s_mul_i32 s11, s11, s12
	s_mul_hi_u32 s11, s12, s11
	s_add_i32 s12, s12, s11
	s_mul_hi_u32 s11, s9, s12
	s_mul_i32 s12, s11, s3
	s_sub_i32 s9, s9, s12
	s_add_i32 s12, s11, 1
	s_sub_i32 s13, s9, s3
	s_cmp_ge_u32 s9, s3
	s_cselect_b32 s11, s12, s11
	s_cselect_b32 s9, s13, s9
	s_add_i32 s12, s11, 1
	s_cmp_ge_u32 s9, s3
	s_cselect_b32 s3, s12, s11
	s_xor_b32 s3, s3, s8
	s_sub_i32 s12, s3, s8
	s_abs_i32 s11, s12
	v_cvt_f32_u32_e32 v1, s11
	s_load_dwordx2 s[8:9], s[0:1], 0x40
	s_sub_i32 s3, 0, s11
	s_abs_i32 s22, s2
	v_rcp_iflag_f32_e32 v1, v1
	s_nop 0
	v_mul_f32_e32 v1, 0x4f7ffffe, v1
	v_cvt_u32_f32_e32 v1, v1
	s_nop 0
	v_readfirstlane_b32 s13, v1
	s_mul_i32 s3, s3, s13
	s_mul_hi_u32 s3, s13, s3
	s_add_i32 s13, s13, s3
	s_waitcnt lgkmcnt(0)
	s_cmp_eq_u64 s[8:9], 0
	s_mul_hi_u32 s23, s22, s13
	s_cbranch_scc1 .LBB5_2
; %bb.1:
	s_ashr_i32 s3, s2, 31
	s_lshl_b64 s[14:15], s[2:3], 2
	s_add_u32 s8, s8, s14
	s_addc_u32 s9, s9, s15
	s_load_dword s43, s[8:9], 0x0
.LBB5_2:
	s_load_dword s33, s[6:7], 0x0
	s_ashr_i32 s9, s12, 31
	s_load_dwordx4 s[12:15], s[0:1], 0x48
	s_movk_i32 s3, 0x78
	s_ashr_i32 s8, s2, 31
	v_and_b32_e32 v2, 7, v0
	s_mul_i32 s20, s2, 0x78
	v_cmp_gt_u32_e32 vcc, s3, v0
	v_lshlrev_b32_e32 v6, 2, v0
	v_lshrrev_b32_e32 v1, 1, v0
	s_and_saveexec_b64 s[6:7], vcc
	s_cbranch_execz .LBB5_4
; %bb.3:
	s_load_dwordx2 s[16:17], s[0:1], 0x8
	s_waitcnt lgkmcnt(0)
	s_mul_i32 s18, s12, s10
	s_ashr_i32 s19, s18, 31
	s_lshl_b64 s[18:19], s[18:19], 2
	v_and_b32_e32 v4, 0x1fc, v1
	s_add_u32 s3, s16, s18
	s_addc_u32 s12, s17, s19
	s_ashr_i32 s21, s20, 31
	s_lshl_b64 s[16:17], s[20:21], 2
	s_add_u32 s16, s3, s16
	s_addc_u32 s17, s12, s17
	global_load_dword v3, v6, s[16:17]
	v_mad_u32_u24 v4, v2, 60, v4
	s_waitcnt vmcnt(0)
	ds_write_b32 v4, v3
.LBB5_4:
	s_or_b64 exec, exec, s[6:7]
	s_mul_i32 s7, s23, s11
	s_sub_i32 s7, s22, s7
	s_xor_b32 s6, s8, s9
	s_add_i32 s8, s23, 1
	s_sub_i32 s9, s7, s11
	s_load_dwordx4 s[16:19], s[0:1], 0x68
	s_load_dword s3, s[0:1], 0x78
	s_cmp_ge_u32 s7, s11
	s_cselect_b32 s8, s8, s23
	s_cselect_b32 s7, s9, s7
	s_add_i32 s9, s8, 1
	s_cmp_ge_u32 s7, s11
	s_cselect_b32 s7, s9, s8
	s_waitcnt lgkmcnt(0)
	s_abs_i32 s21, s19
	v_cvt_f32_u32_e32 v3, s21
	s_xor_b32 s7, s7, s6
	s_sub_i32 s8, s7, s6
	s_sub_i32 s6, 0, s21
	v_rcp_iflag_f32_e32 v3, v3
	s_add_i32 s11, s33, -1
	s_abs_i32 s9, s11
	v_mul_f32_e32 v3, 0x4f7ffffe, v3
	v_cvt_u32_f32_e32 v3, v3
	s_barrier
	v_readfirstlane_b32 s40, v3
	s_mul_i32 s6, s6, s40
	s_mul_hi_u32 s6, s40, s6
	s_add_i32 s40, s40, s6
	s_cmp_lt_i32 s3, 0
	s_mul_hi_u32 s12, s9, s40
	s_cbranch_scc0 .LBB5_6
; %bb.5:
	s_mul_i32 s6, s16, s30
	s_add_i32 s6, s8, s6
	s_mul_i32 s6, s6, s3
	s_sub_i32 s41, 1, s6
	s_mov_b64 s[6:7], 0
	s_branch .LBB5_7
.LBB5_6:
	s_mov_b64 s[6:7], -1
                                        ; implicit-def: $sgpr41
.LBB5_7:
	s_load_dwordx2 s[24:25], s[0:1], 0x28
	s_ashr_i32 s15, s11, 31
	s_andn2_b64 vcc, exec, s[6:7]
	s_ashr_i32 s19, s19, 31
	s_cbranch_vccnz .LBB5_9
; %bb.8:
	s_mul_i32 s6, s5, s16
	s_add_i32 s2, s6, s2
	s_mul_i32 s2, s2, s3
	s_add_i32 s41, s2, 1
.LBB5_9:
	s_load_dword s2, s[0:1], 0x38
	s_load_dwordx2 s[22:23], s[0:1], 0x0
	s_load_dwordx2 s[28:29], s[0:1], 0x18
	s_load_dword s11, s[0:1], 0x88
	s_xor_b32 s3, s15, s19
	s_waitcnt lgkmcnt(0)
	s_mul_i32 s26, s2, s10
	s_mul_i32 s2, s12, s21
	s_sub_i32 s2, s9, s2
	s_ashr_i32 s27, s26, 31
	s_add_i32 s6, s12, 1
	s_sub_i32 s7, s2, s21
	s_cmp_ge_u32 s2, s21
	s_cselect_b32 s6, s6, s12
	s_cselect_b32 s2, s7, s2
	s_add_i32 s7, s6, 1
	s_cmp_ge_u32 s2, s21
	s_cselect_b32 s2, s7, s6
	s_xor_b32 s2, s2, s3
	s_sub_i32 s12, s2, s3
	s_add_i32 s2, s33, 7
	s_ashr_i32 s3, s2, 31
	s_lshr_b32 s3, s3, 29
	s_add_i32 s2, s2, s3
	s_ashr_i32 s42, s2, 3
	v_lshrrev_b32_e32 v32, 6, v0
	v_cmp_le_i32_e64 s[2:3], s42, v32
	v_cmp_gt_i32_e32 vcc, s42, v32
	v_mov_b32_e32 v11, 0xff7fffff
	s_mul_i32 s14, s8, s14
	v_lshrrev_b32_e32 v7, 4, v0
	v_lshlrev_b32_e32 v33, 3, v32
	v_mbcnt_lo_u32_b32 v8, -1, 0
	s_and_saveexec_b64 s[34:35], vcc
	s_cbranch_execz .LBB5_21
; %bb.10:
	s_load_dwordx2 s[0:1], s[0:1], 0x10
	s_ashr_i32 s15, s14, 31
	s_sub_i32 s16, s12, s17
	s_lshl_b64 s[6:7], s[14:15], 2
	v_bfe_u32 v9, v0, 3, 3
	s_waitcnt lgkmcnt(0)
	s_add_u32 s0, s0, s6
	s_addc_u32 s1, s1, s7
	s_abs_i32 s15, s18
	v_cvt_f32_u32_e32 v3, s15
	v_lshlrev_b32_e32 v4, 4, v9
	v_mov_b32_e32 v5, 0
	v_lshl_add_u64 v[10:11], s[0:1], 0, v[4:5]
	v_rcp_iflag_f32_e32 v3, v3
	v_and_b32_e32 v4, 3, v0
	v_lshlrev_b32_e32 v4, 2, v4
	v_lshl_add_u64 v[12:13], v[10:11], 0, v[4:5]
	v_mul_f32_e32 v3, 0x4f7ffffe, v3
	v_cvt_u32_f32_e32 v11, v3
	v_cmp_eq_u32_e32 vcc, 0, v2
	v_mul_u32_u24_e32 v10, 60, v2
	v_lshlrev_b32_e32 v2, 5, v0
	v_and_b32_e32 v4, 0x80, v2
	s_sub_i32 s6, 0, s15
	v_lshl_add_u64 v[2:3], v[12:13], 0, v[4:5]
	v_mul_lo_u32 v4, s6, v11
	v_mul_hi_u32 v4, v11, v4
	v_lshlrev_b32_e32 v15, 2, v9
	v_add_u32_e32 v12, v11, v4
	s_lshl_b64 s[6:7], s[26:27], 2
	v_subrev_u32_e32 v11, s33, v9
	s_add_u32 s6, s24, s6
	v_add_u32_e32 v14, 1, v11
	v_lshl_or_b32 v11, v32, 5, v15
	v_mbcnt_hi_u32_b32 v17, -1, v8
	v_and_b32_e32 v4, 60, v7
	s_addc_u32 s7, s25, s7
	v_add_u32_e32 v15, 0x1f0, v11
	v_and_b32_e32 v11, 64, v17
	s_mov_b32 s30, s13
	v_cmp_neq_f32_e64 s[0:1], s43, 0
	v_lshl_add_u64 v[4:5], s[6:7], 0, v[4:5]
	v_lshlrev_b32_e32 v13, 3, v32
	v_mov_b32_e32 v16, 0xff7fffff
	s_mov_b64 s[36:37], 0
	v_add_u32_e32 v18, 64, v11
	v_xor_b32_e32 v19, 4, v17
	v_xor_b32_e32 v20, 2, v17
	;; [unrolled: 1-line block ×3, first 2 shown]
	v_mov_b32_e32 v11, 0xff7fffff
	v_mov_b32_e32 v22, v32
	s_branch .LBB5_13
.LBB5_11:                               ;   in Loop: Header=BB5_13 Depth=1
	s_or_b64 exec, exec, s[38:39]
.LBB5_12:                               ;   in Loop: Header=BB5_13 Depth=1
	s_or_b64 exec, exec, s[8:9]
	v_add_u32_e32 v22, 2, v22
	v_cmp_le_i32_e64 s[6:7], s42, v22
	v_lshl_add_u64 v[4:5], v[4:5], 0, 8
	v_add_u32_e32 v13, 16, v13
	s_or_b64 s[36:37], s[6:7], s[36:37]
	v_add_u32_e32 v15, 64, v15
	s_andn2_b64 exec, exec, s[36:37]
	s_cbranch_execz .LBB5_20
.LBB5_13:                               ; =>This Inner Loop Header: Depth=1
	v_mul_hi_u32 v23, v13, s40
	s_waitcnt lgkmcnt(0)
	v_mul_lo_u32 v24, v23, s21
	v_sub_u32_e32 v24, v13, v24
	v_add_u32_e32 v25, 1, v23
	v_cmp_le_u32_e64 s[6:7], s21, v24
	s_nop 1
	v_cndmask_b32_e64 v23, v23, v25, s[6:7]
	v_subrev_u32_e32 v25, s21, v24
	v_cndmask_b32_e64 v24, v24, v25, s[6:7]
	v_add_u32_e32 v25, 1, v23
	v_cmp_le_u32_e64 s[6:7], s21, v24
	s_nop 1
	v_cndmask_b32_e64 v23, v23, v25, s[6:7]
	v_xor_b32_e32 v23, s19, v23
	v_subrev_u32_e32 v23, s19, v23
	v_add_u32_e32 v24, s41, v23
	v_sub_u32_e32 v26, 0, v24
	v_ashrrev_i32_e32 v25, 31, v24
	v_max_i32_e32 v24, v24, v26
	v_mul_hi_u32 v26, v24, v12
	v_mul_lo_u32 v26, v26, s15
	v_sub_u32_e32 v24, v24, v26
	v_subrev_u32_e32 v26, s15, v24
	v_cmp_le_u32_e64 s[6:7], s15, v24
	v_cmp_ge_i32_e64 s[8:9], s16, v23
	s_nop 0
	v_cndmask_b32_e64 v24, v24, v26, s[6:7]
	v_subrev_u32_e32 v26, s15, v24
	v_cmp_le_u32_e64 s[6:7], s15, v24
	s_nop 1
	v_cndmask_b32_e64 v24, v24, v26, s[6:7]
	v_xor_b32_e32 v24, v24, v25
	v_sub_u32_e32 v24, v24, v25
	v_cmp_ne_u32_e64 s[6:7], 0, v24
	s_and_b64 s[6:7], s[6:7], s[8:9]
	s_and_saveexec_b64 s[8:9], s[6:7]
	s_xor_b64 s[6:7], exec, s[8:9]
	s_cbranch_execz .LBB5_17
; %bb.14:                               ;   in Loop: Header=BB5_13 Depth=1
	s_and_saveexec_b64 s[8:9], vcc
; %bb.15:                               ;   in Loop: Header=BB5_13 Depth=1
	ds_write_b32 v15, v16
; %bb.16:                               ;   in Loop: Header=BB5_13 Depth=1
	s_or_b64 exec, exec, s[8:9]
.LBB5_17:                               ;   in Loop: Header=BB5_13 Depth=1
	s_andn2_saveexec_b64 s[8:9], s[6:7]
	s_cbranch_execz .LBB5_12
; %bb.18:                               ;   in Loop: Header=BB5_13 Depth=1
	global_load_dword v23, v[4:5], off
	s_waitcnt vmcnt(0)
	v_mad_i64_i32 v[24:25], s[6:7], v23, s30, 0
	v_lshl_add_u64 v[24:25], v[24:25], 2, v[2:3]
	global_load_dword v23, v[24:25], off offset:256
	global_load_dword v40, v[24:25], off
	global_load_dword v41, v[24:25], off offset:512
	global_load_dword v42, v[24:25], off offset:768
	;; [unrolled: 1-line block ×13, first 2 shown]
	ds_read2_b32 v[24:25], v10 offset1:1
	ds_read2_b32 v[26:27], v10 offset0:2 offset1:3
	ds_read2_b32 v[28:29], v10 offset0:4 offset1:5
	;; [unrolled: 1-line block ×6, first 2 shown]
	ds_read_b32 v54, v10 offset:56
	v_cmp_lt_i32_e64 s[6:7], v19, v18
	s_waitcnt vmcnt(14) lgkmcnt(7)
	v_mul_f32_e32 v23, v25, v23
	s_waitcnt vmcnt(13)
	v_fmac_f32_e32 v23, v24, v40
	s_waitcnt vmcnt(12) lgkmcnt(6)
	v_fmac_f32_e32 v23, v26, v41
	s_waitcnt vmcnt(11)
	v_fmac_f32_e32 v23, v27, v42
	s_waitcnt vmcnt(10) lgkmcnt(5)
	v_fmac_f32_e32 v23, v28, v43
	;; [unrolled: 4-line block ×6, first 2 shown]
	v_cndmask_b32_e64 v55, v17, v19, s[6:7]
	s_waitcnt vmcnt(1)
	v_fmac_f32_e32 v23, v39, v52
	v_lshlrev_b32_e32 v55, 2, v55
	s_waitcnt vmcnt(0) lgkmcnt(0)
	v_fmac_f32_e32 v23, v54, v53
	ds_bpermute_b32 v24, v55, v23
	v_cmp_lt_i32_e64 s[6:7], v20, v18
	s_waitcnt lgkmcnt(0)
	v_add_f32_e32 v23, v23, v24
	v_cndmask_b32_e64 v25, v17, v20, s[6:7]
	v_lshlrev_b32_e32 v25, 2, v25
	ds_bpermute_b32 v24, v25, v23
	v_cmp_lt_i32_e64 s[6:7], v21, v18
	s_waitcnt lgkmcnt(0)
	v_add_f32_e32 v23, v23, v24
	v_cndmask_b32_e64 v25, v17, v21, s[6:7]
	v_lshlrev_b32_e32 v25, 2, v25
	ds_bpermute_b32 v24, v25, v23
	s_and_saveexec_b64 s[38:39], vcc
	s_cbranch_execz .LBB5_11
; %bb.19:                               ;   in Loop: Header=BB5_13 Depth=1
	v_add_u32_e32 v25, v14, v13
	v_cvt_f32_i32_e32 v25, v25
	s_waitcnt lgkmcnt(0)
	v_add_f32_e32 v23, v23, v24
	v_add_u32_e32 v26, v9, v13
	v_cmp_gt_i32_e64 s[6:7], s33, v26
	v_mul_f32_e32 v24, s43, v25
	v_cndmask_b32_e64 v24, 0, v24, s[0:1]
	v_fmac_f32_e32 v24, s31, v23
	v_cndmask_b32_e64 v23, 0, v24, s[6:7]
	ds_write_b32 v15, v23
	v_max_f32_e32 v23, v11, v11
	v_max_f32_e32 v23, v23, v24
	v_cndmask_b32_e64 v11, v11, v23, s[6:7]
	s_branch .LBB5_11
.LBB5_20:
	s_or_b64 exec, exec, s[36:37]
.LBB5_21:
	s_or_b64 exec, exec, s[34:35]
	v_mbcnt_hi_u32_b32 v2, -1, v8
	v_and_b32_e32 v12, 64, v2
	v_add_u32_e32 v3, 64, v12
	v_xor_b32_e32 v4, 32, v2
	v_cmp_lt_i32_e32 vcc, v4, v3
	v_xor_b32_e32 v9, 16, v2
	v_max_f32_e32 v5, v11, v11
	v_cndmask_b32_e32 v4, v2, v4, vcc
	v_lshlrev_b32_e32 v8, 2, v4
	ds_bpermute_b32 v4, v8, v11
	v_cmp_lt_i32_e32 vcc, v9, v3
	v_xor_b32_e32 v11, 8, v2
	s_waitcnt lgkmcnt(0)
	v_max_f32_e32 v4, v4, v4
	v_max_f32_e32 v4, v5, v4
	v_cndmask_b32_e32 v5, v2, v9, vcc
	v_lshlrev_b32_e32 v10, 2, v5
	ds_bpermute_b32 v5, v10, v4
	v_cmp_lt_i32_e32 vcc, v11, v3
	s_waitcnt lgkmcnt(0)
	v_max_f32_e32 v5, v5, v5
	v_max_f32_e32 v9, v4, v5
	v_cndmask_b32_e32 v4, v2, v11, vcc
	v_lshlrev_b32_e32 v11, 2, v4
	ds_bpermute_b32 v13, v11, v9
	v_and_b32_e32 v4, 63, v0
	v_cmp_eq_u32_e32 vcc, 0, v4
	v_lshlrev_b32_e32 v5, 2, v32
	s_and_saveexec_b64 s[0:1], vcc
	s_cbranch_execz .LBB5_23
; %bb.22:
	s_waitcnt lgkmcnt(0)
	v_max_f32_e32 v13, v13, v13
	v_max_f32_e32 v9, v9, v9
	;; [unrolled: 1-line block ×3, first 2 shown]
	ds_write_b32 v5, v9 offset:480
.LBB5_23:
	s_or_b64 exec, exec, s[0:1]
	v_cmp_gt_u32_e64 s[0:1], 2, v4
	s_waitcnt lgkmcnt(0)
	v_mov_b32_e32 v13, 0xff7fffff
	v_lshlrev_b32_e32 v9, 2, v4
	s_barrier
	s_and_saveexec_b64 s[6:7], s[0:1]
; %bb.24:
	ds_read_b32 v13, v9 offset:480
; %bb.25:
	s_or_b64 exec, exec, s[6:7]
	v_xor_b32_e32 v14, 1, v2
	v_cmp_lt_i32_e64 s[6:7], v14, v3
	v_lshlrev_b32_e32 v12, 2, v12
	s_nop 0
	v_cndmask_b32_e64 v14, v2, v14, s[6:7]
	v_lshlrev_b32_e32 v34, 2, v14
	s_waitcnt lgkmcnt(0)
	ds_bpermute_b32 v14, v34, v13
	v_max_f32_e32 v13, v13, v13
	s_lshl_b32 s6, s42, 3
	s_min_i32 s15, s6, s33
	v_cmp_gt_i32_e64 s[6:7], s15, v0
	s_waitcnt lgkmcnt(0)
	v_max_f32_e32 v14, v14, v14
	v_max_f32_e32 v13, v13, v14
	ds_bpermute_b32 v13, v12, v13
	v_mov_b32_e32 v12, 0
	s_and_saveexec_b64 s[30:31], s[6:7]
	s_cbranch_execz .LBB5_29
; %bb.26:
	v_mov_b32_e32 v12, 0x1f0
	v_lshl_add_u32 v14, v0, 2, v12
	v_mov_b32_e32 v12, 0
	s_mov_b64 s[34:35], 0
	v_mov_b32_e32 v15, v0
.LBB5_27:                               ; =>This Inner Loop Header: Depth=1
	ds_read_b32 v16, v14
	v_add_u32_e32 v15, 0x80, v15
	v_cmp_le_i32_e64 s[8:9], s15, v15
	s_or_b64 s[34:35], s[8:9], s[34:35]
	s_waitcnt lgkmcnt(0)
	v_sub_f32_e32 v16, v16, v13
	v_mul_f32_e32 v16, 0x3fb8aa3b, v16
	v_exp_f32_e32 v16, v16
	ds_write_b32 v14, v16
	v_add_f32_e32 v12, v12, v16
	v_add_u32_e32 v14, 0x200, v14
	s_andn2_b64 exec, exec, s[34:35]
	s_cbranch_execnz .LBB5_27
; %bb.28:
	s_or_b64 exec, exec, s[34:35]
.LBB5_29:
	s_or_b64 exec, exec, s[30:31]
	ds_bpermute_b32 v8, v8, v12
	s_waitcnt lgkmcnt(0)
	v_add_f32_e32 v8, v12, v8
	ds_bpermute_b32 v10, v10, v8
	s_waitcnt lgkmcnt(0)
	v_add_f32_e32 v8, v8, v10
	ds_bpermute_b32 v10, v11, v8
	v_xor_b32_e32 v11, 4, v2
	v_cmp_lt_i32_e64 s[8:9], v11, v3
	s_waitcnt lgkmcnt(0)
	v_add_f32_e32 v8, v8, v10
	v_cndmask_b32_e64 v11, v2, v11, s[8:9]
	v_lshlrev_b32_e32 v11, 2, v11
	ds_bpermute_b32 v10, v11, v8
	v_xor_b32_e32 v11, 2, v2
	v_cmp_lt_i32_e64 s[8:9], v11, v3
	s_waitcnt lgkmcnt(0)
	v_add_f32_e32 v8, v8, v10
	v_cndmask_b32_e64 v3, v2, v11, s[8:9]
	v_lshlrev_b32_e32 v3, 2, v3
	ds_bpermute_b32 v3, v3, v8
	s_waitcnt lgkmcnt(0)
	v_add_f32_e32 v3, v8, v3
	ds_bpermute_b32 v8, v34, v3
	s_waitcnt lgkmcnt(0)
	v_add_f32_e32 v3, v3, v8
	s_and_saveexec_b64 s[8:9], vcc
; %bb.30:
	ds_write_b32 v5, v3 offset:488
; %bb.31:
	s_or_b64 exec, exec, s[8:9]
	s_waitcnt lgkmcnt(0)
	s_barrier
	s_and_saveexec_b64 s[8:9], s[0:1]
; %bb.32:
	ds_read_b32 v3, v9 offset:488
; %bb.33:
	s_or_b64 exec, exec, s[8:9]
	s_waitcnt lgkmcnt(0)
	ds_bpermute_b32 v5, v34, v3
	v_lshlrev_b32_e32 v2, 2, v2
	v_and_b32_e32 v2, 0x100, v2
	s_waitcnt lgkmcnt(0)
	v_add_f32_e32 v3, v3, v5
	ds_bpermute_b32 v2, v2, v3
	s_and_saveexec_b64 s[0:1], s[6:7]
	s_cbranch_execz .LBB5_46
; %bb.34:
	s_waitcnt lgkmcnt(0)
	v_add_f32_e32 v2, 0x358637bd, v2
	v_div_scale_f32 v3, s[6:7], v2, v2, 1.0
	v_rcp_f32_e32 v5, v3
	v_div_scale_f32 v8, vcc, 1.0, v2, 1.0
	s_movk_i32 s6, 0x7f
	v_fma_f32 v9, -v3, v5, 1.0
	v_fmac_f32_e32 v5, v9, v5
	v_mul_f32_e32 v9, v8, v5
	v_fma_f32 v10, -v3, v9, v8
	v_fmac_f32_e32 v9, v10, v5
	v_fma_f32 v3, -v3, v9, v8
	v_div_fmas_f32 v3, v3, v5, v9
	v_xad_u32 v5, v0, -1, s15
	v_div_fixup_f32 v2, v3, v2, 1.0
	v_cmp_lt_u32_e32 vcc, s6, v5
	s_mov_b64 s[8:9], -1
	v_mov_b32_e32 v3, v0
	s_and_saveexec_b64 s[6:7], vcc
	s_cbranch_execz .LBB5_43
; %bb.35:
	v_lshrrev_b32_e32 v5, 7, v5
	v_add_u32_e32 v9, -1, v5
	v_lshrrev_b32_e32 v8, 1, v9
	v_mov_b32_e32 v3, v2
	v_add_u32_e32 v8, 1, v8
	v_cmp_lt_u32_e32 vcc, 13, v9
	v_mov_b32_e32 v11, 0
	s_and_saveexec_b64 s[8:9], vcc
	s_cbranch_execz .LBB5_39
; %bb.36:
	v_mov_b32_e32 v10, 0x1f0
	v_and_b32_e32 v9, -8, v8
	v_lshl_add_u32 v10, v0, 2, v10
	s_mov_b32 s16, 0
	s_mov_b64 s[30:31], 0
.LBB5_37:                               ; =>This Inner Loop Header: Depth=1
	ds_read2st64_b32 v[12:13], v10 offset1:2
	ds_read2st64_b32 v[14:15], v10 offset0:4 offset1:6
	ds_read2st64_b32 v[16:17], v10 offset0:8 offset1:10
	;; [unrolled: 1-line block ×3, first 2 shown]
	v_add_u32_e32 v9, -8, v9
	s_waitcnt lgkmcnt(3)
	v_pk_mul_f32 v[12:13], v[2:3], v[12:13]
	s_waitcnt lgkmcnt(2)
	v_pk_mul_f32 v[14:15], v[2:3], v[14:15]
	ds_write2st64_b32 v10, v12, v13 offset1:2
	ds_write2st64_b32 v10, v14, v15 offset0:4 offset1:6
	ds_read2st64_b32 v[14:15], v10 offset0:16 offset1:18
	s_waitcnt lgkmcnt(4)
	v_pk_mul_f32 v[12:13], v[2:3], v[16:17]
	ds_write2st64_b32 v10, v12, v13 offset0:8 offset1:10
	s_waitcnt lgkmcnt(4)
	v_pk_mul_f32 v[12:13], v[2:3], v[18:19]
	ds_write2st64_b32 v10, v12, v13 offset0:12 offset1:14
	ds_read2st64_b32 v[12:13], v10 offset0:20 offset1:22
	s_waitcnt lgkmcnt(3)
	v_pk_mul_f32 v[14:15], v[2:3], v[14:15]
	ds_read2st64_b32 v[16:17], v10 offset0:24 offset1:26
	ds_write2st64_b32 v10, v14, v15 offset0:16 offset1:18
	ds_read2st64_b32 v[14:15], v10 offset0:28 offset1:30
	s_waitcnt lgkmcnt(3)
	v_pk_mul_f32 v[12:13], v[2:3], v[12:13]
	ds_write2st64_b32 v10, v12, v13 offset0:20 offset1:22
	s_waitcnt lgkmcnt(3)
	v_pk_mul_f32 v[12:13], v[2:3], v[16:17]
	ds_write2st64_b32 v10, v12, v13 offset0:24 offset1:26
	s_waitcnt lgkmcnt(2)
	v_pk_mul_f32 v[12:13], v[2:3], v[14:15]
	s_add_i32 s16, s16, 16
	v_cmp_eq_u32_e32 vcc, 0, v9
	ds_write2st64_b32 v10, v12, v13 offset0:28 offset1:30
	v_add_u32_e32 v10, 0x2000, v10
	s_or_b64 s[30:31], vcc, s[30:31]
	v_mov_b32_e32 v11, s16
	s_andn2_b64 exec, exec, s[30:31]
	s_cbranch_execnz .LBB5_37
; %bb.38:
	s_or_b64 exec, exec, s[30:31]
.LBB5_39:
	s_or_b64 exec, exec, s[8:9]
	v_and_b32_e32 v8, 7, v8
	v_cmp_ne_u32_e32 vcc, 0, v8
	s_and_saveexec_b64 s[8:9], vcc
	s_cbranch_execz .LBB5_42
; %bb.40:
	v_lshlrev_b32_e32 v9, 9, v11
	s_movk_i32 s16, 0x1f0
	v_add3_u32 v9, v9, v6, s16
	s_mov_b64 s[30:31], 0
.LBB5_41:                               ; =>This Inner Loop Header: Depth=1
	ds_read2st64_b32 v[10:11], v9 offset1:2
	v_add_u32_e32 v8, -1, v8
	v_cmp_eq_u32_e32 vcc, 0, v8
	s_or_b64 s[30:31], vcc, s[30:31]
	s_waitcnt lgkmcnt(0)
	v_pk_mul_f32 v[10:11], v[2:3], v[10:11]
	ds_write2st64_b32 v9, v10, v11 offset1:2
	v_add_u32_e32 v9, 0x400, v9
	s_andn2_b64 exec, exec, s[30:31]
	s_cbranch_execnz .LBB5_41
.LBB5_42:
	s_or_b64 exec, exec, s[8:9]
	v_add_u32_e32 v5, 1, v5
	v_and_b32_e32 v8, 0x3fffffe, v5
	v_cmp_ne_u32_e32 vcc, v5, v8
	v_lshl_add_u32 v3, v8, 7, v0
	s_orn2_b64 s[8:9], vcc, exec
.LBB5_43:
	s_or_b64 exec, exec, s[6:7]
	s_and_b64 exec, exec, s[8:9]
	s_cbranch_execz .LBB5_46
; %bb.44:
	v_mov_b32_e32 v5, 0x1f0
	v_lshl_add_u32 v5, v3, 2, v5
	s_mov_b64 s[6:7], 0
.LBB5_45:                               ; =>This Inner Loop Header: Depth=1
	ds_read_b32 v8, v5
	v_add_u32_e32 v3, 0x80, v3
	v_cmp_le_i32_e32 vcc, s15, v3
	s_or_b64 s[6:7], vcc, s[6:7]
	s_waitcnt lgkmcnt(0)
	v_mul_f32_e32 v8, v2, v8
	ds_write_b32 v5, v8
	v_add_u32_e32 v5, 0x200, v5
	s_andn2_b64 exec, exec, s[6:7]
	s_cbranch_execnz .LBB5_45
.LBB5_46:
	s_or_b64 exec, exec, s[0:1]
	v_lshrrev_b32_e32 v35, 1, v4
	s_waitcnt lgkmcnt(0)
	s_barrier
	s_and_saveexec_b64 s[0:1], s[2:3]
	s_xor_b64 s[0:1], exec, s[0:1]
; %bb.47:
	v_lshrrev_b32_e32 v35, 1, v4
                                        ; implicit-def: $vgpr33
                                        ; implicit-def: $vgpr32
                                        ; implicit-def: $vgpr6
                                        ; implicit-def: $vgpr7
; %bb.48:
	s_or_saveexec_b64 s[6:7], s[0:1]
	v_mov_b32_e32 v23, 0
	v_and_b32_e32 v36, 1, v0
	v_mov_b32_e32 v22, 0
	v_mov_b32_e32 v25, 0
	;; [unrolled: 1-line block ×3, first 2 shown]
	s_xor_b64 exec, exec, s[6:7]
	s_cbranch_execz .LBB5_64
; %bb.49:
	s_ashr_i32 s15, s14, 31
	s_sub_i32 s30, s12, s17
	s_lshl_b64 s[0:1], s[14:15], 2
	s_add_u32 s8, s28, s0
	s_addc_u32 s9, s29, s1
	s_abs_i32 s18, s18
	v_cvt_f32_u32_e32 v3, s18
	v_or_b32_e32 v4, 0x60, v35
	s_movk_i32 s0, 0x78
	v_cmp_gt_u32_e32 vcc, s0, v4
	v_rcp_iflag_f32_e32 v3, v3
	s_sub_i32 s0, 0, s18
	s_add_i32 s28, s42, -1
	v_and_b32_e32 v37, 4, v6
	v_mul_f32_e32 v3, 0x4f7ffffe, v3
	v_cvt_u32_f32_e32 v3, v3
	v_lshl_or_b32 v2, v35, 3, v37
	v_mov_b32_e32 v27, 0
	v_lshl_or_b32 v4, v4, 3, v37
	v_mul_lo_u32 v5, s0, v3
	v_mul_hi_u32 v5, v3, v5
	s_lshl_b64 s[0:1], s[26:27], 2
	v_add_u32_e32 v38, v3, v5
	s_add_u32 s0, s24, s0
	v_lshlrev_b32_e32 v3, 4, v36
	v_and_b32_e32 v26, 60, v7
	s_addc_u32 s1, s25, s1
	v_lshl_or_b32 v3, v32, 5, v3
	s_mov_b32 s31, s13
	s_mov_b32 s29, s33
	v_lshl_add_u64 v[28:29], s[0:1], 0, v[26:27]
	v_add_u32_e32 v39, 0x1f0, v3
	s_mov_b64 s[12:13], 0
	v_lshlrev_b32_e32 v26, 2, v2
	v_lshlrev_b32_e32 v30, 2, v4
	v_mov_b32_e32 v24, v27
	v_mov_b32_e32 v25, v27
	;; [unrolled: 1-line block ×4, first 2 shown]
	s_branch .LBB5_53
.LBB5_50:                               ;   in Loop: Header=BB5_53 Depth=1
	s_or_b64 exec, exec, s[16:17]
	s_waitcnt vmcnt(0) lgkmcnt(0)
	v_pk_mul_f32 v[18:19], v[6:7], v[18:19]
	v_pk_mul_f32 v[20:21], v[8:9], v[20:21]
	v_add_f32_e32 v18, v19, v18
	v_add_f32_e32 v18, v20, v18
	;; [unrolled: 1-line block ×4, first 2 shown]
.LBB5_51:                               ;   in Loop: Header=BB5_53 Depth=1
	s_or_b64 exec, exec, s[2:3]
	s_waitcnt vmcnt(0) lgkmcnt(0)
	v_mul_f32_e32 v14, v6, v14
	v_mul_f32_e32 v10, v6, v10
	;; [unrolled: 1-line block ×3, first 2 shown]
	v_fmac_f32_e32 v14, v7, v15
	v_fmac_f32_e32 v10, v7, v11
	;; [unrolled: 1-line block ×9, first 2 shown]
	v_add_f32_e32 v22, v22, v14
	v_add_f32_e32 v25, v25, v10
	;; [unrolled: 1-line block ×3, first 2 shown]
.LBB5_52:                               ;   in Loop: Header=BB5_53 Depth=1
	s_or_b64 exec, exec, s[14:15]
	v_add_u32_e32 v32, 2, v32
	v_cmp_le_i32_e64 s[0:1], s42, v32
	v_lshl_add_u64 v[28:29], v[28:29], 0, 8
	v_add_u32_e32 v33, 16, v33
	s_or_b64 s[12:13], s[0:1], s[12:13]
	v_add_u32_e32 v39, 64, v39
	s_andn2_b64 exec, exec, s[12:13]
	s_cbranch_execz .LBB5_63
.LBB5_53:                               ; =>This Inner Loop Header: Depth=1
	v_mul_hi_u32 v2, v33, s40
	v_mul_lo_u32 v3, v2, s21
	v_sub_u32_e32 v3, v33, v3
	v_add_u32_e32 v4, 1, v2
	v_cmp_le_u32_e64 s[0:1], s21, v3
	s_nop 1
	v_cndmask_b32_e64 v2, v2, v4, s[0:1]
	v_subrev_u32_e32 v4, s21, v3
	v_cndmask_b32_e64 v3, v3, v4, s[0:1]
	v_add_u32_e32 v4, 1, v2
	v_cmp_le_u32_e64 s[0:1], s21, v3
	s_nop 1
	v_cndmask_b32_e64 v2, v2, v4, s[0:1]
	v_xor_b32_e32 v2, s19, v2
	v_subrev_u32_e32 v2, s19, v2
	v_add_u32_e32 v3, s41, v2
	v_sub_u32_e32 v5, 0, v3
	v_ashrrev_i32_e32 v4, 31, v3
	v_max_i32_e32 v3, v3, v5
	v_mul_hi_u32 v5, v3, v38
	v_mul_lo_u32 v5, v5, s18
	v_sub_u32_e32 v3, v3, v5
	v_subrev_u32_e32 v5, s18, v3
	v_cmp_le_u32_e64 s[0:1], s18, v3
	v_cmp_lt_i32_e64 s[2:3], s30, v2
	s_nop 0
	v_cndmask_b32_e64 v3, v3, v5, s[0:1]
	v_subrev_u32_e32 v5, s18, v3
	v_cmp_le_u32_e64 s[0:1], s18, v3
	s_nop 1
	v_cndmask_b32_e64 v3, v3, v5, s[0:1]
	v_xor_b32_e32 v3, v3, v4
	v_sub_u32_e32 v3, v3, v4
	v_cmp_eq_u32_e64 s[0:1], 0, v3
	s_or_b64 s[0:1], s[0:1], s[2:3]
	s_and_saveexec_b64 s[14:15], s[0:1]
	s_cbranch_execz .LBB5_52
; %bb.54:                               ;   in Loop: Header=BB5_53 Depth=1
	global_load_dword v2, v[28:29], off
	ds_read_b128 v[6:9], v39
	v_add_u32_e32 v40, v37, v33
	s_waitcnt vmcnt(0)
	v_mad_i64_i32 v[2:3], s[0:1], v2, s31, 0
	v_lshl_add_u64 v[18:19], v[2:3], 2, s[8:9]
	v_lshl_add_u64 v[14:15], v[18:19], 0, v[26:27]
	global_load_dwordx4 v[2:5], v[14:15], off
	v_cmp_eq_u32_e64 s[0:1], s28, v32
	s_and_saveexec_b64 s[16:17], s[0:1]
	s_cbranch_execnz .LBB5_58
; %bb.55:                               ;   in Loop: Header=BB5_53 Depth=1
	s_or_b64 exec, exec, s[16:17]
	global_load_dwordx4 v[10:13], v[14:15], off offset:1024
	s_and_saveexec_b64 s[16:17], s[0:1]
	s_cbranch_execnz .LBB5_59
.LBB5_56:                               ;   in Loop: Header=BB5_53 Depth=1
	s_or_b64 exec, exec, s[16:17]
	global_load_dwordx4 v[14:17], v[14:15], off offset:2048
	s_and_saveexec_b64 s[16:17], s[0:1]
	s_cbranch_execnz .LBB5_60
.LBB5_57:                               ;   in Loop: Header=BB5_53 Depth=1
	s_or_b64 exec, exec, s[16:17]
	s_and_saveexec_b64 s[2:3], vcc
	s_cbranch_execz .LBB5_51
	s_branch .LBB5_61
.LBB5_58:                               ;   in Loop: Header=BB5_53 Depth=1
	v_add_u32_e32 v10, 1, v40
	v_cmp_gt_i32_e64 s[2:3], s29, v10
	v_or_b32_e32 v10, 3, v40
	v_or_b32_e32 v11, 2, v40
	s_waitcnt vmcnt(0)
	v_cndmask_b32_e64 v3, 0, v3, s[2:3]
	v_cmp_gt_i32_e64 s[2:3], s33, v40
	s_nop 1
	v_cndmask_b32_e64 v2, 0, v2, s[2:3]
	v_cmp_gt_i32_e64 s[2:3], s29, v10
	s_nop 1
	;; [unrolled: 3-line block ×3, first 2 shown]
	v_cndmask_b32_e64 v4, 0, v4, s[2:3]
	s_or_b64 exec, exec, s[16:17]
	global_load_dwordx4 v[10:13], v[14:15], off offset:1024
	s_and_saveexec_b64 s[16:17], s[0:1]
	s_cbranch_execz .LBB5_56
.LBB5_59:                               ;   in Loop: Header=BB5_53 Depth=1
	v_add_u32_e32 v16, 1, v40
	v_cmp_gt_i32_e64 s[2:3], s29, v16
	v_or_b32_e32 v16, 3, v40
	v_or_b32_e32 v17, 2, v40
	s_waitcnt vmcnt(0)
	v_cndmask_b32_e64 v11, 0, v11, s[2:3]
	v_cmp_gt_i32_e64 s[2:3], s33, v40
	s_nop 1
	v_cndmask_b32_e64 v10, 0, v10, s[2:3]
	v_cmp_gt_i32_e64 s[2:3], s29, v16
	s_nop 1
	;; [unrolled: 3-line block ×3, first 2 shown]
	v_cndmask_b32_e64 v12, 0, v12, s[2:3]
	s_or_b64 exec, exec, s[16:17]
	global_load_dwordx4 v[14:17], v[14:15], off offset:2048
	s_and_saveexec_b64 s[16:17], s[0:1]
	s_cbranch_execz .LBB5_57
.LBB5_60:                               ;   in Loop: Header=BB5_53 Depth=1
	v_add_u32_e32 v20, 1, v40
	v_cmp_gt_i32_e64 s[2:3], s29, v20
	v_or_b32_e32 v20, 3, v40
	v_or_b32_e32 v21, 2, v40
	s_waitcnt vmcnt(0)
	v_cndmask_b32_e64 v15, 0, v15, s[2:3]
	v_cmp_gt_i32_e64 s[2:3], s33, v40
	s_nop 1
	v_cndmask_b32_e64 v14, 0, v14, s[2:3]
	v_cmp_gt_i32_e64 s[2:3], s29, v20
	s_nop 1
	;; [unrolled: 3-line block ×3, first 2 shown]
	v_cndmask_b32_e64 v16, 0, v16, s[2:3]
	s_or_b64 exec, exec, s[16:17]
	s_and_saveexec_b64 s[2:3], vcc
	s_cbranch_execz .LBB5_51
.LBB5_61:                               ;   in Loop: Header=BB5_53 Depth=1
	v_mov_b32_e32 v31, v27
	v_lshl_add_u64 v[18:19], v[18:19], 0, v[30:31]
	global_load_dwordx4 v[18:21], v[18:19], off
	s_and_saveexec_b64 s[16:17], s[0:1]
	s_cbranch_execz .LBB5_50
; %bb.62:                               ;   in Loop: Header=BB5_53 Depth=1
	v_add_u32_e32 v31, 1, v40
	v_cmp_gt_i32_e64 s[0:1], s29, v31
	v_or_b32_e32 v31, 3, v40
	s_waitcnt vmcnt(0)
	v_cndmask_b32_e64 v19, 0, v19, s[0:1]
	v_cmp_gt_i32_e64 s[0:1], s33, v40
	v_or_b32_e32 v40, 2, v40
	s_nop 0
	v_cndmask_b32_e64 v18, 0, v18, s[0:1]
	v_cmp_gt_i32_e64 s[0:1], s29, v31
	s_nop 1
	v_cndmask_b32_e64 v21, 0, v21, s[0:1]
	v_cmp_gt_i32_e64 s[0:1], s33, v40
	s_nop 1
	v_cndmask_b32_e64 v20, 0, v20, s[0:1]
	s_branch .LBB5_50
.LBB5_63:
	s_or_b64 exec, exec, s[12:13]
.LBB5_64:
	s_or_b64 exec, exec, s[6:7]
	ds_bpermute_b32 v2, v34, v24
	ds_bpermute_b32 v3, v34, v25
	;; [unrolled: 1-line block ×4, first 2 shown]
	v_cmp_eq_u32_e32 vcc, 0, v36
	s_waitcnt lgkmcnt(0)
	v_pk_add_f32 v[4:5], v[24:25], v[2:3]
	s_barrier
	v_pk_add_f32 v[2:3], v[22:23], v[6:7]
	v_and_b32_e32 v6, 0x3c0, v0
	v_cmp_eq_u32_e64 s[0:1], 64, v6
	s_and_saveexec_b64 s[2:3], s[0:1]
	s_cbranch_execz .LBB5_69
; %bb.65:
	s_and_saveexec_b64 s[0:1], vcc
	s_cbranch_execz .LBB5_67
; %bb.66:
	v_mov_b32_e32 v6, 0x1f0
	v_lshl_add_u32 v6, v35, 2, v6
	ds_write2_b32 v6, v4, v5 offset1:32
	ds_write_b32 v6, v2 offset:256
.LBB5_67:
	s_or_b64 exec, exec, s[0:1]
	v_or_b32_e32 v6, 0x60, v35
	s_movk_i32 s0, 0x78
	v_cmp_gt_u32_e64 s[0:1], s0, v6
	s_and_b64 s[0:1], vcc, s[0:1]
	s_and_b64 exec, exec, s[0:1]
; %bb.68:
	v_mov_b32_e32 v6, 0x1f0
	v_lshl_add_u32 v6, v35, 2, v6
	ds_write_b32 v6, v3 offset:384
.LBB5_69:
	s_or_b64 exec, exec, s[2:3]
	v_cmp_gt_u32_e64 s[0:1], 64, v0
	s_waitcnt lgkmcnt(0)
	s_barrier
	s_and_saveexec_b64 s[6:7], s[0:1]
	s_cbranch_execz .LBB5_79
; %bb.70:
	s_and_saveexec_b64 s[2:3], vcc
	s_cbranch_execz .LBB5_72
; %bb.71:
	v_mov_b32_e32 v0, 0x1f0
	v_lshl_add_u32 v0, v1, 2, v0
	ds_read_b32 v0, v0
	s_waitcnt lgkmcnt(0)
	v_add_f32_e32 v4, v4, v0
.LBB5_72:
	s_or_b64 exec, exec, s[2:3]
	v_or_b32_e32 v0, 32, v1
	s_movk_i32 s8, 0x78
	v_cmp_gt_u32_e64 s[2:3], s8, v0
	s_and_b64 s[12:13], vcc, s[2:3]
	s_and_saveexec_b64 s[2:3], s[12:13]
	s_cbranch_execz .LBB5_74
; %bb.73:
	v_mov_b32_e32 v0, 0x1f0
	v_lshl_add_u32 v0, v1, 2, v0
	ds_read_b32 v0, v0 offset:128
	s_waitcnt lgkmcnt(0)
	v_add_f32_e32 v5, v5, v0
.LBB5_74:
	s_or_b64 exec, exec, s[2:3]
	v_or_b32_e32 v0, 64, v1
	v_cmp_gt_u32_e64 s[2:3], s8, v0
	s_and_b64 s[8:9], vcc, s[2:3]
	s_and_saveexec_b64 s[2:3], s[8:9]
	s_cbranch_execz .LBB5_76
; %bb.75:
	v_mov_b32_e32 v0, 0x1f0
	v_lshl_add_u32 v0, v1, 2, v0
	ds_read_b32 v0, v0 offset:256
	s_waitcnt lgkmcnt(0)
	v_add_f32_e32 v2, v2, v0
.LBB5_76:
	s_or_b64 exec, exec, s[2:3]
	v_or_b32_e32 v0, 0x60, v1
	s_movk_i32 s2, 0x78
	v_cmp_gt_u32_e64 s[2:3], s2, v0
	s_and_b64 s[8:9], vcc, s[2:3]
	s_and_saveexec_b64 s[2:3], s[8:9]
	s_cbranch_execz .LBB5_78
; %bb.77:
	v_mov_b32_e32 v0, 0x1f0
	v_lshl_add_u32 v0, v1, 2, v0
	ds_read_b32 v0, v0 offset:384
	s_waitcnt lgkmcnt(0)
	v_add_f32_e32 v3, v3, v0
.LBB5_78:
	s_or_b64 exec, exec, s[2:3]
.LBB5_79:
	s_or_b64 exec, exec, s[6:7]
	s_barrier
	s_and_saveexec_b64 s[2:3], s[0:1]
	s_cbranch_execz .LBB5_88
; %bb.80:
	s_mul_i32 s0, s10, s11
	s_mul_i32 s0, s0, s5
	s_mulk_i32 s0, 0x78
	s_ashr_i32 s1, s0, 31
	s_lshl_b64 s[0:1], s[0:1], 2
	s_add_u32 s2, s22, s0
	s_mul_i32 s0, s11, s20
	s_addc_u32 s3, s23, s1
	s_ashr_i32 s1, s0, 31
	s_lshl_b64 s[0:1], s[0:1], 2
	s_add_u32 s2, s2, s0
	s_mul_i32 s0, s4, 0x78
	s_addc_u32 s3, s3, s1
	s_ashr_i32 s1, s0, 31
	s_lshl_b64 s[0:1], s[0:1], 2
	s_add_u32 s2, s2, s0
	s_movk_i32 s5, 0x78
	s_addc_u32 s3, s3, s1
	v_lshlrev_b32_e32 v0, 2, v1
	s_and_saveexec_b64 s[0:1], vcc
	s_cbranch_execz .LBB5_82
; %bb.81:
	global_store_dword v0, v4, s[2:3]
.LBB5_82:
	s_or_b64 exec, exec, s[0:1]
	v_or_b32_e32 v4, 32, v1
	v_cmp_gt_u32_e64 s[0:1], s5, v4
	s_and_b64 s[4:5], vcc, s[0:1]
	s_and_saveexec_b64 s[0:1], s[4:5]
	s_cbranch_execz .LBB5_84
; %bb.83:
	global_store_dword v0, v5, s[2:3] offset:128
.LBB5_84:
	s_or_b64 exec, exec, s[0:1]
	v_or_b32_e32 v4, 64, v1
	s_movk_i32 s4, 0x78
	v_cmp_gt_u32_e64 s[0:1], s4, v4
	s_and_b64 s[6:7], vcc, s[0:1]
	s_and_saveexec_b64 s[0:1], s[6:7]
	s_cbranch_execz .LBB5_86
; %bb.85:
	global_store_dword v0, v2, s[2:3] offset:256
.LBB5_86:
	s_or_b64 exec, exec, s[0:1]
	v_or_b32_e32 v1, 0x60, v1
	v_cmp_gt_u32_e64 s[0:1], s4, v1
	s_and_b64 s[0:1], vcc, s[0:1]
	s_and_b64 exec, exec, s[0:1]
	s_cbranch_execz .LBB5_88
; %bb.87:
	global_store_dword v0, v3, s[2:3] offset:384
.LBB5_88:
	s_endpgm
	.section	.rodata,"a",@progbits
	.p2align	6, 0x0
	.amdhsa_kernel _ZN4vllm25paged_attention_v1_kernelIffLi120ELi8ELi128ELNS_18Fp8KVCacheDataTypeE0ELb1EEEvPT_PKS2_PKT0_S8_ifPKiSA_iPKfiiiSC_SC_iiiii
		.amdhsa_group_segment_fixed_size 496
		.amdhsa_private_segment_fixed_size 0
		.amdhsa_kernarg_size 384
		.amdhsa_user_sgpr_count 2
		.amdhsa_user_sgpr_dispatch_ptr 0
		.amdhsa_user_sgpr_queue_ptr 0
		.amdhsa_user_sgpr_kernarg_segment_ptr 1
		.amdhsa_user_sgpr_dispatch_id 0
		.amdhsa_user_sgpr_kernarg_preload_length 0
		.amdhsa_user_sgpr_kernarg_preload_offset 0
		.amdhsa_user_sgpr_private_segment_size 0
		.amdhsa_uses_dynamic_stack 0
		.amdhsa_enable_private_segment 0
		.amdhsa_system_sgpr_workgroup_id_x 1
		.amdhsa_system_sgpr_workgroup_id_y 1
		.amdhsa_system_sgpr_workgroup_id_z 1
		.amdhsa_system_sgpr_workgroup_info 0
		.amdhsa_system_vgpr_workitem_id 0
		.amdhsa_next_free_vgpr 56
		.amdhsa_next_free_sgpr 44
		.amdhsa_accum_offset 56
		.amdhsa_reserve_vcc 1
		.amdhsa_float_round_mode_32 0
		.amdhsa_float_round_mode_16_64 0
		.amdhsa_float_denorm_mode_32 3
		.amdhsa_float_denorm_mode_16_64 3
		.amdhsa_dx10_clamp 1
		.amdhsa_ieee_mode 1
		.amdhsa_fp16_overflow 0
		.amdhsa_tg_split 0
		.amdhsa_exception_fp_ieee_invalid_op 0
		.amdhsa_exception_fp_denorm_src 0
		.amdhsa_exception_fp_ieee_div_zero 0
		.amdhsa_exception_fp_ieee_overflow 0
		.amdhsa_exception_fp_ieee_underflow 0
		.amdhsa_exception_fp_ieee_inexact 0
		.amdhsa_exception_int_div_zero 0
	.end_amdhsa_kernel
	.section	.text._ZN4vllm25paged_attention_v1_kernelIffLi120ELi8ELi128ELNS_18Fp8KVCacheDataTypeE0ELb1EEEvPT_PKS2_PKT0_S8_ifPKiSA_iPKfiiiSC_SC_iiiii,"axG",@progbits,_ZN4vllm25paged_attention_v1_kernelIffLi120ELi8ELi128ELNS_18Fp8KVCacheDataTypeE0ELb1EEEvPT_PKS2_PKT0_S8_ifPKiSA_iPKfiiiSC_SC_iiiii,comdat
.Lfunc_end5:
	.size	_ZN4vllm25paged_attention_v1_kernelIffLi120ELi8ELi128ELNS_18Fp8KVCacheDataTypeE0ELb1EEEvPT_PKS2_PKT0_S8_ifPKiSA_iPKfiiiSC_SC_iiiii, .Lfunc_end5-_ZN4vllm25paged_attention_v1_kernelIffLi120ELi8ELi128ELNS_18Fp8KVCacheDataTypeE0ELb1EEEvPT_PKS2_PKT0_S8_ifPKiSA_iPKfiiiSC_SC_iiiii
                                        ; -- End function
	.set _ZN4vllm25paged_attention_v1_kernelIffLi120ELi8ELi128ELNS_18Fp8KVCacheDataTypeE0ELb1EEEvPT_PKS2_PKT0_S8_ifPKiSA_iPKfiiiSC_SC_iiiii.num_vgpr, 56
	.set _ZN4vllm25paged_attention_v1_kernelIffLi120ELi8ELi128ELNS_18Fp8KVCacheDataTypeE0ELb1EEEvPT_PKS2_PKT0_S8_ifPKiSA_iPKfiiiSC_SC_iiiii.num_agpr, 0
	.set _ZN4vllm25paged_attention_v1_kernelIffLi120ELi8ELi128ELNS_18Fp8KVCacheDataTypeE0ELb1EEEvPT_PKS2_PKT0_S8_ifPKiSA_iPKfiiiSC_SC_iiiii.numbered_sgpr, 44
	.set _ZN4vllm25paged_attention_v1_kernelIffLi120ELi8ELi128ELNS_18Fp8KVCacheDataTypeE0ELb1EEEvPT_PKS2_PKT0_S8_ifPKiSA_iPKfiiiSC_SC_iiiii.num_named_barrier, 0
	.set _ZN4vllm25paged_attention_v1_kernelIffLi120ELi8ELi128ELNS_18Fp8KVCacheDataTypeE0ELb1EEEvPT_PKS2_PKT0_S8_ifPKiSA_iPKfiiiSC_SC_iiiii.private_seg_size, 0
	.set _ZN4vllm25paged_attention_v1_kernelIffLi120ELi8ELi128ELNS_18Fp8KVCacheDataTypeE0ELb1EEEvPT_PKS2_PKT0_S8_ifPKiSA_iPKfiiiSC_SC_iiiii.uses_vcc, 1
	.set _ZN4vllm25paged_attention_v1_kernelIffLi120ELi8ELi128ELNS_18Fp8KVCacheDataTypeE0ELb1EEEvPT_PKS2_PKT0_S8_ifPKiSA_iPKfiiiSC_SC_iiiii.uses_flat_scratch, 0
	.set _ZN4vllm25paged_attention_v1_kernelIffLi120ELi8ELi128ELNS_18Fp8KVCacheDataTypeE0ELb1EEEvPT_PKS2_PKT0_S8_ifPKiSA_iPKfiiiSC_SC_iiiii.has_dyn_sized_stack, 0
	.set _ZN4vllm25paged_attention_v1_kernelIffLi120ELi8ELi128ELNS_18Fp8KVCacheDataTypeE0ELb1EEEvPT_PKS2_PKT0_S8_ifPKiSA_iPKfiiiSC_SC_iiiii.has_recursion, 0
	.set _ZN4vllm25paged_attention_v1_kernelIffLi120ELi8ELi128ELNS_18Fp8KVCacheDataTypeE0ELb1EEEvPT_PKS2_PKT0_S8_ifPKiSA_iPKfiiiSC_SC_iiiii.has_indirect_call, 0
	.section	.AMDGPU.csdata,"",@progbits
; Kernel info:
; codeLenInByte = 5068
; TotalNumSgprs: 50
; NumVgprs: 56
; NumAgprs: 0
; TotalNumVgprs: 56
; ScratchSize: 0
; MemoryBound: 0
; FloatMode: 240
; IeeeMode: 1
; LDSByteSize: 496 bytes/workgroup (compile time only)
; SGPRBlocks: 6
; VGPRBlocks: 6
; NumSGPRsForWavesPerEU: 50
; NumVGPRsForWavesPerEU: 56
; AccumOffset: 56
; Occupancy: 8
; WaveLimiterHint : 1
; COMPUTE_PGM_RSRC2:SCRATCH_EN: 0
; COMPUTE_PGM_RSRC2:USER_SGPR: 2
; COMPUTE_PGM_RSRC2:TRAP_HANDLER: 0
; COMPUTE_PGM_RSRC2:TGID_X_EN: 1
; COMPUTE_PGM_RSRC2:TGID_Y_EN: 1
; COMPUTE_PGM_RSRC2:TGID_Z_EN: 1
; COMPUTE_PGM_RSRC2:TIDIG_COMP_CNT: 0
; COMPUTE_PGM_RSRC3_GFX90A:ACCUM_OFFSET: 13
; COMPUTE_PGM_RSRC3_GFX90A:TG_SPLIT: 0
	.section	.text._ZN4vllm25paged_attention_v1_kernelIffLi128ELi8ELi128ELNS_18Fp8KVCacheDataTypeE0ELb1EEEvPT_PKS2_PKT0_S8_ifPKiSA_iPKfiiiSC_SC_iiiii,"axG",@progbits,_ZN4vllm25paged_attention_v1_kernelIffLi128ELi8ELi128ELNS_18Fp8KVCacheDataTypeE0ELb1EEEvPT_PKS2_PKT0_S8_ifPKiSA_iPKfiiiSC_SC_iiiii,comdat
	.protected	_ZN4vllm25paged_attention_v1_kernelIffLi128ELi8ELi128ELNS_18Fp8KVCacheDataTypeE0ELb1EEEvPT_PKS2_PKT0_S8_ifPKiSA_iPKfiiiSC_SC_iiiii ; -- Begin function _ZN4vllm25paged_attention_v1_kernelIffLi128ELi8ELi128ELNS_18Fp8KVCacheDataTypeE0ELb1EEEvPT_PKS2_PKT0_S8_ifPKiSA_iPKfiiiSC_SC_iiiii
	.globl	_ZN4vllm25paged_attention_v1_kernelIffLi128ELi8ELi128ELNS_18Fp8KVCacheDataTypeE0ELb1EEEvPT_PKS2_PKT0_S8_ifPKiSA_iPKfiiiSC_SC_iiiii
	.p2align	8
	.type	_ZN4vllm25paged_attention_v1_kernelIffLi128ELi8ELi128ELNS_18Fp8KVCacheDataTypeE0ELb1EEEvPT_PKS2_PKT0_S8_ifPKiSA_iPKfiiiSC_SC_iiiii,@function
_ZN4vllm25paged_attention_v1_kernelIffLi128ELi8ELi128ELNS_18Fp8KVCacheDataTypeE0ELb1EEEvPT_PKS2_PKT0_S8_ifPKiSA_iPKfiiiSC_SC_iiiii: ; @_ZN4vllm25paged_attention_v1_kernelIffLi128ELi8ELi128ELNS_18Fp8KVCacheDataTypeE0ELb1EEEvPT_PKS2_PKT0_S8_ifPKiSA_iPKfiiiSC_SC_iiiii
; %bb.0:
	s_load_dword s5, s[0:1], 0x80
	s_load_dwordx2 s[6:7], s[0:1], 0x30
	s_load_dwordx2 s[30:31], s[0:1], 0x20
	s_mov_b32 s10, s3
	s_ashr_i32 s11, s3, 31
	s_lshl_b64 s[8:9], s[10:11], 2
	s_waitcnt lgkmcnt(0)
	s_add_u32 s6, s6, s8
	s_addc_u32 s7, s7, s9
	s_abs_i32 s3, s30
	v_cvt_f32_u32_e32 v1, s3
	s_sub_i32 s11, 0, s3
	s_abs_i32 s9, s5
	s_xor_b32 s8, s5, s30
	v_rcp_iflag_f32_e32 v1, v1
	s_ashr_i32 s8, s8, 31
	s_mov_b32 s42, 0
	v_mul_f32_e32 v1, 0x4f7ffffe, v1
	v_cvt_u32_f32_e32 v1, v1
	s_nop 0
	v_readfirstlane_b32 s12, v1
	s_mul_i32 s11, s11, s12
	s_mul_hi_u32 s11, s12, s11
	s_add_i32 s12, s12, s11
	s_mul_hi_u32 s11, s9, s12
	s_mul_i32 s12, s11, s3
	s_sub_i32 s9, s9, s12
	s_add_i32 s12, s11, 1
	s_sub_i32 s13, s9, s3
	s_cmp_ge_u32 s9, s3
	s_cselect_b32 s11, s12, s11
	s_cselect_b32 s9, s13, s9
	s_add_i32 s12, s11, 1
	s_cmp_ge_u32 s9, s3
	s_cselect_b32 s3, s12, s11
	s_xor_b32 s3, s3, s8
	s_sub_i32 s12, s3, s8
	s_abs_i32 s11, s12
	v_cvt_f32_u32_e32 v1, s11
	s_load_dwordx2 s[8:9], s[0:1], 0x40
	s_sub_i32 s3, 0, s11
	s_abs_i32 s22, s2
	v_rcp_iflag_f32_e32 v1, v1
	s_nop 0
	v_mul_f32_e32 v1, 0x4f7ffffe, v1
	v_cvt_u32_f32_e32 v1, v1
	s_nop 0
	v_readfirstlane_b32 s13, v1
	s_mul_i32 s3, s3, s13
	s_mul_hi_u32 s3, s13, s3
	s_add_i32 s13, s13, s3
	s_waitcnt lgkmcnt(0)
	s_cmp_eq_u64 s[8:9], 0
	s_mul_hi_u32 s23, s22, s13
	s_cbranch_scc1 .LBB6_2
; %bb.1:
	s_ashr_i32 s3, s2, 31
	s_lshl_b64 s[14:15], s[2:3], 2
	s_add_u32 s8, s8, s14
	s_addc_u32 s9, s9, s15
	s_load_dword s42, s[8:9], 0x0
.LBB6_2:
	s_load_dword s33, s[6:7], 0x0
	s_ashr_i32 s9, s12, 31
	s_load_dwordx4 s[12:15], s[0:1], 0x48
	s_movk_i32 s3, 0x80
	s_ashr_i32 s8, s2, 31
	v_and_b32_e32 v2, 7, v0
	s_lshl_b32 s20, s2, 7
	v_cmp_gt_u32_e32 vcc, s3, v0
	v_lshlrev_b32_e32 v6, 2, v0
	v_lshrrev_b32_e32 v1, 1, v0
	s_and_saveexec_b64 s[6:7], vcc
	s_cbranch_execz .LBB6_4
; %bb.3:
	s_load_dwordx2 s[16:17], s[0:1], 0x8
	s_waitcnt lgkmcnt(0)
	s_mul_i32 s18, s12, s10
	s_ashr_i32 s19, s18, 31
	s_lshl_b64 s[18:19], s[18:19], 2
	v_and_b32_e32 v4, 0x1fc, v1
	s_add_u32 s3, s16, s18
	s_addc_u32 s12, s17, s19
	s_ashr_i32 s21, s20, 31
	s_lshl_b64 s[16:17], s[20:21], 2
	s_add_u32 s16, s3, s16
	s_addc_u32 s17, s12, s17
	global_load_dword v3, v6, s[16:17]
	v_lshl_add_u32 v4, v2, 6, v4
	s_waitcnt vmcnt(0)
	ds_write_b32 v4, v3
.LBB6_4:
	s_or_b64 exec, exec, s[6:7]
	s_mul_i32 s7, s23, s11
	s_sub_i32 s7, s22, s7
	s_xor_b32 s6, s8, s9
	s_add_i32 s8, s23, 1
	s_sub_i32 s9, s7, s11
	s_load_dwordx4 s[16:19], s[0:1], 0x68
	s_load_dword s3, s[0:1], 0x78
	s_cmp_ge_u32 s7, s11
	s_cselect_b32 s8, s8, s23
	s_cselect_b32 s7, s9, s7
	s_add_i32 s9, s8, 1
	s_cmp_ge_u32 s7, s11
	s_cselect_b32 s7, s9, s8
	s_waitcnt lgkmcnt(0)
	s_abs_i32 s21, s19
	v_cvt_f32_u32_e32 v3, s21
	s_xor_b32 s7, s7, s6
	s_sub_i32 s8, s7, s6
	s_sub_i32 s6, 0, s21
	v_rcp_iflag_f32_e32 v3, v3
	s_add_i32 s11, s33, -1
	s_abs_i32 s9, s11
	v_mul_f32_e32 v3, 0x4f7ffffe, v3
	v_cvt_u32_f32_e32 v3, v3
	s_barrier
	v_readfirstlane_b32 s40, v3
	s_mul_i32 s6, s6, s40
	s_mul_hi_u32 s6, s40, s6
	s_add_i32 s40, s40, s6
	s_cmp_lt_i32 s3, 0
	s_mul_hi_u32 s12, s9, s40
	s_cbranch_scc0 .LBB6_6
; %bb.5:
	s_mul_i32 s6, s16, s30
	s_add_i32 s6, s8, s6
	s_mul_i32 s6, s6, s3
	s_sub_i32 s41, 1, s6
	s_mov_b64 s[6:7], 0
	s_branch .LBB6_7
.LBB6_6:
	s_mov_b64 s[6:7], -1
                                        ; implicit-def: $sgpr41
.LBB6_7:
	s_load_dwordx2 s[24:25], s[0:1], 0x28
	s_ashr_i32 s15, s11, 31
	s_andn2_b64 vcc, exec, s[6:7]
	s_ashr_i32 s19, s19, 31
	s_cbranch_vccnz .LBB6_9
; %bb.8:
	s_mul_i32 s6, s5, s16
	s_add_i32 s2, s6, s2
	s_mul_i32 s2, s2, s3
	s_add_i32 s41, s2, 1
.LBB6_9:
	s_load_dword s2, s[0:1], 0x38
	s_load_dwordx2 s[22:23], s[0:1], 0x0
	s_load_dwordx2 s[28:29], s[0:1], 0x18
	s_load_dword s11, s[0:1], 0x88
	s_xor_b32 s3, s15, s19
	s_waitcnt lgkmcnt(0)
	s_mul_i32 s26, s2, s10
	s_mul_i32 s2, s12, s21
	s_sub_i32 s2, s9, s2
	s_ashr_i32 s27, s26, 31
	s_add_i32 s6, s12, 1
	s_sub_i32 s7, s2, s21
	s_cmp_ge_u32 s2, s21
	s_cselect_b32 s6, s6, s12
	s_cselect_b32 s2, s7, s2
	s_add_i32 s7, s6, 1
	s_cmp_ge_u32 s2, s21
	s_cselect_b32 s2, s7, s6
	s_xor_b32 s2, s2, s3
	s_sub_i32 s12, s2, s3
	s_add_i32 s2, s33, 7
	s_ashr_i32 s3, s2, 31
	s_lshr_b32 s3, s3, 29
	s_add_i32 s2, s2, s3
	s_ashr_i32 s16, s2, 3
	v_lshrrev_b32_e32 v30, 6, v0
	v_cmp_gt_i32_e64 s[2:3], s16, v30
	v_mov_b32_e32 v11, 0xff7fffff
	s_mul_i32 s14, s8, s14
	v_lshrrev_b32_e32 v7, 4, v0
	v_lshlrev_b32_e32 v31, 3, v30
	v_mbcnt_lo_u32_b32 v8, -1, 0
	s_and_saveexec_b64 s[34:35], s[2:3]
	s_cbranch_execz .LBB6_21
; %bb.10:
	s_load_dwordx2 s[0:1], s[0:1], 0x10
	s_ashr_i32 s15, s14, 31
	s_sub_i32 s30, s12, s17
	s_lshl_b64 s[6:7], s[14:15], 2
	v_bfe_u32 v9, v0, 3, 3
	s_waitcnt lgkmcnt(0)
	s_add_u32 s0, s0, s6
	s_addc_u32 s1, s1, s7
	s_abs_i32 s15, s18
	v_cvt_f32_u32_e32 v3, s15
	v_lshlrev_b32_e32 v4, 4, v9
	v_mov_b32_e32 v5, 0
	v_lshl_add_u64 v[10:11], s[0:1], 0, v[4:5]
	v_rcp_iflag_f32_e32 v3, v3
	v_and_b32_e32 v4, 3, v0
	v_lshlrev_b32_e32 v4, 2, v4
	v_lshl_add_u64 v[12:13], v[10:11], 0, v[4:5]
	v_mul_f32_e32 v3, 0x4f7ffffe, v3
	v_cvt_u32_f32_e32 v11, v3
	v_cmp_eq_u32_e32 vcc, 0, v2
	v_lshlrev_b32_e32 v10, 6, v2
	v_lshlrev_b32_e32 v2, 5, v0
	v_and_b32_e32 v4, 0x80, v2
	s_sub_i32 s6, 0, s15
	v_lshl_add_u64 v[2:3], v[12:13], 0, v[4:5]
	v_mul_lo_u32 v4, s6, v11
	v_mul_hi_u32 v4, v11, v4
	v_lshlrev_b32_e32 v15, 2, v9
	v_add_u32_e32 v12, v11, v4
	s_lshl_b64 s[6:7], s[26:27], 2
	v_subrev_u32_e32 v11, s33, v9
	s_add_u32 s6, s24, s6
	v_add_u32_e32 v14, 1, v11
	v_lshl_or_b32 v11, v30, 5, v15
	v_mbcnt_hi_u32_b32 v17, -1, v8
	v_and_b32_e32 v4, 60, v7
	s_addc_u32 s7, s25, s7
	v_add_u32_e32 v15, 0x210, v11
	v_and_b32_e32 v11, 64, v17
	s_mov_b32 s43, s13
	v_cmp_neq_f32_e64 s[0:1], s42, 0
	v_lshl_add_u64 v[4:5], s[6:7], 0, v[4:5]
	v_lshlrev_b32_e32 v13, 3, v30
	v_mov_b32_e32 v16, 0xff7fffff
	s_mov_b64 s[36:37], 0
	v_add_u32_e32 v18, 64, v11
	v_xor_b32_e32 v19, 4, v17
	v_xor_b32_e32 v20, 2, v17
	;; [unrolled: 1-line block ×3, first 2 shown]
	v_mov_b32_e32 v11, 0xff7fffff
	v_mov_b32_e32 v22, v30
	s_branch .LBB6_13
.LBB6_11:                               ;   in Loop: Header=BB6_13 Depth=1
	s_or_b64 exec, exec, s[38:39]
.LBB6_12:                               ;   in Loop: Header=BB6_13 Depth=1
	s_or_b64 exec, exec, s[8:9]
	v_add_u32_e32 v22, 2, v22
	v_cmp_le_i32_e64 s[6:7], s16, v22
	v_lshl_add_u64 v[4:5], v[4:5], 0, 8
	v_add_u32_e32 v13, 16, v13
	s_or_b64 s[36:37], s[6:7], s[36:37]
	v_add_u32_e32 v15, 64, v15
	s_andn2_b64 exec, exec, s[36:37]
	s_cbranch_execz .LBB6_20
.LBB6_13:                               ; =>This Inner Loop Header: Depth=1
	v_mul_hi_u32 v23, v13, s40
	s_waitcnt lgkmcnt(0)
	v_mul_lo_u32 v24, v23, s21
	v_sub_u32_e32 v24, v13, v24
	v_add_u32_e32 v25, 1, v23
	v_cmp_le_u32_e64 s[6:7], s21, v24
	s_nop 1
	v_cndmask_b32_e64 v23, v23, v25, s[6:7]
	v_subrev_u32_e32 v25, s21, v24
	v_cndmask_b32_e64 v24, v24, v25, s[6:7]
	v_add_u32_e32 v25, 1, v23
	v_cmp_le_u32_e64 s[6:7], s21, v24
	s_nop 1
	v_cndmask_b32_e64 v23, v23, v25, s[6:7]
	v_xor_b32_e32 v23, s19, v23
	v_subrev_u32_e32 v23, s19, v23
	v_add_u32_e32 v24, s41, v23
	v_sub_u32_e32 v26, 0, v24
	v_ashrrev_i32_e32 v25, 31, v24
	v_max_i32_e32 v24, v24, v26
	v_mul_hi_u32 v26, v24, v12
	v_mul_lo_u32 v26, v26, s15
	v_sub_u32_e32 v24, v24, v26
	v_subrev_u32_e32 v26, s15, v24
	v_cmp_le_u32_e64 s[6:7], s15, v24
	v_cmp_ge_i32_e64 s[8:9], s30, v23
	s_nop 0
	v_cndmask_b32_e64 v24, v24, v26, s[6:7]
	v_subrev_u32_e32 v26, s15, v24
	v_cmp_le_u32_e64 s[6:7], s15, v24
	s_nop 1
	v_cndmask_b32_e64 v24, v24, v26, s[6:7]
	v_xor_b32_e32 v24, v24, v25
	v_sub_u32_e32 v24, v24, v25
	v_cmp_ne_u32_e64 s[6:7], 0, v24
	s_and_b64 s[6:7], s[6:7], s[8:9]
	s_and_saveexec_b64 s[8:9], s[6:7]
	s_xor_b64 s[6:7], exec, s[8:9]
	s_cbranch_execz .LBB6_17
; %bb.14:                               ;   in Loop: Header=BB6_13 Depth=1
	s_and_saveexec_b64 s[8:9], vcc
; %bb.15:                               ;   in Loop: Header=BB6_13 Depth=1
	ds_write_b32 v15, v16
; %bb.16:                               ;   in Loop: Header=BB6_13 Depth=1
	s_or_b64 exec, exec, s[8:9]
.LBB6_17:                               ;   in Loop: Header=BB6_13 Depth=1
	s_andn2_saveexec_b64 s[8:9], s[6:7]
	s_cbranch_execz .LBB6_12
; %bb.18:                               ;   in Loop: Header=BB6_13 Depth=1
	global_load_dword v23, v[4:5], off
	s_waitcnt vmcnt(0)
	v_mad_i64_i32 v[24:25], s[6:7], v23, s43, 0
	v_lshl_add_u64 v[24:25], v[24:25], 2, v[2:3]
	global_load_dword v23, v[24:25], off offset:256
	global_load_dword v28, v[24:25], off
	global_load_dword v29, v[24:25], off offset:512
	global_load_dword v44, v[24:25], off offset:768
	;; [unrolled: 1-line block ×14, first 2 shown]
	ds_read_b128 v[24:27], v10
	ds_read_b128 v[32:35], v10 offset:16
	ds_read_b128 v[36:39], v10 offset:32
	;; [unrolled: 1-line block ×3, first 2 shown]
	v_cmp_lt_i32_e64 s[6:7], v19, v18
	s_waitcnt vmcnt(15) lgkmcnt(3)
	v_mul_f32_e32 v23, v25, v23
	s_waitcnt vmcnt(14)
	v_fmac_f32_e32 v23, v24, v28
	s_waitcnt vmcnt(13)
	v_fmac_f32_e32 v23, v26, v29
	s_waitcnt vmcnt(12)
	v_fmac_f32_e32 v23, v27, v44
	s_waitcnt vmcnt(11) lgkmcnt(2)
	v_fmac_f32_e32 v23, v32, v45
	s_waitcnt vmcnt(10)
	v_fmac_f32_e32 v23, v33, v46
	s_waitcnt vmcnt(9)
	v_fmac_f32_e32 v23, v34, v47
	s_waitcnt vmcnt(8)
	v_fmac_f32_e32 v23, v35, v48
	s_waitcnt vmcnt(7) lgkmcnt(1)
	v_fmac_f32_e32 v23, v36, v49
	;; [unrolled: 8-line block ×3, first 2 shown]
	s_waitcnt vmcnt(2)
	v_fmac_f32_e32 v23, v41, v54
	v_cndmask_b32_e64 v57, v17, v19, s[6:7]
	s_waitcnt vmcnt(1)
	v_fmac_f32_e32 v23, v42, v55
	v_lshlrev_b32_e32 v57, 2, v57
	s_waitcnt vmcnt(0)
	v_fmac_f32_e32 v23, v43, v56
	ds_bpermute_b32 v24, v57, v23
	v_cmp_lt_i32_e64 s[6:7], v20, v18
	s_waitcnt lgkmcnt(0)
	v_add_f32_e32 v23, v23, v24
	v_cndmask_b32_e64 v25, v17, v20, s[6:7]
	v_lshlrev_b32_e32 v25, 2, v25
	ds_bpermute_b32 v24, v25, v23
	v_cmp_lt_i32_e64 s[6:7], v21, v18
	s_waitcnt lgkmcnt(0)
	v_add_f32_e32 v23, v23, v24
	v_cndmask_b32_e64 v25, v17, v21, s[6:7]
	v_lshlrev_b32_e32 v25, 2, v25
	ds_bpermute_b32 v24, v25, v23
	s_and_saveexec_b64 s[38:39], vcc
	s_cbranch_execz .LBB6_11
; %bb.19:                               ;   in Loop: Header=BB6_13 Depth=1
	v_add_u32_e32 v25, v14, v13
	v_cvt_f32_i32_e32 v25, v25
	s_waitcnt lgkmcnt(0)
	v_add_f32_e32 v23, v23, v24
	v_add_u32_e32 v26, v9, v13
	v_cmp_gt_i32_e64 s[6:7], s33, v26
	v_mul_f32_e32 v24, s42, v25
	v_cndmask_b32_e64 v24, 0, v24, s[0:1]
	v_fmac_f32_e32 v24, s31, v23
	v_cndmask_b32_e64 v23, 0, v24, s[6:7]
	ds_write_b32 v15, v23
	v_max_f32_e32 v23, v11, v11
	v_max_f32_e32 v23, v23, v24
	v_cndmask_b32_e64 v11, v11, v23, s[6:7]
	s_branch .LBB6_11
.LBB6_20:
	s_or_b64 exec, exec, s[36:37]
.LBB6_21:
	s_or_b64 exec, exec, s[34:35]
	v_mbcnt_hi_u32_b32 v2, -1, v8
	v_and_b32_e32 v12, 64, v2
	v_add_u32_e32 v3, 64, v12
	v_xor_b32_e32 v4, 32, v2
	v_cmp_lt_i32_e32 vcc, v4, v3
	v_xor_b32_e32 v9, 16, v2
	v_max_f32_e32 v8, v11, v11
	v_cndmask_b32_e32 v4, v2, v4, vcc
	v_lshlrev_b32_e32 v5, 2, v4
	ds_bpermute_b32 v4, v5, v11
	v_cmp_lt_i32_e32 vcc, v9, v3
	v_xor_b32_e32 v10, 8, v2
	v_and_b32_e32 v32, 63, v0
	s_waitcnt lgkmcnt(0)
	v_max_f32_e32 v4, v4, v4
	v_max_f32_e32 v4, v8, v4
	v_cndmask_b32_e32 v8, v2, v9, vcc
	v_lshlrev_b32_e32 v9, 2, v8
	ds_bpermute_b32 v8, v9, v4
	v_cmp_lt_i32_e32 vcc, v10, v3
	s_waitcnt lgkmcnt(0)
	v_max_f32_e32 v8, v8, v8
	v_max_f32_e32 v8, v4, v8
	v_cndmask_b32_e32 v4, v2, v10, vcc
	v_lshlrev_b32_e32 v10, 2, v4
	ds_bpermute_b32 v11, v10, v8
	v_cmp_eq_u32_e32 vcc, 0, v32
	v_lshlrev_b32_e32 v4, 2, v30
	s_and_saveexec_b64 s[0:1], vcc
	s_cbranch_execz .LBB6_23
; %bb.22:
	s_waitcnt lgkmcnt(0)
	v_max_f32_e32 v11, v11, v11
	v_max_f32_e32 v8, v8, v8
	;; [unrolled: 1-line block ×3, first 2 shown]
	ds_write_b32 v4, v8 offset:512
.LBB6_23:
	s_or_b64 exec, exec, s[0:1]
	v_cmp_gt_u32_e64 s[0:1], 2, v32
	s_waitcnt lgkmcnt(0)
	v_mov_b32_e32 v11, 0xff7fffff
	v_lshlrev_b32_e32 v8, 2, v32
	s_barrier
	s_and_saveexec_b64 s[6:7], s[0:1]
; %bb.24:
	ds_read_b32 v11, v8 offset:512
; %bb.25:
	s_or_b64 exec, exec, s[6:7]
	v_xor_b32_e32 v13, 1, v2
	v_cmp_lt_i32_e64 s[6:7], v13, v3
	v_lshlrev_b32_e32 v12, 2, v12
	s_nop 0
	v_cndmask_b32_e64 v13, v2, v13, s[6:7]
	v_lshlrev_b32_e32 v33, 2, v13
	s_waitcnt lgkmcnt(0)
	ds_bpermute_b32 v13, v33, v11
	v_max_f32_e32 v11, v11, v11
	s_lshl_b32 s6, s16, 3
	s_min_i32 s15, s6, s33
	v_cmp_gt_i32_e64 s[6:7], s15, v0
	s_waitcnt lgkmcnt(0)
	v_max_f32_e32 v13, v13, v13
	v_max_f32_e32 v11, v11, v13
	ds_bpermute_b32 v12, v12, v11
	v_mov_b32_e32 v11, 0
	s_and_saveexec_b64 s[30:31], s[6:7]
	s_cbranch_execz .LBB6_29
; %bb.26:
	v_mov_b32_e32 v11, 0x210
	v_lshl_add_u32 v13, v0, 2, v11
	v_mov_b32_e32 v11, 0
	s_mov_b64 s[34:35], 0
	v_mov_b32_e32 v14, v0
.LBB6_27:                               ; =>This Inner Loop Header: Depth=1
	ds_read_b32 v15, v13
	v_add_u32_e32 v14, 0x80, v14
	v_cmp_le_i32_e64 s[8:9], s15, v14
	s_or_b64 s[34:35], s[8:9], s[34:35]
	s_waitcnt lgkmcnt(0)
	v_sub_f32_e32 v15, v15, v12
	v_mul_f32_e32 v15, 0x3fb8aa3b, v15
	v_exp_f32_e32 v15, v15
	ds_write_b32 v13, v15
	v_add_f32_e32 v11, v11, v15
	v_add_u32_e32 v13, 0x200, v13
	s_andn2_b64 exec, exec, s[34:35]
	s_cbranch_execnz .LBB6_27
; %bb.28:
	s_or_b64 exec, exec, s[34:35]
.LBB6_29:
	s_or_b64 exec, exec, s[30:31]
	ds_bpermute_b32 v5, v5, v11
	s_waitcnt lgkmcnt(0)
	v_add_f32_e32 v5, v11, v5
	ds_bpermute_b32 v9, v9, v5
	s_waitcnt lgkmcnt(0)
	v_add_f32_e32 v5, v5, v9
	ds_bpermute_b32 v9, v10, v5
	v_xor_b32_e32 v10, 4, v2
	v_cmp_lt_i32_e64 s[8:9], v10, v3
	s_waitcnt lgkmcnt(0)
	v_add_f32_e32 v5, v5, v9
	v_cndmask_b32_e64 v10, v2, v10, s[8:9]
	v_lshlrev_b32_e32 v10, 2, v10
	ds_bpermute_b32 v9, v10, v5
	v_xor_b32_e32 v10, 2, v2
	v_cmp_lt_i32_e64 s[8:9], v10, v3
	s_waitcnt lgkmcnt(0)
	v_add_f32_e32 v5, v5, v9
	v_cndmask_b32_e64 v3, v2, v10, s[8:9]
	v_lshlrev_b32_e32 v3, 2, v3
	ds_bpermute_b32 v3, v3, v5
	s_waitcnt lgkmcnt(0)
	v_add_f32_e32 v3, v5, v3
	ds_bpermute_b32 v5, v33, v3
	s_waitcnt lgkmcnt(0)
	v_add_f32_e32 v3, v3, v5
	s_and_saveexec_b64 s[8:9], vcc
; %bb.30:
	ds_write_b32 v4, v3 offset:520
; %bb.31:
	s_or_b64 exec, exec, s[8:9]
	s_waitcnt lgkmcnt(0)
	s_barrier
	s_and_saveexec_b64 s[8:9], s[0:1]
; %bb.32:
	ds_read_b32 v3, v8 offset:520
; %bb.33:
	s_or_b64 exec, exec, s[8:9]
	s_waitcnt lgkmcnt(0)
	ds_bpermute_b32 v4, v33, v3
	v_lshlrev_b32_e32 v2, 2, v2
	v_and_b32_e32 v2, 0x100, v2
	s_waitcnt lgkmcnt(0)
	v_add_f32_e32 v3, v3, v4
	ds_bpermute_b32 v2, v2, v3
	s_and_saveexec_b64 s[0:1], s[6:7]
	s_cbranch_execz .LBB6_46
; %bb.34:
	s_waitcnt lgkmcnt(0)
	v_add_f32_e32 v2, 0x358637bd, v2
	v_div_scale_f32 v3, s[6:7], v2, v2, 1.0
	v_rcp_f32_e32 v4, v3
	v_div_scale_f32 v5, vcc, 1.0, v2, 1.0
	s_movk_i32 s6, 0x7f
	v_fma_f32 v8, -v3, v4, 1.0
	v_fmac_f32_e32 v4, v8, v4
	v_mul_f32_e32 v8, v5, v4
	v_fma_f32 v9, -v3, v8, v5
	v_fmac_f32_e32 v8, v9, v4
	v_fma_f32 v3, -v3, v8, v5
	v_div_fmas_f32 v3, v3, v4, v8
	v_xad_u32 v4, v0, -1, s15
	v_div_fixup_f32 v2, v3, v2, 1.0
	v_cmp_lt_u32_e32 vcc, s6, v4
	s_mov_b64 s[8:9], -1
	v_mov_b32_e32 v3, v0
	s_and_saveexec_b64 s[6:7], vcc
	s_cbranch_execz .LBB6_43
; %bb.35:
	v_lshrrev_b32_e32 v4, 7, v4
	v_add_u32_e32 v8, -1, v4
	v_lshrrev_b32_e32 v5, 1, v8
	v_mov_b32_e32 v3, v2
	v_add_u32_e32 v5, 1, v5
	v_cmp_lt_u32_e32 vcc, 13, v8
	v_mov_b32_e32 v10, 0
	s_and_saveexec_b64 s[8:9], vcc
	s_cbranch_execz .LBB6_39
; %bb.36:
	v_mov_b32_e32 v9, 0x210
	v_and_b32_e32 v8, -8, v5
	v_lshl_add_u32 v9, v0, 2, v9
	s_mov_b32 s34, 0
	s_mov_b64 s[30:31], 0
.LBB6_37:                               ; =>This Inner Loop Header: Depth=1
	ds_read2st64_b32 v[10:11], v9 offset1:2
	ds_read2st64_b32 v[12:13], v9 offset0:4 offset1:6
	ds_read2st64_b32 v[14:15], v9 offset0:8 offset1:10
	;; [unrolled: 1-line block ×3, first 2 shown]
	v_add_u32_e32 v8, -8, v8
	s_waitcnt lgkmcnt(3)
	v_pk_mul_f32 v[10:11], v[2:3], v[10:11]
	s_waitcnt lgkmcnt(2)
	v_pk_mul_f32 v[12:13], v[2:3], v[12:13]
	ds_write2st64_b32 v9, v10, v11 offset1:2
	ds_write2st64_b32 v9, v12, v13 offset0:4 offset1:6
	ds_read2st64_b32 v[12:13], v9 offset0:16 offset1:18
	s_waitcnt lgkmcnt(4)
	v_pk_mul_f32 v[10:11], v[2:3], v[14:15]
	ds_write2st64_b32 v9, v10, v11 offset0:8 offset1:10
	s_waitcnt lgkmcnt(4)
	v_pk_mul_f32 v[10:11], v[2:3], v[16:17]
	ds_write2st64_b32 v9, v10, v11 offset0:12 offset1:14
	ds_read2st64_b32 v[10:11], v9 offset0:20 offset1:22
	s_waitcnt lgkmcnt(3)
	v_pk_mul_f32 v[12:13], v[2:3], v[12:13]
	ds_read2st64_b32 v[14:15], v9 offset0:24 offset1:26
	ds_write2st64_b32 v9, v12, v13 offset0:16 offset1:18
	ds_read2st64_b32 v[12:13], v9 offset0:28 offset1:30
	s_waitcnt lgkmcnt(3)
	v_pk_mul_f32 v[10:11], v[2:3], v[10:11]
	ds_write2st64_b32 v9, v10, v11 offset0:20 offset1:22
	s_waitcnt lgkmcnt(3)
	v_pk_mul_f32 v[10:11], v[2:3], v[14:15]
	ds_write2st64_b32 v9, v10, v11 offset0:24 offset1:26
	s_waitcnt lgkmcnt(2)
	v_pk_mul_f32 v[10:11], v[2:3], v[12:13]
	s_add_i32 s34, s34, 16
	v_cmp_eq_u32_e32 vcc, 0, v8
	ds_write2st64_b32 v9, v10, v11 offset0:28 offset1:30
	v_add_u32_e32 v9, 0x2000, v9
	s_or_b64 s[30:31], vcc, s[30:31]
	v_mov_b32_e32 v10, s34
	s_andn2_b64 exec, exec, s[30:31]
	s_cbranch_execnz .LBB6_37
; %bb.38:
	s_or_b64 exec, exec, s[30:31]
.LBB6_39:
	s_or_b64 exec, exec, s[8:9]
	v_and_b32_e32 v5, 7, v5
	v_cmp_ne_u32_e32 vcc, 0, v5
	s_and_saveexec_b64 s[8:9], vcc
	s_cbranch_execz .LBB6_42
; %bb.40:
	v_lshlrev_b32_e32 v8, 9, v10
	s_movk_i32 s30, 0x210
	v_add3_u32 v8, v8, v6, s30
	s_mov_b64 s[30:31], 0
.LBB6_41:                               ; =>This Inner Loop Header: Depth=1
	ds_read2st64_b32 v[10:11], v8 offset1:2
	v_add_u32_e32 v5, -1, v5
	v_cmp_eq_u32_e32 vcc, 0, v5
	s_or_b64 s[30:31], vcc, s[30:31]
	s_waitcnt lgkmcnt(0)
	v_pk_mul_f32 v[10:11], v[2:3], v[10:11]
	ds_write2st64_b32 v8, v10, v11 offset1:2
	v_add_u32_e32 v8, 0x400, v8
	s_andn2_b64 exec, exec, s[30:31]
	s_cbranch_execnz .LBB6_41
.LBB6_42:
	s_or_b64 exec, exec, s[8:9]
	v_add_u32_e32 v4, 1, v4
	v_and_b32_e32 v5, 0x3fffffe, v4
	v_cmp_ne_u32_e32 vcc, v4, v5
	v_lshl_add_u32 v3, v5, 7, v0
	s_orn2_b64 s[8:9], vcc, exec
.LBB6_43:
	s_or_b64 exec, exec, s[6:7]
	s_and_b64 exec, exec, s[8:9]
	s_cbranch_execz .LBB6_46
; %bb.44:
	v_mov_b32_e32 v4, 0x210
	v_lshl_add_u32 v4, v3, 2, v4
	s_mov_b64 s[6:7], 0
.LBB6_45:                               ; =>This Inner Loop Header: Depth=1
	ds_read_b32 v5, v4
	v_add_u32_e32 v3, 0x80, v3
	v_cmp_le_i32_e32 vcc, s15, v3
	s_or_b64 s[6:7], vcc, s[6:7]
	s_waitcnt lgkmcnt(0)
	v_mul_f32_e32 v5, v2, v5
	ds_write_b32 v4, v5
	v_add_u32_e32 v4, 0x200, v4
	s_andn2_b64 exec, exec, s[6:7]
	s_cbranch_execnz .LBB6_45
.LBB6_46:
	s_or_b64 exec, exec, s[0:1]
	v_mov_b32_e32 v23, 0
	v_and_b32_e32 v34, 1, v0
	v_mov_b32_e32 v22, v23
	v_mov_b32_e32 v25, v23
	;; [unrolled: 1-line block ×3, first 2 shown]
	s_waitcnt lgkmcnt(0)
	s_barrier
	s_and_saveexec_b64 s[6:7], s[2:3]
	s_cbranch_execz .LBB6_60
; %bb.47:
	s_ashr_i32 s15, s14, 31
	s_sub_i32 s17, s12, s17
	s_lshl_b64 s[0:1], s[14:15], 2
	s_add_u32 s0, s28, s0
	s_addc_u32 s1, s29, s1
	s_abs_i32 s14, s18
	v_cvt_f32_u32_e32 v2, s14
	v_lshlrev_b32_e32 v3, 4, v0
	v_and_b32_e32 v24, 0x3f0, v3
	v_mov_b32_e32 v25, 0
	v_rcp_iflag_f32_e32 v2, v2
	v_lshl_add_u64 v[26:27], s[0:1], 0, v[24:25]
	s_sub_i32 s0, 0, s14
	s_add_i32 s18, s16, -1
	v_mul_f32_e32 v2, 0x4f7ffffe, v2
	v_cvt_u32_f32_e32 v2, v2
	v_and_b32_e32 v24, 60, v7
	v_and_b32_e32 v35, 4, v6
	s_mov_b32 s15, s13
	v_mul_lo_u32 v3, s0, v2
	v_mul_hi_u32 v3, v2, v3
	s_lshl_b64 s[0:1], s[26:27], 2
	v_add_u32_e32 v36, v2, v3
	s_add_u32 s0, s24, s0
	v_lshlrev_b32_e32 v2, 4, v34
	s_addc_u32 s1, s25, s1
	v_lshl_or_b32 v2, v30, 5, v2
	s_mov_b32 s28, s33
	v_lshl_add_u64 v[28:29], s[0:1], 0, v[24:25]
	v_add_u32_e32 v37, 0x210, v2
	s_mov_b64 s[2:3], 0
	v_mov_b32_e32 v24, v25
	v_mov_b32_e32 v22, v25
	;; [unrolled: 1-line block ×3, first 2 shown]
	s_branch .LBB6_50
.LBB6_48:                               ;   in Loop: Header=BB6_50 Depth=1
	s_or_b64 exec, exec, s[0:1]
	s_waitcnt vmcnt(1) lgkmcnt(0)
	v_mul_f32_e32 v14, v2, v14
	v_mul_f32_e32 v10, v2, v10
	;; [unrolled: 1-line block ×3, first 2 shown]
	v_fmac_f32_e32 v14, v3, v15
	v_fmac_f32_e32 v10, v3, v11
	;; [unrolled: 1-line block ×6, first 2 shown]
	s_waitcnt vmcnt(0)
	v_pk_mul_f32 v[2:3], v[2:3], v[18:19]
	v_fmac_f32_e32 v14, v5, v17
	v_fmac_f32_e32 v10, v5, v13
	;; [unrolled: 1-line block ×3, first 2 shown]
	v_pk_mul_f32 v[4:5], v[4:5], v[20:21]
	v_add_f32_e32 v2, v3, v2
	v_add_f32_e32 v2, v4, v2
	;; [unrolled: 1-line block ×7, first 2 shown]
.LBB6_49:                               ;   in Loop: Header=BB6_50 Depth=1
	s_or_b64 exec, exec, s[8:9]
	v_add_u32_e32 v30, 2, v30
	v_cmp_le_i32_e32 vcc, s16, v30
	v_lshl_add_u64 v[28:29], v[28:29], 0, 8
	v_add_u32_e32 v31, 16, v31
	s_or_b64 s[2:3], vcc, s[2:3]
	v_add_u32_e32 v37, 64, v37
	s_andn2_b64 exec, exec, s[2:3]
	s_cbranch_execz .LBB6_59
.LBB6_50:                               ; =>This Inner Loop Header: Depth=1
	v_mul_hi_u32 v2, v31, s40
	v_mul_lo_u32 v3, v2, s21
	v_sub_u32_e32 v3, v31, v3
	v_add_u32_e32 v4, 1, v2
	v_cmp_le_u32_e32 vcc, s21, v3
	s_nop 1
	v_cndmask_b32_e32 v2, v2, v4, vcc
	v_subrev_u32_e32 v4, s21, v3
	v_cndmask_b32_e32 v3, v3, v4, vcc
	v_add_u32_e32 v4, 1, v2
	v_cmp_le_u32_e32 vcc, s21, v3
	s_nop 1
	v_cndmask_b32_e32 v2, v2, v4, vcc
	v_xor_b32_e32 v2, s19, v2
	v_subrev_u32_e32 v2, s19, v2
	v_add_u32_e32 v3, s41, v2
	v_sub_u32_e32 v5, 0, v3
	v_ashrrev_i32_e32 v4, 31, v3
	v_max_i32_e32 v3, v3, v5
	v_mul_hi_u32 v5, v3, v36
	v_mul_lo_u32 v5, v5, s14
	v_sub_u32_e32 v3, v3, v5
	v_subrev_u32_e32 v5, s14, v3
	v_cmp_le_u32_e32 vcc, s14, v3
	v_cmp_lt_i32_e64 s[0:1], s17, v2
	s_nop 0
	v_cndmask_b32_e32 v3, v3, v5, vcc
	v_subrev_u32_e32 v5, s14, v3
	v_cmp_le_u32_e32 vcc, s14, v3
	s_nop 1
	v_cndmask_b32_e32 v3, v3, v5, vcc
	v_xor_b32_e32 v3, v3, v4
	v_sub_u32_e32 v3, v3, v4
	v_cmp_eq_u32_e32 vcc, 0, v3
	s_or_b64 s[0:1], vcc, s[0:1]
	s_and_saveexec_b64 s[8:9], s[0:1]
	s_cbranch_execz .LBB6_49
; %bb.51:                               ;   in Loop: Header=BB6_50 Depth=1
	global_load_dword v2, v[28:29], off
	v_add_u32_e32 v38, v35, v31
	v_cmp_eq_u32_e32 vcc, s18, v30
	v_add_u32_e32 v41, 1, v38
	v_or_b32_e32 v40, 3, v38
	v_or_b32_e32 v39, 2, v38
	s_waitcnt vmcnt(0)
	v_mad_i64_i32 v[2:3], s[0:1], v2, s15, 0
	v_lshl_add_u64 v[18:19], v[2:3], 2, v[26:27]
	global_load_dwordx4 v[6:9], v[18:19], off
	ds_read_b128 v[2:5], v37
	s_and_saveexec_b64 s[12:13], vcc
	s_cbranch_execnz .LBB6_55
; %bb.52:                               ;   in Loop: Header=BB6_50 Depth=1
	s_or_b64 exec, exec, s[12:13]
	global_load_dwordx4 v[10:13], v[18:19], off offset:1024
	s_and_saveexec_b64 s[12:13], vcc
	s_cbranch_execnz .LBB6_56
.LBB6_53:                               ;   in Loop: Header=BB6_50 Depth=1
	s_or_b64 exec, exec, s[12:13]
	global_load_dwordx4 v[14:17], v[18:19], off offset:2048
	s_and_saveexec_b64 s[12:13], vcc
	s_cbranch_execnz .LBB6_57
.LBB6_54:                               ;   in Loop: Header=BB6_50 Depth=1
	s_or_b64 exec, exec, s[12:13]
	global_load_dwordx4 v[18:21], v[18:19], off offset:3072
	s_and_saveexec_b64 s[0:1], vcc
	s_cbranch_execz .LBB6_48
	s_branch .LBB6_58
.LBB6_55:                               ;   in Loop: Header=BB6_50 Depth=1
	v_cmp_gt_i32_e64 s[0:1], s28, v41
	s_waitcnt vmcnt(0)
	s_nop 0
	v_cndmask_b32_e64 v7, 0, v7, s[0:1]
	v_cmp_gt_i32_e64 s[0:1], s33, v38
	s_nop 1
	v_cndmask_b32_e64 v6, 0, v6, s[0:1]
	v_cmp_gt_i32_e64 s[0:1], s28, v40
	;; [unrolled: 3-line block ×3, first 2 shown]
	s_nop 1
	v_cndmask_b32_e64 v8, 0, v8, s[0:1]
	s_or_b64 exec, exec, s[12:13]
	global_load_dwordx4 v[10:13], v[18:19], off offset:1024
	s_and_saveexec_b64 s[12:13], vcc
	s_cbranch_execz .LBB6_53
.LBB6_56:                               ;   in Loop: Header=BB6_50 Depth=1
	v_cmp_gt_i32_e64 s[0:1], s28, v41
	s_waitcnt vmcnt(0)
	s_nop 0
	v_cndmask_b32_e64 v11, 0, v11, s[0:1]
	v_cmp_gt_i32_e64 s[0:1], s33, v38
	s_nop 1
	v_cndmask_b32_e64 v10, 0, v10, s[0:1]
	v_cmp_gt_i32_e64 s[0:1], s28, v40
	;; [unrolled: 3-line block ×3, first 2 shown]
	s_nop 1
	v_cndmask_b32_e64 v12, 0, v12, s[0:1]
	s_or_b64 exec, exec, s[12:13]
	global_load_dwordx4 v[14:17], v[18:19], off offset:2048
	s_and_saveexec_b64 s[12:13], vcc
	s_cbranch_execz .LBB6_54
.LBB6_57:                               ;   in Loop: Header=BB6_50 Depth=1
	v_cmp_gt_i32_e64 s[0:1], s28, v41
	s_waitcnt vmcnt(0)
	s_nop 0
	v_cndmask_b32_e64 v15, 0, v15, s[0:1]
	v_cmp_gt_i32_e64 s[0:1], s33, v38
	s_nop 1
	v_cndmask_b32_e64 v14, 0, v14, s[0:1]
	v_cmp_gt_i32_e64 s[0:1], s28, v40
	;; [unrolled: 3-line block ×3, first 2 shown]
	s_nop 1
	v_cndmask_b32_e64 v16, 0, v16, s[0:1]
	s_or_b64 exec, exec, s[12:13]
	global_load_dwordx4 v[18:21], v[18:19], off offset:3072
	s_and_saveexec_b64 s[0:1], vcc
	s_cbranch_execz .LBB6_48
.LBB6_58:                               ;   in Loop: Header=BB6_50 Depth=1
	v_cmp_gt_i32_e32 vcc, s28, v41
	s_waitcnt vmcnt(0)
	s_nop 0
	v_cndmask_b32_e32 v19, 0, v19, vcc
	v_cmp_gt_i32_e32 vcc, s33, v38
	s_nop 1
	v_cndmask_b32_e32 v18, 0, v18, vcc
	v_cmp_gt_i32_e32 vcc, s28, v40
	s_nop 1
	v_cndmask_b32_e32 v21, 0, v21, vcc
	v_cmp_gt_i32_e32 vcc, s33, v39
	s_nop 1
	v_cndmask_b32_e32 v20, 0, v20, vcc
	s_branch .LBB6_48
.LBB6_59:
	s_or_b64 exec, exec, s[2:3]
.LBB6_60:
	s_or_b64 exec, exec, s[6:7]
	ds_bpermute_b32 v2, v33, v24
	ds_bpermute_b32 v3, v33, v25
	;; [unrolled: 1-line block ×4, first 2 shown]
	v_and_b32_e32 v6, 0x3c1, v0
	v_cmp_ne_u32_e32 vcc, 64, v6
	s_waitcnt lgkmcnt(2)
	v_pk_add_f32 v[2:3], v[24:25], v[2:3]
	s_waitcnt lgkmcnt(0)
	s_barrier
	s_and_saveexec_b64 s[0:1], vcc
	s_xor_b64 s[0:1], exec, s[0:1]
; %bb.61:
                                        ; implicit-def: $vgpr32
; %bb.62:
	s_or_saveexec_b64 s[0:1], s[0:1]
	v_pk_add_f32 v[4:5], v[22:23], v[4:5]
	s_xor_b64 exec, exec, s[0:1]
	s_cbranch_execz .LBB6_64
; %bb.63:
	v_mov_b32_e32 v7, 0x210
	v_lshl_add_u32 v7, v32, 1, v7
	ds_write2_b32 v7, v2, v3 offset1:32
	ds_write2_b32 v7, v4, v5 offset0:64 offset1:96
.LBB6_64:
	s_or_b64 exec, exec, s[0:1]
	v_cmp_gt_u32_e32 vcc, 64, v0
	s_waitcnt lgkmcnt(0)
	s_barrier
	s_and_saveexec_b64 s[0:1], vcc
	s_cbranch_execz .LBB6_71
; %bb.65:
	v_mov_b32_e32 v0, 0x210
	v_cmp_eq_u32_e32 vcc, 0, v34
	v_lshl_add_u32 v0, v1, 2, v0
	s_and_saveexec_b64 s[2:3], vcc
	s_cbranch_execnz .LBB6_74
; %bb.66:
	s_or_b64 exec, exec, s[2:3]
	s_and_saveexec_b64 s[2:3], vcc
	s_cbranch_execnz .LBB6_75
.LBB6_67:
	s_or_b64 exec, exec, s[2:3]
	s_and_saveexec_b64 s[2:3], vcc
	s_cbranch_execnz .LBB6_76
.LBB6_68:
	s_or_b64 exec, exec, s[2:3]
	s_and_saveexec_b64 s[2:3], vcc
	s_cbranch_execz .LBB6_70
.LBB6_69:
	ds_read_b32 v0, v0 offset:384
	s_waitcnt lgkmcnt(0)
	v_add_f32_e32 v5, v5, v0
.LBB6_70:
	s_or_b64 exec, exec, s[2:3]
.LBB6_71:
	s_or_b64 exec, exec, s[0:1]
	v_cmp_eq_u32_e32 vcc, 0, v6
	s_barrier
	s_and_saveexec_b64 s[0:1], vcc
	s_cbranch_execz .LBB6_73
; %bb.72:
	s_mul_i32 s0, s10, s11
	s_mul_i32 s0, s0, s5
	s_lshl_b32 s0, s0, 7
	s_ashr_i32 s1, s0, 31
	s_lshl_b64 s[0:1], s[0:1], 2
	s_add_u32 s2, s22, s0
	s_mul_i32 s0, s11, s20
	s_addc_u32 s3, s23, s1
	s_ashr_i32 s1, s0, 31
	s_lshl_b64 s[0:1], s[0:1], 2
	s_add_u32 s2, s2, s0
	s_addc_u32 s3, s3, s1
	s_lshl_b32 s0, s4, 7
	s_ashr_i32 s1, s0, 31
	s_lshl_b64 s[0:1], s[0:1], 2
	s_add_u32 s0, s2, s0
	s_addc_u32 s1, s3, s1
	v_lshlrev_b32_e32 v0, 2, v1
	global_store_dword v0, v2, s[0:1]
	global_store_dword v0, v3, s[0:1] offset:128
	global_store_dword v0, v4, s[0:1] offset:256
	;; [unrolled: 1-line block ×3, first 2 shown]
.LBB6_73:
	s_endpgm
.LBB6_74:
	ds_read_b32 v7, v0
	s_waitcnt lgkmcnt(0)
	v_add_f32_e32 v2, v2, v7
	s_or_b64 exec, exec, s[2:3]
	s_and_saveexec_b64 s[2:3], vcc
	s_cbranch_execz .LBB6_67
.LBB6_75:
	ds_read_b32 v7, v0 offset:128
	s_waitcnt lgkmcnt(0)
	v_add_f32_e32 v3, v3, v7
	s_or_b64 exec, exec, s[2:3]
	s_and_saveexec_b64 s[2:3], vcc
	s_cbranch_execz .LBB6_68
.LBB6_76:
	ds_read_b32 v7, v0 offset:256
	s_waitcnt lgkmcnt(0)
	v_add_f32_e32 v4, v4, v7
	s_or_b64 exec, exec, s[2:3]
	s_and_saveexec_b64 s[2:3], vcc
	s_cbranch_execnz .LBB6_69
	s_branch .LBB6_70
	.section	.rodata,"a",@progbits
	.p2align	6, 0x0
	.amdhsa_kernel _ZN4vllm25paged_attention_v1_kernelIffLi128ELi8ELi128ELNS_18Fp8KVCacheDataTypeE0ELb1EEEvPT_PKS2_PKT0_S8_ifPKiSA_iPKfiiiSC_SC_iiiii
		.amdhsa_group_segment_fixed_size 528
		.amdhsa_private_segment_fixed_size 0
		.amdhsa_kernarg_size 384
		.amdhsa_user_sgpr_count 2
		.amdhsa_user_sgpr_dispatch_ptr 0
		.amdhsa_user_sgpr_queue_ptr 0
		.amdhsa_user_sgpr_kernarg_segment_ptr 1
		.amdhsa_user_sgpr_dispatch_id 0
		.amdhsa_user_sgpr_kernarg_preload_length 0
		.amdhsa_user_sgpr_kernarg_preload_offset 0
		.amdhsa_user_sgpr_private_segment_size 0
		.amdhsa_uses_dynamic_stack 0
		.amdhsa_enable_private_segment 0
		.amdhsa_system_sgpr_workgroup_id_x 1
		.amdhsa_system_sgpr_workgroup_id_y 1
		.amdhsa_system_sgpr_workgroup_id_z 1
		.amdhsa_system_sgpr_workgroup_info 0
		.amdhsa_system_vgpr_workitem_id 0
		.amdhsa_next_free_vgpr 58
		.amdhsa_next_free_sgpr 44
		.amdhsa_accum_offset 60
		.amdhsa_reserve_vcc 1
		.amdhsa_float_round_mode_32 0
		.amdhsa_float_round_mode_16_64 0
		.amdhsa_float_denorm_mode_32 3
		.amdhsa_float_denorm_mode_16_64 3
		.amdhsa_dx10_clamp 1
		.amdhsa_ieee_mode 1
		.amdhsa_fp16_overflow 0
		.amdhsa_tg_split 0
		.amdhsa_exception_fp_ieee_invalid_op 0
		.amdhsa_exception_fp_denorm_src 0
		.amdhsa_exception_fp_ieee_div_zero 0
		.amdhsa_exception_fp_ieee_overflow 0
		.amdhsa_exception_fp_ieee_underflow 0
		.amdhsa_exception_fp_ieee_inexact 0
		.amdhsa_exception_int_div_zero 0
	.end_amdhsa_kernel
	.section	.text._ZN4vllm25paged_attention_v1_kernelIffLi128ELi8ELi128ELNS_18Fp8KVCacheDataTypeE0ELb1EEEvPT_PKS2_PKT0_S8_ifPKiSA_iPKfiiiSC_SC_iiiii,"axG",@progbits,_ZN4vllm25paged_attention_v1_kernelIffLi128ELi8ELi128ELNS_18Fp8KVCacheDataTypeE0ELb1EEEvPT_PKS2_PKT0_S8_ifPKiSA_iPKfiiiSC_SC_iiiii,comdat
.Lfunc_end6:
	.size	_ZN4vllm25paged_attention_v1_kernelIffLi128ELi8ELi128ELNS_18Fp8KVCacheDataTypeE0ELb1EEEvPT_PKS2_PKT0_S8_ifPKiSA_iPKfiiiSC_SC_iiiii, .Lfunc_end6-_ZN4vllm25paged_attention_v1_kernelIffLi128ELi8ELi128ELNS_18Fp8KVCacheDataTypeE0ELb1EEEvPT_PKS2_PKT0_S8_ifPKiSA_iPKfiiiSC_SC_iiiii
                                        ; -- End function
	.set _ZN4vllm25paged_attention_v1_kernelIffLi128ELi8ELi128ELNS_18Fp8KVCacheDataTypeE0ELb1EEEvPT_PKS2_PKT0_S8_ifPKiSA_iPKfiiiSC_SC_iiiii.num_vgpr, 58
	.set _ZN4vllm25paged_attention_v1_kernelIffLi128ELi8ELi128ELNS_18Fp8KVCacheDataTypeE0ELb1EEEvPT_PKS2_PKT0_S8_ifPKiSA_iPKfiiiSC_SC_iiiii.num_agpr, 0
	.set _ZN4vllm25paged_attention_v1_kernelIffLi128ELi8ELi128ELNS_18Fp8KVCacheDataTypeE0ELb1EEEvPT_PKS2_PKT0_S8_ifPKiSA_iPKfiiiSC_SC_iiiii.numbered_sgpr, 44
	.set _ZN4vllm25paged_attention_v1_kernelIffLi128ELi8ELi128ELNS_18Fp8KVCacheDataTypeE0ELb1EEEvPT_PKS2_PKT0_S8_ifPKiSA_iPKfiiiSC_SC_iiiii.num_named_barrier, 0
	.set _ZN4vllm25paged_attention_v1_kernelIffLi128ELi8ELi128ELNS_18Fp8KVCacheDataTypeE0ELb1EEEvPT_PKS2_PKT0_S8_ifPKiSA_iPKfiiiSC_SC_iiiii.private_seg_size, 0
	.set _ZN4vllm25paged_attention_v1_kernelIffLi128ELi8ELi128ELNS_18Fp8KVCacheDataTypeE0ELb1EEEvPT_PKS2_PKT0_S8_ifPKiSA_iPKfiiiSC_SC_iiiii.uses_vcc, 1
	.set _ZN4vllm25paged_attention_v1_kernelIffLi128ELi8ELi128ELNS_18Fp8KVCacheDataTypeE0ELb1EEEvPT_PKS2_PKT0_S8_ifPKiSA_iPKfiiiSC_SC_iiiii.uses_flat_scratch, 0
	.set _ZN4vllm25paged_attention_v1_kernelIffLi128ELi8ELi128ELNS_18Fp8KVCacheDataTypeE0ELb1EEEvPT_PKS2_PKT0_S8_ifPKiSA_iPKfiiiSC_SC_iiiii.has_dyn_sized_stack, 0
	.set _ZN4vllm25paged_attention_v1_kernelIffLi128ELi8ELi128ELNS_18Fp8KVCacheDataTypeE0ELb1EEEvPT_PKS2_PKT0_S8_ifPKiSA_iPKfiiiSC_SC_iiiii.has_recursion, 0
	.set _ZN4vllm25paged_attention_v1_kernelIffLi128ELi8ELi128ELNS_18Fp8KVCacheDataTypeE0ELb1EEEvPT_PKS2_PKT0_S8_ifPKiSA_iPKfiiiSC_SC_iiiii.has_indirect_call, 0
	.section	.AMDGPU.csdata,"",@progbits
; Kernel info:
; codeLenInByte = 4648
; TotalNumSgprs: 50
; NumVgprs: 58
; NumAgprs: 0
; TotalNumVgprs: 58
; ScratchSize: 0
; MemoryBound: 0
; FloatMode: 240
; IeeeMode: 1
; LDSByteSize: 528 bytes/workgroup (compile time only)
; SGPRBlocks: 6
; VGPRBlocks: 7
; NumSGPRsForWavesPerEU: 50
; NumVGPRsForWavesPerEU: 58
; AccumOffset: 60
; Occupancy: 8
; WaveLimiterHint : 1
; COMPUTE_PGM_RSRC2:SCRATCH_EN: 0
; COMPUTE_PGM_RSRC2:USER_SGPR: 2
; COMPUTE_PGM_RSRC2:TRAP_HANDLER: 0
; COMPUTE_PGM_RSRC2:TGID_X_EN: 1
; COMPUTE_PGM_RSRC2:TGID_Y_EN: 1
; COMPUTE_PGM_RSRC2:TGID_Z_EN: 1
; COMPUTE_PGM_RSRC2:TIDIG_COMP_CNT: 0
; COMPUTE_PGM_RSRC3_GFX90A:ACCUM_OFFSET: 14
; COMPUTE_PGM_RSRC3_GFX90A:TG_SPLIT: 0
	.section	.text._ZN4vllm25paged_attention_v1_kernelIffLi192ELi8ELi128ELNS_18Fp8KVCacheDataTypeE0ELb1EEEvPT_PKS2_PKT0_S8_ifPKiSA_iPKfiiiSC_SC_iiiii,"axG",@progbits,_ZN4vllm25paged_attention_v1_kernelIffLi192ELi8ELi128ELNS_18Fp8KVCacheDataTypeE0ELb1EEEvPT_PKS2_PKT0_S8_ifPKiSA_iPKfiiiSC_SC_iiiii,comdat
	.protected	_ZN4vllm25paged_attention_v1_kernelIffLi192ELi8ELi128ELNS_18Fp8KVCacheDataTypeE0ELb1EEEvPT_PKS2_PKT0_S8_ifPKiSA_iPKfiiiSC_SC_iiiii ; -- Begin function _ZN4vllm25paged_attention_v1_kernelIffLi192ELi8ELi128ELNS_18Fp8KVCacheDataTypeE0ELb1EEEvPT_PKS2_PKT0_S8_ifPKiSA_iPKfiiiSC_SC_iiiii
	.globl	_ZN4vllm25paged_attention_v1_kernelIffLi192ELi8ELi128ELNS_18Fp8KVCacheDataTypeE0ELb1EEEvPT_PKS2_PKT0_S8_ifPKiSA_iPKfiiiSC_SC_iiiii
	.p2align	8
	.type	_ZN4vllm25paged_attention_v1_kernelIffLi192ELi8ELi128ELNS_18Fp8KVCacheDataTypeE0ELb1EEEvPT_PKS2_PKT0_S8_ifPKiSA_iPKfiiiSC_SC_iiiii,@function
_ZN4vllm25paged_attention_v1_kernelIffLi192ELi8ELi128ELNS_18Fp8KVCacheDataTypeE0ELb1EEEvPT_PKS2_PKT0_S8_ifPKiSA_iPKfiiiSC_SC_iiiii: ; @_ZN4vllm25paged_attention_v1_kernelIffLi192ELi8ELi128ELNS_18Fp8KVCacheDataTypeE0ELb1EEEvPT_PKS2_PKT0_S8_ifPKiSA_iPKfiiiSC_SC_iiiii
; %bb.0:
	s_load_dword s5, s[0:1], 0x80
	s_load_dwordx2 s[6:7], s[0:1], 0x30
	s_load_dwordx2 s[30:31], s[0:1], 0x20
	s_mov_b32 s10, s3
	s_ashr_i32 s11, s3, 31
	s_lshl_b64 s[8:9], s[10:11], 2
	s_waitcnt lgkmcnt(0)
	s_add_u32 s6, s6, s8
	s_addc_u32 s7, s7, s9
	s_abs_i32 s3, s30
	v_cvt_f32_u32_e32 v1, s3
	s_sub_i32 s11, 0, s3
	s_abs_i32 s9, s5
	s_xor_b32 s8, s5, s30
	v_rcp_iflag_f32_e32 v1, v1
	s_ashr_i32 s8, s8, 31
	s_mov_b32 s42, 0
	v_mul_f32_e32 v1, 0x4f7ffffe, v1
	v_cvt_u32_f32_e32 v1, v1
	s_nop 0
	v_readfirstlane_b32 s12, v1
	s_mul_i32 s11, s11, s12
	s_mul_hi_u32 s11, s12, s11
	s_add_i32 s12, s12, s11
	s_mul_hi_u32 s11, s9, s12
	s_mul_i32 s12, s11, s3
	s_sub_i32 s9, s9, s12
	s_add_i32 s12, s11, 1
	s_sub_i32 s13, s9, s3
	s_cmp_ge_u32 s9, s3
	s_cselect_b32 s11, s12, s11
	s_cselect_b32 s9, s13, s9
	s_add_i32 s12, s11, 1
	s_cmp_ge_u32 s9, s3
	s_cselect_b32 s3, s12, s11
	s_xor_b32 s3, s3, s8
	s_sub_i32 s11, s3, s8
	s_abs_i32 s22, s11
	v_cvt_f32_u32_e32 v1, s22
	s_load_dwordx2 s[8:9], s[0:1], 0x40
	s_sub_i32 s3, 0, s22
	s_abs_i32 s23, s2
	v_rcp_iflag_f32_e32 v1, v1
	s_nop 0
	v_mul_f32_e32 v1, 0x4f7ffffe, v1
	v_cvt_u32_f32_e32 v1, v1
	s_nop 0
	v_readfirstlane_b32 s12, v1
	s_mul_i32 s3, s3, s12
	s_mul_hi_u32 s3, s12, s3
	s_add_i32 s12, s12, s3
	s_waitcnt lgkmcnt(0)
	s_cmp_eq_u64 s[8:9], 0
	s_mul_hi_u32 s24, s23, s12
	s_cbranch_scc1 .LBB7_2
; %bb.1:
	s_ashr_i32 s3, s2, 31
	s_lshl_b64 s[12:13], s[2:3], 2
	s_add_u32 s8, s8, s12
	s_addc_u32 s9, s9, s13
	s_load_dword s42, s[8:9], 0x0
.LBB7_2:
	s_load_dword s33, s[6:7], 0x0
	s_ashr_i32 s25, s11, 31
	s_load_dword s11, s[0:1], 0x88
	s_load_dwordx4 s[12:15], s[0:1], 0x48
	s_movk_i32 s6, 0xc0
	s_ashr_i32 s3, s2, 31
	v_and_b32_e32 v2, 7, v0
	s_mul_i32 s20, s2, 0xc0
	v_cmp_gt_u32_e32 vcc, s6, v0
	v_lshlrev_b32_e32 v6, 2, v0
	s_and_saveexec_b64 s[6:7], vcc
	s_cbranch_execz .LBB7_5
; %bb.3:
	s_load_dwordx2 s[8:9], s[0:1], 0x8
	s_waitcnt lgkmcnt(0)
	s_mul_i32 s16, s12, s10
	s_ashr_i32 s17, s16, 31
	s_lshl_b64 s[16:17], s[16:17], 2
	v_lshrrev_b32_e32 v3, 3, v0
	s_add_u32 s12, s8, s16
	s_addc_u32 s15, s9, s17
	s_ashr_i32 s21, s20, 31
	s_lshl_b64 s[8:9], s[20:21], 2
	s_add_u32 s8, s12, s8
	s_addc_u32 s9, s15, s9
	global_load_dword v4, v6, s[8:9]
	s_movk_i32 s12, 0x60
	v_lshlrev_b32_e32 v1, 2, v3
	v_mad_u32_u24 v1, v2, s12, v1
	v_cmp_gt_u32_e32 vcc, 64, v0
	s_waitcnt vmcnt(0)
	ds_write_b32 v1, v4
	s_and_b64 exec, exec, vcc
	s_cbranch_execz .LBB7_5
; %bb.4:
	v_lshlrev_b32_e32 v3, 5, v3
	v_lshlrev_b32_e32 v4, 2, v2
	s_movk_i32 s12, 0x200
	v_or3_b32 v3, v3, v4, s12
	global_load_dword v3, v3, s[8:9]
	s_waitcnt vmcnt(0)
	ds_write_b32 v1, v3 offset:64
.LBB7_5:
	s_or_b64 exec, exec, s[6:7]
	s_mul_i32 s6, s24, s22
	s_sub_i32 s6, s23, s6
	s_xor_b32 s3, s3, s25
	s_add_i32 s7, s24, 1
	s_sub_i32 s9, s6, s22
	s_load_dwordx4 s[16:19], s[0:1], 0x68
	s_load_dword s8, s[0:1], 0x78
	s_cmp_ge_u32 s6, s22
	s_cselect_b32 s7, s7, s24
	s_cselect_b32 s6, s9, s6
	s_add_i32 s9, s7, 1
	s_cmp_ge_u32 s6, s22
	s_cselect_b32 s6, s9, s7
	s_waitcnt lgkmcnt(0)
	s_abs_i32 s21, s19
	v_cvt_f32_u32_e32 v1, s21
	s_xor_b32 s6, s6, s3
	s_sub_i32 s3, s6, s3
	s_sub_i32 s6, 0, s21
	v_rcp_iflag_f32_e32 v1, v1
	s_add_i32 s15, s33, -1
	s_abs_i32 s9, s15
	v_mul_f32_e32 v1, 0x4f7ffffe, v1
	v_cvt_u32_f32_e32 v1, v1
	s_barrier
	v_readfirstlane_b32 s40, v1
	s_mul_i32 s6, s6, s40
	s_mul_hi_u32 s6, s40, s6
	s_add_i32 s40, s40, s6
	s_cmp_lt_i32 s8, 0
	s_mul_hi_u32 s12, s9, s40
	s_cbranch_scc0 .LBB7_7
; %bb.6:
	s_mul_i32 s6, s16, s30
	s_add_i32 s6, s3, s6
	s_mul_i32 s6, s6, s8
	s_sub_i32 s41, 1, s6
	s_mov_b64 s[6:7], 0
	s_branch .LBB7_8
.LBB7_7:
	s_mov_b64 s[6:7], -1
                                        ; implicit-def: $sgpr41
.LBB7_8:
	s_load_dwordx2 s[24:25], s[0:1], 0x28
	s_ashr_i32 s15, s15, 31
	s_andn2_b64 vcc, exec, s[6:7]
	s_ashr_i32 s19, s19, 31
	s_cbranch_vccnz .LBB7_10
; %bb.9:
	s_mul_i32 s6, s5, s16
	s_add_i32 s2, s6, s2
	s_mul_i32 s2, s2, s8
	s_add_i32 s41, s2, 1
.LBB7_10:
	s_load_dword s2, s[0:1], 0x38
	s_load_dwordx2 s[22:23], s[0:1], 0x0
	s_load_dwordx2 s[28:29], s[0:1], 0x18
	s_mul_i32 s7, s12, s21
	s_xor_b32 s6, s15, s19
	s_waitcnt lgkmcnt(0)
	s_mul_i32 s26, s2, s10
	s_sub_i32 s2, s9, s7
	s_ashr_i32 s27, s26, 31
	s_add_i32 s7, s12, 1
	s_sub_i32 s8, s2, s21
	s_cmp_ge_u32 s2, s21
	s_cselect_b32 s7, s7, s12
	s_cselect_b32 s2, s8, s2
	s_add_i32 s8, s7, 1
	s_cmp_ge_u32 s2, s21
	s_cselect_b32 s2, s8, s7
	s_xor_b32 s2, s2, s6
	s_sub_i32 s12, s2, s6
	s_add_i32 s2, s33, 7
	s_ashr_i32 s6, s2, 31
	s_lshr_b32 s6, s6, 29
	s_add_i32 s2, s2, s6
	s_ashr_i32 s16, s2, 3
	v_lshrrev_b32_e32 v1, 6, v0
	v_cmp_gt_i32_e64 s[6:7], s16, v1
	v_mov_b32_e32 v11, 0xff7fffff
	s_mul_i32 s14, s3, s14
	v_lshrrev_b32_e32 v7, 4, v0
	v_lshlrev_b32_e32 v40, 3, v1
	v_mbcnt_lo_u32_b32 v8, -1, 0
	s_and_saveexec_b64 s[34:35], s[6:7]
	s_cbranch_execz .LBB7_22
; %bb.11:
	s_load_dwordx2 s[0:1], s[0:1], 0x10
	s_ashr_i32 s15, s14, 31
	s_sub_i32 s30, s12, s17
	s_lshl_b64 s[2:3], s[14:15], 2
	v_bfe_u32 v9, v0, 3, 3
	s_waitcnt lgkmcnt(0)
	s_add_u32 s0, s0, s2
	s_addc_u32 s1, s1, s3
	s_abs_i32 s15, s18
	v_cvt_f32_u32_e32 v3, s15
	v_lshlrev_b32_e32 v4, 4, v9
	v_mov_b32_e32 v5, 0
	v_lshl_add_u64 v[10:11], s[0:1], 0, v[4:5]
	v_rcp_iflag_f32_e32 v3, v3
	v_and_b32_e32 v4, 3, v0
	v_lshlrev_b32_e32 v4, 2, v4
	v_lshl_add_u64 v[12:13], v[10:11], 0, v[4:5]
	v_mul_f32_e32 v3, 0x4f7ffffe, v3
	v_cvt_u32_f32_e32 v11, v3
	v_cmp_eq_u32_e32 vcc, 0, v2
	v_mul_u32_u24_e32 v10, 0x60, v2
	v_lshlrev_b32_e32 v2, 5, v0
	v_and_b32_e32 v4, 0x80, v2
	s_sub_i32 s0, 0, s15
	v_lshl_add_u64 v[2:3], v[12:13], 0, v[4:5]
	v_mul_lo_u32 v4, s0, v11
	v_mul_hi_u32 v4, v11, v4
	v_lshlrev_b32_e32 v15, 2, v9
	v_add_u32_e32 v12, v11, v4
	s_lshl_b64 s[0:1], s[26:27], 2
	v_subrev_u32_e32 v11, s33, v9
	s_add_u32 s0, s24, s0
	v_add_u32_e32 v14, 1, v11
	v_lshl_or_b32 v11, v1, 5, v15
	v_mbcnt_hi_u32_b32 v17, -1, v8
	v_and_b32_e32 v4, 60, v7
	s_addc_u32 s1, s25, s1
	v_add_u32_e32 v15, 0x310, v11
	v_and_b32_e32 v11, 64, v17
	s_mov_b32 s43, s13
	v_cmp_neq_f32_e64 s[2:3], s42, 0
	v_lshl_add_u64 v[4:5], s[0:1], 0, v[4:5]
	v_lshlrev_b32_e32 v13, 3, v1
	v_mov_b32_e32 v16, 0xff7fffff
	s_mov_b64 s[36:37], 0
	s_movk_i32 s44, 0x1000
	v_add_u32_e32 v18, 64, v11
	v_xor_b32_e32 v19, 4, v17
	v_xor_b32_e32 v20, 2, v17
	;; [unrolled: 1-line block ×3, first 2 shown]
	v_mov_b32_e32 v11, 0xff7fffff
	v_mov_b32_e32 v22, v1
	s_branch .LBB7_14
.LBB7_12:                               ;   in Loop: Header=BB7_14 Depth=1
	s_or_b64 exec, exec, s[38:39]
.LBB7_13:                               ;   in Loop: Header=BB7_14 Depth=1
	s_or_b64 exec, exec, s[8:9]
	v_add_u32_e32 v22, 2, v22
	v_cmp_le_i32_e64 s[0:1], s16, v22
	v_lshl_add_u64 v[4:5], v[4:5], 0, 8
	v_add_u32_e32 v13, 16, v13
	s_or_b64 s[36:37], s[0:1], s[36:37]
	v_add_u32_e32 v15, 64, v15
	s_andn2_b64 exec, exec, s[36:37]
	s_cbranch_execz .LBB7_21
.LBB7_14:                               ; =>This Inner Loop Header: Depth=1
	v_mul_hi_u32 v23, v13, s40
	s_waitcnt lgkmcnt(0)
	v_mul_lo_u32 v24, v23, s21
	v_sub_u32_e32 v24, v13, v24
	v_add_u32_e32 v25, 1, v23
	v_cmp_le_u32_e64 s[0:1], s21, v24
	s_nop 1
	v_cndmask_b32_e64 v23, v23, v25, s[0:1]
	v_subrev_u32_e32 v25, s21, v24
	v_cndmask_b32_e64 v24, v24, v25, s[0:1]
	v_add_u32_e32 v25, 1, v23
	v_cmp_le_u32_e64 s[0:1], s21, v24
	s_nop 1
	v_cndmask_b32_e64 v23, v23, v25, s[0:1]
	v_xor_b32_e32 v23, s19, v23
	v_subrev_u32_e32 v23, s19, v23
	v_add_u32_e32 v24, s41, v23
	v_sub_u32_e32 v26, 0, v24
	v_ashrrev_i32_e32 v25, 31, v24
	v_max_i32_e32 v24, v24, v26
	v_mul_hi_u32 v26, v24, v12
	v_mul_lo_u32 v26, v26, s15
	v_sub_u32_e32 v24, v24, v26
	v_subrev_u32_e32 v26, s15, v24
	v_cmp_le_u32_e64 s[0:1], s15, v24
	v_cmp_ge_i32_e64 s[8:9], s30, v23
	s_nop 0
	v_cndmask_b32_e64 v24, v24, v26, s[0:1]
	v_subrev_u32_e32 v26, s15, v24
	v_cmp_le_u32_e64 s[0:1], s15, v24
	s_nop 1
	v_cndmask_b32_e64 v24, v24, v26, s[0:1]
	v_xor_b32_e32 v24, v24, v25
	v_sub_u32_e32 v24, v24, v25
	v_cmp_ne_u32_e64 s[0:1], 0, v24
	s_and_b64 s[0:1], s[0:1], s[8:9]
	s_and_saveexec_b64 s[8:9], s[0:1]
	s_xor_b64 s[0:1], exec, s[8:9]
	s_cbranch_execz .LBB7_18
; %bb.15:                               ;   in Loop: Header=BB7_14 Depth=1
	s_and_saveexec_b64 s[8:9], vcc
; %bb.16:                               ;   in Loop: Header=BB7_14 Depth=1
	ds_write_b32 v15, v16
; %bb.17:                               ;   in Loop: Header=BB7_14 Depth=1
	s_or_b64 exec, exec, s[8:9]
.LBB7_18:                               ;   in Loop: Header=BB7_14 Depth=1
	s_andn2_saveexec_b64 s[8:9], s[0:1]
	s_cbranch_execz .LBB7_13
; %bb.19:                               ;   in Loop: Header=BB7_14 Depth=1
	global_load_dword v23, v[4:5], off
	s_waitcnt vmcnt(0)
	v_mad_i64_i32 v[24:25], s[0:1], v23, s43, 0
	v_lshl_add_u64 v[24:25], v[24:25], 2, v[2:3]
	global_load_dword v23, v[24:25], off
	global_load_dword v41, v[24:25], off offset:256
	global_load_dword v50, v[24:25], off offset:512
	global_load_dword v51, v[24:25], off offset:768
	global_load_dword v52, v[24:25], off offset:1024
	global_load_dword v53, v[24:25], off offset:1280
	global_load_dword v54, v[24:25], off offset:1536
	global_load_dword v55, v[24:25], off offset:1792
	global_load_dword v56, v[24:25], off offset:2048
	global_load_dword v57, v[24:25], off offset:2304
	global_load_dword v58, v[24:25], off offset:2560
	global_load_dword v59, v[24:25], off offset:2816
	global_load_dword v60, v[24:25], off offset:3072
	global_load_dword v61, v[24:25], off offset:3328
	global_load_dword v62, v[24:25], off offset:3584
	global_load_dword v63, v[24:25], off offset:3840
	v_add_co_u32_e64 v24, s[0:1], s44, v24
	s_nop 1
	v_addc_co_u32_e64 v25, s[0:1], 0, v25, s[0:1]
	global_load_dword v64, v[24:25], off
	global_load_dword v65, v[24:25], off offset:256
	global_load_dword v66, v[24:25], off offset:512
	;; [unrolled: 1-line block ×7, first 2 shown]
	ds_read_b128 v[24:27], v10
	ds_read_b128 v[28:31], v10 offset:16
	ds_read_b128 v[32:35], v10 offset:32
	;; [unrolled: 1-line block ×5, first 2 shown]
	v_cmp_lt_i32_e64 s[0:1], v19, v18
	s_waitcnt vmcnt(22) lgkmcnt(5)
	v_mul_f32_e32 v25, v25, v41
	v_fmac_f32_e32 v25, v24, v23
	s_waitcnt vmcnt(21)
	v_fmac_f32_e32 v25, v26, v50
	s_waitcnt vmcnt(20)
	v_fmac_f32_e32 v25, v27, v51
	s_waitcnt vmcnt(19) lgkmcnt(4)
	v_fmac_f32_e32 v25, v28, v52
	s_waitcnt vmcnt(18)
	v_fmac_f32_e32 v25, v29, v53
	s_waitcnt vmcnt(17)
	v_fmac_f32_e32 v25, v30, v54
	s_waitcnt vmcnt(16)
	v_fmac_f32_e32 v25, v31, v55
	s_waitcnt vmcnt(15) lgkmcnt(3)
	v_fmac_f32_e32 v25, v32, v56
	s_waitcnt vmcnt(14)
	;; [unrolled: 8-line block ×5, first 2 shown]
	v_fmac_f32_e32 v25, v47, v69
	v_cndmask_b32_e64 v72, v17, v19, s[0:1]
	s_waitcnt vmcnt(1)
	v_fmac_f32_e32 v25, v48, v70
	v_lshlrev_b32_e32 v72, 2, v72
	s_waitcnt vmcnt(0)
	v_fmac_f32_e32 v25, v49, v71
	ds_bpermute_b32 v23, v72, v25
	v_cmp_lt_i32_e64 s[0:1], v20, v18
	s_waitcnt lgkmcnt(0)
	v_add_f32_e32 v23, v25, v23
	v_cndmask_b32_e64 v24, v17, v20, s[0:1]
	v_lshlrev_b32_e32 v24, 2, v24
	ds_bpermute_b32 v24, v24, v23
	v_cmp_lt_i32_e64 s[0:1], v21, v18
	s_waitcnt lgkmcnt(0)
	v_add_f32_e32 v23, v23, v24
	v_cndmask_b32_e64 v25, v17, v21, s[0:1]
	v_lshlrev_b32_e32 v25, 2, v25
	ds_bpermute_b32 v24, v25, v23
	s_and_saveexec_b64 s[38:39], vcc
	s_cbranch_execz .LBB7_12
; %bb.20:                               ;   in Loop: Header=BB7_14 Depth=1
	v_add_u32_e32 v25, v14, v13
	v_cvt_f32_i32_e32 v25, v25
	s_waitcnt lgkmcnt(0)
	v_add_f32_e32 v23, v23, v24
	v_add_u32_e32 v26, v9, v13
	v_cmp_gt_i32_e64 s[0:1], s33, v26
	v_mul_f32_e32 v24, s42, v25
	v_cndmask_b32_e64 v24, 0, v24, s[2:3]
	v_fmac_f32_e32 v24, s31, v23
	v_cndmask_b32_e64 v23, 0, v24, s[0:1]
	ds_write_b32 v15, v23
	v_max_f32_e32 v23, v11, v11
	v_max_f32_e32 v23, v23, v24
	v_cndmask_b32_e64 v11, v11, v23, s[0:1]
	s_branch .LBB7_12
.LBB7_21:
	s_or_b64 exec, exec, s[36:37]
.LBB7_22:
	s_or_b64 exec, exec, s[34:35]
	v_mbcnt_hi_u32_b32 v2, -1, v8
	v_and_b32_e32 v12, 64, v2
	v_add_u32_e32 v3, 64, v12
	v_xor_b32_e32 v4, 32, v2
	v_cmp_lt_i32_e32 vcc, v4, v3
	v_xor_b32_e32 v9, 16, v2
	v_max_f32_e32 v8, v11, v11
	v_cndmask_b32_e32 v4, v2, v4, vcc
	v_lshlrev_b32_e32 v5, 2, v4
	ds_bpermute_b32 v4, v5, v11
	v_cmp_lt_i32_e32 vcc, v9, v3
	v_xor_b32_e32 v10, 8, v2
	v_and_b32_e32 v41, 63, v0
	s_waitcnt lgkmcnt(0)
	v_max_f32_e32 v4, v4, v4
	v_max_f32_e32 v4, v8, v4
	v_cndmask_b32_e32 v8, v2, v9, vcc
	v_lshlrev_b32_e32 v9, 2, v8
	ds_bpermute_b32 v8, v9, v4
	v_cmp_lt_i32_e32 vcc, v10, v3
	s_waitcnt lgkmcnt(0)
	v_max_f32_e32 v8, v8, v8
	v_max_f32_e32 v8, v4, v8
	v_cndmask_b32_e32 v4, v2, v10, vcc
	v_lshlrev_b32_e32 v10, 2, v4
	ds_bpermute_b32 v11, v10, v8
	v_cmp_eq_u32_e32 vcc, 0, v41
	v_lshlrev_b32_e32 v4, 2, v1
	s_and_saveexec_b64 s[0:1], vcc
	s_cbranch_execz .LBB7_24
; %bb.23:
	s_waitcnt lgkmcnt(0)
	v_max_f32_e32 v11, v11, v11
	v_max_f32_e32 v8, v8, v8
	;; [unrolled: 1-line block ×3, first 2 shown]
	ds_write_b32 v4, v8 offset:768
.LBB7_24:
	s_or_b64 exec, exec, s[0:1]
	v_cmp_gt_u32_e64 s[0:1], 2, v41
	s_waitcnt lgkmcnt(0)
	v_mov_b32_e32 v11, 0xff7fffff
	v_lshlrev_b32_e32 v8, 2, v41
	s_barrier
	s_and_saveexec_b64 s[2:3], s[0:1]
; %bb.25:
	ds_read_b32 v11, v8 offset:768
; %bb.26:
	s_or_b64 exec, exec, s[2:3]
	v_xor_b32_e32 v13, 1, v2
	v_cmp_lt_i32_e64 s[2:3], v13, v3
	v_lshlrev_b32_e32 v12, 2, v12
	s_nop 0
	v_cndmask_b32_e64 v13, v2, v13, s[2:3]
	v_lshlrev_b32_e32 v42, 2, v13
	s_waitcnt lgkmcnt(0)
	ds_bpermute_b32 v13, v42, v11
	v_max_f32_e32 v11, v11, v11
	s_lshl_b32 s2, s16, 3
	s_min_i32 s15, s2, s33
	v_cmp_gt_i32_e64 s[2:3], s15, v0
	s_waitcnt lgkmcnt(0)
	v_max_f32_e32 v13, v13, v13
	v_max_f32_e32 v11, v11, v13
	ds_bpermute_b32 v12, v12, v11
	v_mov_b32_e32 v11, 0
	s_and_saveexec_b64 s[30:31], s[2:3]
	s_cbranch_execz .LBB7_30
; %bb.27:
	v_mov_b32_e32 v11, 0x310
	v_lshl_add_u32 v13, v0, 2, v11
	v_mov_b32_e32 v11, 0
	s_mov_b64 s[34:35], 0
	v_mov_b32_e32 v14, v0
.LBB7_28:                               ; =>This Inner Loop Header: Depth=1
	ds_read_b32 v15, v13
	v_add_u32_e32 v14, 0x80, v14
	v_cmp_le_i32_e64 s[8:9], s15, v14
	s_or_b64 s[34:35], s[8:9], s[34:35]
	s_waitcnt lgkmcnt(0)
	v_sub_f32_e32 v15, v15, v12
	v_mul_f32_e32 v15, 0x3fb8aa3b, v15
	v_exp_f32_e32 v15, v15
	ds_write_b32 v13, v15
	v_add_f32_e32 v11, v11, v15
	v_add_u32_e32 v13, 0x200, v13
	s_andn2_b64 exec, exec, s[34:35]
	s_cbranch_execnz .LBB7_28
; %bb.29:
	s_or_b64 exec, exec, s[34:35]
.LBB7_30:
	s_or_b64 exec, exec, s[30:31]
	ds_bpermute_b32 v5, v5, v11
	s_waitcnt lgkmcnt(0)
	v_add_f32_e32 v5, v11, v5
	ds_bpermute_b32 v9, v9, v5
	s_waitcnt lgkmcnt(0)
	v_add_f32_e32 v5, v5, v9
	ds_bpermute_b32 v9, v10, v5
	v_xor_b32_e32 v10, 4, v2
	v_cmp_lt_i32_e64 s[8:9], v10, v3
	s_waitcnt lgkmcnt(0)
	v_add_f32_e32 v5, v5, v9
	v_cndmask_b32_e64 v10, v2, v10, s[8:9]
	v_lshlrev_b32_e32 v10, 2, v10
	ds_bpermute_b32 v9, v10, v5
	v_xor_b32_e32 v10, 2, v2
	v_cmp_lt_i32_e64 s[8:9], v10, v3
	s_waitcnt lgkmcnt(0)
	v_add_f32_e32 v5, v5, v9
	v_cndmask_b32_e64 v3, v2, v10, s[8:9]
	v_lshlrev_b32_e32 v3, 2, v3
	ds_bpermute_b32 v3, v3, v5
	s_waitcnt lgkmcnt(0)
	v_add_f32_e32 v3, v5, v3
	ds_bpermute_b32 v5, v42, v3
	s_waitcnt lgkmcnt(0)
	v_add_f32_e32 v3, v3, v5
	s_and_saveexec_b64 s[8:9], vcc
; %bb.31:
	ds_write_b32 v4, v3 offset:776
; %bb.32:
	s_or_b64 exec, exec, s[8:9]
	s_waitcnt lgkmcnt(0)
	s_barrier
	s_and_saveexec_b64 s[8:9], s[0:1]
; %bb.33:
	ds_read_b32 v3, v8 offset:776
; %bb.34:
	s_or_b64 exec, exec, s[8:9]
	s_waitcnt lgkmcnt(0)
	ds_bpermute_b32 v4, v42, v3
	v_lshlrev_b32_e32 v2, 2, v2
	v_and_b32_e32 v2, 0x100, v2
	s_waitcnt lgkmcnt(0)
	v_add_f32_e32 v3, v3, v4
	ds_bpermute_b32 v2, v2, v3
	s_and_saveexec_b64 s[0:1], s[2:3]
	s_cbranch_execz .LBB7_47
; %bb.35:
	s_waitcnt lgkmcnt(0)
	v_add_f32_e32 v2, 0x358637bd, v2
	v_div_scale_f32 v3, s[2:3], v2, v2, 1.0
	v_rcp_f32_e32 v4, v3
	v_div_scale_f32 v5, vcc, 1.0, v2, 1.0
	s_movk_i32 s2, 0x7f
	v_fma_f32 v8, -v3, v4, 1.0
	v_fmac_f32_e32 v4, v8, v4
	v_mul_f32_e32 v8, v5, v4
	v_fma_f32 v9, -v3, v8, v5
	v_fmac_f32_e32 v8, v9, v4
	v_fma_f32 v3, -v3, v8, v5
	v_div_fmas_f32 v3, v3, v4, v8
	v_xad_u32 v4, v0, -1, s15
	v_div_fixup_f32 v2, v3, v2, 1.0
	v_cmp_lt_u32_e32 vcc, s2, v4
	s_mov_b64 s[8:9], -1
	v_mov_b32_e32 v3, v0
	s_and_saveexec_b64 s[2:3], vcc
	s_cbranch_execz .LBB7_44
; %bb.36:
	v_lshrrev_b32_e32 v4, 7, v4
	v_add_u32_e32 v8, -1, v4
	v_lshrrev_b32_e32 v5, 1, v8
	v_mov_b32_e32 v3, v2
	v_add_u32_e32 v5, 1, v5
	v_cmp_lt_u32_e32 vcc, 13, v8
	v_mov_b32_e32 v10, 0
	s_and_saveexec_b64 s[8:9], vcc
	s_cbranch_execz .LBB7_40
; %bb.37:
	v_mov_b32_e32 v9, 0x310
	v_and_b32_e32 v8, -8, v5
	v_lshl_add_u32 v9, v0, 2, v9
	s_mov_b32 s34, 0
	s_mov_b64 s[30:31], 0
.LBB7_38:                               ; =>This Inner Loop Header: Depth=1
	ds_read2st64_b32 v[10:11], v9 offset1:2
	ds_read2st64_b32 v[12:13], v9 offset0:4 offset1:6
	ds_read2st64_b32 v[14:15], v9 offset0:8 offset1:10
	;; [unrolled: 1-line block ×3, first 2 shown]
	v_add_u32_e32 v8, -8, v8
	s_waitcnt lgkmcnt(3)
	v_pk_mul_f32 v[10:11], v[2:3], v[10:11]
	s_waitcnt lgkmcnt(2)
	v_pk_mul_f32 v[12:13], v[2:3], v[12:13]
	ds_write2st64_b32 v9, v10, v11 offset1:2
	ds_write2st64_b32 v9, v12, v13 offset0:4 offset1:6
	ds_read2st64_b32 v[12:13], v9 offset0:16 offset1:18
	s_waitcnt lgkmcnt(4)
	v_pk_mul_f32 v[10:11], v[2:3], v[14:15]
	ds_write2st64_b32 v9, v10, v11 offset0:8 offset1:10
	s_waitcnt lgkmcnt(4)
	v_pk_mul_f32 v[10:11], v[2:3], v[16:17]
	ds_write2st64_b32 v9, v10, v11 offset0:12 offset1:14
	ds_read2st64_b32 v[10:11], v9 offset0:20 offset1:22
	s_waitcnt lgkmcnt(3)
	v_pk_mul_f32 v[12:13], v[2:3], v[12:13]
	ds_read2st64_b32 v[14:15], v9 offset0:24 offset1:26
	ds_write2st64_b32 v9, v12, v13 offset0:16 offset1:18
	ds_read2st64_b32 v[12:13], v9 offset0:28 offset1:30
	s_waitcnt lgkmcnt(3)
	v_pk_mul_f32 v[10:11], v[2:3], v[10:11]
	ds_write2st64_b32 v9, v10, v11 offset0:20 offset1:22
	s_waitcnt lgkmcnt(3)
	v_pk_mul_f32 v[10:11], v[2:3], v[14:15]
	ds_write2st64_b32 v9, v10, v11 offset0:24 offset1:26
	s_waitcnt lgkmcnt(2)
	v_pk_mul_f32 v[10:11], v[2:3], v[12:13]
	s_add_i32 s34, s34, 16
	v_cmp_eq_u32_e32 vcc, 0, v8
	ds_write2st64_b32 v9, v10, v11 offset0:28 offset1:30
	v_add_u32_e32 v9, 0x2000, v9
	s_or_b64 s[30:31], vcc, s[30:31]
	v_mov_b32_e32 v10, s34
	s_andn2_b64 exec, exec, s[30:31]
	s_cbranch_execnz .LBB7_38
; %bb.39:
	s_or_b64 exec, exec, s[30:31]
.LBB7_40:
	s_or_b64 exec, exec, s[8:9]
	v_and_b32_e32 v5, 7, v5
	v_cmp_ne_u32_e32 vcc, 0, v5
	s_and_saveexec_b64 s[8:9], vcc
	s_cbranch_execz .LBB7_43
; %bb.41:
	v_lshlrev_b32_e32 v8, 9, v10
	s_movk_i32 s30, 0x310
	v_add3_u32 v8, v8, v6, s30
	s_mov_b64 s[30:31], 0
.LBB7_42:                               ; =>This Inner Loop Header: Depth=1
	ds_read2st64_b32 v[10:11], v8 offset1:2
	v_add_u32_e32 v5, -1, v5
	v_cmp_eq_u32_e32 vcc, 0, v5
	s_or_b64 s[30:31], vcc, s[30:31]
	s_waitcnt lgkmcnt(0)
	v_pk_mul_f32 v[10:11], v[2:3], v[10:11]
	ds_write2st64_b32 v8, v10, v11 offset1:2
	v_add_u32_e32 v8, 0x400, v8
	s_andn2_b64 exec, exec, s[30:31]
	s_cbranch_execnz .LBB7_42
.LBB7_43:
	s_or_b64 exec, exec, s[8:9]
	v_add_u32_e32 v4, 1, v4
	v_and_b32_e32 v5, 0x3fffffe, v4
	v_cmp_ne_u32_e32 vcc, v4, v5
	v_lshl_add_u32 v3, v5, 7, v0
	s_orn2_b64 s[8:9], vcc, exec
.LBB7_44:
	s_or_b64 exec, exec, s[2:3]
	s_and_b64 exec, exec, s[8:9]
	s_cbranch_execz .LBB7_47
; %bb.45:
	v_mov_b32_e32 v4, 0x310
	v_lshl_add_u32 v4, v3, 2, v4
	s_mov_b64 s[2:3], 0
.LBB7_46:                               ; =>This Inner Loop Header: Depth=1
	ds_read_b32 v5, v4
	v_add_u32_e32 v3, 0x80, v3
	v_cmp_le_i32_e32 vcc, s15, v3
	s_or_b64 s[2:3], vcc, s[2:3]
	s_waitcnt lgkmcnt(0)
	v_mul_f32_e32 v5, v2, v5
	ds_write_b32 v4, v5
	v_add_u32_e32 v4, 0x200, v4
	s_andn2_b64 exec, exec, s[2:3]
	s_cbranch_execnz .LBB7_46
.LBB7_47:
	s_or_b64 exec, exec, s[0:1]
	v_mov_b32_e32 v31, 0
	v_and_b32_e32 v43, 1, v0
	v_mov_b32_e32 v30, v31
	v_mov_b32_e32 v35, v31
	;; [unrolled: 1-line block ×5, first 2 shown]
	s_waitcnt lgkmcnt(0)
	s_barrier
	s_and_saveexec_b64 s[2:3], s[6:7]
	s_cbranch_execz .LBB7_65
; %bb.48:
	s_ashr_i32 s15, s14, 31
	s_sub_i32 s17, s12, s17
	s_lshl_b64 s[0:1], s[14:15], 2
	s_add_u32 s0, s28, s0
	s_addc_u32 s1, s29, s1
	s_abs_i32 s14, s18
	v_cvt_f32_u32_e32 v2, s14
	v_lshlrev_b32_e32 v3, 4, v0
	v_and_b32_e32 v32, 0x3f0, v3
	v_mov_b32_e32 v33, 0
	v_rcp_iflag_f32_e32 v2, v2
	v_lshl_add_u64 v[36:37], s[0:1], 0, v[32:33]
	s_sub_i32 s0, 0, s14
	s_add_i32 s18, s16, -1
	v_mul_f32_e32 v2, 0x4f7ffffe, v2
	v_cvt_u32_f32_e32 v2, v2
	v_and_b32_e32 v32, 60, v7
	v_and_b32_e32 v44, 4, v6
	s_mov_b32 s15, s13
	v_mul_lo_u32 v3, s0, v2
	v_mul_hi_u32 v3, v2, v3
	s_lshl_b64 s[0:1], s[26:27], 2
	v_add_u32_e32 v45, v2, v3
	s_add_u32 s0, s24, s0
	v_lshlrev_b32_e32 v2, 4, v43
	s_addc_u32 s1, s25, s1
	v_lshl_or_b32 v2, v1, 5, v2
	s_mov_b32 s28, s33
	v_lshl_add_u64 v[38:39], s[0:1], 0, v[32:33]
	v_add_u32_e32 v46, 0x310, v2
	s_mov_b64 s[6:7], 0
	v_mov_b32_e32 v32, v33
	v_mov_b32_e32 v34, v33
	;; [unrolled: 1-line block ×5, first 2 shown]
	s_branch .LBB7_51
.LBB7_49:                               ;   in Loop: Header=BB7_51 Depth=1
	s_or_b64 exec, exec, s[12:13]
	s_waitcnt vmcnt(1) lgkmcnt(0)
	v_mul_f32_e32 v22, v2, v22
	v_mul_f32_e32 v18, v2, v18
	;; [unrolled: 1-line block ×5, first 2 shown]
	v_fmac_f32_e32 v22, v3, v23
	v_fmac_f32_e32 v18, v3, v19
	;; [unrolled: 1-line block ×10, first 2 shown]
	s_waitcnt vmcnt(0)
	v_pk_mul_f32 v[2:3], v[2:3], v[26:27]
	v_fmac_f32_e32 v22, v5, v25
	v_fmac_f32_e32 v18, v5, v21
	;; [unrolled: 1-line block ×5, first 2 shown]
	v_pk_mul_f32 v[4:5], v[4:5], v[28:29]
	v_add_f32_e32 v2, v3, v2
	v_add_f32_e32 v2, v4, v2
	;; [unrolled: 1-line block ×9, first 2 shown]
.LBB7_50:                               ;   in Loop: Header=BB7_51 Depth=1
	s_or_b64 exec, exec, s[8:9]
	v_add_u32_e32 v1, 2, v1
	v_cmp_le_i32_e32 vcc, s16, v1
	v_lshl_add_u64 v[38:39], v[38:39], 0, 8
	v_add_u32_e32 v40, 16, v40
	s_or_b64 s[6:7], vcc, s[6:7]
	v_add_u32_e32 v46, 64, v46
	s_andn2_b64 exec, exec, s[6:7]
	s_cbranch_execz .LBB7_64
.LBB7_51:                               ; =>This Inner Loop Header: Depth=1
	v_mul_hi_u32 v2, v40, s40
	v_mul_lo_u32 v3, v2, s21
	v_sub_u32_e32 v3, v40, v3
	v_add_u32_e32 v4, 1, v2
	v_cmp_le_u32_e32 vcc, s21, v3
	s_nop 1
	v_cndmask_b32_e32 v2, v2, v4, vcc
	v_subrev_u32_e32 v4, s21, v3
	v_cndmask_b32_e32 v3, v3, v4, vcc
	v_add_u32_e32 v4, 1, v2
	v_cmp_le_u32_e32 vcc, s21, v3
	s_nop 1
	v_cndmask_b32_e32 v2, v2, v4, vcc
	v_xor_b32_e32 v2, s19, v2
	v_subrev_u32_e32 v2, s19, v2
	v_add_u32_e32 v3, s41, v2
	v_sub_u32_e32 v5, 0, v3
	v_ashrrev_i32_e32 v4, 31, v3
	v_max_i32_e32 v3, v3, v5
	v_mul_hi_u32 v5, v3, v45
	v_mul_lo_u32 v5, v5, s14
	v_sub_u32_e32 v3, v3, v5
	v_subrev_u32_e32 v5, s14, v3
	v_cmp_le_u32_e32 vcc, s14, v3
	v_cmp_lt_i32_e64 s[0:1], s17, v2
	s_nop 0
	v_cndmask_b32_e32 v3, v3, v5, vcc
	v_subrev_u32_e32 v5, s14, v3
	v_cmp_le_u32_e32 vcc, s14, v3
	s_nop 1
	v_cndmask_b32_e32 v3, v3, v5, vcc
	v_xor_b32_e32 v3, v3, v4
	v_sub_u32_e32 v3, v3, v4
	v_cmp_eq_u32_e32 vcc, 0, v3
	s_or_b64 s[0:1], vcc, s[0:1]
	s_and_saveexec_b64 s[8:9], s[0:1]
	s_cbranch_execz .LBB7_50
; %bb.52:                               ;   in Loop: Header=BB7_51 Depth=1
	global_load_dword v2, v[38:39], off
	v_add_u32_e32 v47, v44, v40
	v_add_u32_e32 v50, 1, v47
	v_or_b32_e32 v49, 3, v47
	v_or_b32_e32 v48, 2, v47
	s_waitcnt vmcnt(0)
	v_mad_i64_i32 v[2:3], s[0:1], v2, s15, 0
	v_lshl_add_u64 v[26:27], v[2:3], 2, v[36:37]
	global_load_dwordx4 v[6:9], v[26:27], off
	ds_read_b128 v[2:5], v46
	v_cmp_eq_u32_e64 s[0:1], s18, v1
	s_and_saveexec_b64 s[12:13], s[0:1]
	s_cbranch_execnz .LBB7_61
; %bb.53:                               ;   in Loop: Header=BB7_51 Depth=1
	s_or_b64 exec, exec, s[12:13]
	global_load_dwordx4 v[10:13], v[26:27], off offset:1024
	s_and_saveexec_b64 s[12:13], s[0:1]
	s_cbranch_execnz .LBB7_62
.LBB7_54:                               ;   in Loop: Header=BB7_51 Depth=1
	s_or_b64 exec, exec, s[12:13]
	global_load_dwordx4 v[14:17], v[26:27], off offset:2048
	s_and_saveexec_b64 s[12:13], s[0:1]
	s_cbranch_execnz .LBB7_63
.LBB7_55:                               ;   in Loop: Header=BB7_51 Depth=1
	s_or_b64 exec, exec, s[12:13]
	global_load_dwordx4 v[18:21], v[26:27], off offset:3072
	s_and_saveexec_b64 s[12:13], s[0:1]
	s_cbranch_execz .LBB7_57
.LBB7_56:                               ;   in Loop: Header=BB7_51 Depth=1
	v_cmp_gt_i32_e32 vcc, s28, v50
	s_waitcnt vmcnt(0)
	s_nop 0
	v_cndmask_b32_e32 v19, 0, v19, vcc
	v_cmp_gt_i32_e32 vcc, s33, v47
	s_nop 1
	v_cndmask_b32_e32 v18, 0, v18, vcc
	v_cmp_gt_i32_e32 vcc, s28, v49
	;; [unrolled: 3-line block ×3, first 2 shown]
	s_nop 1
	v_cndmask_b32_e32 v20, 0, v20, vcc
.LBB7_57:                               ;   in Loop: Header=BB7_51 Depth=1
	s_or_b64 exec, exec, s[12:13]
	v_add_co_u32_e32 v22, vcc, 0x1000, v26
	s_nop 1
	v_addc_co_u32_e32 v23, vcc, 0, v27, vcc
	global_load_dwordx4 v[22:25], v[22:23], off
	s_and_saveexec_b64 s[12:13], s[0:1]
	s_cbranch_execz .LBB7_59
; %bb.58:                               ;   in Loop: Header=BB7_51 Depth=1
	v_cmp_gt_i32_e32 vcc, s28, v50
	s_waitcnt vmcnt(0)
	s_nop 0
	v_cndmask_b32_e32 v23, 0, v23, vcc
	v_cmp_gt_i32_e32 vcc, s33, v47
	s_nop 1
	v_cndmask_b32_e32 v22, 0, v22, vcc
	v_cmp_gt_i32_e32 vcc, s28, v49
	;; [unrolled: 3-line block ×3, first 2 shown]
	s_nop 1
	v_cndmask_b32_e32 v24, 0, v24, vcc
.LBB7_59:                               ;   in Loop: Header=BB7_51 Depth=1
	s_or_b64 exec, exec, s[12:13]
	v_add_co_u32_e32 v26, vcc, 0x1000, v26
	s_nop 1
	v_addc_co_u32_e32 v27, vcc, 0, v27, vcc
	global_load_dwordx4 v[26:29], v[26:27], off offset:1024
	s_and_saveexec_b64 s[12:13], s[0:1]
	s_cbranch_execz .LBB7_49
; %bb.60:                               ;   in Loop: Header=BB7_51 Depth=1
	v_cmp_gt_i32_e32 vcc, s28, v50
	s_waitcnt vmcnt(0)
	s_nop 0
	v_cndmask_b32_e32 v27, 0, v27, vcc
	v_cmp_gt_i32_e32 vcc, s33, v47
	s_nop 1
	v_cndmask_b32_e32 v26, 0, v26, vcc
	v_cmp_gt_i32_e32 vcc, s28, v49
	;; [unrolled: 3-line block ×3, first 2 shown]
	s_nop 1
	v_cndmask_b32_e32 v28, 0, v28, vcc
	s_branch .LBB7_49
.LBB7_61:                               ;   in Loop: Header=BB7_51 Depth=1
	v_cmp_gt_i32_e32 vcc, s28, v50
	s_waitcnt vmcnt(0)
	s_nop 0
	v_cndmask_b32_e32 v7, 0, v7, vcc
	v_cmp_gt_i32_e32 vcc, s33, v47
	s_nop 1
	v_cndmask_b32_e32 v6, 0, v6, vcc
	v_cmp_gt_i32_e32 vcc, s28, v49
	;; [unrolled: 3-line block ×3, first 2 shown]
	s_nop 1
	v_cndmask_b32_e32 v8, 0, v8, vcc
	s_or_b64 exec, exec, s[12:13]
	global_load_dwordx4 v[10:13], v[26:27], off offset:1024
	s_and_saveexec_b64 s[12:13], s[0:1]
	s_cbranch_execz .LBB7_54
.LBB7_62:                               ;   in Loop: Header=BB7_51 Depth=1
	v_cmp_gt_i32_e32 vcc, s28, v50
	s_waitcnt vmcnt(0)
	s_nop 0
	v_cndmask_b32_e32 v11, 0, v11, vcc
	v_cmp_gt_i32_e32 vcc, s33, v47
	s_nop 1
	v_cndmask_b32_e32 v10, 0, v10, vcc
	v_cmp_gt_i32_e32 vcc, s28, v49
	;; [unrolled: 3-line block ×3, first 2 shown]
	s_nop 1
	v_cndmask_b32_e32 v12, 0, v12, vcc
	s_or_b64 exec, exec, s[12:13]
	global_load_dwordx4 v[14:17], v[26:27], off offset:2048
	s_and_saveexec_b64 s[12:13], s[0:1]
	s_cbranch_execz .LBB7_55
.LBB7_63:                               ;   in Loop: Header=BB7_51 Depth=1
	v_cmp_gt_i32_e32 vcc, s28, v50
	s_waitcnt vmcnt(0)
	s_nop 0
	v_cndmask_b32_e32 v15, 0, v15, vcc
	v_cmp_gt_i32_e32 vcc, s33, v47
	s_nop 1
	v_cndmask_b32_e32 v14, 0, v14, vcc
	v_cmp_gt_i32_e32 vcc, s28, v49
	;; [unrolled: 3-line block ×3, first 2 shown]
	s_nop 1
	v_cndmask_b32_e32 v16, 0, v16, vcc
	s_or_b64 exec, exec, s[12:13]
	global_load_dwordx4 v[18:21], v[26:27], off offset:3072
	s_and_saveexec_b64 s[12:13], s[0:1]
	s_cbranch_execnz .LBB7_56
	s_branch .LBB7_57
.LBB7_64:
	s_or_b64 exec, exec, s[6:7]
.LBB7_65:
	s_or_b64 exec, exec, s[2:3]
	ds_bpermute_b32 v2, v42, v32
	ds_bpermute_b32 v3, v42, v33
	ds_bpermute_b32 v4, v42, v34
	ds_bpermute_b32 v5, v42, v35
	ds_bpermute_b32 v6, v42, v30
	ds_bpermute_b32 v7, v42, v31
	v_and_b32_e32 v1, 0x3c1, v0
	s_waitcnt lgkmcnt(4)
	v_pk_add_f32 v[2:3], v[32:33], v[2:3]
	s_waitcnt lgkmcnt(2)
	v_pk_add_f32 v[4:5], v[34:35], v[4:5]
	v_cmp_ne_u32_e32 vcc, 64, v1
	s_waitcnt lgkmcnt(0)
	s_barrier
	s_and_saveexec_b64 s[0:1], vcc
	s_xor_b64 s[0:1], exec, s[0:1]
; %bb.66:
                                        ; implicit-def: $vgpr41
; %bb.67:
	s_or_saveexec_b64 s[0:1], s[0:1]
	v_pk_add_f32 v[6:7], v[30:31], v[6:7]
	s_xor_b64 exec, exec, s[0:1]
	s_cbranch_execz .LBB7_69
; %bb.68:
	v_mov_b32_e32 v8, 0x310
	v_lshl_add_u32 v8, v41, 1, v8
	ds_write2_b32 v8, v2, v3 offset1:32
	ds_write2_b32 v8, v4, v5 offset0:64 offset1:96
	ds_write2_b32 v8, v6, v7 offset0:128 offset1:160
.LBB7_69:
	s_or_b64 exec, exec, s[0:1]
	v_cmp_gt_u32_e32 vcc, 64, v0
	v_lshrrev_b32_e32 v0, 1, v0
	s_waitcnt lgkmcnt(0)
	s_barrier
	s_and_saveexec_b64 s[0:1], vcc
	s_cbranch_execz .LBB7_78
; %bb.70:
	v_mov_b32_e32 v8, 0x310
	v_cmp_eq_u32_e32 vcc, 0, v43
	v_lshl_add_u32 v8, v0, 2, v8
	s_and_saveexec_b64 s[2:3], vcc
	s_cbranch_execnz .LBB7_81
; %bb.71:
	s_or_b64 exec, exec, s[2:3]
	s_and_saveexec_b64 s[2:3], vcc
	s_cbranch_execnz .LBB7_82
.LBB7_72:
	s_or_b64 exec, exec, s[2:3]
	s_and_saveexec_b64 s[2:3], vcc
	s_cbranch_execnz .LBB7_83
.LBB7_73:
	s_or_b64 exec, exec, s[2:3]
	s_and_saveexec_b64 s[2:3], vcc
	s_cbranch_execnz .LBB7_84
.LBB7_74:
	s_or_b64 exec, exec, s[2:3]
	s_and_saveexec_b64 s[2:3], vcc
	s_cbranch_execnz .LBB7_85
.LBB7_75:
	s_or_b64 exec, exec, s[2:3]
	s_and_saveexec_b64 s[2:3], vcc
	s_cbranch_execz .LBB7_77
.LBB7_76:
	ds_read_b32 v8, v8 offset:640
	s_waitcnt lgkmcnt(0)
	v_add_f32_e32 v7, v7, v8
.LBB7_77:
	s_or_b64 exec, exec, s[2:3]
.LBB7_78:
	s_or_b64 exec, exec, s[0:1]
	v_cmp_eq_u32_e32 vcc, 0, v1
	s_barrier
	s_and_saveexec_b64 s[0:1], vcc
	s_cbranch_execz .LBB7_80
; %bb.79:
	s_mul_i32 s0, s10, s11
	s_mul_i32 s0, s0, s5
	s_mulk_i32 s0, 0xc0
	s_ashr_i32 s1, s0, 31
	s_lshl_b64 s[0:1], s[0:1], 2
	s_add_u32 s2, s22, s0
	s_mul_i32 s0, s11, s20
	s_addc_u32 s3, s23, s1
	s_ashr_i32 s1, s0, 31
	s_lshl_b64 s[0:1], s[0:1], 2
	s_add_u32 s2, s2, s0
	s_mul_i32 s0, s4, 0xc0
	s_addc_u32 s3, s3, s1
	s_ashr_i32 s1, s0, 31
	s_lshl_b64 s[0:1], s[0:1], 2
	s_add_u32 s0, s2, s0
	s_addc_u32 s1, s3, s1
	v_lshlrev_b32_e32 v0, 2, v0
	global_store_dword v0, v2, s[0:1]
	global_store_dword v0, v3, s[0:1] offset:128
	global_store_dword v0, v4, s[0:1] offset:256
	;; [unrolled: 1-line block ×5, first 2 shown]
.LBB7_80:
	s_endpgm
.LBB7_81:
	ds_read_b32 v9, v8
	s_waitcnt lgkmcnt(0)
	v_add_f32_e32 v2, v2, v9
	s_or_b64 exec, exec, s[2:3]
	s_and_saveexec_b64 s[2:3], vcc
	s_cbranch_execz .LBB7_72
.LBB7_82:
	ds_read_b32 v9, v8 offset:128
	s_waitcnt lgkmcnt(0)
	v_add_f32_e32 v3, v3, v9
	s_or_b64 exec, exec, s[2:3]
	s_and_saveexec_b64 s[2:3], vcc
	s_cbranch_execz .LBB7_73
.LBB7_83:
	ds_read_b32 v9, v8 offset:256
	s_waitcnt lgkmcnt(0)
	v_add_f32_e32 v4, v4, v9
	s_or_b64 exec, exec, s[2:3]
	s_and_saveexec_b64 s[2:3], vcc
	s_cbranch_execz .LBB7_74
.LBB7_84:
	ds_read_b32 v9, v8 offset:384
	s_waitcnt lgkmcnt(0)
	v_add_f32_e32 v5, v5, v9
	s_or_b64 exec, exec, s[2:3]
	s_and_saveexec_b64 s[2:3], vcc
	s_cbranch_execz .LBB7_75
.LBB7_85:
	ds_read_b32 v9, v8 offset:512
	s_waitcnt lgkmcnt(0)
	v_add_f32_e32 v6, v6, v9
	s_or_b64 exec, exec, s[2:3]
	s_and_saveexec_b64 s[2:3], vcc
	s_cbranch_execnz .LBB7_76
	s_branch .LBB7_77
	.section	.rodata,"a",@progbits
	.p2align	6, 0x0
	.amdhsa_kernel _ZN4vllm25paged_attention_v1_kernelIffLi192ELi8ELi128ELNS_18Fp8KVCacheDataTypeE0ELb1EEEvPT_PKS2_PKT0_S8_ifPKiSA_iPKfiiiSC_SC_iiiii
		.amdhsa_group_segment_fixed_size 784
		.amdhsa_private_segment_fixed_size 0
		.amdhsa_kernarg_size 384
		.amdhsa_user_sgpr_count 2
		.amdhsa_user_sgpr_dispatch_ptr 0
		.amdhsa_user_sgpr_queue_ptr 0
		.amdhsa_user_sgpr_kernarg_segment_ptr 1
		.amdhsa_user_sgpr_dispatch_id 0
		.amdhsa_user_sgpr_kernarg_preload_length 0
		.amdhsa_user_sgpr_kernarg_preload_offset 0
		.amdhsa_user_sgpr_private_segment_size 0
		.amdhsa_uses_dynamic_stack 0
		.amdhsa_enable_private_segment 0
		.amdhsa_system_sgpr_workgroup_id_x 1
		.amdhsa_system_sgpr_workgroup_id_y 1
		.amdhsa_system_sgpr_workgroup_id_z 1
		.amdhsa_system_sgpr_workgroup_info 0
		.amdhsa_system_vgpr_workitem_id 0
		.amdhsa_next_free_vgpr 73
		.amdhsa_next_free_sgpr 45
		.amdhsa_accum_offset 76
		.amdhsa_reserve_vcc 1
		.amdhsa_float_round_mode_32 0
		.amdhsa_float_round_mode_16_64 0
		.amdhsa_float_denorm_mode_32 3
		.amdhsa_float_denorm_mode_16_64 3
		.amdhsa_dx10_clamp 1
		.amdhsa_ieee_mode 1
		.amdhsa_fp16_overflow 0
		.amdhsa_tg_split 0
		.amdhsa_exception_fp_ieee_invalid_op 0
		.amdhsa_exception_fp_denorm_src 0
		.amdhsa_exception_fp_ieee_div_zero 0
		.amdhsa_exception_fp_ieee_overflow 0
		.amdhsa_exception_fp_ieee_underflow 0
		.amdhsa_exception_fp_ieee_inexact 0
		.amdhsa_exception_int_div_zero 0
	.end_amdhsa_kernel
	.section	.text._ZN4vllm25paged_attention_v1_kernelIffLi192ELi8ELi128ELNS_18Fp8KVCacheDataTypeE0ELb1EEEvPT_PKS2_PKT0_S8_ifPKiSA_iPKfiiiSC_SC_iiiii,"axG",@progbits,_ZN4vllm25paged_attention_v1_kernelIffLi192ELi8ELi128ELNS_18Fp8KVCacheDataTypeE0ELb1EEEvPT_PKS2_PKT0_S8_ifPKiSA_iPKfiiiSC_SC_iiiii,comdat
.Lfunc_end7:
	.size	_ZN4vllm25paged_attention_v1_kernelIffLi192ELi8ELi128ELNS_18Fp8KVCacheDataTypeE0ELb1EEEvPT_PKS2_PKT0_S8_ifPKiSA_iPKfiiiSC_SC_iiiii, .Lfunc_end7-_ZN4vllm25paged_attention_v1_kernelIffLi192ELi8ELi128ELNS_18Fp8KVCacheDataTypeE0ELb1EEEvPT_PKS2_PKT0_S8_ifPKiSA_iPKfiiiSC_SC_iiiii
                                        ; -- End function
	.set _ZN4vllm25paged_attention_v1_kernelIffLi192ELi8ELi128ELNS_18Fp8KVCacheDataTypeE0ELb1EEEvPT_PKS2_PKT0_S8_ifPKiSA_iPKfiiiSC_SC_iiiii.num_vgpr, 73
	.set _ZN4vllm25paged_attention_v1_kernelIffLi192ELi8ELi128ELNS_18Fp8KVCacheDataTypeE0ELb1EEEvPT_PKS2_PKT0_S8_ifPKiSA_iPKfiiiSC_SC_iiiii.num_agpr, 0
	.set _ZN4vllm25paged_attention_v1_kernelIffLi192ELi8ELi128ELNS_18Fp8KVCacheDataTypeE0ELb1EEEvPT_PKS2_PKT0_S8_ifPKiSA_iPKfiiiSC_SC_iiiii.numbered_sgpr, 45
	.set _ZN4vllm25paged_attention_v1_kernelIffLi192ELi8ELi128ELNS_18Fp8KVCacheDataTypeE0ELb1EEEvPT_PKS2_PKT0_S8_ifPKiSA_iPKfiiiSC_SC_iiiii.num_named_barrier, 0
	.set _ZN4vllm25paged_attention_v1_kernelIffLi192ELi8ELi128ELNS_18Fp8KVCacheDataTypeE0ELb1EEEvPT_PKS2_PKT0_S8_ifPKiSA_iPKfiiiSC_SC_iiiii.private_seg_size, 0
	.set _ZN4vllm25paged_attention_v1_kernelIffLi192ELi8ELi128ELNS_18Fp8KVCacheDataTypeE0ELb1EEEvPT_PKS2_PKT0_S8_ifPKiSA_iPKfiiiSC_SC_iiiii.uses_vcc, 1
	.set _ZN4vllm25paged_attention_v1_kernelIffLi192ELi8ELi128ELNS_18Fp8KVCacheDataTypeE0ELb1EEEvPT_PKS2_PKT0_S8_ifPKiSA_iPKfiiiSC_SC_iiiii.uses_flat_scratch, 0
	.set _ZN4vllm25paged_attention_v1_kernelIffLi192ELi8ELi128ELNS_18Fp8KVCacheDataTypeE0ELb1EEEvPT_PKS2_PKT0_S8_ifPKiSA_iPKfiiiSC_SC_iiiii.has_dyn_sized_stack, 0
	.set _ZN4vllm25paged_attention_v1_kernelIffLi192ELi8ELi128ELNS_18Fp8KVCacheDataTypeE0ELb1EEEvPT_PKS2_PKT0_S8_ifPKiSA_iPKfiiiSC_SC_iiiii.has_recursion, 0
	.set _ZN4vllm25paged_attention_v1_kernelIffLi192ELi8ELi128ELNS_18Fp8KVCacheDataTypeE0ELb1EEEvPT_PKS2_PKT0_S8_ifPKiSA_iPKfiiiSC_SC_iiiii.has_indirect_call, 0
	.section	.AMDGPU.csdata,"",@progbits
; Kernel info:
; codeLenInByte = 5152
; TotalNumSgprs: 51
; NumVgprs: 73
; NumAgprs: 0
; TotalNumVgprs: 73
; ScratchSize: 0
; MemoryBound: 0
; FloatMode: 240
; IeeeMode: 1
; LDSByteSize: 784 bytes/workgroup (compile time only)
; SGPRBlocks: 6
; VGPRBlocks: 9
; NumSGPRsForWavesPerEU: 51
; NumVGPRsForWavesPerEU: 73
; AccumOffset: 76
; Occupancy: 6
; WaveLimiterHint : 1
; COMPUTE_PGM_RSRC2:SCRATCH_EN: 0
; COMPUTE_PGM_RSRC2:USER_SGPR: 2
; COMPUTE_PGM_RSRC2:TRAP_HANDLER: 0
; COMPUTE_PGM_RSRC2:TGID_X_EN: 1
; COMPUTE_PGM_RSRC2:TGID_Y_EN: 1
; COMPUTE_PGM_RSRC2:TGID_Z_EN: 1
; COMPUTE_PGM_RSRC2:TIDIG_COMP_CNT: 0
; COMPUTE_PGM_RSRC3_GFX90A:ACCUM_OFFSET: 18
; COMPUTE_PGM_RSRC3_GFX90A:TG_SPLIT: 0
	.section	.text._ZN4vllm25paged_attention_v1_kernelIffLi256ELi8ELi128ELNS_18Fp8KVCacheDataTypeE0ELb1EEEvPT_PKS2_PKT0_S8_ifPKiSA_iPKfiiiSC_SC_iiiii,"axG",@progbits,_ZN4vllm25paged_attention_v1_kernelIffLi256ELi8ELi128ELNS_18Fp8KVCacheDataTypeE0ELb1EEEvPT_PKS2_PKT0_S8_ifPKiSA_iPKfiiiSC_SC_iiiii,comdat
	.protected	_ZN4vllm25paged_attention_v1_kernelIffLi256ELi8ELi128ELNS_18Fp8KVCacheDataTypeE0ELb1EEEvPT_PKS2_PKT0_S8_ifPKiSA_iPKfiiiSC_SC_iiiii ; -- Begin function _ZN4vllm25paged_attention_v1_kernelIffLi256ELi8ELi128ELNS_18Fp8KVCacheDataTypeE0ELb1EEEvPT_PKS2_PKT0_S8_ifPKiSA_iPKfiiiSC_SC_iiiii
	.globl	_ZN4vllm25paged_attention_v1_kernelIffLi256ELi8ELi128ELNS_18Fp8KVCacheDataTypeE0ELb1EEEvPT_PKS2_PKT0_S8_ifPKiSA_iPKfiiiSC_SC_iiiii
	.p2align	8
	.type	_ZN4vllm25paged_attention_v1_kernelIffLi256ELi8ELi128ELNS_18Fp8KVCacheDataTypeE0ELb1EEEvPT_PKS2_PKT0_S8_ifPKiSA_iPKfiiiSC_SC_iiiii,@function
_ZN4vllm25paged_attention_v1_kernelIffLi256ELi8ELi128ELNS_18Fp8KVCacheDataTypeE0ELb1EEEvPT_PKS2_PKT0_S8_ifPKiSA_iPKfiiiSC_SC_iiiii: ; @_ZN4vllm25paged_attention_v1_kernelIffLi256ELi8ELi128ELNS_18Fp8KVCacheDataTypeE0ELb1EEEvPT_PKS2_PKT0_S8_ifPKiSA_iPKfiiiSC_SC_iiiii
; %bb.0:
	s_load_dword s5, s[0:1], 0x80
	s_load_dwordx2 s[6:7], s[0:1], 0x30
	s_load_dwordx2 s[30:31], s[0:1], 0x20
	s_mov_b32 s10, s3
	s_ashr_i32 s11, s3, 31
	s_lshl_b64 s[8:9], s[10:11], 2
	s_waitcnt lgkmcnt(0)
	s_add_u32 s6, s6, s8
	s_addc_u32 s7, s7, s9
	s_abs_i32 s3, s30
	v_cvt_f32_u32_e32 v1, s3
	s_sub_i32 s11, 0, s3
	s_abs_i32 s9, s5
	s_xor_b32 s8, s5, s30
	v_rcp_iflag_f32_e32 v1, v1
	s_ashr_i32 s8, s8, 31
	s_mov_b32 s42, 0
	v_mul_f32_e32 v1, 0x4f7ffffe, v1
	v_cvt_u32_f32_e32 v1, v1
	s_nop 0
	v_readfirstlane_b32 s12, v1
	s_mul_i32 s11, s11, s12
	s_mul_hi_u32 s11, s12, s11
	s_add_i32 s12, s12, s11
	s_mul_hi_u32 s11, s9, s12
	s_mul_i32 s12, s11, s3
	s_sub_i32 s9, s9, s12
	s_add_i32 s12, s11, 1
	s_sub_i32 s13, s9, s3
	s_cmp_ge_u32 s9, s3
	s_cselect_b32 s11, s12, s11
	s_cselect_b32 s9, s13, s9
	s_add_i32 s12, s11, 1
	s_cmp_ge_u32 s9, s3
	s_cselect_b32 s3, s12, s11
	s_xor_b32 s3, s3, s8
	s_sub_i32 s11, s3, s8
	s_abs_i32 s22, s11
	v_cvt_f32_u32_e32 v1, s22
	s_load_dwordx2 s[8:9], s[0:1], 0x40
	s_sub_i32 s3, 0, s22
	s_abs_i32 s23, s2
	v_rcp_iflag_f32_e32 v1, v1
	s_nop 0
	v_mul_f32_e32 v1, 0x4f7ffffe, v1
	v_cvt_u32_f32_e32 v1, v1
	s_nop 0
	v_readfirstlane_b32 s12, v1
	s_mul_i32 s3, s3, s12
	s_mul_hi_u32 s3, s12, s3
	s_add_i32 s12, s12, s3
	s_waitcnt lgkmcnt(0)
	s_cmp_eq_u64 s[8:9], 0
	s_mul_hi_u32 s24, s23, s12
	s_cbranch_scc1 .LBB8_2
; %bb.1:
	s_ashr_i32 s3, s2, 31
	s_lshl_b64 s[12:13], s[2:3], 2
	s_add_u32 s8, s8, s12
	s_addc_u32 s9, s9, s13
	s_load_dword s42, s[8:9], 0x0
.LBB8_2:
	s_load_dword s33, s[6:7], 0x0
	s_ashr_i32 s25, s11, 31
	s_load_dword s11, s[0:1], 0x88
	s_load_dwordx4 s[12:15], s[0:1], 0x48
	s_movk_i32 s6, 0x100
	s_ashr_i32 s3, s2, 31
	v_and_b32_e32 v2, 7, v0
	s_lshl_b32 s20, s2, 8
	v_cmp_gt_u32_e32 vcc, s6, v0
	v_lshlrev_b32_e32 v6, 2, v0
	s_and_saveexec_b64 s[6:7], vcc
	s_cbranch_execz .LBB8_5
; %bb.3:
	s_load_dwordx2 s[8:9], s[0:1], 0x8
	s_waitcnt lgkmcnt(0)
	s_mul_i32 s16, s12, s10
	s_ashr_i32 s17, s16, 31
	s_lshl_b64 s[16:17], s[16:17], 2
	v_lshrrev_b32_e32 v1, 3, v0
	s_add_u32 s12, s8, s16
	s_addc_u32 s15, s9, s17
	s_ashr_i32 s21, s20, 31
	s_lshl_b64 s[8:9], s[20:21], 2
	s_add_u32 s8, s12, s8
	s_addc_u32 s9, s15, s9
	global_load_dword v4, v6, s[8:9]
	s_movk_i32 s12, 0x80
	v_lshlrev_b32_e32 v3, 2, v1
	v_lshl_add_u32 v3, v2, 7, v3
	v_cmp_gt_u32_e32 vcc, s12, v0
	s_waitcnt vmcnt(0)
	ds_write_b32 v3, v4
	s_and_b64 exec, exec, vcc
	s_cbranch_execz .LBB8_5
; %bb.4:
	v_lshlrev_b32_e32 v1, 5, v1
	v_lshlrev_b32_e32 v4, 2, v2
	s_movk_i32 s12, 0x200
	v_or3_b32 v1, v1, v4, s12
	global_load_dword v1, v1, s[8:9]
	s_waitcnt vmcnt(0)
	ds_write_b32 v3, v1 offset:64
.LBB8_5:
	s_or_b64 exec, exec, s[6:7]
	s_mul_i32 s6, s24, s22
	s_sub_i32 s6, s23, s6
	s_xor_b32 s3, s3, s25
	s_add_i32 s7, s24, 1
	s_sub_i32 s9, s6, s22
	s_load_dwordx4 s[16:19], s[0:1], 0x68
	s_load_dword s8, s[0:1], 0x78
	s_cmp_ge_u32 s6, s22
	s_cselect_b32 s7, s7, s24
	s_cselect_b32 s6, s9, s6
	s_add_i32 s9, s7, 1
	s_cmp_ge_u32 s6, s22
	s_cselect_b32 s6, s9, s7
	s_waitcnt lgkmcnt(0)
	s_abs_i32 s21, s19
	v_cvt_f32_u32_e32 v1, s21
	s_xor_b32 s6, s6, s3
	s_sub_i32 s3, s6, s3
	s_sub_i32 s6, 0, s21
	v_rcp_iflag_f32_e32 v1, v1
	s_add_i32 s15, s33, -1
	s_abs_i32 s9, s15
	v_mul_f32_e32 v1, 0x4f7ffffe, v1
	v_cvt_u32_f32_e32 v1, v1
	s_barrier
	v_readfirstlane_b32 s40, v1
	s_mul_i32 s6, s6, s40
	s_mul_hi_u32 s6, s40, s6
	s_add_i32 s40, s40, s6
	s_cmp_lt_i32 s8, 0
	s_mul_hi_u32 s12, s9, s40
	s_cbranch_scc0 .LBB8_7
; %bb.6:
	s_mul_i32 s6, s16, s30
	s_add_i32 s6, s3, s6
	s_mul_i32 s6, s6, s8
	s_sub_i32 s41, 1, s6
	s_mov_b64 s[6:7], 0
	s_branch .LBB8_8
.LBB8_7:
	s_mov_b64 s[6:7], -1
                                        ; implicit-def: $sgpr41
.LBB8_8:
	s_load_dwordx2 s[24:25], s[0:1], 0x28
	s_ashr_i32 s15, s15, 31
	s_andn2_b64 vcc, exec, s[6:7]
	s_ashr_i32 s19, s19, 31
	s_cbranch_vccnz .LBB8_10
; %bb.9:
	s_mul_i32 s6, s5, s16
	s_add_i32 s2, s6, s2
	s_mul_i32 s2, s2, s8
	s_add_i32 s41, s2, 1
.LBB8_10:
	s_load_dword s2, s[0:1], 0x38
	s_load_dwordx2 s[22:23], s[0:1], 0x0
	s_load_dwordx2 s[28:29], s[0:1], 0x18
	s_mul_i32 s7, s12, s21
	s_xor_b32 s6, s15, s19
	s_waitcnt lgkmcnt(0)
	s_mul_i32 s26, s2, s10
	s_sub_i32 s2, s9, s7
	s_ashr_i32 s27, s26, 31
	s_add_i32 s7, s12, 1
	s_sub_i32 s8, s2, s21
	s_cmp_ge_u32 s2, s21
	s_cselect_b32 s7, s7, s12
	s_cselect_b32 s2, s8, s2
	s_add_i32 s8, s7, 1
	s_cmp_ge_u32 s2, s21
	s_cselect_b32 s2, s8, s7
	s_xor_b32 s2, s2, s6
	s_sub_i32 s12, s2, s6
	s_add_i32 s2, s33, 7
	s_ashr_i32 s6, s2, 31
	s_lshr_b32 s6, s6, 29
	s_add_i32 s2, s2, s6
	s_ashr_i32 s16, s2, 3
	v_lshrrev_b32_e32 v1, 6, v0
	v_cmp_gt_i32_e64 s[6:7], s16, v1
	v_mov_b32_e32 v11, 0xff7fffff
	s_mul_i32 s14, s3, s14
	v_lshrrev_b32_e32 v7, 4, v0
	v_lshlrev_b32_e32 v50, 3, v1
	v_mbcnt_lo_u32_b32 v8, -1, 0
	s_and_saveexec_b64 s[34:35], s[6:7]
	s_cbranch_execz .LBB8_22
; %bb.11:
	s_load_dwordx2 s[0:1], s[0:1], 0x10
	s_ashr_i32 s15, s14, 31
	s_sub_i32 s30, s12, s17
	s_lshl_b64 s[2:3], s[14:15], 2
	v_bfe_u32 v9, v0, 3, 3
	s_waitcnt lgkmcnt(0)
	s_add_u32 s0, s0, s2
	s_addc_u32 s1, s1, s3
	s_abs_i32 s15, s18
	v_cvt_f32_u32_e32 v3, s15
	v_lshlrev_b32_e32 v4, 4, v9
	v_mov_b32_e32 v5, 0
	v_lshl_add_u64 v[10:11], s[0:1], 0, v[4:5]
	v_rcp_iflag_f32_e32 v3, v3
	v_and_b32_e32 v4, 3, v0
	v_lshlrev_b32_e32 v4, 2, v4
	v_lshl_add_u64 v[12:13], v[10:11], 0, v[4:5]
	v_mul_f32_e32 v3, 0x4f7ffffe, v3
	v_cvt_u32_f32_e32 v11, v3
	v_cmp_eq_u32_e32 vcc, 0, v2
	v_lshlrev_b32_e32 v10, 7, v2
	v_lshlrev_b32_e32 v2, 5, v0
	v_and_b32_e32 v4, 0x80, v2
	s_sub_i32 s0, 0, s15
	v_lshl_add_u64 v[2:3], v[12:13], 0, v[4:5]
	v_mul_lo_u32 v4, s0, v11
	v_mul_hi_u32 v4, v11, v4
	v_lshlrev_b32_e32 v15, 2, v9
	v_add_u32_e32 v12, v11, v4
	s_lshl_b64 s[0:1], s[26:27], 2
	v_subrev_u32_e32 v11, s33, v9
	s_add_u32 s0, s24, s0
	v_add_u32_e32 v14, 1, v11
	v_lshl_or_b32 v11, v1, 5, v15
	v_mbcnt_hi_u32_b32 v17, -1, v8
	v_and_b32_e32 v4, 60, v7
	s_addc_u32 s1, s25, s1
	v_add_u32_e32 v15, 0x410, v11
	v_and_b32_e32 v11, 64, v17
	s_mov_b32 s43, s13
	v_cmp_neq_f32_e64 s[2:3], s42, 0
	v_lshl_add_u64 v[4:5], s[0:1], 0, v[4:5]
	v_lshlrev_b32_e32 v13, 3, v1
	v_mov_b32_e32 v16, 0xff7fffff
	s_mov_b64 s[36:37], 0
	s_movk_i32 s44, 0x1000
	v_add_u32_e32 v18, 64, v11
	v_xor_b32_e32 v19, 4, v17
	v_xor_b32_e32 v20, 2, v17
	;; [unrolled: 1-line block ×3, first 2 shown]
	v_mov_b32_e32 v11, 0xff7fffff
	v_mov_b32_e32 v22, v1
	s_branch .LBB8_14
.LBB8_12:                               ;   in Loop: Header=BB8_14 Depth=1
	s_or_b64 exec, exec, s[38:39]
.LBB8_13:                               ;   in Loop: Header=BB8_14 Depth=1
	s_or_b64 exec, exec, s[8:9]
	v_add_u32_e32 v22, 2, v22
	v_cmp_le_i32_e64 s[0:1], s16, v22
	v_lshl_add_u64 v[4:5], v[4:5], 0, 8
	v_add_u32_e32 v13, 16, v13
	s_or_b64 s[36:37], s[0:1], s[36:37]
	v_add_u32_e32 v15, 64, v15
	s_andn2_b64 exec, exec, s[36:37]
	s_cbranch_execz .LBB8_21
.LBB8_14:                               ; =>This Inner Loop Header: Depth=1
	v_mul_hi_u32 v23, v13, s40
	s_waitcnt lgkmcnt(0)
	v_mul_lo_u32 v24, v23, s21
	v_sub_u32_e32 v24, v13, v24
	v_add_u32_e32 v25, 1, v23
	v_cmp_le_u32_e64 s[0:1], s21, v24
	s_nop 1
	v_cndmask_b32_e64 v23, v23, v25, s[0:1]
	v_subrev_u32_e32 v25, s21, v24
	v_cndmask_b32_e64 v24, v24, v25, s[0:1]
	v_add_u32_e32 v25, 1, v23
	v_cmp_le_u32_e64 s[0:1], s21, v24
	s_nop 1
	v_cndmask_b32_e64 v23, v23, v25, s[0:1]
	v_xor_b32_e32 v23, s19, v23
	v_subrev_u32_e32 v23, s19, v23
	v_add_u32_e32 v24, s41, v23
	v_sub_u32_e32 v26, 0, v24
	v_ashrrev_i32_e32 v25, 31, v24
	v_max_i32_e32 v24, v24, v26
	v_mul_hi_u32 v26, v24, v12
	v_mul_lo_u32 v26, v26, s15
	v_sub_u32_e32 v24, v24, v26
	v_subrev_u32_e32 v26, s15, v24
	v_cmp_le_u32_e64 s[0:1], s15, v24
	v_cmp_ge_i32_e64 s[8:9], s30, v23
	s_nop 0
	v_cndmask_b32_e64 v24, v24, v26, s[0:1]
	v_subrev_u32_e32 v26, s15, v24
	v_cmp_le_u32_e64 s[0:1], s15, v24
	s_nop 1
	v_cndmask_b32_e64 v24, v24, v26, s[0:1]
	v_xor_b32_e32 v24, v24, v25
	v_sub_u32_e32 v24, v24, v25
	v_cmp_ne_u32_e64 s[0:1], 0, v24
	s_and_b64 s[0:1], s[0:1], s[8:9]
	s_and_saveexec_b64 s[8:9], s[0:1]
	s_xor_b64 s[0:1], exec, s[8:9]
	s_cbranch_execz .LBB8_18
; %bb.15:                               ;   in Loop: Header=BB8_14 Depth=1
	s_and_saveexec_b64 s[8:9], vcc
; %bb.16:                               ;   in Loop: Header=BB8_14 Depth=1
	ds_write_b32 v15, v16
; %bb.17:                               ;   in Loop: Header=BB8_14 Depth=1
	s_or_b64 exec, exec, s[8:9]
.LBB8_18:                               ;   in Loop: Header=BB8_14 Depth=1
	s_andn2_saveexec_b64 s[8:9], s[0:1]
	s_cbranch_execz .LBB8_13
; %bb.19:                               ;   in Loop: Header=BB8_14 Depth=1
	global_load_dword v23, v[4:5], off
	s_waitcnt vmcnt(0)
	v_mad_i64_i32 v[24:25], s[0:1], v23, s43, 0
	v_lshl_add_u64 v[24:25], v[24:25], 2, v[2:3]
	global_load_dword v23, v[24:25], off offset:256
	global_load_dword v48, v[24:25], off offset:512
	;; [unrolled: 1-line block ×7, first 2 shown]
	global_load_dword v63, v[24:25], off
	global_load_dword v64, v[24:25], off offset:2048
	global_load_dword v65, v[24:25], off offset:2304
	global_load_dword v66, v[24:25], off offset:2560
	global_load_dword v67, v[24:25], off offset:2816
	global_load_dword v68, v[24:25], off offset:3072
	global_load_dword v69, v[24:25], off offset:3328
	global_load_dword v70, v[24:25], off offset:3584
	global_load_dword v71, v[24:25], off offset:3840
	v_add_co_u32_e64 v24, s[0:1], s44, v24
	s_nop 1
	v_addc_co_u32_e64 v25, s[0:1], 0, v25, s[0:1]
	global_load_dword v72, v[24:25], off
	global_load_dword v73, v[24:25], off offset:256
	global_load_dword v74, v[24:25], off offset:512
	;; [unrolled: 1-line block ×15, first 2 shown]
	ds_read_b128 v[24:27], v10
	ds_read_b128 v[28:31], v10 offset:16
	ds_read_b128 v[32:35], v10 offset:32
	;; [unrolled: 1-line block ×7, first 2 shown]
	v_cmp_lt_i32_e64 s[0:1], v19, v18
	s_waitcnt vmcnt(31) lgkmcnt(7)
	v_mul_f32_e32 v23, v25, v23
	v_cndmask_b32_e64 v88, v17, v19, s[0:1]
	v_cmp_lt_i32_e64 s[0:1], v20, v18
	s_waitcnt vmcnt(24)
	v_fmac_f32_e32 v23, v24, v63
	v_fmac_f32_e32 v23, v26, v48
	;; [unrolled: 1-line block ×3, first 2 shown]
	s_waitcnt lgkmcnt(6)
	v_fmac_f32_e32 v23, v28, v51
	v_fmac_f32_e32 v23, v29, v60
	;; [unrolled: 1-line block ×4, first 2 shown]
	s_waitcnt vmcnt(23) lgkmcnt(5)
	v_fmac_f32_e32 v23, v32, v64
	s_waitcnt vmcnt(22)
	v_fmac_f32_e32 v23, v33, v65
	s_waitcnt vmcnt(21)
	v_fmac_f32_e32 v23, v34, v66
	s_waitcnt vmcnt(20)
	v_fmac_f32_e32 v23, v35, v67
	s_waitcnt vmcnt(19) lgkmcnt(4)
	v_fmac_f32_e32 v23, v36, v68
	s_waitcnt vmcnt(18)
	v_fmac_f32_e32 v23, v37, v69
	s_waitcnt vmcnt(17)
	v_fmac_f32_e32 v23, v38, v70
	s_waitcnt vmcnt(16)
	v_fmac_f32_e32 v23, v39, v71
	;; [unrolled: 8-line block ×5, first 2 shown]
	s_waitcnt vmcnt(3) lgkmcnt(0)
	v_fmac_f32_e32 v23, v56, v84
	s_waitcnt vmcnt(2)
	v_fmac_f32_e32 v23, v57, v85
	s_waitcnt vmcnt(1)
	v_fmac_f32_e32 v23, v58, v86
	v_lshlrev_b32_e32 v24, 2, v88
	s_waitcnt vmcnt(0)
	v_fmac_f32_e32 v23, v59, v87
	ds_bpermute_b32 v24, v24, v23
	v_cndmask_b32_e64 v25, v17, v20, s[0:1]
	v_lshlrev_b32_e32 v25, 2, v25
	v_cmp_lt_i32_e64 s[0:1], v21, v18
	s_waitcnt lgkmcnt(0)
	v_add_f32_e32 v23, v23, v24
	ds_bpermute_b32 v24, v25, v23
	v_cndmask_b32_e64 v25, v17, v21, s[0:1]
	v_lshlrev_b32_e32 v25, 2, v25
	s_waitcnt lgkmcnt(0)
	v_add_f32_e32 v23, v23, v24
	ds_bpermute_b32 v24, v25, v23
	s_and_saveexec_b64 s[38:39], vcc
	s_cbranch_execz .LBB8_12
; %bb.20:                               ;   in Loop: Header=BB8_14 Depth=1
	v_add_u32_e32 v25, v14, v13
	v_cvt_f32_i32_e32 v25, v25
	s_waitcnt lgkmcnt(0)
	v_add_f32_e32 v23, v23, v24
	v_add_u32_e32 v26, v9, v13
	v_cmp_gt_i32_e64 s[0:1], s33, v26
	v_mul_f32_e32 v24, s42, v25
	v_cndmask_b32_e64 v24, 0, v24, s[2:3]
	v_fmac_f32_e32 v24, s31, v23
	v_cndmask_b32_e64 v23, 0, v24, s[0:1]
	ds_write_b32 v15, v23
	v_max_f32_e32 v23, v11, v11
	v_max_f32_e32 v23, v23, v24
	v_cndmask_b32_e64 v11, v11, v23, s[0:1]
	s_branch .LBB8_12
.LBB8_21:
	s_or_b64 exec, exec, s[36:37]
.LBB8_22:
	s_or_b64 exec, exec, s[34:35]
	v_mbcnt_hi_u32_b32 v2, -1, v8
	v_and_b32_e32 v12, 64, v2
	v_add_u32_e32 v3, 64, v12
	v_xor_b32_e32 v4, 32, v2
	v_cmp_lt_i32_e32 vcc, v4, v3
	v_xor_b32_e32 v9, 16, v2
	v_max_f32_e32 v8, v11, v11
	v_cndmask_b32_e32 v4, v2, v4, vcc
	v_lshlrev_b32_e32 v5, 2, v4
	ds_bpermute_b32 v4, v5, v11
	v_cmp_lt_i32_e32 vcc, v9, v3
	v_xor_b32_e32 v10, 8, v2
	v_and_b32_e32 v51, 63, v0
	s_waitcnt lgkmcnt(0)
	v_max_f32_e32 v4, v4, v4
	v_max_f32_e32 v4, v8, v4
	v_cndmask_b32_e32 v8, v2, v9, vcc
	v_lshlrev_b32_e32 v9, 2, v8
	ds_bpermute_b32 v8, v9, v4
	v_cmp_lt_i32_e32 vcc, v10, v3
	s_waitcnt lgkmcnt(0)
	v_max_f32_e32 v8, v8, v8
	v_max_f32_e32 v8, v4, v8
	v_cndmask_b32_e32 v4, v2, v10, vcc
	v_lshlrev_b32_e32 v10, 2, v4
	ds_bpermute_b32 v11, v10, v8
	v_cmp_eq_u32_e32 vcc, 0, v51
	v_lshlrev_b32_e32 v4, 2, v1
	s_and_saveexec_b64 s[0:1], vcc
	s_cbranch_execz .LBB8_24
; %bb.23:
	s_waitcnt lgkmcnt(0)
	v_max_f32_e32 v11, v11, v11
	v_max_f32_e32 v8, v8, v8
	;; [unrolled: 1-line block ×3, first 2 shown]
	ds_write_b32 v4, v8 offset:1024
.LBB8_24:
	s_or_b64 exec, exec, s[0:1]
	v_cmp_gt_u32_e64 s[0:1], 2, v51
	s_waitcnt lgkmcnt(0)
	v_mov_b32_e32 v11, 0xff7fffff
	v_lshlrev_b32_e32 v8, 2, v51
	s_barrier
	s_and_saveexec_b64 s[2:3], s[0:1]
; %bb.25:
	ds_read_b32 v11, v8 offset:1024
; %bb.26:
	s_or_b64 exec, exec, s[2:3]
	v_xor_b32_e32 v13, 1, v2
	v_cmp_lt_i32_e64 s[2:3], v13, v3
	v_lshlrev_b32_e32 v12, 2, v12
	s_nop 0
	v_cndmask_b32_e64 v13, v2, v13, s[2:3]
	v_lshlrev_b32_e32 v52, 2, v13
	s_waitcnt lgkmcnt(0)
	ds_bpermute_b32 v13, v52, v11
	v_max_f32_e32 v11, v11, v11
	s_lshl_b32 s2, s16, 3
	s_min_i32 s15, s2, s33
	v_cmp_gt_i32_e64 s[2:3], s15, v0
	s_waitcnt lgkmcnt(0)
	v_max_f32_e32 v13, v13, v13
	v_max_f32_e32 v11, v11, v13
	ds_bpermute_b32 v12, v12, v11
	v_mov_b32_e32 v11, 0
	s_and_saveexec_b64 s[30:31], s[2:3]
	s_cbranch_execz .LBB8_30
; %bb.27:
	v_mov_b32_e32 v11, 0x410
	v_lshl_add_u32 v13, v0, 2, v11
	v_mov_b32_e32 v11, 0
	s_mov_b64 s[34:35], 0
	v_mov_b32_e32 v14, v0
.LBB8_28:                               ; =>This Inner Loop Header: Depth=1
	ds_read_b32 v15, v13
	v_add_u32_e32 v14, 0x80, v14
	v_cmp_le_i32_e64 s[8:9], s15, v14
	s_or_b64 s[34:35], s[8:9], s[34:35]
	s_waitcnt lgkmcnt(0)
	v_sub_f32_e32 v15, v15, v12
	v_mul_f32_e32 v15, 0x3fb8aa3b, v15
	v_exp_f32_e32 v15, v15
	ds_write_b32 v13, v15
	v_add_f32_e32 v11, v11, v15
	v_add_u32_e32 v13, 0x200, v13
	s_andn2_b64 exec, exec, s[34:35]
	s_cbranch_execnz .LBB8_28
; %bb.29:
	s_or_b64 exec, exec, s[34:35]
.LBB8_30:
	s_or_b64 exec, exec, s[30:31]
	ds_bpermute_b32 v5, v5, v11
	s_waitcnt lgkmcnt(0)
	v_add_f32_e32 v5, v11, v5
	ds_bpermute_b32 v9, v9, v5
	s_waitcnt lgkmcnt(0)
	v_add_f32_e32 v5, v5, v9
	ds_bpermute_b32 v9, v10, v5
	v_xor_b32_e32 v10, 4, v2
	v_cmp_lt_i32_e64 s[8:9], v10, v3
	s_waitcnt lgkmcnt(0)
	v_add_f32_e32 v5, v5, v9
	v_cndmask_b32_e64 v10, v2, v10, s[8:9]
	v_lshlrev_b32_e32 v10, 2, v10
	ds_bpermute_b32 v9, v10, v5
	v_xor_b32_e32 v10, 2, v2
	v_cmp_lt_i32_e64 s[8:9], v10, v3
	s_waitcnt lgkmcnt(0)
	v_add_f32_e32 v5, v5, v9
	v_cndmask_b32_e64 v3, v2, v10, s[8:9]
	v_lshlrev_b32_e32 v3, 2, v3
	ds_bpermute_b32 v3, v3, v5
	s_waitcnt lgkmcnt(0)
	v_add_f32_e32 v3, v5, v3
	ds_bpermute_b32 v5, v52, v3
	s_waitcnt lgkmcnt(0)
	v_add_f32_e32 v3, v3, v5
	s_and_saveexec_b64 s[8:9], vcc
; %bb.31:
	ds_write_b32 v4, v3 offset:1032
; %bb.32:
	s_or_b64 exec, exec, s[8:9]
	s_waitcnt lgkmcnt(0)
	s_barrier
	s_and_saveexec_b64 s[8:9], s[0:1]
; %bb.33:
	ds_read_b32 v3, v8 offset:1032
; %bb.34:
	s_or_b64 exec, exec, s[8:9]
	s_waitcnt lgkmcnt(0)
	ds_bpermute_b32 v4, v52, v3
	v_lshlrev_b32_e32 v2, 2, v2
	v_and_b32_e32 v2, 0x100, v2
	s_waitcnt lgkmcnt(0)
	v_add_f32_e32 v3, v3, v4
	ds_bpermute_b32 v2, v2, v3
	s_and_saveexec_b64 s[0:1], s[2:3]
	s_cbranch_execz .LBB8_47
; %bb.35:
	s_waitcnt lgkmcnt(0)
	v_add_f32_e32 v2, 0x358637bd, v2
	v_div_scale_f32 v3, s[2:3], v2, v2, 1.0
	v_rcp_f32_e32 v4, v3
	v_div_scale_f32 v5, vcc, 1.0, v2, 1.0
	s_movk_i32 s2, 0x7f
	v_fma_f32 v8, -v3, v4, 1.0
	v_fmac_f32_e32 v4, v8, v4
	v_mul_f32_e32 v8, v5, v4
	v_fma_f32 v9, -v3, v8, v5
	v_fmac_f32_e32 v8, v9, v4
	v_fma_f32 v3, -v3, v8, v5
	v_div_fmas_f32 v3, v3, v4, v8
	v_xad_u32 v4, v0, -1, s15
	v_div_fixup_f32 v2, v3, v2, 1.0
	v_cmp_lt_u32_e32 vcc, s2, v4
	s_mov_b64 s[8:9], -1
	v_mov_b32_e32 v3, v0
	s_and_saveexec_b64 s[2:3], vcc
	s_cbranch_execz .LBB8_44
; %bb.36:
	v_lshrrev_b32_e32 v4, 7, v4
	v_add_u32_e32 v8, -1, v4
	v_lshrrev_b32_e32 v5, 1, v8
	v_mov_b32_e32 v3, v2
	v_add_u32_e32 v5, 1, v5
	v_cmp_lt_u32_e32 vcc, 13, v8
	v_mov_b32_e32 v10, 0
	s_and_saveexec_b64 s[8:9], vcc
	s_cbranch_execz .LBB8_40
; %bb.37:
	v_mov_b32_e32 v9, 0x410
	v_and_b32_e32 v8, -8, v5
	v_lshl_add_u32 v9, v0, 2, v9
	s_mov_b32 s34, 0
	s_mov_b64 s[30:31], 0
.LBB8_38:                               ; =>This Inner Loop Header: Depth=1
	ds_read2st64_b32 v[10:11], v9 offset1:2
	ds_read2st64_b32 v[12:13], v9 offset0:4 offset1:6
	ds_read2st64_b32 v[14:15], v9 offset0:8 offset1:10
	;; [unrolled: 1-line block ×3, first 2 shown]
	v_add_u32_e32 v8, -8, v8
	s_waitcnt lgkmcnt(3)
	v_pk_mul_f32 v[10:11], v[2:3], v[10:11]
	s_waitcnt lgkmcnt(2)
	v_pk_mul_f32 v[12:13], v[2:3], v[12:13]
	ds_write2st64_b32 v9, v10, v11 offset1:2
	ds_write2st64_b32 v9, v12, v13 offset0:4 offset1:6
	ds_read2st64_b32 v[12:13], v9 offset0:16 offset1:18
	s_waitcnt lgkmcnt(4)
	v_pk_mul_f32 v[10:11], v[2:3], v[14:15]
	ds_write2st64_b32 v9, v10, v11 offset0:8 offset1:10
	s_waitcnt lgkmcnt(4)
	v_pk_mul_f32 v[10:11], v[2:3], v[16:17]
	ds_write2st64_b32 v9, v10, v11 offset0:12 offset1:14
	ds_read2st64_b32 v[10:11], v9 offset0:20 offset1:22
	s_waitcnt lgkmcnt(3)
	v_pk_mul_f32 v[12:13], v[2:3], v[12:13]
	ds_read2st64_b32 v[14:15], v9 offset0:24 offset1:26
	ds_write2st64_b32 v9, v12, v13 offset0:16 offset1:18
	ds_read2st64_b32 v[12:13], v9 offset0:28 offset1:30
	s_waitcnt lgkmcnt(3)
	v_pk_mul_f32 v[10:11], v[2:3], v[10:11]
	ds_write2st64_b32 v9, v10, v11 offset0:20 offset1:22
	s_waitcnt lgkmcnt(3)
	v_pk_mul_f32 v[10:11], v[2:3], v[14:15]
	ds_write2st64_b32 v9, v10, v11 offset0:24 offset1:26
	s_waitcnt lgkmcnt(2)
	v_pk_mul_f32 v[10:11], v[2:3], v[12:13]
	s_add_i32 s34, s34, 16
	v_cmp_eq_u32_e32 vcc, 0, v8
	ds_write2st64_b32 v9, v10, v11 offset0:28 offset1:30
	v_add_u32_e32 v9, 0x2000, v9
	s_or_b64 s[30:31], vcc, s[30:31]
	v_mov_b32_e32 v10, s34
	s_andn2_b64 exec, exec, s[30:31]
	s_cbranch_execnz .LBB8_38
; %bb.39:
	s_or_b64 exec, exec, s[30:31]
.LBB8_40:
	s_or_b64 exec, exec, s[8:9]
	v_and_b32_e32 v5, 7, v5
	v_cmp_ne_u32_e32 vcc, 0, v5
	s_and_saveexec_b64 s[8:9], vcc
	s_cbranch_execz .LBB8_43
; %bb.41:
	v_lshlrev_b32_e32 v8, 9, v10
	s_movk_i32 s30, 0x410
	v_add3_u32 v8, v8, v6, s30
	s_mov_b64 s[30:31], 0
.LBB8_42:                               ; =>This Inner Loop Header: Depth=1
	ds_read2st64_b32 v[10:11], v8 offset1:2
	v_add_u32_e32 v5, -1, v5
	v_cmp_eq_u32_e32 vcc, 0, v5
	s_or_b64 s[30:31], vcc, s[30:31]
	s_waitcnt lgkmcnt(0)
	v_pk_mul_f32 v[10:11], v[2:3], v[10:11]
	ds_write2st64_b32 v8, v10, v11 offset1:2
	v_add_u32_e32 v8, 0x400, v8
	s_andn2_b64 exec, exec, s[30:31]
	s_cbranch_execnz .LBB8_42
.LBB8_43:
	s_or_b64 exec, exec, s[8:9]
	v_add_u32_e32 v4, 1, v4
	v_and_b32_e32 v5, 0x3fffffe, v4
	v_cmp_ne_u32_e32 vcc, v4, v5
	v_lshl_add_u32 v3, v5, 7, v0
	s_orn2_b64 s[8:9], vcc, exec
.LBB8_44:
	s_or_b64 exec, exec, s[2:3]
	s_and_b64 exec, exec, s[8:9]
	s_cbranch_execz .LBB8_47
; %bb.45:
	v_mov_b32_e32 v4, 0x410
	v_lshl_add_u32 v4, v3, 2, v4
	s_mov_b64 s[2:3], 0
.LBB8_46:                               ; =>This Inner Loop Header: Depth=1
	ds_read_b32 v5, v4
	v_add_u32_e32 v3, 0x80, v3
	v_cmp_le_i32_e32 vcc, s15, v3
	s_or_b64 s[2:3], vcc, s[2:3]
	s_waitcnt lgkmcnt(0)
	v_mul_f32_e32 v5, v2, v5
	ds_write_b32 v4, v5
	v_add_u32_e32 v4, 0x200, v4
	s_andn2_b64 exec, exec, s[2:3]
	s_cbranch_execnz .LBB8_46
.LBB8_47:
	s_or_b64 exec, exec, s[0:1]
	v_mov_b32_e32 v39, 0
	v_and_b32_e32 v53, 1, v0
	v_mov_b32_e32 v38, v39
	v_mov_b32_e32 v43, v39
	;; [unrolled: 1-line block ×7, first 2 shown]
	s_waitcnt lgkmcnt(0)
	s_barrier
	s_and_saveexec_b64 s[2:3], s[6:7]
	s_cbranch_execz .LBB8_69
; %bb.48:
	s_ashr_i32 s15, s14, 31
	s_sub_i32 s17, s12, s17
	s_lshl_b64 s[0:1], s[14:15], 2
	s_add_u32 s0, s28, s0
	s_addc_u32 s1, s29, s1
	s_abs_i32 s14, s18
	v_cvt_f32_u32_e32 v2, s14
	v_lshlrev_b32_e32 v3, 4, v0
	v_and_b32_e32 v40, 0x3f0, v3
	v_mov_b32_e32 v41, 0
	v_rcp_iflag_f32_e32 v2, v2
	v_lshl_add_u64 v[46:47], s[0:1], 0, v[40:41]
	s_sub_i32 s0, 0, s14
	s_add_i32 s18, s16, -1
	v_mul_f32_e32 v2, 0x4f7ffffe, v2
	v_cvt_u32_f32_e32 v2, v2
	v_and_b32_e32 v40, 60, v7
	v_and_b32_e32 v54, 4, v6
	s_mov_b32 s15, s13
	v_mul_lo_u32 v3, s0, v2
	v_mul_hi_u32 v3, v2, v3
	s_lshl_b64 s[0:1], s[26:27], 2
	v_add_u32_e32 v55, v2, v3
	s_add_u32 s0, s24, s0
	v_lshlrev_b32_e32 v2, 4, v53
	s_addc_u32 s1, s25, s1
	v_lshl_or_b32 v2, v1, 5, v2
	s_mov_b32 s28, s33
	v_lshl_add_u64 v[48:49], s[0:1], 0, v[40:41]
	v_add_u32_e32 v56, 0x410, v2
	s_mov_b64 s[6:7], 0
	v_mov_b32_e32 v40, v41
	v_mov_b32_e32 v44, v41
	;; [unrolled: 1-line block ×7, first 2 shown]
	s_branch .LBB8_51
.LBB8_49:                               ;   in Loop: Header=BB8_51 Depth=1
	s_or_b64 exec, exec, s[12:13]
	s_waitcnt vmcnt(1) lgkmcnt(0)
	v_mul_f32_e32 v34, v2, v34
	v_mul_f32_e32 v26, v2, v26
	;; [unrolled: 1-line block ×7, first 2 shown]
	v_fmac_f32_e32 v34, v3, v35
	v_fmac_f32_e32 v26, v3, v27
	;; [unrolled: 1-line block ×14, first 2 shown]
	s_waitcnt vmcnt(0)
	v_pk_mul_f32 v[2:3], v[2:3], v[30:31]
	v_fmac_f32_e32 v34, v5, v37
	v_fmac_f32_e32 v26, v5, v29
	;; [unrolled: 1-line block ×7, first 2 shown]
	v_pk_mul_f32 v[4:5], v[4:5], v[32:33]
	v_add_f32_e32 v2, v3, v2
	v_add_f32_e32 v2, v4, v2
	;; [unrolled: 1-line block ×11, first 2 shown]
.LBB8_50:                               ;   in Loop: Header=BB8_51 Depth=1
	s_or_b64 exec, exec, s[8:9]
	v_add_u32_e32 v1, 2, v1
	v_cmp_le_i32_e32 vcc, s16, v1
	v_lshl_add_u64 v[48:49], v[48:49], 0, 8
	v_add_u32_e32 v50, 16, v50
	s_or_b64 s[6:7], vcc, s[6:7]
	v_add_u32_e32 v56, 64, v56
	s_andn2_b64 exec, exec, s[6:7]
	s_cbranch_execz .LBB8_68
.LBB8_51:                               ; =>This Inner Loop Header: Depth=1
	v_mul_hi_u32 v2, v50, s40
	v_mul_lo_u32 v3, v2, s21
	v_sub_u32_e32 v3, v50, v3
	v_add_u32_e32 v4, 1, v2
	v_cmp_le_u32_e32 vcc, s21, v3
	s_nop 1
	v_cndmask_b32_e32 v2, v2, v4, vcc
	v_subrev_u32_e32 v4, s21, v3
	v_cndmask_b32_e32 v3, v3, v4, vcc
	v_add_u32_e32 v4, 1, v2
	v_cmp_le_u32_e32 vcc, s21, v3
	s_nop 1
	v_cndmask_b32_e32 v2, v2, v4, vcc
	v_xor_b32_e32 v2, s19, v2
	v_subrev_u32_e32 v2, s19, v2
	v_add_u32_e32 v3, s41, v2
	v_sub_u32_e32 v5, 0, v3
	v_ashrrev_i32_e32 v4, 31, v3
	v_max_i32_e32 v3, v3, v5
	v_mul_hi_u32 v5, v3, v55
	v_mul_lo_u32 v5, v5, s14
	v_sub_u32_e32 v3, v3, v5
	v_subrev_u32_e32 v5, s14, v3
	v_cmp_le_u32_e32 vcc, s14, v3
	v_cmp_lt_i32_e64 s[0:1], s17, v2
	s_nop 0
	v_cndmask_b32_e32 v3, v3, v5, vcc
	v_subrev_u32_e32 v5, s14, v3
	v_cmp_le_u32_e32 vcc, s14, v3
	s_nop 1
	v_cndmask_b32_e32 v3, v3, v5, vcc
	v_xor_b32_e32 v3, v3, v4
	v_sub_u32_e32 v3, v3, v4
	v_cmp_eq_u32_e32 vcc, 0, v3
	s_or_b64 s[0:1], vcc, s[0:1]
	s_and_saveexec_b64 s[8:9], s[0:1]
	s_cbranch_execz .LBB8_50
; %bb.52:                               ;   in Loop: Header=BB8_51 Depth=1
	global_load_dword v2, v[48:49], off
	v_add_u32_e32 v57, v54, v50
	v_add_u32_e32 v60, 1, v57
	v_or_b32_e32 v59, 3, v57
	v_or_b32_e32 v58, 2, v57
	s_waitcnt vmcnt(0)
	v_mad_i64_i32 v[2:3], s[0:1], v2, s15, 0
	v_lshl_add_u64 v[30:31], v[2:3], 2, v[46:47]
	global_load_dwordx4 v[6:9], v[30:31], off
	ds_read_b128 v[2:5], v56
	v_cmp_eq_u32_e64 s[0:1], s18, v1
	s_and_saveexec_b64 s[12:13], s[0:1]
	s_cbranch_execnz .LBB8_65
; %bb.53:                               ;   in Loop: Header=BB8_51 Depth=1
	s_or_b64 exec, exec, s[12:13]
	global_load_dwordx4 v[10:13], v[30:31], off offset:1024
	s_and_saveexec_b64 s[12:13], s[0:1]
	s_cbranch_execnz .LBB8_66
.LBB8_54:                               ;   in Loop: Header=BB8_51 Depth=1
	s_or_b64 exec, exec, s[12:13]
	global_load_dwordx4 v[14:17], v[30:31], off offset:2048
	s_and_saveexec_b64 s[12:13], s[0:1]
	s_cbranch_execnz .LBB8_67
.LBB8_55:                               ;   in Loop: Header=BB8_51 Depth=1
	s_or_b64 exec, exec, s[12:13]
	global_load_dwordx4 v[18:21], v[30:31], off offset:3072
	s_and_saveexec_b64 s[12:13], s[0:1]
	s_cbranch_execz .LBB8_57
.LBB8_56:                               ;   in Loop: Header=BB8_51 Depth=1
	v_cmp_gt_i32_e32 vcc, s28, v60
	s_waitcnt vmcnt(0)
	s_nop 0
	v_cndmask_b32_e32 v19, 0, v19, vcc
	v_cmp_gt_i32_e32 vcc, s33, v57
	s_nop 1
	v_cndmask_b32_e32 v18, 0, v18, vcc
	v_cmp_gt_i32_e32 vcc, s28, v59
	;; [unrolled: 3-line block ×3, first 2 shown]
	s_nop 1
	v_cndmask_b32_e32 v20, 0, v20, vcc
.LBB8_57:                               ;   in Loop: Header=BB8_51 Depth=1
	s_or_b64 exec, exec, s[12:13]
	v_add_co_u32_e32 v22, vcc, 0x1000, v30
	s_nop 1
	v_addc_co_u32_e32 v23, vcc, 0, v31, vcc
	global_load_dwordx4 v[22:25], v[22:23], off
	s_and_saveexec_b64 s[12:13], s[0:1]
	s_cbranch_execz .LBB8_59
; %bb.58:                               ;   in Loop: Header=BB8_51 Depth=1
	v_cmp_gt_i32_e32 vcc, s28, v60
	s_waitcnt vmcnt(0)
	s_nop 0
	v_cndmask_b32_e32 v23, 0, v23, vcc
	v_cmp_gt_i32_e32 vcc, s33, v57
	s_nop 1
	v_cndmask_b32_e32 v22, 0, v22, vcc
	v_cmp_gt_i32_e32 vcc, s28, v59
	s_nop 1
	v_cndmask_b32_e32 v25, 0, v25, vcc
	v_cmp_gt_i32_e32 vcc, s33, v58
	s_nop 1
	v_cndmask_b32_e32 v24, 0, v24, vcc
.LBB8_59:                               ;   in Loop: Header=BB8_51 Depth=1
	s_or_b64 exec, exec, s[12:13]
	v_add_co_u32_e32 v26, vcc, 0x1000, v30
	s_nop 1
	v_addc_co_u32_e32 v27, vcc, 0, v31, vcc
	global_load_dwordx4 v[26:29], v[26:27], off offset:1024
	s_and_saveexec_b64 s[12:13], s[0:1]
	s_cbranch_execz .LBB8_61
; %bb.60:                               ;   in Loop: Header=BB8_51 Depth=1
	v_cmp_gt_i32_e32 vcc, s28, v60
	s_waitcnt vmcnt(0)
	s_nop 0
	v_cndmask_b32_e32 v27, 0, v27, vcc
	v_cmp_gt_i32_e32 vcc, s33, v57
	s_nop 1
	v_cndmask_b32_e32 v26, 0, v26, vcc
	v_cmp_gt_i32_e32 vcc, s28, v59
	s_nop 1
	v_cndmask_b32_e32 v29, 0, v29, vcc
	v_cmp_gt_i32_e32 vcc, s33, v58
	s_nop 1
	v_cndmask_b32_e32 v28, 0, v28, vcc
.LBB8_61:                               ;   in Loop: Header=BB8_51 Depth=1
	s_or_b64 exec, exec, s[12:13]
	v_add_co_u32_e32 v32, vcc, 0x1000, v30
	s_nop 1
	v_addc_co_u32_e32 v33, vcc, 0, v31, vcc
	global_load_dwordx4 v[34:37], v[32:33], off offset:2048
	s_and_saveexec_b64 s[12:13], s[0:1]
	s_cbranch_execz .LBB8_63
; %bb.62:                               ;   in Loop: Header=BB8_51 Depth=1
	v_cmp_gt_i32_e32 vcc, s28, v60
	s_waitcnt vmcnt(0)
	s_nop 0
	v_cndmask_b32_e32 v35, 0, v35, vcc
	v_cmp_gt_i32_e32 vcc, s33, v57
	s_nop 1
	v_cndmask_b32_e32 v34, 0, v34, vcc
	v_cmp_gt_i32_e32 vcc, s28, v59
	s_nop 1
	v_cndmask_b32_e32 v37, 0, v37, vcc
	v_cmp_gt_i32_e32 vcc, s33, v58
	s_nop 1
	v_cndmask_b32_e32 v36, 0, v36, vcc
.LBB8_63:                               ;   in Loop: Header=BB8_51 Depth=1
	s_or_b64 exec, exec, s[12:13]
	v_add_co_u32_e32 v30, vcc, 0x1000, v30
	s_nop 1
	v_addc_co_u32_e32 v31, vcc, 0, v31, vcc
	global_load_dwordx4 v[30:33], v[30:31], off offset:3072
	s_and_saveexec_b64 s[12:13], s[0:1]
	s_cbranch_execz .LBB8_49
; %bb.64:                               ;   in Loop: Header=BB8_51 Depth=1
	v_cmp_gt_i32_e32 vcc, s28, v60
	s_waitcnt vmcnt(0)
	s_nop 0
	v_cndmask_b32_e32 v31, 0, v31, vcc
	v_cmp_gt_i32_e32 vcc, s33, v57
	s_nop 1
	v_cndmask_b32_e32 v30, 0, v30, vcc
	v_cmp_gt_i32_e32 vcc, s28, v59
	;; [unrolled: 3-line block ×3, first 2 shown]
	s_nop 1
	v_cndmask_b32_e32 v32, 0, v32, vcc
	s_branch .LBB8_49
.LBB8_65:                               ;   in Loop: Header=BB8_51 Depth=1
	v_cmp_gt_i32_e32 vcc, s28, v60
	s_waitcnt vmcnt(0)
	s_nop 0
	v_cndmask_b32_e32 v7, 0, v7, vcc
	v_cmp_gt_i32_e32 vcc, s33, v57
	s_nop 1
	v_cndmask_b32_e32 v6, 0, v6, vcc
	v_cmp_gt_i32_e32 vcc, s28, v59
	;; [unrolled: 3-line block ×3, first 2 shown]
	s_nop 1
	v_cndmask_b32_e32 v8, 0, v8, vcc
	s_or_b64 exec, exec, s[12:13]
	global_load_dwordx4 v[10:13], v[30:31], off offset:1024
	s_and_saveexec_b64 s[12:13], s[0:1]
	s_cbranch_execz .LBB8_54
.LBB8_66:                               ;   in Loop: Header=BB8_51 Depth=1
	v_cmp_gt_i32_e32 vcc, s28, v60
	s_waitcnt vmcnt(0)
	s_nop 0
	v_cndmask_b32_e32 v11, 0, v11, vcc
	v_cmp_gt_i32_e32 vcc, s33, v57
	s_nop 1
	v_cndmask_b32_e32 v10, 0, v10, vcc
	v_cmp_gt_i32_e32 vcc, s28, v59
	;; [unrolled: 3-line block ×3, first 2 shown]
	s_nop 1
	v_cndmask_b32_e32 v12, 0, v12, vcc
	s_or_b64 exec, exec, s[12:13]
	global_load_dwordx4 v[14:17], v[30:31], off offset:2048
	s_and_saveexec_b64 s[12:13], s[0:1]
	s_cbranch_execz .LBB8_55
.LBB8_67:                               ;   in Loop: Header=BB8_51 Depth=1
	v_cmp_gt_i32_e32 vcc, s28, v60
	s_waitcnt vmcnt(0)
	s_nop 0
	v_cndmask_b32_e32 v15, 0, v15, vcc
	v_cmp_gt_i32_e32 vcc, s33, v57
	s_nop 1
	v_cndmask_b32_e32 v14, 0, v14, vcc
	v_cmp_gt_i32_e32 vcc, s28, v59
	;; [unrolled: 3-line block ×3, first 2 shown]
	s_nop 1
	v_cndmask_b32_e32 v16, 0, v16, vcc
	s_or_b64 exec, exec, s[12:13]
	global_load_dwordx4 v[18:21], v[30:31], off offset:3072
	s_and_saveexec_b64 s[12:13], s[0:1]
	s_cbranch_execnz .LBB8_56
	s_branch .LBB8_57
.LBB8_68:
	s_or_b64 exec, exec, s[6:7]
.LBB8_69:
	s_or_b64 exec, exec, s[2:3]
	ds_bpermute_b32 v2, v52, v40
	ds_bpermute_b32 v3, v52, v41
	;; [unrolled: 1-line block ×6, first 2 shown]
	s_waitcnt lgkmcnt(4)
	v_pk_add_f32 v[4:5], v[40:41], v[2:3]
	v_and_b32_e32 v1, 0x3c1, v0
	s_waitcnt lgkmcnt(2)
	v_pk_add_f32 v[2:3], v[44:45], v[6:7]
	v_cmp_ne_u32_e32 vcc, 64, v1
	s_waitcnt lgkmcnt(0)
	v_pk_add_f32 v[6:7], v[42:43], v[8:9]
	ds_bpermute_b32 v8, v52, v38
	ds_bpermute_b32 v9, v52, v39
	s_waitcnt lgkmcnt(0)
	s_barrier
	s_and_saveexec_b64 s[0:1], vcc
	s_xor_b64 s[0:1], exec, s[0:1]
; %bb.70:
                                        ; implicit-def: $vgpr51
; %bb.71:
	s_or_saveexec_b64 s[0:1], s[0:1]
	v_pk_add_f32 v[8:9], v[38:39], v[8:9]
	s_xor_b64 exec, exec, s[0:1]
	s_cbranch_execz .LBB8_73
; %bb.72:
	v_mov_b32_e32 v10, 0x410
	v_lshl_add_u32 v10, v51, 1, v10
	ds_write2_b32 v10, v4, v5 offset1:32
	ds_write2_b32 v10, v2, v3 offset0:64 offset1:96
	ds_write2_b32 v10, v6, v7 offset0:128 offset1:160
	;; [unrolled: 1-line block ×3, first 2 shown]
.LBB8_73:
	s_or_b64 exec, exec, s[0:1]
	v_cmp_gt_u32_e32 vcc, 64, v0
	v_lshrrev_b32_e32 v0, 1, v0
	s_waitcnt lgkmcnt(0)
	s_barrier
	s_and_saveexec_b64 s[0:1], vcc
	s_cbranch_execz .LBB8_84
; %bb.74:
	v_mov_b32_e32 v10, 0x410
	v_cmp_eq_u32_e32 vcc, 0, v53
	v_lshl_add_u32 v10, v0, 2, v10
	s_and_saveexec_b64 s[2:3], vcc
	s_cbranch_execnz .LBB8_87
; %bb.75:
	s_or_b64 exec, exec, s[2:3]
	s_and_saveexec_b64 s[2:3], vcc
	s_cbranch_execnz .LBB8_88
.LBB8_76:
	s_or_b64 exec, exec, s[2:3]
	s_and_saveexec_b64 s[2:3], vcc
	s_cbranch_execnz .LBB8_89
.LBB8_77:
	s_or_b64 exec, exec, s[2:3]
	s_and_saveexec_b64 s[2:3], vcc
	s_cbranch_execnz .LBB8_90
.LBB8_78:
	s_or_b64 exec, exec, s[2:3]
	s_and_saveexec_b64 s[2:3], vcc
	s_cbranch_execnz .LBB8_91
.LBB8_79:
	s_or_b64 exec, exec, s[2:3]
	s_and_saveexec_b64 s[2:3], vcc
	s_cbranch_execnz .LBB8_92
.LBB8_80:
	s_or_b64 exec, exec, s[2:3]
	s_and_saveexec_b64 s[2:3], vcc
	s_cbranch_execnz .LBB8_93
.LBB8_81:
	s_or_b64 exec, exec, s[2:3]
	s_and_saveexec_b64 s[2:3], vcc
	s_cbranch_execz .LBB8_83
.LBB8_82:
	ds_read_b32 v10, v10 offset:896
	s_waitcnt lgkmcnt(0)
	v_add_f32_e32 v9, v9, v10
.LBB8_83:
	s_or_b64 exec, exec, s[2:3]
.LBB8_84:
	s_or_b64 exec, exec, s[0:1]
	v_cmp_eq_u32_e32 vcc, 0, v1
	s_barrier
	s_and_saveexec_b64 s[0:1], vcc
	s_cbranch_execz .LBB8_86
; %bb.85:
	s_mul_i32 s0, s10, s11
	s_mul_i32 s0, s0, s5
	s_lshl_b32 s0, s0, 8
	s_ashr_i32 s1, s0, 31
	s_lshl_b64 s[0:1], s[0:1], 2
	s_add_u32 s2, s22, s0
	s_mul_i32 s0, s11, s20
	s_addc_u32 s3, s23, s1
	s_ashr_i32 s1, s0, 31
	s_lshl_b64 s[0:1], s[0:1], 2
	s_add_u32 s2, s2, s0
	s_addc_u32 s3, s3, s1
	s_lshl_b32 s0, s4, 8
	s_ashr_i32 s1, s0, 31
	s_lshl_b64 s[0:1], s[0:1], 2
	s_add_u32 s0, s2, s0
	s_addc_u32 s1, s3, s1
	v_lshlrev_b32_e32 v0, 2, v0
	global_store_dword v0, v4, s[0:1]
	global_store_dword v0, v5, s[0:1] offset:128
	global_store_dword v0, v2, s[0:1] offset:256
	;; [unrolled: 1-line block ×7, first 2 shown]
.LBB8_86:
	s_endpgm
.LBB8_87:
	ds_read_b32 v11, v10
	s_waitcnt lgkmcnt(0)
	v_add_f32_e32 v4, v4, v11
	s_or_b64 exec, exec, s[2:3]
	s_and_saveexec_b64 s[2:3], vcc
	s_cbranch_execz .LBB8_76
.LBB8_88:
	ds_read_b32 v11, v10 offset:128
	s_waitcnt lgkmcnt(0)
	v_add_f32_e32 v5, v5, v11
	s_or_b64 exec, exec, s[2:3]
	s_and_saveexec_b64 s[2:3], vcc
	s_cbranch_execz .LBB8_77
.LBB8_89:
	ds_read_b32 v11, v10 offset:256
	s_waitcnt lgkmcnt(0)
	v_add_f32_e32 v2, v2, v11
	s_or_b64 exec, exec, s[2:3]
	s_and_saveexec_b64 s[2:3], vcc
	s_cbranch_execz .LBB8_78
.LBB8_90:
	ds_read_b32 v11, v10 offset:384
	s_waitcnt lgkmcnt(0)
	v_add_f32_e32 v3, v3, v11
	s_or_b64 exec, exec, s[2:3]
	s_and_saveexec_b64 s[2:3], vcc
	s_cbranch_execz .LBB8_79
.LBB8_91:
	ds_read_b32 v11, v10 offset:512
	s_waitcnt lgkmcnt(0)
	v_add_f32_e32 v6, v6, v11
	s_or_b64 exec, exec, s[2:3]
	s_and_saveexec_b64 s[2:3], vcc
	s_cbranch_execz .LBB8_80
.LBB8_92:
	ds_read_b32 v11, v10 offset:640
	s_waitcnt lgkmcnt(0)
	v_add_f32_e32 v7, v7, v11
	s_or_b64 exec, exec, s[2:3]
	s_and_saveexec_b64 s[2:3], vcc
	s_cbranch_execz .LBB8_81
.LBB8_93:
	ds_read_b32 v11, v10 offset:768
	s_waitcnt lgkmcnt(0)
	v_add_f32_e32 v8, v8, v11
	s_or_b64 exec, exec, s[2:3]
	s_and_saveexec_b64 s[2:3], vcc
	s_cbranch_execnz .LBB8_82
	s_branch .LBB8_83
	.section	.rodata,"a",@progbits
	.p2align	6, 0x0
	.amdhsa_kernel _ZN4vllm25paged_attention_v1_kernelIffLi256ELi8ELi128ELNS_18Fp8KVCacheDataTypeE0ELb1EEEvPT_PKS2_PKT0_S8_ifPKiSA_iPKfiiiSC_SC_iiiii
		.amdhsa_group_segment_fixed_size 1040
		.amdhsa_private_segment_fixed_size 0
		.amdhsa_kernarg_size 384
		.amdhsa_user_sgpr_count 2
		.amdhsa_user_sgpr_dispatch_ptr 0
		.amdhsa_user_sgpr_queue_ptr 0
		.amdhsa_user_sgpr_kernarg_segment_ptr 1
		.amdhsa_user_sgpr_dispatch_id 0
		.amdhsa_user_sgpr_kernarg_preload_length 0
		.amdhsa_user_sgpr_kernarg_preload_offset 0
		.amdhsa_user_sgpr_private_segment_size 0
		.amdhsa_uses_dynamic_stack 0
		.amdhsa_enable_private_segment 0
		.amdhsa_system_sgpr_workgroup_id_x 1
		.amdhsa_system_sgpr_workgroup_id_y 1
		.amdhsa_system_sgpr_workgroup_id_z 1
		.amdhsa_system_sgpr_workgroup_info 0
		.amdhsa_system_vgpr_workitem_id 0
		.amdhsa_next_free_vgpr 89
		.amdhsa_next_free_sgpr 45
		.amdhsa_accum_offset 92
		.amdhsa_reserve_vcc 1
		.amdhsa_float_round_mode_32 0
		.amdhsa_float_round_mode_16_64 0
		.amdhsa_float_denorm_mode_32 3
		.amdhsa_float_denorm_mode_16_64 3
		.amdhsa_dx10_clamp 1
		.amdhsa_ieee_mode 1
		.amdhsa_fp16_overflow 0
		.amdhsa_tg_split 0
		.amdhsa_exception_fp_ieee_invalid_op 0
		.amdhsa_exception_fp_denorm_src 0
		.amdhsa_exception_fp_ieee_div_zero 0
		.amdhsa_exception_fp_ieee_overflow 0
		.amdhsa_exception_fp_ieee_underflow 0
		.amdhsa_exception_fp_ieee_inexact 0
		.amdhsa_exception_int_div_zero 0
	.end_amdhsa_kernel
	.section	.text._ZN4vllm25paged_attention_v1_kernelIffLi256ELi8ELi128ELNS_18Fp8KVCacheDataTypeE0ELb1EEEvPT_PKS2_PKT0_S8_ifPKiSA_iPKfiiiSC_SC_iiiii,"axG",@progbits,_ZN4vllm25paged_attention_v1_kernelIffLi256ELi8ELi128ELNS_18Fp8KVCacheDataTypeE0ELb1EEEvPT_PKS2_PKT0_S8_ifPKiSA_iPKfiiiSC_SC_iiiii,comdat
.Lfunc_end8:
	.size	_ZN4vllm25paged_attention_v1_kernelIffLi256ELi8ELi128ELNS_18Fp8KVCacheDataTypeE0ELb1EEEvPT_PKS2_PKT0_S8_ifPKiSA_iPKfiiiSC_SC_iiiii, .Lfunc_end8-_ZN4vllm25paged_attention_v1_kernelIffLi256ELi8ELi128ELNS_18Fp8KVCacheDataTypeE0ELb1EEEvPT_PKS2_PKT0_S8_ifPKiSA_iPKfiiiSC_SC_iiiii
                                        ; -- End function
	.set _ZN4vllm25paged_attention_v1_kernelIffLi256ELi8ELi128ELNS_18Fp8KVCacheDataTypeE0ELb1EEEvPT_PKS2_PKT0_S8_ifPKiSA_iPKfiiiSC_SC_iiiii.num_vgpr, 89
	.set _ZN4vllm25paged_attention_v1_kernelIffLi256ELi8ELi128ELNS_18Fp8KVCacheDataTypeE0ELb1EEEvPT_PKS2_PKT0_S8_ifPKiSA_iPKfiiiSC_SC_iiiii.num_agpr, 0
	.set _ZN4vllm25paged_attention_v1_kernelIffLi256ELi8ELi128ELNS_18Fp8KVCacheDataTypeE0ELb1EEEvPT_PKS2_PKT0_S8_ifPKiSA_iPKfiiiSC_SC_iiiii.numbered_sgpr, 45
	.set _ZN4vllm25paged_attention_v1_kernelIffLi256ELi8ELi128ELNS_18Fp8KVCacheDataTypeE0ELb1EEEvPT_PKS2_PKT0_S8_ifPKiSA_iPKfiiiSC_SC_iiiii.num_named_barrier, 0
	.set _ZN4vllm25paged_attention_v1_kernelIffLi256ELi8ELi128ELNS_18Fp8KVCacheDataTypeE0ELb1EEEvPT_PKS2_PKT0_S8_ifPKiSA_iPKfiiiSC_SC_iiiii.private_seg_size, 0
	.set _ZN4vllm25paged_attention_v1_kernelIffLi256ELi8ELi128ELNS_18Fp8KVCacheDataTypeE0ELb1EEEvPT_PKS2_PKT0_S8_ifPKiSA_iPKfiiiSC_SC_iiiii.uses_vcc, 1
	.set _ZN4vllm25paged_attention_v1_kernelIffLi256ELi8ELi128ELNS_18Fp8KVCacheDataTypeE0ELb1EEEvPT_PKS2_PKT0_S8_ifPKiSA_iPKfiiiSC_SC_iiiii.uses_flat_scratch, 0
	.set _ZN4vllm25paged_attention_v1_kernelIffLi256ELi8ELi128ELNS_18Fp8KVCacheDataTypeE0ELb1EEEvPT_PKS2_PKT0_S8_ifPKiSA_iPKfiiiSC_SC_iiiii.has_dyn_sized_stack, 0
	.set _ZN4vllm25paged_attention_v1_kernelIffLi256ELi8ELi128ELNS_18Fp8KVCacheDataTypeE0ELb1EEEvPT_PKS2_PKT0_S8_ifPKiSA_iPKfiiiSC_SC_iiiii.has_recursion, 0
	.set _ZN4vllm25paged_attention_v1_kernelIffLi256ELi8ELi128ELNS_18Fp8KVCacheDataTypeE0ELb1EEEvPT_PKS2_PKT0_S8_ifPKiSA_iPKfiiiSC_SC_iiiii.has_indirect_call, 0
	.section	.AMDGPU.csdata,"",@progbits
; Kernel info:
; codeLenInByte = 5632
; TotalNumSgprs: 51
; NumVgprs: 89
; NumAgprs: 0
; TotalNumVgprs: 89
; ScratchSize: 0
; MemoryBound: 0
; FloatMode: 240
; IeeeMode: 1
; LDSByteSize: 1040 bytes/workgroup (compile time only)
; SGPRBlocks: 6
; VGPRBlocks: 11
; NumSGPRsForWavesPerEU: 51
; NumVGPRsForWavesPerEU: 89
; AccumOffset: 92
; Occupancy: 5
; WaveLimiterHint : 1
; COMPUTE_PGM_RSRC2:SCRATCH_EN: 0
; COMPUTE_PGM_RSRC2:USER_SGPR: 2
; COMPUTE_PGM_RSRC2:TRAP_HANDLER: 0
; COMPUTE_PGM_RSRC2:TGID_X_EN: 1
; COMPUTE_PGM_RSRC2:TGID_Y_EN: 1
; COMPUTE_PGM_RSRC2:TGID_Z_EN: 1
; COMPUTE_PGM_RSRC2:TIDIG_COMP_CNT: 0
; COMPUTE_PGM_RSRC3_GFX90A:ACCUM_OFFSET: 22
; COMPUTE_PGM_RSRC3_GFX90A:TG_SPLIT: 0
	.section	.text._ZN4vllm25paged_attention_v1_kernelIffLi32ELi8ELi128ELNS_18Fp8KVCacheDataTypeE0ELb0EEEvPT_PKS2_PKT0_S8_ifPKiSA_iPKfiiiSC_SC_iiiii,"axG",@progbits,_ZN4vllm25paged_attention_v1_kernelIffLi32ELi8ELi128ELNS_18Fp8KVCacheDataTypeE0ELb0EEEvPT_PKS2_PKT0_S8_ifPKiSA_iPKfiiiSC_SC_iiiii,comdat
	.protected	_ZN4vllm25paged_attention_v1_kernelIffLi32ELi8ELi128ELNS_18Fp8KVCacheDataTypeE0ELb0EEEvPT_PKS2_PKT0_S8_ifPKiSA_iPKfiiiSC_SC_iiiii ; -- Begin function _ZN4vllm25paged_attention_v1_kernelIffLi32ELi8ELi128ELNS_18Fp8KVCacheDataTypeE0ELb0EEEvPT_PKS2_PKT0_S8_ifPKiSA_iPKfiiiSC_SC_iiiii
	.globl	_ZN4vllm25paged_attention_v1_kernelIffLi32ELi8ELi128ELNS_18Fp8KVCacheDataTypeE0ELb0EEEvPT_PKS2_PKT0_S8_ifPKiSA_iPKfiiiSC_SC_iiiii
	.p2align	8
	.type	_ZN4vllm25paged_attention_v1_kernelIffLi32ELi8ELi128ELNS_18Fp8KVCacheDataTypeE0ELb0EEEvPT_PKS2_PKT0_S8_ifPKiSA_iPKfiiiSC_SC_iiiii,@function
_ZN4vllm25paged_attention_v1_kernelIffLi32ELi8ELi128ELNS_18Fp8KVCacheDataTypeE0ELb0EEEvPT_PKS2_PKT0_S8_ifPKiSA_iPKfiiiSC_SC_iiiii: ; @_ZN4vllm25paged_attention_v1_kernelIffLi32ELi8ELi128ELNS_18Fp8KVCacheDataTypeE0ELb0EEEvPT_PKS2_PKT0_S8_ifPKiSA_iPKfiiiSC_SC_iiiii
; %bb.0:
	s_load_dword s5, s[0:1], 0x80
	s_load_dwordx2 s[6:7], s[0:1], 0x30
	s_load_dwordx2 s[8:9], s[0:1], 0x20
	s_mov_b32 s10, s3
	s_ashr_i32 s11, s3, 31
	s_lshl_b64 s[12:13], s[10:11], 2
	s_waitcnt lgkmcnt(0)
	s_add_u32 s6, s6, s12
	s_addc_u32 s7, s7, s13
	s_abs_i32 s3, s8
	v_cvt_f32_u32_e32 v1, s3
	s_sub_i32 s12, 0, s3
	s_abs_i32 s11, s5
	s_xor_b32 s8, s5, s8
	v_rcp_iflag_f32_e32 v1, v1
	s_ashr_i32 s8, s8, 31
	v_mul_f32_e32 v1, 0x4f7ffffe, v1
	v_cvt_u32_f32_e32 v1, v1
	s_nop 0
	v_readfirstlane_b32 s13, v1
	s_mul_i32 s12, s12, s13
	s_mul_hi_u32 s12, s13, s12
	s_add_i32 s13, s13, s12
	s_mul_hi_u32 s12, s11, s13
	s_mul_i32 s13, s12, s3
	s_sub_i32 s11, s11, s13
	s_add_i32 s13, s12, 1
	s_sub_i32 s14, s11, s3
	s_cmp_ge_u32 s11, s3
	s_cselect_b32 s12, s13, s12
	s_cselect_b32 s11, s14, s11
	s_add_i32 s13, s12, 1
	s_cmp_ge_u32 s11, s3
	s_cselect_b32 s3, s13, s12
	s_xor_b32 s3, s3, s8
	s_sub_i32 s14, s3, s8
	s_abs_i32 s18, s14
	v_cvt_f32_u32_e32 v1, s18
	s_load_dwordx2 s[12:13], s[0:1], 0x40
	s_sub_i32 s3, 0, s18
	s_abs_i32 s19, s2
	v_rcp_iflag_f32_e32 v1, v1
	s_mov_b32 s8, 0
	v_mul_f32_e32 v1, 0x4f7ffffe, v1
	v_cvt_u32_f32_e32 v1, v1
	s_nop 0
	v_readfirstlane_b32 s11, v1
	s_mul_i32 s3, s3, s11
	s_mul_hi_u32 s3, s11, s3
	s_add_i32 s11, s11, s3
	s_waitcnt lgkmcnt(0)
	s_cmp_eq_u64 s[12:13], 0
	s_mul_hi_u32 s22, s19, s11
	s_cbranch_scc1 .LBB9_2
; %bb.1:
	s_ashr_i32 s3, s2, 31
	s_lshl_b64 s[16:17], s[2:3], 2
	s_add_u32 s12, s12, s16
	s_addc_u32 s13, s13, s17
	s_load_dword s8, s[12:13], 0x0
.LBB9_2:
	s_load_dword s11, s[6:7], 0x0
	s_ashr_i32 s7, s14, 31
	s_load_dwordx4 s[12:15], s[0:1], 0x48
	s_ashr_i32 s6, s2, 31
	v_and_b32_e32 v6, 7, v0
	s_lshl_b32 s16, s2, 5
	v_cmp_gt_u32_e32 vcc, 32, v0
	v_lshlrev_b32_e32 v10, 2, v0
	v_lshrrev_b32_e32 v1, 1, v0
	s_and_saveexec_b64 s[2:3], vcc
	s_cbranch_execz .LBB9_4
; %bb.3:
	s_load_dwordx2 s[20:21], s[0:1], 0x8
	s_waitcnt lgkmcnt(0)
	s_mul_i32 s24, s12, s10
	s_ashr_i32 s25, s24, 31
	s_lshl_b64 s[24:25], s[24:25], 2
	v_and_b32_e32 v3, 0x1fc, v1
	s_add_u32 s12, s20, s24
	s_addc_u32 s15, s21, s25
	s_ashr_i32 s17, s16, 31
	s_lshl_b64 s[20:21], s[16:17], 2
	s_add_u32 s20, s12, s20
	s_addc_u32 s21, s15, s21
	global_load_dword v2, v10, s[20:21]
	v_lshl_add_u32 v3, v6, 4, v3
	s_waitcnt vmcnt(0)
	ds_write_b32 v3, v2
.LBB9_4:
	s_or_b64 exec, exec, s[2:3]
	s_waitcnt lgkmcnt(0)
	s_add_i32 s3, s11, 7
	s_ashr_i32 s12, s3, 31
	s_lshr_b32 s12, s12, 29
	s_add_i32 s3, s3, s12
	s_ashr_i32 s17, s3, 3
	s_xor_b32 s3, s6, s7
	s_mul_i32 s6, s22, s18
	s_sub_i32 s6, s19, s6
	s_add_i32 s7, s22, 1
	s_sub_i32 s12, s6, s18
	s_load_dwordx2 s[20:21], s[0:1], 0x28
	s_load_dword s2, s[0:1], 0x38
	s_cmp_ge_u32 s6, s18
	s_cselect_b32 s7, s7, s22
	s_cselect_b32 s6, s12, s6
	s_add_i32 s12, s7, 1
	s_cmp_ge_u32 s6, s18
	s_cselect_b32 s6, s12, s7
	v_lshrrev_b32_e32 v16, 6, v0
	s_xor_b32 s6, s6, s3
	s_waitcnt lgkmcnt(0)
	s_mul_i32 s22, s2, s10
	s_sub_i32 s15, s6, s3
	s_ashr_i32 s23, s22, 31
	v_cmp_gt_i32_e64 s[2:3], s17, v16
	v_cmp_le_i32_e32 vcc, s17, v16
	v_mbcnt_lo_u32_b32 v7, -1, 0
	s_barrier
                                        ; implicit-def: $vgpr11
                                        ; implicit-def: $vgpr13
                                        ; implicit-def: $vgpr12
	s_and_saveexec_b64 s[6:7], vcc
	s_xor_b64 s[6:7], exec, s[6:7]
; %bb.5:
	v_mbcnt_hi_u32_b32 v11, -1, v7
	v_and_b32_e32 v13, 64, v11
	v_add_u32_e32 v12, 64, v13
                                        ; implicit-def: $vgpr6
                                        ; implicit-def: $vgpr7
; %bb.6:
	s_or_saveexec_b64 s[26:27], s[6:7]
	s_load_dwordx2 s[18:19], s[0:1], 0x0
	s_load_dwordx2 s[24:25], s[0:1], 0x18
	s_load_dword s12, s[0:1], 0x88
	v_mov_b32_e32 v15, 0xff7fffff
	s_mul_i32 s14, s15, s14
	v_lshrrev_b32_e32 v14, 4, v0
	s_xor_b64 exec, exec, s[26:27]
	s_cbranch_execz .LBB9_12
; %bb.7:
	v_mbcnt_hi_u32_b32 v11, -1, v7
	s_load_dwordx2 s[0:1], s[0:1], 0x10
	v_and_b32_e32 v13, 64, v11
	v_add_u32_e32 v12, 64, v13
	v_xor_b32_e32 v7, 4, v11
	v_cmp_lt_i32_e32 vcc, v7, v12
	s_ashr_i32 s15, s14, 31
	s_lshl_b64 s[6:7], s[14:15], 2
	v_cndmask_b32_e32 v7, v11, v7, vcc
	v_lshlrev_b32_e32 v17, 2, v7
	v_xor_b32_e32 v7, 2, v11
	v_bfe_u32 v15, v0, 3, 3
	s_waitcnt lgkmcnt(0)
	s_add_u32 s0, s0, s6
	v_cmp_lt_i32_e32 vcc, v7, v12
	s_addc_u32 s1, s1, s7
	v_lshlrev_b32_e32 v8, 4, v15
	v_mov_b32_e32 v9, 0
	v_and_b32_e32 v4, 3, v0
	v_cndmask_b32_e32 v7, v11, v7, vcc
	v_lshl_add_u64 v[2:3], s[0:1], 0, v[8:9]
	v_lshlrev_b32_e32 v8, 2, v4
	v_lshlrev_b32_e32 v18, 2, v7
	v_xor_b32_e32 v7, 1, v11
	v_lshl_add_u64 v[20:21], v[2:3], 0, v[8:9]
	v_lshlrev_b32_e32 v2, 4, v6
	v_cmp_lt_i32_e32 vcc, v7, v12
	ds_read_b128 v[2:5], v2
	v_lshlrev_b32_e32 v22, 2, v15
	v_cndmask_b32_e32 v7, v11, v7, vcc
	v_cmp_eq_u32_e32 vcc, 0, v6
	v_lshlrev_b32_e32 v6, 5, v0
	v_and_b32_e32 v8, 0x80, v6
	s_sub_i32 s15, 1, s11
	s_lshl_b64 s[6:7], s[22:23], 2
	v_lshlrev_b32_e32 v19, 2, v7
	v_lshl_add_u64 v[6:7], v[20:21], 0, v[8:9]
	v_lshl_or_b32 v8, v16, 5, v22
	s_add_u32 s6, s20, s6
	v_add_u32_e32 v21, 0x90, v8
	v_and_b32_e32 v8, 60, v14
	s_addc_u32 s7, s21, s7
	s_mov_b32 s33, s13
	v_cmp_neq_f32_e64 s[0:1], s8, 0
	v_lshl_or_b32 v20, v16, 3, v15
	v_lshl_add_u64 v[8:9], s[6:7], 0, v[8:9]
	v_mov_b32_e32 v15, 0xff7fffff
	s_mov_b64 s[28:29], 0
	v_mov_b32_e32 v22, v16
	s_branch .LBB9_9
.LBB9_8:                                ;   in Loop: Header=BB9_9 Depth=1
	s_or_b64 exec, exec, s[30:31]
	v_add_u32_e32 v22, 2, v22
	v_cmp_le_i32_e64 s[6:7], s17, v22
	v_add_u32_e32 v20, 16, v20
	v_add_u32_e32 v21, 64, v21
	s_or_b64 s[28:29], s[6:7], s[28:29]
	v_lshl_add_u64 v[8:9], v[8:9], 0, 8
	s_andn2_b64 exec, exec, s[28:29]
	s_cbranch_execz .LBB9_11
.LBB9_9:                                ; =>This Inner Loop Header: Depth=1
	global_load_dword v23, v[8:9], off
	s_waitcnt vmcnt(0) lgkmcnt(0)
	v_mad_i64_i32 v[24:25], s[6:7], v23, s33, 0
	v_lshl_add_u64 v[24:25], v[24:25], 2, v[6:7]
	global_load_dword v23, v[24:25], off offset:256
	global_load_dword v26, v[24:25], off
	global_load_dword v27, v[24:25], off offset:512
	global_load_dword v28, v[24:25], off offset:768
	s_waitcnt vmcnt(3) lgkmcnt(0)
	v_mul_f32_e32 v23, v3, v23
	s_waitcnt vmcnt(2)
	v_fmac_f32_e32 v23, v2, v26
	s_waitcnt vmcnt(1)
	v_fmac_f32_e32 v23, v4, v27
	s_waitcnt vmcnt(0)
	v_fmac_f32_e32 v23, v5, v28
	ds_bpermute_b32 v24, v17, v23
	s_waitcnt lgkmcnt(0)
	v_add_f32_e32 v23, v23, v24
	ds_bpermute_b32 v24, v18, v23
	s_waitcnt lgkmcnt(0)
	v_add_f32_e32 v23, v23, v24
	ds_bpermute_b32 v24, v19, v23
	s_and_saveexec_b64 s[30:31], vcc
	s_cbranch_execz .LBB9_8
; %bb.10:                               ;   in Loop: Header=BB9_9 Depth=1
	v_add_u32_e32 v25, s15, v20
	v_cvt_f32_i32_e32 v25, v25
	s_waitcnt lgkmcnt(0)
	v_add_f32_e32 v23, v23, v24
	v_cmp_gt_i32_e64 s[6:7], s11, v20
	v_max_f32_e32 v24, v15, v15
	v_mul_f32_e32 v25, s8, v25
	v_cndmask_b32_e64 v25, 0, v25, s[0:1]
	v_fmac_f32_e32 v25, s9, v23
	v_cndmask_b32_e64 v23, 0, v25, s[6:7]
	ds_write_b32 v21, v23
	v_max_f32_e32 v23, v24, v25
	v_cndmask_b32_e64 v15, v15, v23, s[6:7]
	s_branch .LBB9_8
.LBB9_11:
	s_or_b64 exec, exec, s[28:29]
.LBB9_12:
	s_or_b64 exec, exec, s[26:27]
	v_xor_b32_e32 v2, 32, v11
	v_cmp_lt_i32_e32 vcc, v2, v12
	v_xor_b32_e32 v5, 16, v11
	v_max_f32_e32 v4, v15, v15
	v_cndmask_b32_e32 v2, v11, v2, vcc
	v_lshlrev_b32_e32 v3, 2, v2
	ds_bpermute_b32 v2, v3, v15
	v_cmp_lt_i32_e32 vcc, v5, v12
	v_xor_b32_e32 v6, 8, v11
	v_and_b32_e32 v17, 63, v0
	s_waitcnt lgkmcnt(0)
	v_max_f32_e32 v2, v2, v2
	v_max_f32_e32 v2, v4, v2
	v_cndmask_b32_e32 v4, v11, v5, vcc
	v_lshlrev_b32_e32 v5, 2, v4
	ds_bpermute_b32 v4, v5, v2
	v_cmp_lt_i32_e32 vcc, v6, v12
	s_waitcnt lgkmcnt(0)
	v_max_f32_e32 v4, v4, v4
	v_max_f32_e32 v4, v2, v4
	v_cndmask_b32_e32 v2, v11, v6, vcc
	v_lshlrev_b32_e32 v6, 2, v2
	ds_bpermute_b32 v7, v6, v4
	v_cmp_eq_u32_e32 vcc, 0, v17
	v_lshlrev_b32_e32 v2, 2, v16
	s_and_saveexec_b64 s[0:1], vcc
	s_cbranch_execz .LBB9_14
; %bb.13:
	s_waitcnt lgkmcnt(0)
	v_max_f32_e32 v7, v7, v7
	v_max_f32_e32 v4, v4, v4
	;; [unrolled: 1-line block ×3, first 2 shown]
	ds_write_b32 v2, v4 offset:128
.LBB9_14:
	s_or_b64 exec, exec, s[0:1]
	v_cmp_gt_u32_e64 s[0:1], 2, v17
	s_waitcnt lgkmcnt(0)
	v_mov_b32_e32 v7, 0xff7fffff
	v_lshlrev_b32_e32 v4, 2, v17
	s_barrier
	s_and_saveexec_b64 s[6:7], s[0:1]
; %bb.15:
	ds_read_b32 v7, v4 offset:128
; %bb.16:
	s_or_b64 exec, exec, s[6:7]
	v_xor_b32_e32 v8, 1, v11
	v_cmp_lt_i32_e64 s[6:7], v8, v12
	s_nop 1
	v_cndmask_b32_e64 v8, v11, v8, s[6:7]
	v_lshlrev_b32_e32 v18, 2, v8
	s_waitcnt lgkmcnt(0)
	ds_bpermute_b32 v8, v18, v7
	v_max_f32_e32 v7, v7, v7
	s_lshl_b32 s6, s17, 3
	s_min_i32 s15, s6, s11
	v_cmp_gt_i32_e64 s[6:7], s15, v0
	s_waitcnt lgkmcnt(0)
	v_max_f32_e32 v8, v8, v8
	v_max_f32_e32 v7, v7, v8
	v_lshlrev_b32_e32 v8, 2, v13
	ds_bpermute_b32 v8, v8, v7
	v_mov_b32_e32 v7, 0
	s_and_saveexec_b64 s[26:27], s[6:7]
	s_cbranch_execz .LBB9_20
; %bb.17:
	v_mov_b32_e32 v7, 0x90
	v_lshl_add_u32 v9, v0, 2, v7
	v_mov_b32_e32 v7, 0
	s_mov_b64 s[28:29], 0
	v_mov_b32_e32 v13, v0
.LBB9_18:                               ; =>This Inner Loop Header: Depth=1
	ds_read_b32 v15, v9
	v_add_u32_e32 v13, 0x80, v13
	v_cmp_le_i32_e64 s[8:9], s15, v13
	s_or_b64 s[28:29], s[8:9], s[28:29]
	s_waitcnt lgkmcnt(0)
	v_sub_f32_e32 v15, v15, v8
	v_mul_f32_e32 v15, 0x3fb8aa3b, v15
	v_exp_f32_e32 v15, v15
	ds_write_b32 v9, v15
	v_add_f32_e32 v7, v7, v15
	v_add_u32_e32 v9, 0x200, v9
	s_andn2_b64 exec, exec, s[28:29]
	s_cbranch_execnz .LBB9_18
; %bb.19:
	s_or_b64 exec, exec, s[28:29]
.LBB9_20:
	s_or_b64 exec, exec, s[26:27]
	ds_bpermute_b32 v3, v3, v7
	s_waitcnt lgkmcnt(0)
	v_add_f32_e32 v3, v7, v3
	ds_bpermute_b32 v5, v5, v3
	s_waitcnt lgkmcnt(0)
	v_add_f32_e32 v3, v3, v5
	ds_bpermute_b32 v5, v6, v3
	v_xor_b32_e32 v6, 4, v11
	v_cmp_lt_i32_e64 s[8:9], v6, v12
	s_waitcnt lgkmcnt(0)
	v_add_f32_e32 v3, v3, v5
	v_cndmask_b32_e64 v6, v11, v6, s[8:9]
	v_lshlrev_b32_e32 v6, 2, v6
	ds_bpermute_b32 v5, v6, v3
	v_xor_b32_e32 v6, 2, v11
	v_cmp_lt_i32_e64 s[8:9], v6, v12
	s_waitcnt lgkmcnt(0)
	v_add_f32_e32 v3, v3, v5
	v_cndmask_b32_e64 v6, v11, v6, s[8:9]
	v_lshlrev_b32_e32 v5, 2, v6
	ds_bpermute_b32 v5, v5, v3
	s_waitcnt lgkmcnt(0)
	v_add_f32_e32 v3, v3, v5
	ds_bpermute_b32 v5, v18, v3
	s_waitcnt lgkmcnt(0)
	v_add_f32_e32 v3, v3, v5
	s_and_saveexec_b64 s[8:9], vcc
; %bb.21:
	ds_write_b32 v2, v3 offset:136
; %bb.22:
	s_or_b64 exec, exec, s[8:9]
	s_waitcnt lgkmcnt(0)
	s_barrier
	s_and_saveexec_b64 s[8:9], s[0:1]
; %bb.23:
	ds_read_b32 v3, v4 offset:136
; %bb.24:
	s_or_b64 exec, exec, s[8:9]
	s_waitcnt lgkmcnt(0)
	ds_bpermute_b32 v2, v18, v3
	v_lshlrev_b32_e32 v4, 2, v11
	s_waitcnt lgkmcnt(0)
	v_add_f32_e32 v2, v3, v2
	v_and_b32_e32 v3, 0xffffff00, v4
	ds_bpermute_b32 v2, v3, v2
	s_and_saveexec_b64 s[0:1], s[6:7]
	s_cbranch_execz .LBB9_37
; %bb.25:
	s_waitcnt lgkmcnt(0)
	v_add_f32_e32 v2, 0x358637bd, v2
	v_div_scale_f32 v3, s[6:7], v2, v2, 1.0
	v_rcp_f32_e32 v4, v3
	v_div_scale_f32 v5, vcc, 1.0, v2, 1.0
	s_movk_i32 s6, 0x7f
	v_fma_f32 v6, -v3, v4, 1.0
	v_fmac_f32_e32 v4, v6, v4
	v_mul_f32_e32 v6, v5, v4
	v_fma_f32 v7, -v3, v6, v5
	v_fmac_f32_e32 v6, v7, v4
	v_fma_f32 v3, -v3, v6, v5
	v_div_fmas_f32 v3, v3, v4, v6
	v_xad_u32 v4, v0, -1, s15
	v_div_fixup_f32 v2, v3, v2, 1.0
	v_cmp_lt_u32_e32 vcc, s6, v4
	s_mov_b64 s[8:9], -1
	v_mov_b32_e32 v3, v0
	s_and_saveexec_b64 s[6:7], vcc
	s_cbranch_execz .LBB9_34
; %bb.26:
	v_lshrrev_b32_e32 v4, 7, v4
	v_add_u32_e32 v6, -1, v4
	v_lshrrev_b32_e32 v5, 1, v6
	v_mov_b32_e32 v3, v2
	v_add_u32_e32 v5, 1, v5
	v_cmp_lt_u32_e32 vcc, 13, v6
	v_mov_b32_e32 v8, 0
	s_and_saveexec_b64 s[8:9], vcc
	s_cbranch_execz .LBB9_30
; %bb.27:
	v_mov_b32_e32 v7, 0x90
	v_and_b32_e32 v6, -8, v5
	v_lshl_add_u32 v7, v0, 2, v7
	s_mov_b32 s28, 0
	s_mov_b64 s[26:27], 0
.LBB9_28:                               ; =>This Inner Loop Header: Depth=1
	ds_read2st64_b32 v[8:9], v7 offset1:2
	ds_read2st64_b32 v[12:13], v7 offset0:4 offset1:6
	ds_read2st64_b32 v[20:21], v7 offset0:8 offset1:10
	;; [unrolled: 1-line block ×3, first 2 shown]
	v_add_u32_e32 v6, -8, v6
	s_waitcnt lgkmcnt(3)
	v_pk_mul_f32 v[8:9], v[2:3], v[8:9]
	s_waitcnt lgkmcnt(2)
	v_pk_mul_f32 v[12:13], v[2:3], v[12:13]
	ds_write2st64_b32 v7, v8, v9 offset1:2
	ds_write2st64_b32 v7, v12, v13 offset0:4 offset1:6
	ds_read2st64_b32 v[12:13], v7 offset0:16 offset1:18
	s_waitcnt lgkmcnt(4)
	v_pk_mul_f32 v[8:9], v[2:3], v[20:21]
	ds_write2st64_b32 v7, v8, v9 offset0:8 offset1:10
	s_waitcnt lgkmcnt(4)
	v_pk_mul_f32 v[8:9], v[2:3], v[22:23]
	ds_write2st64_b32 v7, v8, v9 offset0:12 offset1:14
	ds_read2st64_b32 v[8:9], v7 offset0:20 offset1:22
	s_waitcnt lgkmcnt(3)
	v_pk_mul_f32 v[12:13], v[2:3], v[12:13]
	ds_read2st64_b32 v[20:21], v7 offset0:24 offset1:26
	ds_write2st64_b32 v7, v12, v13 offset0:16 offset1:18
	ds_read2st64_b32 v[12:13], v7 offset0:28 offset1:30
	s_waitcnt lgkmcnt(3)
	v_pk_mul_f32 v[8:9], v[2:3], v[8:9]
	ds_write2st64_b32 v7, v8, v9 offset0:20 offset1:22
	s_waitcnt lgkmcnt(3)
	v_pk_mul_f32 v[8:9], v[2:3], v[20:21]
	ds_write2st64_b32 v7, v8, v9 offset0:24 offset1:26
	s_waitcnt lgkmcnt(2)
	v_pk_mul_f32 v[8:9], v[2:3], v[12:13]
	s_add_i32 s28, s28, 16
	v_cmp_eq_u32_e32 vcc, 0, v6
	ds_write2st64_b32 v7, v8, v9 offset0:28 offset1:30
	v_add_u32_e32 v7, 0x2000, v7
	s_or_b64 s[26:27], vcc, s[26:27]
	v_mov_b32_e32 v8, s28
	s_andn2_b64 exec, exec, s[26:27]
	s_cbranch_execnz .LBB9_28
; %bb.29:
	s_or_b64 exec, exec, s[26:27]
.LBB9_30:
	s_or_b64 exec, exec, s[8:9]
	v_and_b32_e32 v5, 7, v5
	v_cmp_ne_u32_e32 vcc, 0, v5
	s_and_saveexec_b64 s[8:9], vcc
	s_cbranch_execz .LBB9_33
; %bb.31:
	v_lshlrev_b32_e32 v6, 9, v8
	s_movk_i32 s26, 0x90
	v_add3_u32 v6, v6, v10, s26
	s_mov_b64 s[26:27], 0
.LBB9_32:                               ; =>This Inner Loop Header: Depth=1
	ds_read2st64_b32 v[8:9], v6 offset1:2
	v_add_u32_e32 v5, -1, v5
	v_cmp_eq_u32_e32 vcc, 0, v5
	s_or_b64 s[26:27], vcc, s[26:27]
	s_waitcnt lgkmcnt(0)
	v_pk_mul_f32 v[8:9], v[2:3], v[8:9]
	ds_write2st64_b32 v6, v8, v9 offset1:2
	v_add_u32_e32 v6, 0x400, v6
	s_andn2_b64 exec, exec, s[26:27]
	s_cbranch_execnz .LBB9_32
.LBB9_33:
	s_or_b64 exec, exec, s[8:9]
	v_add_u32_e32 v4, 1, v4
	v_and_b32_e32 v5, 0x3fffffe, v4
	v_cmp_ne_u32_e32 vcc, v4, v5
	v_lshl_add_u32 v3, v5, 7, v0
	s_orn2_b64 s[8:9], vcc, exec
.LBB9_34:
	s_or_b64 exec, exec, s[6:7]
	s_and_b64 exec, exec, s[8:9]
	s_cbranch_execz .LBB9_37
; %bb.35:
	v_mov_b32_e32 v4, 0x90
	v_lshl_add_u32 v4, v3, 2, v4
	s_mov_b64 s[6:7], 0
.LBB9_36:                               ; =>This Inner Loop Header: Depth=1
	ds_read_b32 v5, v4
	v_add_u32_e32 v3, 0x80, v3
	v_cmp_le_i32_e32 vcc, s15, v3
	s_or_b64 s[6:7], vcc, s[6:7]
	s_waitcnt lgkmcnt(0)
	v_mul_f32_e32 v5, v2, v5
	ds_write_b32 v4, v5
	v_add_u32_e32 v4, 0x200, v4
	s_andn2_b64 exec, exec, s[6:7]
	s_cbranch_execnz .LBB9_36
.LBB9_37:
	s_or_b64 exec, exec, s[0:1]
	v_mov_b32_e32 v11, 0
	s_waitcnt lgkmcnt(0)
	s_barrier
	s_and_saveexec_b64 s[0:1], s[2:3]
	s_cbranch_execz .LBB9_43
; %bb.38:
	s_ashr_i32 s15, s14, 31
	s_lshl_b64 s[2:3], s[14:15], 2
	s_add_u32 s2, s24, s2
	v_lshlrev_b32_e32 v3, 4, v0
	v_and_b32_e32 v2, 4, v10
	s_addc_u32 s3, s25, s3
	v_and_b32_e32 v10, 0x3f0, v3
	v_mov_b32_e32 v11, 0
	v_lshl_add_u64 v[12:13], s[2:3], 0, v[10:11]
	s_add_i32 s9, s17, -1
	v_lshl_or_b32 v19, v16, 3, v2
	v_and_b32_e32 v2, 1, v0
	s_lshl_b64 s[2:3], s[22:23], 2
	v_lshlrev_b32_e32 v2, 4, v2
	s_add_u32 s2, s20, s2
	v_lshl_or_b32 v2, v16, 5, v2
	v_and_b32_e32 v10, 60, v14
	s_addc_u32 s3, s21, s3
	s_mov_b32 s8, s13
	s_mov_b32 s13, s11
	v_add_u32_e32 v20, 0x90, v2
	v_lshl_add_u64 v[14:15], s[2:3], 0, v[10:11]
	s_mov_b64 s[2:3], 0
	s_branch .LBB9_40
.LBB9_39:                               ;   in Loop: Header=BB9_40 Depth=1
	s_or_b64 exec, exec, s[6:7]
	s_waitcnt vmcnt(0) lgkmcnt(0)
	v_pk_mul_f32 v[2:3], v[6:7], v[2:3]
	v_pk_mul_f32 v[4:5], v[8:9], v[4:5]
	v_add_f32_e32 v2, v3, v2
	v_add_f32_e32 v2, v4, v2
	v_add_u32_e32 v16, 2, v16
	v_add_f32_e32 v2, v5, v2
	v_cmp_le_i32_e32 vcc, s17, v16
	v_add_f32_e32 v11, v11, v2
	v_add_u32_e32 v19, 16, v19
	v_add_u32_e32 v20, 64, v20
	s_or_b64 s[2:3], vcc, s[2:3]
	v_lshl_add_u64 v[14:15], v[14:15], 0, 8
	s_andn2_b64 exec, exec, s[2:3]
	s_cbranch_execz .LBB9_42
.LBB9_40:                               ; =>This Inner Loop Header: Depth=1
	global_load_dword v2, v[14:15], off
	ds_read_b128 v[6:9], v20
	v_cmp_eq_u32_e32 vcc, s9, v16
	s_waitcnt vmcnt(0)
	v_mad_i64_i32 v[2:3], s[6:7], v2, s8, 0
	v_lshl_add_u64 v[2:3], v[2:3], 2, v[12:13]
	global_load_dwordx4 v[2:5], v[2:3], off
	s_and_saveexec_b64 s[6:7], vcc
	s_cbranch_execz .LBB9_39
; %bb.41:                               ;   in Loop: Header=BB9_40 Depth=1
	v_add_u32_e32 v10, 1, v19
	v_cmp_gt_i32_e32 vcc, s13, v10
	v_or_b32_e32 v10, 3, v19
	v_or_b32_e32 v21, 2, v19
	s_waitcnt vmcnt(0)
	v_cndmask_b32_e32 v3, 0, v3, vcc
	v_cmp_gt_i32_e32 vcc, s11, v19
	s_nop 1
	v_cndmask_b32_e32 v2, 0, v2, vcc
	v_cmp_gt_i32_e32 vcc, s13, v10
	s_nop 1
	;; [unrolled: 3-line block ×3, first 2 shown]
	v_cndmask_b32_e32 v4, 0, v4, vcc
	s_branch .LBB9_39
.LBB9_42:
	s_or_b64 exec, exec, s[2:3]
.LBB9_43:
	s_or_b64 exec, exec, s[0:1]
	ds_bpermute_b32 v3, v18, v11
	v_and_b32_e32 v2, 0x3c1, v0
	v_cmp_eq_u32_e32 vcc, 64, v2
	s_waitcnt lgkmcnt(0)
	s_barrier
	v_add_f32_e32 v0, v11, v3
	s_and_saveexec_b64 s[0:1], vcc
; %bb.44:
	v_mov_b32_e32 v3, 0x90
	v_lshl_add_u32 v3, v17, 1, v3
	ds_write_b32 v3, v0
; %bb.45:
	s_or_b64 exec, exec, s[0:1]
	v_cmp_eq_u32_e32 vcc, 0, v2
	s_waitcnt lgkmcnt(0)
	s_barrier
	s_and_saveexec_b64 s[0:1], vcc
	s_cbranch_execz .LBB9_47
; %bb.46:
	v_mov_b32_e32 v2, 0x90
	v_lshl_add_u32 v2, v1, 2, v2
	ds_read_b32 v2, v2
	s_waitcnt lgkmcnt(0)
	v_add_f32_e32 v0, v0, v2
.LBB9_47:
	s_or_b64 exec, exec, s[0:1]
	s_barrier
	s_and_saveexec_b64 s[0:1], vcc
	s_cbranch_execz .LBB9_49
; %bb.48:
	s_mul_i32 s0, s10, s12
	s_mul_i32 s0, s0, s5
	s_lshl_b32 s0, s0, 5
	s_ashr_i32 s1, s0, 31
	s_lshl_b64 s[0:1], s[0:1], 2
	s_add_u32 s2, s18, s0
	s_mul_i32 s0, s12, s16
	s_addc_u32 s3, s19, s1
	s_ashr_i32 s1, s0, 31
	s_lshl_b64 s[0:1], s[0:1], 2
	s_add_u32 s2, s2, s0
	s_addc_u32 s3, s3, s1
	s_lshl_b32 s0, s4, 5
	s_ashr_i32 s1, s0, 31
	s_lshl_b64 s[0:1], s[0:1], 2
	s_add_u32 s0, s2, s0
	s_addc_u32 s1, s3, s1
	v_lshlrev_b32_e32 v1, 2, v1
	global_store_dword v1, v0, s[0:1]
.LBB9_49:
	s_endpgm
	.section	.rodata,"a",@progbits
	.p2align	6, 0x0
	.amdhsa_kernel _ZN4vllm25paged_attention_v1_kernelIffLi32ELi8ELi128ELNS_18Fp8KVCacheDataTypeE0ELb0EEEvPT_PKS2_PKT0_S8_ifPKiSA_iPKfiiiSC_SC_iiiii
		.amdhsa_group_segment_fixed_size 144
		.amdhsa_private_segment_fixed_size 0
		.amdhsa_kernarg_size 384
		.amdhsa_user_sgpr_count 2
		.amdhsa_user_sgpr_dispatch_ptr 0
		.amdhsa_user_sgpr_queue_ptr 0
		.amdhsa_user_sgpr_kernarg_segment_ptr 1
		.amdhsa_user_sgpr_dispatch_id 0
		.amdhsa_user_sgpr_kernarg_preload_length 0
		.amdhsa_user_sgpr_kernarg_preload_offset 0
		.amdhsa_user_sgpr_private_segment_size 0
		.amdhsa_uses_dynamic_stack 0
		.amdhsa_enable_private_segment 0
		.amdhsa_system_sgpr_workgroup_id_x 1
		.amdhsa_system_sgpr_workgroup_id_y 1
		.amdhsa_system_sgpr_workgroup_id_z 1
		.amdhsa_system_sgpr_workgroup_info 0
		.amdhsa_system_vgpr_workitem_id 0
		.amdhsa_next_free_vgpr 29
		.amdhsa_next_free_sgpr 34
		.amdhsa_accum_offset 32
		.amdhsa_reserve_vcc 1
		.amdhsa_float_round_mode_32 0
		.amdhsa_float_round_mode_16_64 0
		.amdhsa_float_denorm_mode_32 3
		.amdhsa_float_denorm_mode_16_64 3
		.amdhsa_dx10_clamp 1
		.amdhsa_ieee_mode 1
		.amdhsa_fp16_overflow 0
		.amdhsa_tg_split 0
		.amdhsa_exception_fp_ieee_invalid_op 0
		.amdhsa_exception_fp_denorm_src 0
		.amdhsa_exception_fp_ieee_div_zero 0
		.amdhsa_exception_fp_ieee_overflow 0
		.amdhsa_exception_fp_ieee_underflow 0
		.amdhsa_exception_fp_ieee_inexact 0
		.amdhsa_exception_int_div_zero 0
	.end_amdhsa_kernel
	.section	.text._ZN4vllm25paged_attention_v1_kernelIffLi32ELi8ELi128ELNS_18Fp8KVCacheDataTypeE0ELb0EEEvPT_PKS2_PKT0_S8_ifPKiSA_iPKfiiiSC_SC_iiiii,"axG",@progbits,_ZN4vllm25paged_attention_v1_kernelIffLi32ELi8ELi128ELNS_18Fp8KVCacheDataTypeE0ELb0EEEvPT_PKS2_PKT0_S8_ifPKiSA_iPKfiiiSC_SC_iiiii,comdat
.Lfunc_end9:
	.size	_ZN4vllm25paged_attention_v1_kernelIffLi32ELi8ELi128ELNS_18Fp8KVCacheDataTypeE0ELb0EEEvPT_PKS2_PKT0_S8_ifPKiSA_iPKfiiiSC_SC_iiiii, .Lfunc_end9-_ZN4vllm25paged_attention_v1_kernelIffLi32ELi8ELi128ELNS_18Fp8KVCacheDataTypeE0ELb0EEEvPT_PKS2_PKT0_S8_ifPKiSA_iPKfiiiSC_SC_iiiii
                                        ; -- End function
	.set _ZN4vllm25paged_attention_v1_kernelIffLi32ELi8ELi128ELNS_18Fp8KVCacheDataTypeE0ELb0EEEvPT_PKS2_PKT0_S8_ifPKiSA_iPKfiiiSC_SC_iiiii.num_vgpr, 29
	.set _ZN4vllm25paged_attention_v1_kernelIffLi32ELi8ELi128ELNS_18Fp8KVCacheDataTypeE0ELb0EEEvPT_PKS2_PKT0_S8_ifPKiSA_iPKfiiiSC_SC_iiiii.num_agpr, 0
	.set _ZN4vllm25paged_attention_v1_kernelIffLi32ELi8ELi128ELNS_18Fp8KVCacheDataTypeE0ELb0EEEvPT_PKS2_PKT0_S8_ifPKiSA_iPKfiiiSC_SC_iiiii.numbered_sgpr, 34
	.set _ZN4vllm25paged_attention_v1_kernelIffLi32ELi8ELi128ELNS_18Fp8KVCacheDataTypeE0ELb0EEEvPT_PKS2_PKT0_S8_ifPKiSA_iPKfiiiSC_SC_iiiii.num_named_barrier, 0
	.set _ZN4vllm25paged_attention_v1_kernelIffLi32ELi8ELi128ELNS_18Fp8KVCacheDataTypeE0ELb0EEEvPT_PKS2_PKT0_S8_ifPKiSA_iPKfiiiSC_SC_iiiii.private_seg_size, 0
	.set _ZN4vllm25paged_attention_v1_kernelIffLi32ELi8ELi128ELNS_18Fp8KVCacheDataTypeE0ELb0EEEvPT_PKS2_PKT0_S8_ifPKiSA_iPKfiiiSC_SC_iiiii.uses_vcc, 1
	.set _ZN4vllm25paged_attention_v1_kernelIffLi32ELi8ELi128ELNS_18Fp8KVCacheDataTypeE0ELb0EEEvPT_PKS2_PKT0_S8_ifPKiSA_iPKfiiiSC_SC_iiiii.uses_flat_scratch, 0
	.set _ZN4vllm25paged_attention_v1_kernelIffLi32ELi8ELi128ELNS_18Fp8KVCacheDataTypeE0ELb0EEEvPT_PKS2_PKT0_S8_ifPKiSA_iPKfiiiSC_SC_iiiii.has_dyn_sized_stack, 0
	.set _ZN4vllm25paged_attention_v1_kernelIffLi32ELi8ELi128ELNS_18Fp8KVCacheDataTypeE0ELb0EEEvPT_PKS2_PKT0_S8_ifPKiSA_iPKfiiiSC_SC_iiiii.has_recursion, 0
	.set _ZN4vllm25paged_attention_v1_kernelIffLi32ELi8ELi128ELNS_18Fp8KVCacheDataTypeE0ELb0EEEvPT_PKS2_PKT0_S8_ifPKiSA_iPKfiiiSC_SC_iiiii.has_indirect_call, 0
	.section	.AMDGPU.csdata,"",@progbits
; Kernel info:
; codeLenInByte = 2992
; TotalNumSgprs: 40
; NumVgprs: 29
; NumAgprs: 0
; TotalNumVgprs: 29
; ScratchSize: 0
; MemoryBound: 0
; FloatMode: 240
; IeeeMode: 1
; LDSByteSize: 144 bytes/workgroup (compile time only)
; SGPRBlocks: 4
; VGPRBlocks: 3
; NumSGPRsForWavesPerEU: 40
; NumVGPRsForWavesPerEU: 29
; AccumOffset: 32
; Occupancy: 8
; WaveLimiterHint : 1
; COMPUTE_PGM_RSRC2:SCRATCH_EN: 0
; COMPUTE_PGM_RSRC2:USER_SGPR: 2
; COMPUTE_PGM_RSRC2:TRAP_HANDLER: 0
; COMPUTE_PGM_RSRC2:TGID_X_EN: 1
; COMPUTE_PGM_RSRC2:TGID_Y_EN: 1
; COMPUTE_PGM_RSRC2:TGID_Z_EN: 1
; COMPUTE_PGM_RSRC2:TIDIG_COMP_CNT: 0
; COMPUTE_PGM_RSRC3_GFX90A:ACCUM_OFFSET: 7
; COMPUTE_PGM_RSRC3_GFX90A:TG_SPLIT: 0
	.section	.text._ZN4vllm25paged_attention_v1_kernelIffLi64ELi8ELi128ELNS_18Fp8KVCacheDataTypeE0ELb0EEEvPT_PKS2_PKT0_S8_ifPKiSA_iPKfiiiSC_SC_iiiii,"axG",@progbits,_ZN4vllm25paged_attention_v1_kernelIffLi64ELi8ELi128ELNS_18Fp8KVCacheDataTypeE0ELb0EEEvPT_PKS2_PKT0_S8_ifPKiSA_iPKfiiiSC_SC_iiiii,comdat
	.protected	_ZN4vllm25paged_attention_v1_kernelIffLi64ELi8ELi128ELNS_18Fp8KVCacheDataTypeE0ELb0EEEvPT_PKS2_PKT0_S8_ifPKiSA_iPKfiiiSC_SC_iiiii ; -- Begin function _ZN4vllm25paged_attention_v1_kernelIffLi64ELi8ELi128ELNS_18Fp8KVCacheDataTypeE0ELb0EEEvPT_PKS2_PKT0_S8_ifPKiSA_iPKfiiiSC_SC_iiiii
	.globl	_ZN4vllm25paged_attention_v1_kernelIffLi64ELi8ELi128ELNS_18Fp8KVCacheDataTypeE0ELb0EEEvPT_PKS2_PKT0_S8_ifPKiSA_iPKfiiiSC_SC_iiiii
	.p2align	8
	.type	_ZN4vllm25paged_attention_v1_kernelIffLi64ELi8ELi128ELNS_18Fp8KVCacheDataTypeE0ELb0EEEvPT_PKS2_PKT0_S8_ifPKiSA_iPKfiiiSC_SC_iiiii,@function
_ZN4vllm25paged_attention_v1_kernelIffLi64ELi8ELi128ELNS_18Fp8KVCacheDataTypeE0ELb0EEEvPT_PKS2_PKT0_S8_ifPKiSA_iPKfiiiSC_SC_iiiii: ; @_ZN4vllm25paged_attention_v1_kernelIffLi64ELi8ELi128ELNS_18Fp8KVCacheDataTypeE0ELb0EEEvPT_PKS2_PKT0_S8_ifPKiSA_iPKfiiiSC_SC_iiiii
; %bb.0:
	s_load_dword s5, s[0:1], 0x80
	s_load_dwordx2 s[6:7], s[0:1], 0x30
	s_load_dwordx2 s[10:11], s[0:1], 0x20
	s_mov_b32 s16, s3
	s_ashr_i32 s17, s3, 31
	s_lshl_b64 s[8:9], s[16:17], 2
	s_waitcnt lgkmcnt(0)
	s_add_u32 s6, s6, s8
	s_addc_u32 s7, s7, s9
	s_abs_i32 s3, s10
	v_cvt_f32_u32_e32 v1, s3
	s_xor_b32 s8, s5, s10
	s_sub_i32 s10, 0, s3
	s_abs_i32 s9, s5
	v_rcp_iflag_f32_e32 v1, v1
	s_ashr_i32 s8, s8, 31
	v_mul_f32_e32 v1, 0x4f7ffffe, v1
	v_cvt_u32_f32_e32 v1, v1
	s_nop 0
	v_readfirstlane_b32 s12, v1
	s_mul_i32 s10, s10, s12
	s_mul_hi_u32 s10, s12, s10
	s_add_i32 s12, s12, s10
	s_mul_hi_u32 s10, s9, s12
	s_mul_i32 s12, s10, s3
	s_sub_i32 s9, s9, s12
	s_add_i32 s12, s10, 1
	s_sub_i32 s13, s9, s3
	s_cmp_ge_u32 s9, s3
	s_cselect_b32 s10, s12, s10
	s_cselect_b32 s9, s13, s9
	s_add_i32 s12, s10, 1
	s_cmp_ge_u32 s9, s3
	s_cselect_b32 s3, s12, s10
	s_xor_b32 s3, s3, s8
	s_sub_i32 s12, s3, s8
	s_abs_i32 s20, s12
	v_cvt_f32_u32_e32 v1, s20
	s_load_dwordx2 s[8:9], s[0:1], 0x40
	s_sub_i32 s3, 0, s20
	s_abs_i32 s21, s2
	v_rcp_iflag_f32_e32 v1, v1
	s_mov_b32 s10, 0
	v_mul_f32_e32 v1, 0x4f7ffffe, v1
	v_cvt_u32_f32_e32 v1, v1
	s_nop 0
	v_readfirstlane_b32 s13, v1
	s_mul_i32 s3, s3, s13
	s_mul_hi_u32 s3, s13, s3
	s_add_i32 s13, s13, s3
	s_waitcnt lgkmcnt(0)
	s_cmp_eq_u64 s[8:9], 0
	s_mul_hi_u32 s24, s21, s13
	s_cbranch_scc1 .LBB10_2
; %bb.1:
	s_ashr_i32 s3, s2, 31
	s_lshl_b64 s[14:15], s[2:3], 2
	s_add_u32 s8, s8, s14
	s_addc_u32 s9, s9, s15
	s_load_dword s10, s[8:9], 0x0
.LBB10_2:
	s_load_dword s17, s[6:7], 0x0
	s_ashr_i32 s7, s12, 31
	s_load_dwordx4 s[12:15], s[0:1], 0x48
	s_ashr_i32 s6, s2, 31
	v_and_b32_e32 v10, 7, v0
	s_lshl_b32 s18, s2, 6
	v_cmp_gt_u32_e64 s[8:9], 64, v0
	v_lshlrev_b32_e32 v16, 2, v0
	v_lshrrev_b32_e32 v1, 1, v0
	s_and_saveexec_b64 s[2:3], s[8:9]
	s_cbranch_execz .LBB10_4
; %bb.3:
	s_load_dwordx2 s[22:23], s[0:1], 0x8
	s_waitcnt lgkmcnt(0)
	s_mul_i32 s26, s12, s16
	s_ashr_i32 s27, s26, 31
	s_lshl_b64 s[26:27], s[26:27], 2
	v_and_b32_e32 v3, 0x1fc, v1
	s_add_u32 s12, s22, s26
	s_addc_u32 s15, s23, s27
	s_ashr_i32 s19, s18, 31
	s_lshl_b64 s[22:23], s[18:19], 2
	s_add_u32 s22, s12, s22
	s_addc_u32 s23, s15, s23
	global_load_dword v2, v16, s[22:23]
	v_lshl_add_u32 v3, v10, 5, v3
	s_waitcnt vmcnt(0)
	ds_write_b32 v3, v2
.LBB10_4:
	s_or_b64 exec, exec, s[2:3]
	s_waitcnt lgkmcnt(0)
	s_add_i32 s3, s17, 7
	s_ashr_i32 s12, s3, 31
	s_lshr_b32 s12, s12, 29
	s_add_i32 s3, s3, s12
	s_ashr_i32 s19, s3, 3
	s_xor_b32 s3, s6, s7
	s_mul_i32 s6, s24, s20
	s_sub_i32 s6, s21, s6
	s_add_i32 s7, s24, 1
	s_sub_i32 s12, s6, s20
	s_load_dwordx2 s[22:23], s[0:1], 0x28
	s_load_dword s2, s[0:1], 0x38
	s_cmp_ge_u32 s6, s20
	s_cselect_b32 s7, s7, s24
	s_cselect_b32 s6, s12, s6
	s_add_i32 s12, s7, 1
	s_cmp_ge_u32 s6, s20
	s_cselect_b32 s6, s12, s7
	v_lshrrev_b32_e32 v20, 6, v0
	s_xor_b32 s6, s6, s3
	s_waitcnt lgkmcnt(0)
	s_mul_i32 s24, s2, s16
	s_sub_i32 s15, s6, s3
	s_ashr_i32 s25, s24, 31
	v_cmp_gt_i32_e64 s[2:3], s19, v20
	v_cmp_le_i32_e32 vcc, s19, v20
	v_mbcnt_lo_u32_b32 v11, -1, 0
	s_barrier
                                        ; implicit-def: $vgpr14
                                        ; implicit-def: $vgpr17
                                        ; implicit-def: $vgpr15
	s_and_saveexec_b64 s[6:7], vcc
	s_xor_b64 s[6:7], exec, s[6:7]
; %bb.5:
	v_mbcnt_hi_u32_b32 v14, -1, v11
	v_and_b32_e32 v17, 64, v14
	v_add_u32_e32 v15, 64, v17
                                        ; implicit-def: $vgpr10
                                        ; implicit-def: $vgpr11
; %bb.6:
	s_or_saveexec_b64 s[28:29], s[6:7]
	s_load_dwordx2 s[20:21], s[0:1], 0x0
	s_load_dwordx2 s[26:27], s[0:1], 0x18
	s_load_dword s12, s[0:1], 0x88
	v_mov_b32_e32 v19, 0xff7fffff
	s_mul_i32 s14, s15, s14
	v_lshrrev_b32_e32 v18, 4, v0
	s_xor_b64 exec, exec, s[28:29]
	s_cbranch_execz .LBB10_12
; %bb.7:
	v_mbcnt_hi_u32_b32 v14, -1, v11
	v_and_b32_e32 v17, 64, v14
	s_load_dwordx2 s[0:1], s[0:1], 0x10
	v_add_u32_e32 v15, 64, v17
	v_xor_b32_e32 v11, 4, v14
	v_cmp_lt_i32_e32 vcc, v11, v15
	s_ashr_i32 s15, s14, 31
	s_lshl_b64 s[6:7], s[14:15], 2
	v_cndmask_b32_e32 v11, v14, v11, vcc
	v_lshlrev_b32_e32 v21, 2, v11
	v_xor_b32_e32 v11, 2, v14
	v_cmp_lt_i32_e32 vcc, v11, v15
	v_bfe_u32 v19, v0, 3, 3
	s_waitcnt lgkmcnt(0)
	s_add_u32 s0, s0, s6
	v_cndmask_b32_e32 v11, v14, v11, vcc
	s_addc_u32 s1, s1, s7
	v_lshlrev_b32_e32 v12, 4, v19
	v_mov_b32_e32 v13, 0
	v_and_b32_e32 v4, 3, v0
	v_lshlrev_b32_e32 v22, 2, v11
	v_xor_b32_e32 v11, 1, v14
	v_lshl_add_u64 v[2:3], s[0:1], 0, v[12:13]
	v_lshlrev_b32_e32 v12, 2, v4
	v_lshlrev_b32_e32 v6, 5, v10
	v_cmp_lt_i32_e32 vcc, v11, v15
	v_lshl_add_u64 v[24:25], v[2:3], 0, v[12:13]
	ds_read_b128 v[2:5], v6
	ds_read_b128 v[6:9], v6 offset:16
	v_cndmask_b32_e32 v11, v14, v11, vcc
	v_cmp_eq_u32_e32 vcc, 0, v10
	v_lshlrev_b32_e32 v10, 5, v0
	v_lshlrev_b32_e32 v26, 2, v19
	v_and_b32_e32 v12, 0x80, v10
	s_sub_i32 s15, 1, s17
	s_lshl_b64 s[6:7], s[24:25], 2
	v_lshlrev_b32_e32 v23, 2, v11
	v_lshl_add_u64 v[10:11], v[24:25], 0, v[12:13]
	v_lshl_or_b32 v12, v20, 5, v26
	s_add_u32 s6, s22, s6
	v_add_u32_e32 v25, 0x110, v12
	v_and_b32_e32 v12, 60, v18
	s_addc_u32 s7, s23, s7
	s_mov_b32 s33, s13
	v_cmp_neq_f32_e64 s[0:1], s10, 0
	v_lshl_or_b32 v24, v20, 3, v19
	v_lshl_add_u64 v[12:13], s[6:7], 0, v[12:13]
	v_mov_b32_e32 v19, 0xff7fffff
	s_mov_b64 s[30:31], 0
	v_mov_b32_e32 v26, v20
	s_branch .LBB10_9
.LBB10_8:                               ;   in Loop: Header=BB10_9 Depth=1
	s_or_b64 exec, exec, s[34:35]
	v_add_u32_e32 v26, 2, v26
	v_cmp_le_i32_e64 s[6:7], s19, v26
	v_add_u32_e32 v24, 16, v24
	v_add_u32_e32 v25, 64, v25
	s_or_b64 s[30:31], s[6:7], s[30:31]
	v_lshl_add_u64 v[12:13], v[12:13], 0, 8
	s_andn2_b64 exec, exec, s[30:31]
	s_cbranch_execz .LBB10_11
.LBB10_9:                               ; =>This Inner Loop Header: Depth=1
	global_load_dword v27, v[12:13], off
	s_waitcnt vmcnt(0) lgkmcnt(0)
	v_mad_i64_i32 v[28:29], s[6:7], v27, s33, 0
	v_lshl_add_u64 v[28:29], v[28:29], 2, v[10:11]
	global_load_dword v27, v[28:29], off offset:256
	global_load_dword v30, v[28:29], off
	global_load_dword v31, v[28:29], off offset:512
	global_load_dword v32, v[28:29], off offset:768
	;; [unrolled: 1-line block ×6, first 2 shown]
	s_waitcnt vmcnt(7) lgkmcnt(1)
	v_mul_f32_e32 v27, v3, v27
	s_waitcnt vmcnt(6)
	v_fmac_f32_e32 v27, v2, v30
	s_waitcnt vmcnt(5)
	v_fmac_f32_e32 v27, v4, v31
	;; [unrolled: 2-line block ×3, first 2 shown]
	s_waitcnt vmcnt(3) lgkmcnt(0)
	v_fmac_f32_e32 v27, v6, v33
	s_waitcnt vmcnt(2)
	v_fmac_f32_e32 v27, v7, v34
	s_waitcnt vmcnt(1)
	;; [unrolled: 2-line block ×3, first 2 shown]
	v_fmac_f32_e32 v27, v9, v36
	ds_bpermute_b32 v28, v21, v27
	s_waitcnt lgkmcnt(0)
	v_add_f32_e32 v27, v27, v28
	ds_bpermute_b32 v28, v22, v27
	s_waitcnt lgkmcnt(0)
	v_add_f32_e32 v27, v27, v28
	ds_bpermute_b32 v28, v23, v27
	s_and_saveexec_b64 s[34:35], vcc
	s_cbranch_execz .LBB10_8
; %bb.10:                               ;   in Loop: Header=BB10_9 Depth=1
	v_add_u32_e32 v29, s15, v24
	v_cvt_f32_i32_e32 v29, v29
	s_waitcnt lgkmcnt(0)
	v_add_f32_e32 v27, v27, v28
	v_cmp_gt_i32_e64 s[6:7], s17, v24
	v_max_f32_e32 v28, v19, v19
	v_mul_f32_e32 v29, s10, v29
	v_cndmask_b32_e64 v29, 0, v29, s[0:1]
	v_fmac_f32_e32 v29, s11, v27
	v_cndmask_b32_e64 v27, 0, v29, s[6:7]
	ds_write_b32 v25, v27
	v_max_f32_e32 v27, v28, v29
	v_cndmask_b32_e64 v19, v19, v27, s[6:7]
	s_branch .LBB10_8
.LBB10_11:
	s_or_b64 exec, exec, s[30:31]
.LBB10_12:
	s_or_b64 exec, exec, s[28:29]
	v_xor_b32_e32 v2, 32, v14
	v_cmp_lt_i32_e32 vcc, v2, v15
	v_xor_b32_e32 v5, 16, v14
	v_max_f32_e32 v4, v19, v19
	v_cndmask_b32_e32 v2, v14, v2, vcc
	v_lshlrev_b32_e32 v3, 2, v2
	ds_bpermute_b32 v2, v3, v19
	v_cmp_lt_i32_e32 vcc, v5, v15
	v_xor_b32_e32 v6, 8, v14
	v_and_b32_e32 v21, 63, v0
	s_waitcnt lgkmcnt(0)
	v_max_f32_e32 v2, v2, v2
	v_max_f32_e32 v2, v4, v2
	v_cndmask_b32_e32 v4, v14, v5, vcc
	v_lshlrev_b32_e32 v5, 2, v4
	ds_bpermute_b32 v4, v5, v2
	v_cmp_lt_i32_e32 vcc, v6, v15
	s_waitcnt lgkmcnt(0)
	v_max_f32_e32 v4, v4, v4
	v_max_f32_e32 v4, v2, v4
	v_cndmask_b32_e32 v2, v14, v6, vcc
	v_lshlrev_b32_e32 v6, 2, v2
	ds_bpermute_b32 v7, v6, v4
	v_cmp_eq_u32_e32 vcc, 0, v21
	v_lshlrev_b32_e32 v2, 2, v20
	s_and_saveexec_b64 s[0:1], vcc
	s_cbranch_execz .LBB10_14
; %bb.13:
	s_waitcnt lgkmcnt(0)
	v_max_f32_e32 v7, v7, v7
	v_max_f32_e32 v4, v4, v4
	v_max_f32_e32 v4, v4, v7
	ds_write_b32 v2, v4 offset:256
.LBB10_14:
	s_or_b64 exec, exec, s[0:1]
	v_cmp_gt_u32_e64 s[0:1], 2, v21
	s_waitcnt lgkmcnt(0)
	v_mov_b32_e32 v7, 0xff7fffff
	v_lshlrev_b32_e32 v4, 2, v21
	s_barrier
	s_and_saveexec_b64 s[6:7], s[0:1]
; %bb.15:
	ds_read_b32 v7, v4 offset:256
; %bb.16:
	s_or_b64 exec, exec, s[6:7]
	v_xor_b32_e32 v8, 1, v14
	v_cmp_lt_i32_e64 s[6:7], v8, v15
	s_nop 1
	v_cndmask_b32_e64 v8, v14, v8, s[6:7]
	v_lshlrev_b32_e32 v22, 2, v8
	s_waitcnt lgkmcnt(0)
	ds_bpermute_b32 v8, v22, v7
	v_max_f32_e32 v7, v7, v7
	s_lshl_b32 s6, s19, 3
	s_min_i32 s15, s6, s17
	v_cmp_gt_i32_e64 s[6:7], s15, v0
	s_waitcnt lgkmcnt(0)
	v_max_f32_e32 v8, v8, v8
	v_max_f32_e32 v7, v7, v8
	v_lshlrev_b32_e32 v8, 2, v17
	ds_bpermute_b32 v8, v8, v7
	v_mov_b32_e32 v7, 0
	s_and_saveexec_b64 s[28:29], s[6:7]
	s_cbranch_execz .LBB10_20
; %bb.17:
	v_mov_b32_e32 v7, 0x110
	v_lshl_add_u32 v9, v0, 2, v7
	v_mov_b32_e32 v7, 0
	s_mov_b64 s[30:31], 0
	v_mov_b32_e32 v10, v0
.LBB10_18:                              ; =>This Inner Loop Header: Depth=1
	ds_read_b32 v11, v9
	v_add_u32_e32 v10, 0x80, v10
	v_cmp_le_i32_e64 s[10:11], s15, v10
	s_or_b64 s[30:31], s[10:11], s[30:31]
	s_waitcnt lgkmcnt(0)
	v_sub_f32_e32 v11, v11, v8
	v_mul_f32_e32 v11, 0x3fb8aa3b, v11
	v_exp_f32_e32 v11, v11
	ds_write_b32 v9, v11
	v_add_f32_e32 v7, v7, v11
	v_add_u32_e32 v9, 0x200, v9
	s_andn2_b64 exec, exec, s[30:31]
	s_cbranch_execnz .LBB10_18
; %bb.19:
	s_or_b64 exec, exec, s[30:31]
.LBB10_20:
	s_or_b64 exec, exec, s[28:29]
	ds_bpermute_b32 v3, v3, v7
	s_waitcnt lgkmcnt(0)
	v_add_f32_e32 v3, v7, v3
	ds_bpermute_b32 v5, v5, v3
	s_waitcnt lgkmcnt(0)
	v_add_f32_e32 v3, v3, v5
	ds_bpermute_b32 v5, v6, v3
	v_xor_b32_e32 v6, 4, v14
	v_cmp_lt_i32_e64 s[10:11], v6, v15
	s_waitcnt lgkmcnt(0)
	v_add_f32_e32 v3, v3, v5
	v_cndmask_b32_e64 v6, v14, v6, s[10:11]
	v_lshlrev_b32_e32 v6, 2, v6
	ds_bpermute_b32 v5, v6, v3
	v_xor_b32_e32 v6, 2, v14
	v_cmp_lt_i32_e64 s[10:11], v6, v15
	s_waitcnt lgkmcnt(0)
	v_add_f32_e32 v3, v3, v5
	v_cndmask_b32_e64 v6, v14, v6, s[10:11]
	v_lshlrev_b32_e32 v5, 2, v6
	ds_bpermute_b32 v5, v5, v3
	s_waitcnt lgkmcnt(0)
	v_add_f32_e32 v3, v3, v5
	ds_bpermute_b32 v5, v22, v3
	s_waitcnt lgkmcnt(0)
	v_add_f32_e32 v3, v3, v5
	s_and_saveexec_b64 s[10:11], vcc
; %bb.21:
	ds_write_b32 v2, v3 offset:264
; %bb.22:
	s_or_b64 exec, exec, s[10:11]
	s_waitcnt lgkmcnt(0)
	s_barrier
	s_and_saveexec_b64 s[10:11], s[0:1]
; %bb.23:
	ds_read_b32 v3, v4 offset:264
; %bb.24:
	s_or_b64 exec, exec, s[10:11]
	s_waitcnt lgkmcnt(0)
	ds_bpermute_b32 v2, v22, v3
	v_lshlrev_b32_e32 v4, 2, v14
	s_waitcnt lgkmcnt(0)
	v_add_f32_e32 v2, v3, v2
	v_and_b32_e32 v3, 0xffffff00, v4
	ds_bpermute_b32 v2, v3, v2
	s_and_saveexec_b64 s[0:1], s[6:7]
	s_cbranch_execz .LBB10_37
; %bb.25:
	s_waitcnt lgkmcnt(0)
	v_add_f32_e32 v2, 0x358637bd, v2
	v_div_scale_f32 v3, s[6:7], v2, v2, 1.0
	v_rcp_f32_e32 v4, v3
	v_div_scale_f32 v5, vcc, 1.0, v2, 1.0
	s_movk_i32 s6, 0x7f
	v_fma_f32 v6, -v3, v4, 1.0
	v_fmac_f32_e32 v4, v6, v4
	v_mul_f32_e32 v6, v5, v4
	v_fma_f32 v7, -v3, v6, v5
	v_fmac_f32_e32 v6, v7, v4
	v_fma_f32 v3, -v3, v6, v5
	v_div_fmas_f32 v3, v3, v4, v6
	v_xad_u32 v4, v0, -1, s15
	v_div_fixup_f32 v2, v3, v2, 1.0
	v_cmp_lt_u32_e32 vcc, s6, v4
	s_mov_b64 s[10:11], -1
	v_mov_b32_e32 v3, v0
	s_and_saveexec_b64 s[6:7], vcc
	s_cbranch_execz .LBB10_34
; %bb.26:
	v_lshrrev_b32_e32 v4, 7, v4
	v_add_u32_e32 v6, -1, v4
	v_lshrrev_b32_e32 v5, 1, v6
	v_mov_b32_e32 v3, v2
	v_add_u32_e32 v5, 1, v5
	v_cmp_lt_u32_e32 vcc, 13, v6
	v_mov_b32_e32 v8, 0
	s_and_saveexec_b64 s[10:11], vcc
	s_cbranch_execz .LBB10_30
; %bb.27:
	v_mov_b32_e32 v7, 0x110
	v_and_b32_e32 v6, -8, v5
	v_lshl_add_u32 v7, v0, 2, v7
	s_mov_b32 s30, 0
	s_mov_b64 s[28:29], 0
.LBB10_28:                              ; =>This Inner Loop Header: Depth=1
	ds_read2st64_b32 v[8:9], v7 offset1:2
	ds_read2st64_b32 v[10:11], v7 offset0:4 offset1:6
	ds_read2st64_b32 v[12:13], v7 offset0:8 offset1:10
	;; [unrolled: 1-line block ×3, first 2 shown]
	v_add_u32_e32 v6, -8, v6
	s_waitcnt lgkmcnt(3)
	v_pk_mul_f32 v[8:9], v[2:3], v[8:9]
	s_waitcnt lgkmcnt(2)
	v_pk_mul_f32 v[10:11], v[2:3], v[10:11]
	ds_write2st64_b32 v7, v8, v9 offset1:2
	ds_write2st64_b32 v7, v10, v11 offset0:4 offset1:6
	ds_read2st64_b32 v[10:11], v7 offset0:16 offset1:18
	s_waitcnt lgkmcnt(4)
	v_pk_mul_f32 v[8:9], v[2:3], v[12:13]
	ds_write2st64_b32 v7, v8, v9 offset0:8 offset1:10
	s_waitcnt lgkmcnt(4)
	v_pk_mul_f32 v[8:9], v[2:3], v[14:15]
	ds_write2st64_b32 v7, v8, v9 offset0:12 offset1:14
	ds_read2st64_b32 v[8:9], v7 offset0:20 offset1:22
	s_waitcnt lgkmcnt(3)
	v_pk_mul_f32 v[10:11], v[2:3], v[10:11]
	ds_read2st64_b32 v[12:13], v7 offset0:24 offset1:26
	ds_write2st64_b32 v7, v10, v11 offset0:16 offset1:18
	ds_read2st64_b32 v[10:11], v7 offset0:28 offset1:30
	s_waitcnt lgkmcnt(3)
	v_pk_mul_f32 v[8:9], v[2:3], v[8:9]
	ds_write2st64_b32 v7, v8, v9 offset0:20 offset1:22
	s_waitcnt lgkmcnt(3)
	v_pk_mul_f32 v[8:9], v[2:3], v[12:13]
	ds_write2st64_b32 v7, v8, v9 offset0:24 offset1:26
	s_waitcnt lgkmcnt(2)
	v_pk_mul_f32 v[8:9], v[2:3], v[10:11]
	s_add_i32 s30, s30, 16
	v_cmp_eq_u32_e32 vcc, 0, v6
	ds_write2st64_b32 v7, v8, v9 offset0:28 offset1:30
	v_add_u32_e32 v7, 0x2000, v7
	s_or_b64 s[28:29], vcc, s[28:29]
	v_mov_b32_e32 v8, s30
	s_andn2_b64 exec, exec, s[28:29]
	s_cbranch_execnz .LBB10_28
; %bb.29:
	s_or_b64 exec, exec, s[28:29]
.LBB10_30:
	s_or_b64 exec, exec, s[10:11]
	v_and_b32_e32 v5, 7, v5
	v_cmp_ne_u32_e32 vcc, 0, v5
	s_and_saveexec_b64 s[10:11], vcc
	s_cbranch_execz .LBB10_33
; %bb.31:
	v_lshlrev_b32_e32 v6, 9, v8
	s_movk_i32 s28, 0x110
	v_add3_u32 v6, v6, v16, s28
	s_mov_b64 s[28:29], 0
.LBB10_32:                              ; =>This Inner Loop Header: Depth=1
	ds_read2st64_b32 v[8:9], v6 offset1:2
	v_add_u32_e32 v5, -1, v5
	v_cmp_eq_u32_e32 vcc, 0, v5
	s_or_b64 s[28:29], vcc, s[28:29]
	s_waitcnt lgkmcnt(0)
	v_pk_mul_f32 v[8:9], v[2:3], v[8:9]
	ds_write2st64_b32 v6, v8, v9 offset1:2
	v_add_u32_e32 v6, 0x400, v6
	s_andn2_b64 exec, exec, s[28:29]
	s_cbranch_execnz .LBB10_32
.LBB10_33:
	s_or_b64 exec, exec, s[10:11]
	v_add_u32_e32 v4, 1, v4
	v_and_b32_e32 v5, 0x3fffffe, v4
	v_cmp_ne_u32_e32 vcc, v4, v5
	v_lshl_add_u32 v3, v5, 7, v0
	s_orn2_b64 s[10:11], vcc, exec
.LBB10_34:
	s_or_b64 exec, exec, s[6:7]
	s_and_b64 exec, exec, s[10:11]
	s_cbranch_execz .LBB10_37
; %bb.35:
	v_mov_b32_e32 v4, 0x110
	v_lshl_add_u32 v4, v3, 2, v4
	s_mov_b64 s[6:7], 0
.LBB10_36:                              ; =>This Inner Loop Header: Depth=1
	ds_read_b32 v5, v4
	v_add_u32_e32 v3, 0x80, v3
	v_cmp_le_i32_e32 vcc, s15, v3
	s_or_b64 s[6:7], vcc, s[6:7]
	s_waitcnt lgkmcnt(0)
	v_mul_f32_e32 v5, v2, v5
	ds_write_b32 v4, v5
	v_add_u32_e32 v4, 0x200, v4
	s_andn2_b64 exec, exec, s[6:7]
	s_cbranch_execnz .LBB10_36
.LBB10_37:
	s_or_b64 exec, exec, s[0:1]
	v_mov_b32_e32 v15, 0
	v_and_b32_e32 v23, 1, v0
	v_mov_b32_e32 v14, 0
	s_waitcnt lgkmcnt(0)
	s_barrier
	s_and_saveexec_b64 s[6:7], s[2:3]
	s_cbranch_execz .LBB10_45
; %bb.38:
	s_ashr_i32 s15, s14, 31
	s_lshl_b64 s[0:1], s[14:15], 2
	s_add_u32 s0, s26, s0
	v_lshlrev_b32_e32 v3, 4, v0
	s_addc_u32 s1, s27, s1
	v_and_b32_e32 v14, 0x3f0, v3
	v_mov_b32_e32 v15, 0
	v_and_b32_e32 v2, 4, v16
	s_add_i32 s14, s19, -1
	v_lshl_add_u64 v[16:17], s[0:1], 0, v[14:15]
	s_lshl_b64 s[0:1], s[24:25], 2
	v_lshl_or_b32 v24, v20, 3, v2
	v_lshlrev_b32_e32 v2, 4, v23
	s_add_u32 s0, s22, s0
	v_lshl_or_b32 v2, v20, 5, v2
	v_and_b32_e32 v14, 60, v18
	s_addc_u32 s1, s23, s1
	s_mov_b32 s15, s17
	v_add_u32_e32 v25, 0x110, v2
	v_lshl_add_u64 v[18:19], s[0:1], 0, v[14:15]
	s_mov_b64 s[2:3], 0
	v_mov_b32_e32 v14, v15
	s_branch .LBB10_40
.LBB10_39:                              ;   in Loop: Header=BB10_40 Depth=1
	s_or_b64 exec, exec, s[0:1]
	s_waitcnt vmcnt(1) lgkmcnt(0)
	v_mul_f32_e32 v6, v2, v6
	v_fmac_f32_e32 v6, v3, v7
	v_fmac_f32_e32 v6, v4, v8
	s_waitcnt vmcnt(0)
	v_pk_mul_f32 v[2:3], v[2:3], v[10:11]
	v_fmac_f32_e32 v6, v5, v9
	v_pk_mul_f32 v[4:5], v[4:5], v[12:13]
	v_add_f32_e32 v2, v3, v2
	v_add_f32_e32 v2, v4, v2
	v_add_u32_e32 v20, 2, v20
	v_add_f32_e32 v2, v5, v2
	v_cmp_le_i32_e32 vcc, s19, v20
	v_add_f32_e32 v14, v14, v6
	v_add_f32_e32 v15, v15, v2
	v_add_u32_e32 v24, 16, v24
	v_add_u32_e32 v25, 64, v25
	s_or_b64 s[2:3], vcc, s[2:3]
	v_lshl_add_u64 v[18:19], v[18:19], 0, 8
	s_andn2_b64 exec, exec, s[2:3]
	s_cbranch_execz .LBB10_44
.LBB10_40:                              ; =>This Inner Loop Header: Depth=1
	global_load_dword v2, v[18:19], off
	v_cmp_eq_u32_e32 vcc, s14, v20
	v_add_u32_e32 v28, 1, v24
	v_or_b32_e32 v27, 3, v24
	v_or_b32_e32 v26, 2, v24
	s_waitcnt vmcnt(0)
	v_mad_i64_i32 v[2:3], s[0:1], v2, s13, 0
	v_lshl_add_u64 v[10:11], v[2:3], 2, v[16:17]
	global_load_dwordx4 v[6:9], v[10:11], off
	ds_read_b128 v[2:5], v25
	s_and_saveexec_b64 s[10:11], vcc
	s_cbranch_execz .LBB10_42
; %bb.41:                               ;   in Loop: Header=BB10_40 Depth=1
	v_cmp_gt_i32_e64 s[0:1], s15, v28
	s_waitcnt vmcnt(0)
	s_nop 0
	v_cndmask_b32_e64 v7, 0, v7, s[0:1]
	v_cmp_gt_i32_e64 s[0:1], s17, v24
	s_nop 1
	v_cndmask_b32_e64 v6, 0, v6, s[0:1]
	v_cmp_gt_i32_e64 s[0:1], s15, v27
	;; [unrolled: 3-line block ×3, first 2 shown]
	s_nop 1
	v_cndmask_b32_e64 v8, 0, v8, s[0:1]
.LBB10_42:                              ;   in Loop: Header=BB10_40 Depth=1
	s_or_b64 exec, exec, s[10:11]
	global_load_dwordx4 v[10:13], v[10:11], off offset:1024
	s_and_saveexec_b64 s[0:1], vcc
	s_cbranch_execz .LBB10_39
; %bb.43:                               ;   in Loop: Header=BB10_40 Depth=1
	v_cmp_gt_i32_e32 vcc, s15, v28
	s_waitcnt vmcnt(0)
	s_nop 0
	v_cndmask_b32_e32 v11, 0, v11, vcc
	v_cmp_gt_i32_e32 vcc, s17, v24
	s_nop 1
	v_cndmask_b32_e32 v10, 0, v10, vcc
	v_cmp_gt_i32_e32 vcc, s15, v27
	;; [unrolled: 3-line block ×3, first 2 shown]
	s_nop 1
	v_cndmask_b32_e32 v12, 0, v12, vcc
	s_branch .LBB10_39
.LBB10_44:
	s_or_b64 exec, exec, s[2:3]
.LBB10_45:
	s_or_b64 exec, exec, s[6:7]
	ds_bpermute_b32 v2, v22, v14
	ds_bpermute_b32 v3, v22, v15
	v_and_b32_e32 v0, 0x3c1, v0
	v_cmp_eq_u32_e32 vcc, 64, v0
	s_waitcnt lgkmcnt(0)
	s_barrier
	v_pk_add_f32 v[2:3], v[14:15], v[2:3]
	s_and_saveexec_b64 s[0:1], vcc
; %bb.46:
	v_mov_b32_e32 v4, 0x110
	v_lshl_add_u32 v4, v21, 1, v4
	ds_write2_b32 v4, v2, v3 offset1:32
; %bb.47:
	s_or_b64 exec, exec, s[0:1]
	s_waitcnt lgkmcnt(0)
	s_barrier
	s_and_saveexec_b64 s[0:1], s[8:9]
	s_cbranch_execz .LBB10_53
; %bb.48:
	v_mov_b32_e32 v4, 0x110
	v_cmp_eq_u32_e32 vcc, 0, v23
	v_lshl_add_u32 v4, v1, 2, v4
	s_and_saveexec_b64 s[2:3], vcc
	s_cbranch_execz .LBB10_50
; %bb.49:
	ds_read_b32 v5, v4
	s_waitcnt lgkmcnt(0)
	v_add_f32_e32 v2, v2, v5
.LBB10_50:
	s_or_b64 exec, exec, s[2:3]
	s_and_saveexec_b64 s[2:3], vcc
	s_cbranch_execz .LBB10_52
; %bb.51:
	ds_read_b32 v4, v4 offset:128
	s_waitcnt lgkmcnt(0)
	v_add_f32_e32 v3, v3, v4
.LBB10_52:
	s_or_b64 exec, exec, s[2:3]
.LBB10_53:
	s_or_b64 exec, exec, s[0:1]
	v_cmp_eq_u32_e32 vcc, 0, v0
	s_barrier
	s_and_saveexec_b64 s[0:1], vcc
	s_cbranch_execz .LBB10_55
; %bb.54:
	s_mul_i32 s0, s16, s12
	s_mul_i32 s0, s0, s5
	s_lshl_b32 s0, s0, 6
	s_ashr_i32 s1, s0, 31
	s_lshl_b64 s[0:1], s[0:1], 2
	s_add_u32 s2, s20, s0
	s_mul_i32 s0, s12, s18
	s_addc_u32 s3, s21, s1
	s_ashr_i32 s1, s0, 31
	s_lshl_b64 s[0:1], s[0:1], 2
	s_add_u32 s2, s2, s0
	s_addc_u32 s3, s3, s1
	s_lshl_b32 s0, s4, 6
	s_ashr_i32 s1, s0, 31
	s_lshl_b64 s[0:1], s[0:1], 2
	s_add_u32 s0, s2, s0
	s_addc_u32 s1, s3, s1
	v_lshlrev_b32_e32 v0, 2, v1
	global_store_dword v0, v2, s[0:1]
	global_store_dword v0, v3, s[0:1] offset:128
.LBB10_55:
	s_endpgm
	.section	.rodata,"a",@progbits
	.p2align	6, 0x0
	.amdhsa_kernel _ZN4vllm25paged_attention_v1_kernelIffLi64ELi8ELi128ELNS_18Fp8KVCacheDataTypeE0ELb0EEEvPT_PKS2_PKT0_S8_ifPKiSA_iPKfiiiSC_SC_iiiii
		.amdhsa_group_segment_fixed_size 272
		.amdhsa_private_segment_fixed_size 0
		.amdhsa_kernarg_size 384
		.amdhsa_user_sgpr_count 2
		.amdhsa_user_sgpr_dispatch_ptr 0
		.amdhsa_user_sgpr_queue_ptr 0
		.amdhsa_user_sgpr_kernarg_segment_ptr 1
		.amdhsa_user_sgpr_dispatch_id 0
		.amdhsa_user_sgpr_kernarg_preload_length 0
		.amdhsa_user_sgpr_kernarg_preload_offset 0
		.amdhsa_user_sgpr_private_segment_size 0
		.amdhsa_uses_dynamic_stack 0
		.amdhsa_enable_private_segment 0
		.amdhsa_system_sgpr_workgroup_id_x 1
		.amdhsa_system_sgpr_workgroup_id_y 1
		.amdhsa_system_sgpr_workgroup_id_z 1
		.amdhsa_system_sgpr_workgroup_info 0
		.amdhsa_system_vgpr_workitem_id 0
		.amdhsa_next_free_vgpr 37
		.amdhsa_next_free_sgpr 36
		.amdhsa_accum_offset 40
		.amdhsa_reserve_vcc 1
		.amdhsa_float_round_mode_32 0
		.amdhsa_float_round_mode_16_64 0
		.amdhsa_float_denorm_mode_32 3
		.amdhsa_float_denorm_mode_16_64 3
		.amdhsa_dx10_clamp 1
		.amdhsa_ieee_mode 1
		.amdhsa_fp16_overflow 0
		.amdhsa_tg_split 0
		.amdhsa_exception_fp_ieee_invalid_op 0
		.amdhsa_exception_fp_denorm_src 0
		.amdhsa_exception_fp_ieee_div_zero 0
		.amdhsa_exception_fp_ieee_overflow 0
		.amdhsa_exception_fp_ieee_underflow 0
		.amdhsa_exception_fp_ieee_inexact 0
		.amdhsa_exception_int_div_zero 0
	.end_amdhsa_kernel
	.section	.text._ZN4vllm25paged_attention_v1_kernelIffLi64ELi8ELi128ELNS_18Fp8KVCacheDataTypeE0ELb0EEEvPT_PKS2_PKT0_S8_ifPKiSA_iPKfiiiSC_SC_iiiii,"axG",@progbits,_ZN4vllm25paged_attention_v1_kernelIffLi64ELi8ELi128ELNS_18Fp8KVCacheDataTypeE0ELb0EEEvPT_PKS2_PKT0_S8_ifPKiSA_iPKfiiiSC_SC_iiiii,comdat
.Lfunc_end10:
	.size	_ZN4vllm25paged_attention_v1_kernelIffLi64ELi8ELi128ELNS_18Fp8KVCacheDataTypeE0ELb0EEEvPT_PKS2_PKT0_S8_ifPKiSA_iPKfiiiSC_SC_iiiii, .Lfunc_end10-_ZN4vllm25paged_attention_v1_kernelIffLi64ELi8ELi128ELNS_18Fp8KVCacheDataTypeE0ELb0EEEvPT_PKS2_PKT0_S8_ifPKiSA_iPKfiiiSC_SC_iiiii
                                        ; -- End function
	.set _ZN4vllm25paged_attention_v1_kernelIffLi64ELi8ELi128ELNS_18Fp8KVCacheDataTypeE0ELb0EEEvPT_PKS2_PKT0_S8_ifPKiSA_iPKfiiiSC_SC_iiiii.num_vgpr, 37
	.set _ZN4vllm25paged_attention_v1_kernelIffLi64ELi8ELi128ELNS_18Fp8KVCacheDataTypeE0ELb0EEEvPT_PKS2_PKT0_S8_ifPKiSA_iPKfiiiSC_SC_iiiii.num_agpr, 0
	.set _ZN4vllm25paged_attention_v1_kernelIffLi64ELi8ELi128ELNS_18Fp8KVCacheDataTypeE0ELb0EEEvPT_PKS2_PKT0_S8_ifPKiSA_iPKfiiiSC_SC_iiiii.numbered_sgpr, 36
	.set _ZN4vllm25paged_attention_v1_kernelIffLi64ELi8ELi128ELNS_18Fp8KVCacheDataTypeE0ELb0EEEvPT_PKS2_PKT0_S8_ifPKiSA_iPKfiiiSC_SC_iiiii.num_named_barrier, 0
	.set _ZN4vllm25paged_attention_v1_kernelIffLi64ELi8ELi128ELNS_18Fp8KVCacheDataTypeE0ELb0EEEvPT_PKS2_PKT0_S8_ifPKiSA_iPKfiiiSC_SC_iiiii.private_seg_size, 0
	.set _ZN4vllm25paged_attention_v1_kernelIffLi64ELi8ELi128ELNS_18Fp8KVCacheDataTypeE0ELb0EEEvPT_PKS2_PKT0_S8_ifPKiSA_iPKfiiiSC_SC_iiiii.uses_vcc, 1
	.set _ZN4vllm25paged_attention_v1_kernelIffLi64ELi8ELi128ELNS_18Fp8KVCacheDataTypeE0ELb0EEEvPT_PKS2_PKT0_S8_ifPKiSA_iPKfiiiSC_SC_iiiii.uses_flat_scratch, 0
	.set _ZN4vllm25paged_attention_v1_kernelIffLi64ELi8ELi128ELNS_18Fp8KVCacheDataTypeE0ELb0EEEvPT_PKS2_PKT0_S8_ifPKiSA_iPKfiiiSC_SC_iiiii.has_dyn_sized_stack, 0
	.set _ZN4vllm25paged_attention_v1_kernelIffLi64ELi8ELi128ELNS_18Fp8KVCacheDataTypeE0ELb0EEEvPT_PKS2_PKT0_S8_ifPKiSA_iPKfiiiSC_SC_iiiii.has_recursion, 0
	.set _ZN4vllm25paged_attention_v1_kernelIffLi64ELi8ELi128ELNS_18Fp8KVCacheDataTypeE0ELb0EEEvPT_PKS2_PKT0_S8_ifPKiSA_iPKfiiiSC_SC_iiiii.has_indirect_call, 0
	.section	.AMDGPU.csdata,"",@progbits
; Kernel info:
; codeLenInByte = 3268
; TotalNumSgprs: 42
; NumVgprs: 37
; NumAgprs: 0
; TotalNumVgprs: 37
; ScratchSize: 0
; MemoryBound: 0
; FloatMode: 240
; IeeeMode: 1
; LDSByteSize: 272 bytes/workgroup (compile time only)
; SGPRBlocks: 5
; VGPRBlocks: 4
; NumSGPRsForWavesPerEU: 42
; NumVGPRsForWavesPerEU: 37
; AccumOffset: 40
; Occupancy: 8
; WaveLimiterHint : 1
; COMPUTE_PGM_RSRC2:SCRATCH_EN: 0
; COMPUTE_PGM_RSRC2:USER_SGPR: 2
; COMPUTE_PGM_RSRC2:TRAP_HANDLER: 0
; COMPUTE_PGM_RSRC2:TGID_X_EN: 1
; COMPUTE_PGM_RSRC2:TGID_Y_EN: 1
; COMPUTE_PGM_RSRC2:TGID_Z_EN: 1
; COMPUTE_PGM_RSRC2:TIDIG_COMP_CNT: 0
; COMPUTE_PGM_RSRC3_GFX90A:ACCUM_OFFSET: 9
; COMPUTE_PGM_RSRC3_GFX90A:TG_SPLIT: 0
	.section	.text._ZN4vllm25paged_attention_v1_kernelIffLi80ELi8ELi128ELNS_18Fp8KVCacheDataTypeE0ELb0EEEvPT_PKS2_PKT0_S8_ifPKiSA_iPKfiiiSC_SC_iiiii,"axG",@progbits,_ZN4vllm25paged_attention_v1_kernelIffLi80ELi8ELi128ELNS_18Fp8KVCacheDataTypeE0ELb0EEEvPT_PKS2_PKT0_S8_ifPKiSA_iPKfiiiSC_SC_iiiii,comdat
	.protected	_ZN4vllm25paged_attention_v1_kernelIffLi80ELi8ELi128ELNS_18Fp8KVCacheDataTypeE0ELb0EEEvPT_PKS2_PKT0_S8_ifPKiSA_iPKfiiiSC_SC_iiiii ; -- Begin function _ZN4vllm25paged_attention_v1_kernelIffLi80ELi8ELi128ELNS_18Fp8KVCacheDataTypeE0ELb0EEEvPT_PKS2_PKT0_S8_ifPKiSA_iPKfiiiSC_SC_iiiii
	.globl	_ZN4vllm25paged_attention_v1_kernelIffLi80ELi8ELi128ELNS_18Fp8KVCacheDataTypeE0ELb0EEEvPT_PKS2_PKT0_S8_ifPKiSA_iPKfiiiSC_SC_iiiii
	.p2align	8
	.type	_ZN4vllm25paged_attention_v1_kernelIffLi80ELi8ELi128ELNS_18Fp8KVCacheDataTypeE0ELb0EEEvPT_PKS2_PKT0_S8_ifPKiSA_iPKfiiiSC_SC_iiiii,@function
_ZN4vllm25paged_attention_v1_kernelIffLi80ELi8ELi128ELNS_18Fp8KVCacheDataTypeE0ELb0EEEvPT_PKS2_PKT0_S8_ifPKiSA_iPKfiiiSC_SC_iiiii: ; @_ZN4vllm25paged_attention_v1_kernelIffLi80ELi8ELi128ELNS_18Fp8KVCacheDataTypeE0ELb0EEEvPT_PKS2_PKT0_S8_ifPKiSA_iPKfiiiSC_SC_iiiii
; %bb.0:
	s_load_dword s5, s[0:1], 0x80
	s_load_dwordx2 s[6:7], s[0:1], 0x30
	s_load_dwordx2 s[8:9], s[0:1], 0x20
	s_mov_b32 s10, s3
	s_ashr_i32 s11, s3, 31
	s_lshl_b64 s[12:13], s[10:11], 2
	s_waitcnt lgkmcnt(0)
	s_add_u32 s6, s6, s12
	s_addc_u32 s7, s7, s13
	s_abs_i32 s3, s8
	v_cvt_f32_u32_e32 v1, s3
	s_sub_i32 s12, 0, s3
	s_abs_i32 s11, s5
	s_xor_b32 s8, s5, s8
	v_rcp_iflag_f32_e32 v1, v1
	s_ashr_i32 s8, s8, 31
	v_mul_f32_e32 v1, 0x4f7ffffe, v1
	v_cvt_u32_f32_e32 v1, v1
	s_nop 0
	v_readfirstlane_b32 s13, v1
	s_mul_i32 s12, s12, s13
	s_mul_hi_u32 s12, s13, s12
	s_add_i32 s13, s13, s12
	s_mul_hi_u32 s12, s11, s13
	s_mul_i32 s13, s12, s3
	s_sub_i32 s11, s11, s13
	s_add_i32 s13, s12, 1
	s_sub_i32 s14, s11, s3
	s_cmp_ge_u32 s11, s3
	s_cselect_b32 s12, s13, s12
	s_cselect_b32 s11, s14, s11
	s_add_i32 s13, s12, 1
	s_cmp_ge_u32 s11, s3
	s_cselect_b32 s3, s13, s12
	s_xor_b32 s3, s3, s8
	s_sub_i32 s14, s3, s8
	s_abs_i32 s11, s14
	v_cvt_f32_u32_e32 v1, s11
	s_load_dwordx2 s[12:13], s[0:1], 0x40
	s_sub_i32 s3, 0, s11
	s_abs_i32 s18, s2
	v_rcp_iflag_f32_e32 v1, v1
	s_mov_b32 s8, 0
	v_mul_f32_e32 v1, 0x4f7ffffe, v1
	v_cvt_u32_f32_e32 v1, v1
	s_nop 0
	v_readfirstlane_b32 s15, v1
	s_mul_i32 s3, s3, s15
	s_mul_hi_u32 s3, s15, s3
	s_add_i32 s15, s15, s3
	s_waitcnt lgkmcnt(0)
	s_cmp_eq_u64 s[12:13], 0
	s_mul_hi_u32 s19, s18, s15
	s_cbranch_scc1 .LBB11_2
; %bb.1:
	s_ashr_i32 s3, s2, 31
	s_lshl_b64 s[16:17], s[2:3], 2
	s_add_u32 s12, s12, s16
	s_addc_u32 s13, s13, s17
	s_load_dword s8, s[12:13], 0x0
.LBB11_2:
	s_load_dword s33, s[6:7], 0x0
	s_ashr_i32 s7, s14, 31
	s_load_dwordx4 s[12:15], s[0:1], 0x48
	s_movk_i32 s3, 0x50
	s_ashr_i32 s6, s2, 31
	v_and_b32_e32 v12, 7, v0
	s_mul_i32 s16, s2, 0x50
	v_cmp_gt_u32_e32 vcc, s3, v0
	v_lshlrev_b32_e32 v16, 2, v0
	v_lshrrev_b32_e32 v1, 1, v0
	s_and_saveexec_b64 s[2:3], vcc
	s_cbranch_execz .LBB11_4
; %bb.3:
	s_load_dwordx2 s[20:21], s[0:1], 0x8
	s_waitcnt lgkmcnt(0)
	s_mul_i32 s22, s12, s10
	s_ashr_i32 s23, s22, 31
	s_lshl_b64 s[22:23], s[22:23], 2
	v_and_b32_e32 v3, 0x1fc, v1
	s_add_u32 s12, s20, s22
	s_addc_u32 s15, s21, s23
	s_ashr_i32 s17, s16, 31
	s_lshl_b64 s[20:21], s[16:17], 2
	s_add_u32 s20, s12, s20
	s_addc_u32 s21, s15, s21
	global_load_dword v2, v16, s[20:21]
	v_mad_u32_u24 v3, v12, 40, v3
	s_waitcnt vmcnt(0)
	ds_write_b32 v3, v2
.LBB11_4:
	s_or_b64 exec, exec, s[2:3]
	s_waitcnt lgkmcnt(0)
	s_add_i32 s3, s33, 7
	s_ashr_i32 s12, s3, 31
	s_lshr_b32 s12, s12, 29
	s_add_i32 s3, s3, s12
	s_ashr_i32 s17, s3, 3
	s_xor_b32 s3, s6, s7
	s_mul_i32 s6, s19, s11
	s_sub_i32 s6, s18, s6
	s_add_i32 s7, s19, 1
	s_sub_i32 s12, s6, s11
	s_load_dwordx2 s[20:21], s[0:1], 0x28
	s_load_dword s2, s[0:1], 0x38
	s_cmp_ge_u32 s6, s11
	s_cselect_b32 s7, s7, s19
	s_cselect_b32 s6, s12, s6
	s_add_i32 s12, s7, 1
	s_cmp_ge_u32 s6, s11
	s_cselect_b32 s6, s12, s7
	v_lshrrev_b32_e32 v26, 6, v0
	s_xor_b32 s6, s6, s3
	s_waitcnt lgkmcnt(0)
	s_mul_i32 s22, s2, s10
	s_sub_i32 s12, s6, s3
	s_ashr_i32 s23, s22, 31
	v_cmp_le_i32_e64 s[2:3], s17, v26
	v_mbcnt_lo_u32_b32 v13, -1, 0
	s_barrier
                                        ; implicit-def: $vgpr18
                                        ; implicit-def: $vgpr20
                                        ; implicit-def: $vgpr19
	s_and_saveexec_b64 s[6:7], s[2:3]
	s_xor_b64 s[6:7], exec, s[6:7]
; %bb.5:
	v_mbcnt_hi_u32_b32 v18, -1, v13
	v_and_b32_e32 v20, 64, v18
	v_add_u32_e32 v19, 64, v20
                                        ; implicit-def: $vgpr12
                                        ; implicit-def: $vgpr13
; %bb.6:
	s_or_saveexec_b64 s[26:27], s[6:7]
	s_load_dwordx2 s[18:19], s[0:1], 0x0
	s_load_dwordx2 s[24:25], s[0:1], 0x18
	s_load_dword s11, s[0:1], 0x88
	v_mov_b32_e32 v21, 0xff7fffff
	s_mul_i32 s14, s12, s14
	v_lshrrev_b32_e32 v17, 4, v0
	s_xor_b64 exec, exec, s[26:27]
	s_cbranch_execz .LBB11_12
; %bb.7:
	v_mbcnt_hi_u32_b32 v18, -1, v13
	s_load_dwordx2 s[0:1], s[0:1], 0x10
	v_and_b32_e32 v20, 64, v18
	v_add_u32_e32 v19, 64, v20
	v_xor_b32_e32 v13, 4, v18
	v_cmp_lt_i32_e32 vcc, v13, v19
	s_ashr_i32 s15, s14, 31
	s_lshl_b64 s[6:7], s[14:15], 2
	v_cndmask_b32_e32 v13, v18, v13, vcc
	v_lshlrev_b32_e32 v22, 2, v13
	v_xor_b32_e32 v13, 2, v18
	v_bfe_u32 v21, v0, 3, 3
	s_waitcnt lgkmcnt(0)
	s_add_u32 s0, s0, s6
	v_cmp_lt_i32_e32 vcc, v13, v19
	s_addc_u32 s1, s1, s7
	v_lshlrev_b32_e32 v14, 4, v21
	v_mov_b32_e32 v15, 0
	v_and_b32_e32 v4, 3, v0
	v_cndmask_b32_e32 v13, v18, v13, vcc
	v_lshl_add_u64 v[2:3], s[0:1], 0, v[14:15]
	v_lshlrev_b32_e32 v14, 2, v4
	v_mul_u32_u24_e32 v10, 40, v12
	v_lshlrev_b32_e32 v23, 2, v13
	v_xor_b32_e32 v13, 1, v18
	v_lshl_add_u64 v[28:29], v[2:3], 0, v[14:15]
	ds_read2_b64 v[2:5], v10 offset1:1
	ds_read2_b64 v[6:9], v10 offset0:2 offset1:3
	ds_read_b64 v[10:11], v10 offset:32
	v_cmp_lt_i32_e32 vcc, v13, v19
	v_lshlrev_b32_e32 v27, 2, v21
	s_sub_i32 s15, 1, s33
	v_cndmask_b32_e32 v13, v18, v13, vcc
	v_cmp_eq_u32_e32 vcc, 0, v12
	v_lshlrev_b32_e32 v12, 5, v0
	v_and_b32_e32 v14, 0x80, v12
	s_lshl_b64 s[6:7], s[22:23], 2
	v_lshlrev_b32_e32 v24, 2, v13
	v_lshl_add_u64 v[12:13], v[28:29], 0, v[14:15]
	v_lshl_or_b32 v14, v26, 5, v27
	s_add_u32 s6, s20, s6
	v_add_u32_e32 v27, 0x150, v14
	v_and_b32_e32 v14, 60, v17
	s_addc_u32 s7, s21, s7
	s_mov_b32 s12, s13
	v_cmp_neq_f32_e64 s[0:1], s8, 0
	v_lshl_or_b32 v25, v26, 3, v21
	v_lshl_add_u64 v[14:15], s[6:7], 0, v[14:15]
	v_mov_b32_e32 v21, 0xff7fffff
	s_mov_b64 s[28:29], 0
	v_mov_b32_e32 v28, v26
	s_branch .LBB11_9
.LBB11_8:                               ;   in Loop: Header=BB11_9 Depth=1
	s_or_b64 exec, exec, s[30:31]
	v_add_u32_e32 v28, 2, v28
	v_cmp_le_i32_e64 s[6:7], s17, v28
	v_add_u32_e32 v25, 16, v25
	v_add_u32_e32 v27, 64, v27
	s_or_b64 s[28:29], s[6:7], s[28:29]
	v_lshl_add_u64 v[14:15], v[14:15], 0, 8
	s_andn2_b64 exec, exec, s[28:29]
	s_cbranch_execz .LBB11_11
.LBB11_9:                               ; =>This Inner Loop Header: Depth=1
	global_load_dword v29, v[14:15], off
	s_waitcnt vmcnt(0) lgkmcnt(0)
	v_mad_i64_i32 v[30:31], s[6:7], v29, s12, 0
	v_lshl_add_u64 v[30:31], v[30:31], 2, v[12:13]
	global_load_dword v29, v[30:31], off offset:256
	global_load_dword v32, v[30:31], off
	global_load_dword v33, v[30:31], off offset:512
	global_load_dword v34, v[30:31], off offset:768
	;; [unrolled: 1-line block ×8, first 2 shown]
	s_waitcnt vmcnt(9) lgkmcnt(2)
	v_mul_f32_e32 v29, v3, v29
	s_waitcnt vmcnt(8)
	v_fmac_f32_e32 v29, v2, v32
	s_waitcnt vmcnt(7)
	v_fmac_f32_e32 v29, v4, v33
	;; [unrolled: 2-line block ×3, first 2 shown]
	s_waitcnt vmcnt(5) lgkmcnt(1)
	v_fmac_f32_e32 v29, v6, v35
	s_waitcnt vmcnt(4)
	v_fmac_f32_e32 v29, v7, v36
	s_waitcnt vmcnt(3)
	;; [unrolled: 2-line block ×3, first 2 shown]
	v_fmac_f32_e32 v29, v9, v38
	s_waitcnt vmcnt(1) lgkmcnt(0)
	v_fmac_f32_e32 v29, v10, v39
	s_waitcnt vmcnt(0)
	v_fmac_f32_e32 v29, v11, v40
	ds_bpermute_b32 v30, v22, v29
	s_waitcnt lgkmcnt(0)
	v_add_f32_e32 v29, v29, v30
	ds_bpermute_b32 v30, v23, v29
	s_waitcnt lgkmcnt(0)
	v_add_f32_e32 v29, v29, v30
	ds_bpermute_b32 v30, v24, v29
	s_and_saveexec_b64 s[30:31], vcc
	s_cbranch_execz .LBB11_8
; %bb.10:                               ;   in Loop: Header=BB11_9 Depth=1
	v_add_u32_e32 v31, s15, v25
	v_cvt_f32_i32_e32 v31, v31
	s_waitcnt lgkmcnt(0)
	v_add_f32_e32 v29, v29, v30
	v_cmp_gt_i32_e64 s[6:7], s33, v25
	v_max_f32_e32 v30, v21, v21
	v_mul_f32_e32 v31, s8, v31
	v_cndmask_b32_e64 v31, 0, v31, s[0:1]
	v_fmac_f32_e32 v31, s9, v29
	v_cndmask_b32_e64 v29, 0, v31, s[6:7]
	ds_write_b32 v27, v29
	v_max_f32_e32 v29, v30, v31
	v_cndmask_b32_e64 v21, v21, v29, s[6:7]
	s_branch .LBB11_8
.LBB11_11:
	s_or_b64 exec, exec, s[28:29]
.LBB11_12:
	s_or_b64 exec, exec, s[26:27]
	v_xor_b32_e32 v2, 32, v18
	v_cmp_lt_i32_e32 vcc, v2, v19
	v_xor_b32_e32 v5, 16, v18
	v_max_f32_e32 v4, v21, v21
	v_cndmask_b32_e32 v2, v18, v2, vcc
	v_lshlrev_b32_e32 v3, 2, v2
	ds_bpermute_b32 v2, v3, v21
	v_cmp_lt_i32_e32 vcc, v5, v19
	v_xor_b32_e32 v7, 8, v18
	s_waitcnt lgkmcnt(0)
	v_max_f32_e32 v2, v2, v2
	v_max_f32_e32 v2, v4, v2
	v_cndmask_b32_e32 v4, v18, v5, vcc
	v_lshlrev_b32_e32 v6, 2, v4
	ds_bpermute_b32 v4, v6, v2
	v_cmp_lt_i32_e32 vcc, v7, v19
	s_waitcnt lgkmcnt(0)
	v_max_f32_e32 v4, v4, v4
	v_max_f32_e32 v5, v2, v4
	v_cndmask_b32_e32 v2, v18, v7, vcc
	v_lshlrev_b32_e32 v7, 2, v2
	ds_bpermute_b32 v8, v7, v5
	v_and_b32_e32 v4, 63, v0
	v_cmp_eq_u32_e32 vcc, 0, v4
	v_lshlrev_b32_e32 v2, 2, v26
	s_and_saveexec_b64 s[0:1], vcc
	s_cbranch_execz .LBB11_14
; %bb.13:
	s_waitcnt lgkmcnt(0)
	v_max_f32_e32 v8, v8, v8
	v_max_f32_e32 v5, v5, v5
	;; [unrolled: 1-line block ×3, first 2 shown]
	ds_write_b32 v2, v5 offset:320
.LBB11_14:
	s_or_b64 exec, exec, s[0:1]
	v_cmp_gt_u32_e64 s[0:1], 2, v4
	s_waitcnt lgkmcnt(0)
	v_mov_b32_e32 v8, 0xff7fffff
	v_lshlrev_b32_e32 v5, 2, v4
	s_barrier
	s_and_saveexec_b64 s[6:7], s[0:1]
; %bb.15:
	ds_read_b32 v8, v5 offset:320
; %bb.16:
	s_or_b64 exec, exec, s[6:7]
	v_xor_b32_e32 v9, 1, v18
	v_cmp_lt_i32_e64 s[6:7], v9, v19
	s_nop 1
	v_cndmask_b32_e64 v9, v18, v9, s[6:7]
	v_lshlrev_b32_e32 v27, 2, v9
	s_waitcnt lgkmcnt(0)
	ds_bpermute_b32 v9, v27, v8
	v_max_f32_e32 v8, v8, v8
	s_lshl_b32 s6, s17, 3
	s_min_i32 s12, s6, s33
	v_cmp_gt_i32_e64 s[6:7], s12, v0
	s_waitcnt lgkmcnt(0)
	v_max_f32_e32 v9, v9, v9
	v_max_f32_e32 v8, v8, v9
	v_lshlrev_b32_e32 v9, 2, v20
	ds_bpermute_b32 v9, v9, v8
	v_mov_b32_e32 v8, 0
	s_and_saveexec_b64 s[26:27], s[6:7]
	s_cbranch_execz .LBB11_20
; %bb.17:
	v_mov_b32_e32 v8, 0x150
	v_lshl_add_u32 v10, v0, 2, v8
	v_mov_b32_e32 v8, 0
	s_mov_b64 s[28:29], 0
	v_mov_b32_e32 v11, v0
.LBB11_18:                              ; =>This Inner Loop Header: Depth=1
	ds_read_b32 v12, v10
	v_add_u32_e32 v11, 0x80, v11
	v_cmp_le_i32_e64 s[8:9], s12, v11
	s_or_b64 s[28:29], s[8:9], s[28:29]
	s_waitcnt lgkmcnt(0)
	v_sub_f32_e32 v12, v12, v9
	v_mul_f32_e32 v12, 0x3fb8aa3b, v12
	v_exp_f32_e32 v12, v12
	ds_write_b32 v10, v12
	v_add_f32_e32 v8, v8, v12
	v_add_u32_e32 v10, 0x200, v10
	s_andn2_b64 exec, exec, s[28:29]
	s_cbranch_execnz .LBB11_18
; %bb.19:
	s_or_b64 exec, exec, s[28:29]
.LBB11_20:
	s_or_b64 exec, exec, s[26:27]
	ds_bpermute_b32 v3, v3, v8
	s_waitcnt lgkmcnt(0)
	v_add_f32_e32 v3, v8, v3
	ds_bpermute_b32 v6, v6, v3
	s_waitcnt lgkmcnt(0)
	v_add_f32_e32 v3, v3, v6
	ds_bpermute_b32 v6, v7, v3
	v_xor_b32_e32 v7, 4, v18
	v_cmp_lt_i32_e64 s[8:9], v7, v19
	s_waitcnt lgkmcnt(0)
	v_add_f32_e32 v3, v3, v6
	v_cndmask_b32_e64 v7, v18, v7, s[8:9]
	v_lshlrev_b32_e32 v7, 2, v7
	ds_bpermute_b32 v6, v7, v3
	v_xor_b32_e32 v7, 2, v18
	v_cmp_lt_i32_e64 s[8:9], v7, v19
	s_waitcnt lgkmcnt(0)
	v_add_f32_e32 v3, v3, v6
	v_cndmask_b32_e64 v7, v18, v7, s[8:9]
	v_lshlrev_b32_e32 v6, 2, v7
	ds_bpermute_b32 v6, v6, v3
	s_waitcnt lgkmcnt(0)
	v_add_f32_e32 v3, v3, v6
	ds_bpermute_b32 v6, v27, v3
	s_waitcnt lgkmcnt(0)
	v_add_f32_e32 v3, v3, v6
	s_and_saveexec_b64 s[8:9], vcc
; %bb.21:
	ds_write_b32 v2, v3 offset:328
; %bb.22:
	s_or_b64 exec, exec, s[8:9]
	s_waitcnt lgkmcnt(0)
	s_barrier
	s_and_saveexec_b64 s[8:9], s[0:1]
; %bb.23:
	ds_read_b32 v3, v5 offset:328
; %bb.24:
	s_or_b64 exec, exec, s[8:9]
	s_waitcnt lgkmcnt(0)
	ds_bpermute_b32 v2, v27, v3
	v_lshlrev_b32_e32 v5, 2, v18
	s_waitcnt lgkmcnt(0)
	v_add_f32_e32 v2, v3, v2
	v_and_b32_e32 v3, 0xffffff00, v5
	ds_bpermute_b32 v2, v3, v2
	s_and_saveexec_b64 s[0:1], s[6:7]
	s_cbranch_execz .LBB11_37
; %bb.25:
	s_waitcnt lgkmcnt(0)
	v_add_f32_e32 v2, 0x358637bd, v2
	v_div_scale_f32 v3, s[6:7], v2, v2, 1.0
	v_rcp_f32_e32 v5, v3
	v_div_scale_f32 v6, vcc, 1.0, v2, 1.0
	s_movk_i32 s6, 0x7f
	v_fma_f32 v7, -v3, v5, 1.0
	v_fmac_f32_e32 v5, v7, v5
	v_mul_f32_e32 v7, v6, v5
	v_fma_f32 v8, -v3, v7, v6
	v_fmac_f32_e32 v7, v8, v5
	v_fma_f32 v3, -v3, v7, v6
	v_div_fmas_f32 v3, v3, v5, v7
	v_xad_u32 v5, v0, -1, s12
	v_div_fixup_f32 v2, v3, v2, 1.0
	v_cmp_lt_u32_e32 vcc, s6, v5
	s_mov_b64 s[8:9], -1
	v_mov_b32_e32 v3, v0
	s_and_saveexec_b64 s[6:7], vcc
	s_cbranch_execz .LBB11_34
; %bb.26:
	v_lshrrev_b32_e32 v5, 7, v5
	v_add_u32_e32 v7, -1, v5
	v_lshrrev_b32_e32 v6, 1, v7
	v_mov_b32_e32 v3, v2
	v_add_u32_e32 v6, 1, v6
	v_cmp_lt_u32_e32 vcc, 13, v7
	v_mov_b32_e32 v9, 0
	s_and_saveexec_b64 s[8:9], vcc
	s_cbranch_execz .LBB11_30
; %bb.27:
	v_mov_b32_e32 v8, 0x150
	v_and_b32_e32 v7, -8, v6
	v_lshl_add_u32 v8, v0, 2, v8
	s_mov_b32 s15, 0
	s_mov_b64 s[26:27], 0
.LBB11_28:                              ; =>This Inner Loop Header: Depth=1
	ds_read2st64_b32 v[10:11], v8 offset1:2
	ds_read2st64_b32 v[12:13], v8 offset0:4 offset1:6
	ds_read2st64_b32 v[14:15], v8 offset0:8 offset1:10
	;; [unrolled: 1-line block ×3, first 2 shown]
	v_add_u32_e32 v7, -8, v7
	s_waitcnt lgkmcnt(3)
	v_pk_mul_f32 v[10:11], v[2:3], v[10:11]
	s_waitcnt lgkmcnt(2)
	v_pk_mul_f32 v[12:13], v[2:3], v[12:13]
	ds_write2st64_b32 v8, v10, v11 offset1:2
	ds_write2st64_b32 v8, v12, v13 offset0:4 offset1:6
	ds_read2st64_b32 v[12:13], v8 offset0:16 offset1:18
	s_waitcnt lgkmcnt(4)
	v_pk_mul_f32 v[10:11], v[2:3], v[14:15]
	ds_write2st64_b32 v8, v10, v11 offset0:8 offset1:10
	s_waitcnt lgkmcnt(4)
	v_pk_mul_f32 v[10:11], v[2:3], v[18:19]
	ds_write2st64_b32 v8, v10, v11 offset0:12 offset1:14
	ds_read2st64_b32 v[10:11], v8 offset0:20 offset1:22
	s_waitcnt lgkmcnt(3)
	v_pk_mul_f32 v[12:13], v[2:3], v[12:13]
	ds_read2st64_b32 v[14:15], v8 offset0:24 offset1:26
	ds_write2st64_b32 v8, v12, v13 offset0:16 offset1:18
	ds_read2st64_b32 v[12:13], v8 offset0:28 offset1:30
	s_waitcnt lgkmcnt(3)
	v_pk_mul_f32 v[10:11], v[2:3], v[10:11]
	ds_write2st64_b32 v8, v10, v11 offset0:20 offset1:22
	s_waitcnt lgkmcnt(3)
	v_pk_mul_f32 v[10:11], v[2:3], v[14:15]
	ds_write2st64_b32 v8, v10, v11 offset0:24 offset1:26
	s_waitcnt lgkmcnt(2)
	v_pk_mul_f32 v[10:11], v[2:3], v[12:13]
	s_add_i32 s15, s15, 16
	v_cmp_eq_u32_e32 vcc, 0, v7
	ds_write2st64_b32 v8, v10, v11 offset0:28 offset1:30
	v_add_u32_e32 v8, 0x2000, v8
	s_or_b64 s[26:27], vcc, s[26:27]
	v_mov_b32_e32 v9, s15
	s_andn2_b64 exec, exec, s[26:27]
	s_cbranch_execnz .LBB11_28
; %bb.29:
	s_or_b64 exec, exec, s[26:27]
.LBB11_30:
	s_or_b64 exec, exec, s[8:9]
	v_and_b32_e32 v6, 7, v6
	v_cmp_ne_u32_e32 vcc, 0, v6
	s_and_saveexec_b64 s[8:9], vcc
	s_cbranch_execz .LBB11_33
; %bb.31:
	v_lshlrev_b32_e32 v7, 9, v9
	s_movk_i32 s15, 0x150
	v_add3_u32 v7, v7, v16, s15
	s_mov_b64 s[26:27], 0
.LBB11_32:                              ; =>This Inner Loop Header: Depth=1
	ds_read2st64_b32 v[8:9], v7 offset1:2
	v_add_u32_e32 v6, -1, v6
	v_cmp_eq_u32_e32 vcc, 0, v6
	s_or_b64 s[26:27], vcc, s[26:27]
	s_waitcnt lgkmcnt(0)
	v_pk_mul_f32 v[8:9], v[2:3], v[8:9]
	ds_write2st64_b32 v7, v8, v9 offset1:2
	v_add_u32_e32 v7, 0x400, v7
	s_andn2_b64 exec, exec, s[26:27]
	s_cbranch_execnz .LBB11_32
.LBB11_33:
	s_or_b64 exec, exec, s[8:9]
	v_add_u32_e32 v5, 1, v5
	v_and_b32_e32 v6, 0x3fffffe, v5
	v_cmp_ne_u32_e32 vcc, v5, v6
	v_lshl_add_u32 v3, v6, 7, v0
	s_orn2_b64 s[8:9], vcc, exec
.LBB11_34:
	s_or_b64 exec, exec, s[6:7]
	s_and_b64 exec, exec, s[8:9]
	s_cbranch_execz .LBB11_37
; %bb.35:
	v_mov_b32_e32 v5, 0x150
	v_lshl_add_u32 v5, v3, 2, v5
	s_mov_b64 s[6:7], 0
.LBB11_36:                              ; =>This Inner Loop Header: Depth=1
	ds_read_b32 v6, v5
	v_add_u32_e32 v3, 0x80, v3
	v_cmp_le_i32_e32 vcc, s12, v3
	s_or_b64 s[6:7], vcc, s[6:7]
	s_waitcnt lgkmcnt(0)
	v_mul_f32_e32 v6, v2, v6
	ds_write_b32 v5, v6
	v_add_u32_e32 v5, 0x200, v5
	s_andn2_b64 exec, exec, s[6:7]
	s_cbranch_execnz .LBB11_36
.LBB11_37:
	s_or_b64 exec, exec, s[0:1]
	v_lshrrev_b32_e32 v28, 1, v4
	s_waitcnt lgkmcnt(0)
	s_barrier
	s_and_saveexec_b64 s[0:1], s[2:3]
	s_xor_b64 s[0:1], exec, s[0:1]
; %bb.38:
	v_lshrrev_b32_e32 v28, 1, v4
                                        ; implicit-def: $vgpr26
                                        ; implicit-def: $vgpr16
                                        ; implicit-def: $vgpr17
; %bb.39:
	s_or_saveexec_b64 s[6:7], s[0:1]
	v_mov_b32_e32 v19, 0
	v_and_b32_e32 v29, 1, v0
	v_mov_b32_e32 v18, 0
	v_mov_b32_e32 v30, 0
	s_xor_b64 exec, exec, s[6:7]
	s_cbranch_execz .LBB11_51
; %bb.40:
	s_ashr_i32 s15, s14, 31
	s_lshl_b64 s[0:1], s[14:15], 2
	s_add_u32 s8, s24, s0
	v_or_b32_e32 v4, 64, v28
	s_movk_i32 s0, 0x50
	v_and_b32_e32 v3, 4, v16
	s_addc_u32 s9, s25, s1
	s_add_i32 s24, s17, -1
	v_cmp_gt_u32_e32 vcc, s0, v4
	s_lshl_b64 s[0:1], s[22:23], 2
	v_lshl_or_b32 v2, v28, 3, v3
	v_lshl_or_b32 v4, v4, 3, v3
	;; [unrolled: 1-line block ×3, first 2 shown]
	v_lshlrev_b32_e32 v3, 4, v29
	s_add_u32 s0, s20, s0
	v_mov_b32_e32 v21, 0
	v_lshl_or_b32 v3, v26, 5, v3
	v_and_b32_e32 v20, 60, v17
	s_addc_u32 s1, s21, s1
	s_mov_b32 s26, s13
	s_mov_b32 s25, s33
	v_add_u32_e32 v32, 0x150, v3
	v_lshl_add_u64 v[22:23], s[0:1], 0, v[20:21]
	s_mov_b64 s[12:13], 0
	v_lshlrev_b32_e32 v24, 2, v2
	v_mov_b32_e32 v25, v21
	v_lshlrev_b32_e32 v20, 2, v4
	v_mov_b32_e32 v30, v21
	v_mov_b32_e32 v19, v21
	;; [unrolled: 1-line block ×3, first 2 shown]
	s_branch .LBB11_43
.LBB11_41:                              ;   in Loop: Header=BB11_43 Depth=1
	s_or_b64 exec, exec, s[14:15]
	s_waitcnt vmcnt(0) lgkmcnt(0)
	v_pk_mul_f32 v[14:15], v[6:7], v[14:15]
	v_pk_mul_f32 v[16:17], v[8:9], v[16:17]
	v_add_f32_e32 v14, v15, v14
	v_add_f32_e32 v14, v16, v14
	;; [unrolled: 1-line block ×4, first 2 shown]
.LBB11_42:                              ;   in Loop: Header=BB11_43 Depth=1
	s_or_b64 exec, exec, s[2:3]
	s_waitcnt vmcnt(0) lgkmcnt(0)
	v_mul_f32_e32 v10, v6, v10
	v_mul_f32_e32 v2, v6, v2
	v_fmac_f32_e32 v10, v7, v11
	v_fmac_f32_e32 v2, v7, v3
	;; [unrolled: 1-line block ×4, first 2 shown]
	v_add_u32_e32 v26, 2, v26
	v_fmac_f32_e32 v10, v9, v13
	v_fmac_f32_e32 v2, v9, v5
	v_cmp_le_i32_e64 s[0:1], s17, v26
	v_add_f32_e32 v19, v19, v10
	v_add_f32_e32 v18, v18, v2
	v_add_u32_e32 v31, 16, v31
	v_add_u32_e32 v32, 64, v32
	s_or_b64 s[12:13], s[0:1], s[12:13]
	v_lshl_add_u64 v[22:23], v[22:23], 0, 8
	s_andn2_b64 exec, exec, s[12:13]
	s_cbranch_execz .LBB11_50
.LBB11_43:                              ; =>This Inner Loop Header: Depth=1
	global_load_dword v2, v[22:23], off
	ds_read_b128 v[6:9], v32
	s_waitcnt vmcnt(0)
	v_mad_i64_i32 v[2:3], s[0:1], v2, s26, 0
	v_lshl_add_u64 v[14:15], v[2:3], 2, s[8:9]
	v_lshl_add_u64 v[10:11], v[14:15], 0, v[24:25]
	global_load_dwordx4 v[2:5], v[10:11], off
	v_cmp_eq_u32_e64 s[0:1], s24, v26
	s_and_saveexec_b64 s[14:15], s[0:1]
	s_cbranch_execnz .LBB11_46
; %bb.44:                               ;   in Loop: Header=BB11_43 Depth=1
	s_or_b64 exec, exec, s[14:15]
	global_load_dwordx4 v[10:13], v[10:11], off offset:1024
	s_and_saveexec_b64 s[14:15], s[0:1]
	s_cbranch_execnz .LBB11_47
.LBB11_45:                              ;   in Loop: Header=BB11_43 Depth=1
	s_or_b64 exec, exec, s[14:15]
	s_and_saveexec_b64 s[2:3], vcc
	s_cbranch_execz .LBB11_42
	s_branch .LBB11_48
.LBB11_46:                              ;   in Loop: Header=BB11_43 Depth=1
	v_add_u32_e32 v12, 1, v31
	v_cmp_gt_i32_e64 s[2:3], s25, v12
	v_or_b32_e32 v12, 3, v31
	v_or_b32_e32 v13, 2, v31
	s_waitcnt vmcnt(0)
	v_cndmask_b32_e64 v3, 0, v3, s[2:3]
	v_cmp_gt_i32_e64 s[2:3], s33, v31
	s_nop 1
	v_cndmask_b32_e64 v2, 0, v2, s[2:3]
	v_cmp_gt_i32_e64 s[2:3], s25, v12
	s_nop 1
	;; [unrolled: 3-line block ×3, first 2 shown]
	v_cndmask_b32_e64 v4, 0, v4, s[2:3]
	s_or_b64 exec, exec, s[14:15]
	global_load_dwordx4 v[10:13], v[10:11], off offset:1024
	s_and_saveexec_b64 s[14:15], s[0:1]
	s_cbranch_execz .LBB11_45
.LBB11_47:                              ;   in Loop: Header=BB11_43 Depth=1
	v_add_u32_e32 v16, 1, v31
	v_cmp_gt_i32_e64 s[2:3], s25, v16
	v_or_b32_e32 v16, 3, v31
	v_or_b32_e32 v17, 2, v31
	s_waitcnt vmcnt(0)
	v_cndmask_b32_e64 v11, 0, v11, s[2:3]
	v_cmp_gt_i32_e64 s[2:3], s33, v31
	s_nop 1
	v_cndmask_b32_e64 v10, 0, v10, s[2:3]
	v_cmp_gt_i32_e64 s[2:3], s25, v16
	s_nop 1
	;; [unrolled: 3-line block ×3, first 2 shown]
	v_cndmask_b32_e64 v12, 0, v12, s[2:3]
	s_or_b64 exec, exec, s[14:15]
	s_and_saveexec_b64 s[2:3], vcc
	s_cbranch_execz .LBB11_42
.LBB11_48:                              ;   in Loop: Header=BB11_43 Depth=1
	v_lshl_add_u64 v[14:15], v[14:15], 0, v[20:21]
	global_load_dwordx4 v[14:17], v[14:15], off
	s_and_saveexec_b64 s[14:15], s[0:1]
	s_cbranch_execz .LBB11_41
; %bb.49:                               ;   in Loop: Header=BB11_43 Depth=1
	v_add_u32_e32 v33, 1, v31
	v_cmp_gt_i32_e64 s[0:1], s25, v33
	v_or_b32_e32 v33, 3, v31
	v_or_b32_e32 v34, 2, v31
	s_waitcnt vmcnt(0)
	v_cndmask_b32_e64 v15, 0, v15, s[0:1]
	v_cmp_gt_i32_e64 s[0:1], s33, v31
	s_nop 1
	v_cndmask_b32_e64 v14, 0, v14, s[0:1]
	v_cmp_gt_i32_e64 s[0:1], s25, v33
	s_nop 1
	;; [unrolled: 3-line block ×3, first 2 shown]
	v_cndmask_b32_e64 v16, 0, v16, s[0:1]
	s_branch .LBB11_41
.LBB11_50:
	s_or_b64 exec, exec, s[12:13]
.LBB11_51:
	s_or_b64 exec, exec, s[6:7]
	ds_bpermute_b32 v2, v27, v18
	ds_bpermute_b32 v3, v27, v19
	;; [unrolled: 1-line block ×3, first 2 shown]
	v_and_b32_e32 v5, 0x3c0, v0
	v_cmp_eq_u32_e64 s[0:1], 64, v5
	v_cmp_eq_u32_e32 vcc, 0, v29
	s_waitcnt lgkmcnt(1)
	v_pk_add_f32 v[2:3], v[18:19], v[2:3]
	s_waitcnt lgkmcnt(0)
	v_add_f32_e32 v4, v30, v4
	s_barrier
	s_and_saveexec_b64 s[2:3], s[0:1]
	s_cbranch_execz .LBB11_56
; %bb.52:
	s_and_saveexec_b64 s[0:1], vcc
; %bb.53:
	v_mov_b32_e32 v5, 0x150
	v_lshl_add_u32 v5, v28, 2, v5
	ds_write2_b32 v5, v2, v3 offset1:32
; %bb.54:
	s_or_b64 exec, exec, s[0:1]
	v_or_b32_e32 v5, 64, v28
	s_movk_i32 s0, 0x50
	v_cmp_gt_u32_e64 s[0:1], s0, v5
	s_and_b64 s[0:1], vcc, s[0:1]
	s_and_b64 exec, exec, s[0:1]
; %bb.55:
	v_mov_b32_e32 v5, 0x150
	v_lshl_add_u32 v5, v28, 2, v5
	ds_write_b32 v5, v4 offset:256
.LBB11_56:
	s_or_b64 exec, exec, s[2:3]
	v_cmp_gt_u32_e64 s[0:1], 64, v0
	s_waitcnt lgkmcnt(0)
	s_barrier
	s_and_saveexec_b64 s[6:7], s[0:1]
	s_cbranch_execz .LBB11_64
; %bb.57:
	s_and_saveexec_b64 s[2:3], vcc
	s_cbranch_execz .LBB11_59
; %bb.58:
	v_mov_b32_e32 v0, 0x150
	v_lshl_add_u32 v0, v1, 2, v0
	ds_read_b32 v0, v0
	s_waitcnt lgkmcnt(0)
	v_add_f32_e32 v2, v2, v0
.LBB11_59:
	s_or_b64 exec, exec, s[2:3]
	v_or_b32_e32 v0, 32, v1
	s_movk_i32 s8, 0x50
	v_cmp_gt_u32_e64 s[2:3], s8, v0
	s_and_b64 s[12:13], vcc, s[2:3]
	s_and_saveexec_b64 s[2:3], s[12:13]
	s_cbranch_execz .LBB11_61
; %bb.60:
	v_mov_b32_e32 v0, 0x150
	v_lshl_add_u32 v0, v1, 2, v0
	ds_read_b32 v0, v0 offset:128
	s_waitcnt lgkmcnt(0)
	v_add_f32_e32 v3, v3, v0
.LBB11_61:
	s_or_b64 exec, exec, s[2:3]
	v_or_b32_e32 v0, 64, v1
	v_cmp_gt_u32_e64 s[2:3], s8, v0
	s_and_b64 s[8:9], vcc, s[2:3]
	s_and_saveexec_b64 s[2:3], s[8:9]
	s_cbranch_execz .LBB11_63
; %bb.62:
	v_mov_b32_e32 v0, 0x150
	v_lshl_add_u32 v0, v1, 2, v0
	ds_read_b32 v0, v0 offset:256
	s_waitcnt lgkmcnt(0)
	v_add_f32_e32 v4, v4, v0
.LBB11_63:
	s_or_b64 exec, exec, s[2:3]
.LBB11_64:
	s_or_b64 exec, exec, s[6:7]
	s_barrier
	s_and_saveexec_b64 s[2:3], s[0:1]
	s_cbranch_execz .LBB11_71
; %bb.65:
	s_mul_i32 s0, s10, s11
	s_mul_i32 s0, s0, s5
	s_mulk_i32 s0, 0x50
	s_ashr_i32 s1, s0, 31
	s_lshl_b64 s[0:1], s[0:1], 2
	s_add_u32 s2, s18, s0
	s_mul_i32 s0, s11, s16
	s_addc_u32 s3, s19, s1
	s_ashr_i32 s1, s0, 31
	s_lshl_b64 s[0:1], s[0:1], 2
	s_add_u32 s2, s2, s0
	s_mul_i32 s0, s4, 0x50
	s_addc_u32 s3, s3, s1
	s_ashr_i32 s1, s0, 31
	s_lshl_b64 s[0:1], s[0:1], 2
	s_add_u32 s2, s2, s0
	s_movk_i32 s5, 0x50
	s_addc_u32 s3, s3, s1
	v_lshlrev_b32_e32 v0, 2, v1
	s_and_saveexec_b64 s[0:1], vcc
	s_cbranch_execz .LBB11_67
; %bb.66:
	global_store_dword v0, v2, s[2:3]
.LBB11_67:
	s_or_b64 exec, exec, s[0:1]
	v_or_b32_e32 v2, 32, v1
	v_cmp_gt_u32_e64 s[0:1], s5, v2
	s_and_b64 s[4:5], vcc, s[0:1]
	s_and_saveexec_b64 s[0:1], s[4:5]
	s_cbranch_execz .LBB11_69
; %bb.68:
	global_store_dword v0, v3, s[2:3] offset:128
.LBB11_69:
	s_or_b64 exec, exec, s[0:1]
	v_or_b32_e32 v1, 64, v1
	s_movk_i32 s0, 0x50
	v_cmp_gt_u32_e64 s[0:1], s0, v1
	s_and_b64 s[0:1], vcc, s[0:1]
	s_and_b64 exec, exec, s[0:1]
	s_cbranch_execz .LBB11_71
; %bb.70:
	global_store_dword v0, v4, s[2:3] offset:256
.LBB11_71:
	s_endpgm
	.section	.rodata,"a",@progbits
	.p2align	6, 0x0
	.amdhsa_kernel _ZN4vllm25paged_attention_v1_kernelIffLi80ELi8ELi128ELNS_18Fp8KVCacheDataTypeE0ELb0EEEvPT_PKS2_PKT0_S8_ifPKiSA_iPKfiiiSC_SC_iiiii
		.amdhsa_group_segment_fixed_size 336
		.amdhsa_private_segment_fixed_size 0
		.amdhsa_kernarg_size 384
		.amdhsa_user_sgpr_count 2
		.amdhsa_user_sgpr_dispatch_ptr 0
		.amdhsa_user_sgpr_queue_ptr 0
		.amdhsa_user_sgpr_kernarg_segment_ptr 1
		.amdhsa_user_sgpr_dispatch_id 0
		.amdhsa_user_sgpr_kernarg_preload_length 0
		.amdhsa_user_sgpr_kernarg_preload_offset 0
		.amdhsa_user_sgpr_private_segment_size 0
		.amdhsa_uses_dynamic_stack 0
		.amdhsa_enable_private_segment 0
		.amdhsa_system_sgpr_workgroup_id_x 1
		.amdhsa_system_sgpr_workgroup_id_y 1
		.amdhsa_system_sgpr_workgroup_id_z 1
		.amdhsa_system_sgpr_workgroup_info 0
		.amdhsa_system_vgpr_workitem_id 0
		.amdhsa_next_free_vgpr 41
		.amdhsa_next_free_sgpr 34
		.amdhsa_accum_offset 44
		.amdhsa_reserve_vcc 1
		.amdhsa_float_round_mode_32 0
		.amdhsa_float_round_mode_16_64 0
		.amdhsa_float_denorm_mode_32 3
		.amdhsa_float_denorm_mode_16_64 3
		.amdhsa_dx10_clamp 1
		.amdhsa_ieee_mode 1
		.amdhsa_fp16_overflow 0
		.amdhsa_tg_split 0
		.amdhsa_exception_fp_ieee_invalid_op 0
		.amdhsa_exception_fp_denorm_src 0
		.amdhsa_exception_fp_ieee_div_zero 0
		.amdhsa_exception_fp_ieee_overflow 0
		.amdhsa_exception_fp_ieee_underflow 0
		.amdhsa_exception_fp_ieee_inexact 0
		.amdhsa_exception_int_div_zero 0
	.end_amdhsa_kernel
	.section	.text._ZN4vllm25paged_attention_v1_kernelIffLi80ELi8ELi128ELNS_18Fp8KVCacheDataTypeE0ELb0EEEvPT_PKS2_PKT0_S8_ifPKiSA_iPKfiiiSC_SC_iiiii,"axG",@progbits,_ZN4vllm25paged_attention_v1_kernelIffLi80ELi8ELi128ELNS_18Fp8KVCacheDataTypeE0ELb0EEEvPT_PKS2_PKT0_S8_ifPKiSA_iPKfiiiSC_SC_iiiii,comdat
.Lfunc_end11:
	.size	_ZN4vllm25paged_attention_v1_kernelIffLi80ELi8ELi128ELNS_18Fp8KVCacheDataTypeE0ELb0EEEvPT_PKS2_PKT0_S8_ifPKiSA_iPKfiiiSC_SC_iiiii, .Lfunc_end11-_ZN4vllm25paged_attention_v1_kernelIffLi80ELi8ELi128ELNS_18Fp8KVCacheDataTypeE0ELb0EEEvPT_PKS2_PKT0_S8_ifPKiSA_iPKfiiiSC_SC_iiiii
                                        ; -- End function
	.set _ZN4vllm25paged_attention_v1_kernelIffLi80ELi8ELi128ELNS_18Fp8KVCacheDataTypeE0ELb0EEEvPT_PKS2_PKT0_S8_ifPKiSA_iPKfiiiSC_SC_iiiii.num_vgpr, 41
	.set _ZN4vllm25paged_attention_v1_kernelIffLi80ELi8ELi128ELNS_18Fp8KVCacheDataTypeE0ELb0EEEvPT_PKS2_PKT0_S8_ifPKiSA_iPKfiiiSC_SC_iiiii.num_agpr, 0
	.set _ZN4vllm25paged_attention_v1_kernelIffLi80ELi8ELi128ELNS_18Fp8KVCacheDataTypeE0ELb0EEEvPT_PKS2_PKT0_S8_ifPKiSA_iPKfiiiSC_SC_iiiii.numbered_sgpr, 34
	.set _ZN4vllm25paged_attention_v1_kernelIffLi80ELi8ELi128ELNS_18Fp8KVCacheDataTypeE0ELb0EEEvPT_PKS2_PKT0_S8_ifPKiSA_iPKfiiiSC_SC_iiiii.num_named_barrier, 0
	.set _ZN4vllm25paged_attention_v1_kernelIffLi80ELi8ELi128ELNS_18Fp8KVCacheDataTypeE0ELb0EEEvPT_PKS2_PKT0_S8_ifPKiSA_iPKfiiiSC_SC_iiiii.private_seg_size, 0
	.set _ZN4vllm25paged_attention_v1_kernelIffLi80ELi8ELi128ELNS_18Fp8KVCacheDataTypeE0ELb0EEEvPT_PKS2_PKT0_S8_ifPKiSA_iPKfiiiSC_SC_iiiii.uses_vcc, 1
	.set _ZN4vllm25paged_attention_v1_kernelIffLi80ELi8ELi128ELNS_18Fp8KVCacheDataTypeE0ELb0EEEvPT_PKS2_PKT0_S8_ifPKiSA_iPKfiiiSC_SC_iiiii.uses_flat_scratch, 0
	.set _ZN4vllm25paged_attention_v1_kernelIffLi80ELi8ELi128ELNS_18Fp8KVCacheDataTypeE0ELb0EEEvPT_PKS2_PKT0_S8_ifPKiSA_iPKfiiiSC_SC_iiiii.has_dyn_sized_stack, 0
	.set _ZN4vllm25paged_attention_v1_kernelIffLi80ELi8ELi128ELNS_18Fp8KVCacheDataTypeE0ELb0EEEvPT_PKS2_PKT0_S8_ifPKiSA_iPKfiiiSC_SC_iiiii.has_recursion, 0
	.set _ZN4vllm25paged_attention_v1_kernelIffLi80ELi8ELi128ELNS_18Fp8KVCacheDataTypeE0ELb0EEEvPT_PKS2_PKT0_S8_ifPKiSA_iPKfiiiSC_SC_iiiii.has_indirect_call, 0
	.section	.AMDGPU.csdata,"",@progbits
; Kernel info:
; codeLenInByte = 3868
; TotalNumSgprs: 40
; NumVgprs: 41
; NumAgprs: 0
; TotalNumVgprs: 41
; ScratchSize: 0
; MemoryBound: 0
; FloatMode: 240
; IeeeMode: 1
; LDSByteSize: 336 bytes/workgroup (compile time only)
; SGPRBlocks: 4
; VGPRBlocks: 5
; NumSGPRsForWavesPerEU: 40
; NumVGPRsForWavesPerEU: 41
; AccumOffset: 44
; Occupancy: 8
; WaveLimiterHint : 1
; COMPUTE_PGM_RSRC2:SCRATCH_EN: 0
; COMPUTE_PGM_RSRC2:USER_SGPR: 2
; COMPUTE_PGM_RSRC2:TRAP_HANDLER: 0
; COMPUTE_PGM_RSRC2:TGID_X_EN: 1
; COMPUTE_PGM_RSRC2:TGID_Y_EN: 1
; COMPUTE_PGM_RSRC2:TGID_Z_EN: 1
; COMPUTE_PGM_RSRC2:TIDIG_COMP_CNT: 0
; COMPUTE_PGM_RSRC3_GFX90A:ACCUM_OFFSET: 10
; COMPUTE_PGM_RSRC3_GFX90A:TG_SPLIT: 0
	.section	.text._ZN4vllm25paged_attention_v1_kernelIffLi96ELi8ELi128ELNS_18Fp8KVCacheDataTypeE0ELb0EEEvPT_PKS2_PKT0_S8_ifPKiSA_iPKfiiiSC_SC_iiiii,"axG",@progbits,_ZN4vllm25paged_attention_v1_kernelIffLi96ELi8ELi128ELNS_18Fp8KVCacheDataTypeE0ELb0EEEvPT_PKS2_PKT0_S8_ifPKiSA_iPKfiiiSC_SC_iiiii,comdat
	.protected	_ZN4vllm25paged_attention_v1_kernelIffLi96ELi8ELi128ELNS_18Fp8KVCacheDataTypeE0ELb0EEEvPT_PKS2_PKT0_S8_ifPKiSA_iPKfiiiSC_SC_iiiii ; -- Begin function _ZN4vllm25paged_attention_v1_kernelIffLi96ELi8ELi128ELNS_18Fp8KVCacheDataTypeE0ELb0EEEvPT_PKS2_PKT0_S8_ifPKiSA_iPKfiiiSC_SC_iiiii
	.globl	_ZN4vllm25paged_attention_v1_kernelIffLi96ELi8ELi128ELNS_18Fp8KVCacheDataTypeE0ELb0EEEvPT_PKS2_PKT0_S8_ifPKiSA_iPKfiiiSC_SC_iiiii
	.p2align	8
	.type	_ZN4vllm25paged_attention_v1_kernelIffLi96ELi8ELi128ELNS_18Fp8KVCacheDataTypeE0ELb0EEEvPT_PKS2_PKT0_S8_ifPKiSA_iPKfiiiSC_SC_iiiii,@function
_ZN4vllm25paged_attention_v1_kernelIffLi96ELi8ELi128ELNS_18Fp8KVCacheDataTypeE0ELb0EEEvPT_PKS2_PKT0_S8_ifPKiSA_iPKfiiiSC_SC_iiiii: ; @_ZN4vllm25paged_attention_v1_kernelIffLi96ELi8ELi128ELNS_18Fp8KVCacheDataTypeE0ELb0EEEvPT_PKS2_PKT0_S8_ifPKiSA_iPKfiiiSC_SC_iiiii
; %bb.0:
	s_load_dword s5, s[0:1], 0x80
	s_load_dwordx2 s[6:7], s[0:1], 0x30
	s_load_dwordx2 s[8:9], s[0:1], 0x20
	s_mov_b32 s10, s3
	s_ashr_i32 s11, s3, 31
	s_lshl_b64 s[12:13], s[10:11], 2
	s_waitcnt lgkmcnt(0)
	s_add_u32 s6, s6, s12
	s_addc_u32 s7, s7, s13
	s_abs_i32 s3, s8
	v_cvt_f32_u32_e32 v1, s3
	s_sub_i32 s12, 0, s3
	s_abs_i32 s11, s5
	s_xor_b32 s8, s5, s8
	v_rcp_iflag_f32_e32 v1, v1
	s_ashr_i32 s8, s8, 31
	v_mul_f32_e32 v1, 0x4f7ffffe, v1
	v_cvt_u32_f32_e32 v1, v1
	s_nop 0
	v_readfirstlane_b32 s13, v1
	s_mul_i32 s12, s12, s13
	s_mul_hi_u32 s12, s13, s12
	s_add_i32 s13, s13, s12
	s_mul_hi_u32 s12, s11, s13
	s_mul_i32 s13, s12, s3
	s_sub_i32 s11, s11, s13
	s_add_i32 s13, s12, 1
	s_sub_i32 s14, s11, s3
	s_cmp_ge_u32 s11, s3
	s_cselect_b32 s12, s13, s12
	s_cselect_b32 s11, s14, s11
	s_add_i32 s13, s12, 1
	s_cmp_ge_u32 s11, s3
	s_cselect_b32 s3, s13, s12
	s_xor_b32 s3, s3, s8
	s_sub_i32 s14, s3, s8
	s_abs_i32 s11, s14
	v_cvt_f32_u32_e32 v1, s11
	s_load_dwordx2 s[12:13], s[0:1], 0x40
	s_sub_i32 s3, 0, s11
	s_abs_i32 s18, s2
	v_rcp_iflag_f32_e32 v1, v1
	s_mov_b32 s8, 0
	v_mul_f32_e32 v1, 0x4f7ffffe, v1
	v_cvt_u32_f32_e32 v1, v1
	s_nop 0
	v_readfirstlane_b32 s15, v1
	s_mul_i32 s3, s3, s15
	s_mul_hi_u32 s3, s15, s3
	s_add_i32 s15, s15, s3
	s_waitcnt lgkmcnt(0)
	s_cmp_eq_u64 s[12:13], 0
	s_mul_hi_u32 s19, s18, s15
	s_cbranch_scc1 .LBB12_2
; %bb.1:
	s_ashr_i32 s3, s2, 31
	s_lshl_b64 s[16:17], s[2:3], 2
	s_add_u32 s12, s12, s16
	s_addc_u32 s13, s13, s17
	s_load_dword s8, s[12:13], 0x0
.LBB12_2:
	s_load_dword s33, s[6:7], 0x0
	s_ashr_i32 s7, s14, 31
	s_load_dwordx4 s[12:15], s[0:1], 0x48
	s_movk_i32 s3, 0x60
	s_ashr_i32 s6, s2, 31
	v_and_b32_e32 v14, 7, v0
	s_mul_i32 s16, s2, 0x60
	v_cmp_gt_u32_e32 vcc, s3, v0
	v_lshlrev_b32_e32 v18, 2, v0
	v_lshrrev_b32_e32 v1, 1, v0
	s_and_saveexec_b64 s[2:3], vcc
	s_cbranch_execz .LBB12_4
; %bb.3:
	s_load_dwordx2 s[20:21], s[0:1], 0x8
	s_waitcnt lgkmcnt(0)
	s_mul_i32 s22, s12, s10
	s_ashr_i32 s23, s22, 31
	s_lshl_b64 s[22:23], s[22:23], 2
	v_and_b32_e32 v3, 0x1fc, v1
	s_add_u32 s12, s20, s22
	s_addc_u32 s15, s21, s23
	s_ashr_i32 s17, s16, 31
	s_lshl_b64 s[20:21], s[16:17], 2
	s_add_u32 s20, s12, s20
	s_addc_u32 s21, s15, s21
	global_load_dword v2, v18, s[20:21]
	v_mad_u32_u24 v3, v14, 48, v3
	s_waitcnt vmcnt(0)
	ds_write_b32 v3, v2
.LBB12_4:
	s_or_b64 exec, exec, s[2:3]
	s_waitcnt lgkmcnt(0)
	s_add_i32 s3, s33, 7
	s_ashr_i32 s12, s3, 31
	s_lshr_b32 s12, s12, 29
	s_add_i32 s3, s3, s12
	s_ashr_i32 s12, s3, 3
	s_xor_b32 s3, s6, s7
	s_mul_i32 s6, s19, s11
	s_sub_i32 s6, s18, s6
	s_add_i32 s7, s19, 1
	s_sub_i32 s15, s6, s11
	s_load_dwordx2 s[20:21], s[0:1], 0x28
	s_load_dword s2, s[0:1], 0x38
	s_cmp_ge_u32 s6, s11
	s_cselect_b32 s7, s7, s19
	s_cselect_b32 s6, s15, s6
	s_add_i32 s15, s7, 1
	s_cmp_ge_u32 s6, s11
	s_cselect_b32 s6, s15, s7
	v_lshrrev_b32_e32 v26, 6, v0
	s_xor_b32 s6, s6, s3
	s_waitcnt lgkmcnt(0)
	s_mul_i32 s22, s2, s10
	s_sub_i32 s15, s6, s3
	s_ashr_i32 s23, s22, 31
	v_cmp_gt_i32_e64 s[2:3], s12, v26
	v_cmp_le_i32_e32 vcc, s12, v26
	v_mbcnt_lo_u32_b32 v15, -1, 0
	s_barrier
                                        ; implicit-def: $vgpr19
                                        ; implicit-def: $vgpr21
                                        ; implicit-def: $vgpr20
	s_and_saveexec_b64 s[6:7], vcc
	s_xor_b64 s[6:7], exec, s[6:7]
; %bb.5:
	v_mbcnt_hi_u32_b32 v19, -1, v15
	v_and_b32_e32 v21, 64, v19
	v_add_u32_e32 v20, 64, v21
                                        ; implicit-def: $vgpr14
                                        ; implicit-def: $vgpr15
; %bb.6:
	s_or_saveexec_b64 s[26:27], s[6:7]
	s_load_dwordx2 s[18:19], s[0:1], 0x0
	s_load_dwordx2 s[24:25], s[0:1], 0x18
	s_load_dword s11, s[0:1], 0x88
	v_mov_b32_e32 v22, 0xff7fffff
	s_mul_i32 s14, s15, s14
	v_lshrrev_b32_e32 v24, 4, v0
	s_xor_b64 exec, exec, s[26:27]
	s_cbranch_execz .LBB12_12
; %bb.7:
	v_mbcnt_hi_u32_b32 v19, -1, v15
	s_load_dwordx2 s[0:1], s[0:1], 0x10
	v_and_b32_e32 v21, 64, v19
	v_add_u32_e32 v20, 64, v21
	v_xor_b32_e32 v15, 4, v19
	v_cmp_lt_i32_e32 vcc, v15, v20
	s_ashr_i32 s15, s14, 31
	s_lshl_b64 s[6:7], s[14:15], 2
	v_cndmask_b32_e32 v15, v19, v15, vcc
	v_lshlrev_b32_e32 v23, 2, v15
	v_xor_b32_e32 v15, 2, v19
	v_bfe_u32 v22, v0, 3, 3
	s_waitcnt lgkmcnt(0)
	s_add_u32 s0, s0, s6
	v_cmp_lt_i32_e32 vcc, v15, v20
	s_addc_u32 s1, s1, s7
	v_lshlrev_b32_e32 v16, 4, v22
	v_mov_b32_e32 v17, 0
	v_and_b32_e32 v4, 3, v0
	v_cndmask_b32_e32 v15, v19, v15, vcc
	v_lshl_add_u64 v[2:3], s[0:1], 0, v[16:17]
	v_lshlrev_b32_e32 v16, 2, v4
	v_mul_u32_u24_e32 v10, 48, v14
	v_lshlrev_b32_e32 v25, 2, v15
	v_xor_b32_e32 v15, 1, v19
	v_lshl_add_u64 v[28:29], v[2:3], 0, v[16:17]
	ds_read_b128 v[2:5], v10
	ds_read_b128 v[6:9], v10 offset:16
	ds_read_b128 v[10:13], v10 offset:32
	v_cmp_lt_i32_e32 vcc, v15, v20
	v_lshlrev_b32_e32 v30, 2, v22
	s_sub_i32 s15, 1, s33
	v_cndmask_b32_e32 v15, v19, v15, vcc
	v_cmp_eq_u32_e32 vcc, 0, v14
	v_lshlrev_b32_e32 v14, 5, v0
	v_and_b32_e32 v16, 0x80, v14
	s_lshl_b64 s[6:7], s[22:23], 2
	v_lshlrev_b32_e32 v27, 2, v15
	v_lshl_add_u64 v[14:15], v[28:29], 0, v[16:17]
	v_lshl_or_b32 v16, v26, 5, v30
	s_add_u32 s6, s20, s6
	v_add_u32_e32 v29, 0x190, v16
	v_and_b32_e32 v16, 60, v24
	s_addc_u32 s7, s21, s7
	s_mov_b32 s17, s13
	v_cmp_neq_f32_e64 s[0:1], s8, 0
	v_lshl_or_b32 v28, v26, 3, v22
	v_lshl_add_u64 v[16:17], s[6:7], 0, v[16:17]
	v_mov_b32_e32 v22, 0xff7fffff
	s_mov_b64 s[28:29], 0
	v_mov_b32_e32 v30, v26
	s_branch .LBB12_9
.LBB12_8:                               ;   in Loop: Header=BB12_9 Depth=1
	s_or_b64 exec, exec, s[30:31]
	v_add_u32_e32 v30, 2, v30
	v_cmp_le_i32_e64 s[6:7], s12, v30
	v_add_u32_e32 v28, 16, v28
	v_add_u32_e32 v29, 64, v29
	s_or_b64 s[28:29], s[6:7], s[28:29]
	v_lshl_add_u64 v[16:17], v[16:17], 0, 8
	s_andn2_b64 exec, exec, s[28:29]
	s_cbranch_execz .LBB12_11
.LBB12_9:                               ; =>This Inner Loop Header: Depth=1
	global_load_dword v31, v[16:17], off
	s_waitcnt vmcnt(0) lgkmcnt(0)
	v_mad_i64_i32 v[32:33], s[6:7], v31, s17, 0
	v_lshl_add_u64 v[32:33], v[32:33], 2, v[14:15]
	global_load_dword v31, v[32:33], off offset:256
	global_load_dword v34, v[32:33], off
	global_load_dword v35, v[32:33], off offset:512
	global_load_dword v36, v[32:33], off offset:768
	;; [unrolled: 1-line block ×10, first 2 shown]
	s_waitcnt vmcnt(11) lgkmcnt(2)
	v_mul_f32_e32 v31, v3, v31
	s_waitcnt vmcnt(10)
	v_fmac_f32_e32 v31, v2, v34
	s_waitcnt vmcnt(9)
	v_fmac_f32_e32 v31, v4, v35
	;; [unrolled: 2-line block ×3, first 2 shown]
	s_waitcnt vmcnt(7) lgkmcnt(1)
	v_fmac_f32_e32 v31, v6, v37
	s_waitcnt vmcnt(6)
	v_fmac_f32_e32 v31, v7, v38
	s_waitcnt vmcnt(5)
	;; [unrolled: 2-line block ×3, first 2 shown]
	v_fmac_f32_e32 v31, v9, v40
	s_waitcnt vmcnt(3) lgkmcnt(0)
	v_fmac_f32_e32 v31, v10, v41
	s_waitcnt vmcnt(2)
	v_fmac_f32_e32 v31, v11, v42
	s_waitcnt vmcnt(1)
	;; [unrolled: 2-line block ×3, first 2 shown]
	v_fmac_f32_e32 v31, v13, v44
	ds_bpermute_b32 v32, v23, v31
	s_waitcnt lgkmcnt(0)
	v_add_f32_e32 v31, v31, v32
	ds_bpermute_b32 v32, v25, v31
	s_waitcnt lgkmcnt(0)
	v_add_f32_e32 v31, v31, v32
	ds_bpermute_b32 v32, v27, v31
	s_and_saveexec_b64 s[30:31], vcc
	s_cbranch_execz .LBB12_8
; %bb.10:                               ;   in Loop: Header=BB12_9 Depth=1
	v_add_u32_e32 v33, s15, v28
	v_cvt_f32_i32_e32 v33, v33
	s_waitcnt lgkmcnt(0)
	v_add_f32_e32 v31, v31, v32
	v_cmp_gt_i32_e64 s[6:7], s33, v28
	v_max_f32_e32 v32, v22, v22
	v_mul_f32_e32 v33, s8, v33
	v_cndmask_b32_e64 v33, 0, v33, s[0:1]
	v_fmac_f32_e32 v33, s9, v31
	v_cndmask_b32_e64 v31, 0, v33, s[6:7]
	ds_write_b32 v29, v31
	v_max_f32_e32 v31, v32, v33
	v_cndmask_b32_e64 v22, v22, v31, s[6:7]
	s_branch .LBB12_8
.LBB12_11:
	s_or_b64 exec, exec, s[28:29]
.LBB12_12:
	s_or_b64 exec, exec, s[26:27]
	v_xor_b32_e32 v2, 32, v19
	v_cmp_lt_i32_e32 vcc, v2, v20
	v_xor_b32_e32 v5, 16, v19
	v_max_f32_e32 v4, v22, v22
	v_cndmask_b32_e32 v2, v19, v2, vcc
	v_lshlrev_b32_e32 v3, 2, v2
	ds_bpermute_b32 v2, v3, v22
	v_cmp_lt_i32_e32 vcc, v5, v20
	v_xor_b32_e32 v6, 8, v19
	v_and_b32_e32 v27, 63, v0
	s_waitcnt lgkmcnt(0)
	v_max_f32_e32 v2, v2, v2
	v_max_f32_e32 v2, v4, v2
	v_cndmask_b32_e32 v4, v19, v5, vcc
	v_lshlrev_b32_e32 v5, 2, v4
	ds_bpermute_b32 v4, v5, v2
	v_cmp_lt_i32_e32 vcc, v6, v20
	s_waitcnt lgkmcnt(0)
	v_max_f32_e32 v4, v4, v4
	v_max_f32_e32 v4, v2, v4
	v_cndmask_b32_e32 v2, v19, v6, vcc
	v_lshlrev_b32_e32 v6, 2, v2
	ds_bpermute_b32 v7, v6, v4
	v_cmp_eq_u32_e32 vcc, 0, v27
	v_lshlrev_b32_e32 v2, 2, v26
	s_and_saveexec_b64 s[0:1], vcc
	s_cbranch_execz .LBB12_14
; %bb.13:
	s_waitcnt lgkmcnt(0)
	v_max_f32_e32 v7, v7, v7
	v_max_f32_e32 v4, v4, v4
	;; [unrolled: 1-line block ×3, first 2 shown]
	ds_write_b32 v2, v4 offset:384
.LBB12_14:
	s_or_b64 exec, exec, s[0:1]
	v_cmp_gt_u32_e64 s[0:1], 2, v27
	s_waitcnt lgkmcnt(0)
	v_mov_b32_e32 v7, 0xff7fffff
	v_lshlrev_b32_e32 v4, 2, v27
	s_barrier
	s_and_saveexec_b64 s[6:7], s[0:1]
; %bb.15:
	ds_read_b32 v7, v4 offset:384
; %bb.16:
	s_or_b64 exec, exec, s[6:7]
	v_xor_b32_e32 v8, 1, v19
	v_cmp_lt_i32_e64 s[6:7], v8, v20
	s_nop 1
	v_cndmask_b32_e64 v8, v19, v8, s[6:7]
	v_lshlrev_b32_e32 v28, 2, v8
	s_waitcnt lgkmcnt(0)
	ds_bpermute_b32 v8, v28, v7
	v_max_f32_e32 v7, v7, v7
	s_lshl_b32 s6, s12, 3
	s_min_i32 s15, s6, s33
	v_cmp_gt_i32_e64 s[6:7], s15, v0
	s_waitcnt lgkmcnt(0)
	v_max_f32_e32 v8, v8, v8
	v_max_f32_e32 v7, v7, v8
	v_lshlrev_b32_e32 v8, 2, v21
	ds_bpermute_b32 v8, v8, v7
	v_mov_b32_e32 v7, 0
	s_and_saveexec_b64 s[26:27], s[6:7]
	s_cbranch_execz .LBB12_20
; %bb.17:
	v_mov_b32_e32 v7, 0x190
	v_lshl_add_u32 v9, v0, 2, v7
	v_mov_b32_e32 v7, 0
	s_mov_b64 s[28:29], 0
	v_mov_b32_e32 v10, v0
.LBB12_18:                              ; =>This Inner Loop Header: Depth=1
	ds_read_b32 v11, v9
	v_add_u32_e32 v10, 0x80, v10
	v_cmp_le_i32_e64 s[8:9], s15, v10
	s_or_b64 s[28:29], s[8:9], s[28:29]
	s_waitcnt lgkmcnt(0)
	v_sub_f32_e32 v11, v11, v8
	v_mul_f32_e32 v11, 0x3fb8aa3b, v11
	v_exp_f32_e32 v11, v11
	ds_write_b32 v9, v11
	v_add_f32_e32 v7, v7, v11
	v_add_u32_e32 v9, 0x200, v9
	s_andn2_b64 exec, exec, s[28:29]
	s_cbranch_execnz .LBB12_18
; %bb.19:
	s_or_b64 exec, exec, s[28:29]
.LBB12_20:
	s_or_b64 exec, exec, s[26:27]
	ds_bpermute_b32 v3, v3, v7
	s_waitcnt lgkmcnt(0)
	v_add_f32_e32 v3, v7, v3
	ds_bpermute_b32 v5, v5, v3
	s_waitcnt lgkmcnt(0)
	v_add_f32_e32 v3, v3, v5
	ds_bpermute_b32 v5, v6, v3
	v_xor_b32_e32 v6, 4, v19
	v_cmp_lt_i32_e64 s[8:9], v6, v20
	s_waitcnt lgkmcnt(0)
	v_add_f32_e32 v3, v3, v5
	v_cndmask_b32_e64 v6, v19, v6, s[8:9]
	v_lshlrev_b32_e32 v6, 2, v6
	ds_bpermute_b32 v5, v6, v3
	v_xor_b32_e32 v6, 2, v19
	v_cmp_lt_i32_e64 s[8:9], v6, v20
	s_waitcnt lgkmcnt(0)
	v_add_f32_e32 v3, v3, v5
	v_cndmask_b32_e64 v6, v19, v6, s[8:9]
	v_lshlrev_b32_e32 v5, 2, v6
	ds_bpermute_b32 v5, v5, v3
	s_waitcnt lgkmcnt(0)
	v_add_f32_e32 v3, v3, v5
	ds_bpermute_b32 v5, v28, v3
	s_waitcnt lgkmcnt(0)
	v_add_f32_e32 v3, v3, v5
	s_and_saveexec_b64 s[8:9], vcc
; %bb.21:
	ds_write_b32 v2, v3 offset:392
; %bb.22:
	s_or_b64 exec, exec, s[8:9]
	s_waitcnt lgkmcnt(0)
	s_barrier
	s_and_saveexec_b64 s[8:9], s[0:1]
; %bb.23:
	ds_read_b32 v3, v4 offset:392
; %bb.24:
	s_or_b64 exec, exec, s[8:9]
	s_waitcnt lgkmcnt(0)
	ds_bpermute_b32 v2, v28, v3
	v_lshlrev_b32_e32 v4, 2, v19
	s_waitcnt lgkmcnt(0)
	v_add_f32_e32 v2, v3, v2
	v_and_b32_e32 v3, 0xffffff00, v4
	ds_bpermute_b32 v2, v3, v2
	s_and_saveexec_b64 s[0:1], s[6:7]
	s_cbranch_execz .LBB12_37
; %bb.25:
	s_waitcnt lgkmcnt(0)
	v_add_f32_e32 v2, 0x358637bd, v2
	v_div_scale_f32 v3, s[6:7], v2, v2, 1.0
	v_rcp_f32_e32 v4, v3
	v_div_scale_f32 v5, vcc, 1.0, v2, 1.0
	s_movk_i32 s6, 0x7f
	v_fma_f32 v6, -v3, v4, 1.0
	v_fmac_f32_e32 v4, v6, v4
	v_mul_f32_e32 v6, v5, v4
	v_fma_f32 v7, -v3, v6, v5
	v_fmac_f32_e32 v6, v7, v4
	v_fma_f32 v3, -v3, v6, v5
	v_div_fmas_f32 v3, v3, v4, v6
	v_xad_u32 v4, v0, -1, s15
	v_div_fixup_f32 v2, v3, v2, 1.0
	v_cmp_lt_u32_e32 vcc, s6, v4
	s_mov_b64 s[8:9], -1
	v_mov_b32_e32 v3, v0
	s_and_saveexec_b64 s[6:7], vcc
	s_cbranch_execz .LBB12_34
; %bb.26:
	v_lshrrev_b32_e32 v4, 7, v4
	v_add_u32_e32 v6, -1, v4
	v_lshrrev_b32_e32 v5, 1, v6
	v_mov_b32_e32 v3, v2
	v_add_u32_e32 v5, 1, v5
	v_cmp_lt_u32_e32 vcc, 13, v6
	v_mov_b32_e32 v8, 0
	s_and_saveexec_b64 s[8:9], vcc
	s_cbranch_execz .LBB12_30
; %bb.27:
	v_mov_b32_e32 v7, 0x190
	v_and_b32_e32 v6, -8, v5
	v_lshl_add_u32 v7, v0, 2, v7
	s_mov_b32 s17, 0
	s_mov_b64 s[26:27], 0
.LBB12_28:                              ; =>This Inner Loop Header: Depth=1
	ds_read2st64_b32 v[8:9], v7 offset1:2
	ds_read2st64_b32 v[10:11], v7 offset0:4 offset1:6
	ds_read2st64_b32 v[12:13], v7 offset0:8 offset1:10
	;; [unrolled: 1-line block ×3, first 2 shown]
	v_add_u32_e32 v6, -8, v6
	s_waitcnt lgkmcnt(3)
	v_pk_mul_f32 v[8:9], v[2:3], v[8:9]
	s_waitcnt lgkmcnt(2)
	v_pk_mul_f32 v[10:11], v[2:3], v[10:11]
	ds_write2st64_b32 v7, v8, v9 offset1:2
	ds_write2st64_b32 v7, v10, v11 offset0:4 offset1:6
	ds_read2st64_b32 v[10:11], v7 offset0:16 offset1:18
	s_waitcnt lgkmcnt(4)
	v_pk_mul_f32 v[8:9], v[2:3], v[12:13]
	ds_write2st64_b32 v7, v8, v9 offset0:8 offset1:10
	s_waitcnt lgkmcnt(4)
	v_pk_mul_f32 v[8:9], v[2:3], v[14:15]
	ds_write2st64_b32 v7, v8, v9 offset0:12 offset1:14
	ds_read2st64_b32 v[8:9], v7 offset0:20 offset1:22
	s_waitcnt lgkmcnt(3)
	v_pk_mul_f32 v[10:11], v[2:3], v[10:11]
	ds_read2st64_b32 v[12:13], v7 offset0:24 offset1:26
	ds_write2st64_b32 v7, v10, v11 offset0:16 offset1:18
	ds_read2st64_b32 v[10:11], v7 offset0:28 offset1:30
	s_waitcnt lgkmcnt(3)
	v_pk_mul_f32 v[8:9], v[2:3], v[8:9]
	ds_write2st64_b32 v7, v8, v9 offset0:20 offset1:22
	s_waitcnt lgkmcnt(3)
	v_pk_mul_f32 v[8:9], v[2:3], v[12:13]
	ds_write2st64_b32 v7, v8, v9 offset0:24 offset1:26
	s_waitcnt lgkmcnt(2)
	v_pk_mul_f32 v[8:9], v[2:3], v[10:11]
	s_add_i32 s17, s17, 16
	v_cmp_eq_u32_e32 vcc, 0, v6
	ds_write2st64_b32 v7, v8, v9 offset0:28 offset1:30
	v_add_u32_e32 v7, 0x2000, v7
	s_or_b64 s[26:27], vcc, s[26:27]
	v_mov_b32_e32 v8, s17
	s_andn2_b64 exec, exec, s[26:27]
	s_cbranch_execnz .LBB12_28
; %bb.29:
	s_or_b64 exec, exec, s[26:27]
.LBB12_30:
	s_or_b64 exec, exec, s[8:9]
	v_and_b32_e32 v5, 7, v5
	v_cmp_ne_u32_e32 vcc, 0, v5
	s_and_saveexec_b64 s[8:9], vcc
	s_cbranch_execz .LBB12_33
; %bb.31:
	v_lshlrev_b32_e32 v6, 9, v8
	s_movk_i32 s17, 0x190
	v_add3_u32 v6, v6, v18, s17
	s_mov_b64 s[26:27], 0
.LBB12_32:                              ; =>This Inner Loop Header: Depth=1
	ds_read2st64_b32 v[8:9], v6 offset1:2
	v_add_u32_e32 v5, -1, v5
	v_cmp_eq_u32_e32 vcc, 0, v5
	s_or_b64 s[26:27], vcc, s[26:27]
	s_waitcnt lgkmcnt(0)
	v_pk_mul_f32 v[8:9], v[2:3], v[8:9]
	ds_write2st64_b32 v6, v8, v9 offset1:2
	v_add_u32_e32 v6, 0x400, v6
	s_andn2_b64 exec, exec, s[26:27]
	s_cbranch_execnz .LBB12_32
.LBB12_33:
	s_or_b64 exec, exec, s[8:9]
	v_add_u32_e32 v4, 1, v4
	v_and_b32_e32 v5, 0x3fffffe, v4
	v_cmp_ne_u32_e32 vcc, v4, v5
	v_lshl_add_u32 v3, v5, 7, v0
	s_orn2_b64 s[8:9], vcc, exec
.LBB12_34:
	s_or_b64 exec, exec, s[6:7]
	s_and_b64 exec, exec, s[8:9]
	s_cbranch_execz .LBB12_37
; %bb.35:
	v_mov_b32_e32 v4, 0x190
	v_lshl_add_u32 v4, v3, 2, v4
	s_mov_b64 s[6:7], 0
.LBB12_36:                              ; =>This Inner Loop Header: Depth=1
	ds_read_b32 v5, v4
	v_add_u32_e32 v3, 0x80, v3
	v_cmp_le_i32_e32 vcc, s15, v3
	s_or_b64 s[6:7], vcc, s[6:7]
	s_waitcnt lgkmcnt(0)
	v_mul_f32_e32 v5, v2, v5
	ds_write_b32 v4, v5
	v_add_u32_e32 v4, 0x200, v4
	s_andn2_b64 exec, exec, s[6:7]
	s_cbranch_execnz .LBB12_36
.LBB12_37:
	s_or_b64 exec, exec, s[0:1]
	v_mov_b32_e32 v21, 0
	v_and_b32_e32 v29, 1, v0
	v_mov_b32_e32 v20, 0
	v_mov_b32_e32 v19, 0
	s_waitcnt lgkmcnt(0)
	s_barrier
	s_and_saveexec_b64 s[6:7], s[2:3]
	s_cbranch_execz .LBB12_47
; %bb.38:
	s_ashr_i32 s15, s14, 31
	s_lshl_b64 s[0:1], s[14:15], 2
	s_add_u32 s0, s24, s0
	v_lshlrev_b32_e32 v3, 4, v0
	v_and_b32_e32 v2, 4, v18
	s_addc_u32 s1, s25, s1
	v_and_b32_e32 v18, 0x3f0, v3
	v_mov_b32_e32 v19, 0
	s_add_i32 s14, s12, -1
	v_lshl_add_u64 v[22:23], s[0:1], 0, v[18:19]
	s_lshl_b64 s[0:1], s[22:23], 2
	v_lshl_or_b32 v30, v26, 3, v2
	v_lshlrev_b32_e32 v2, 4, v29
	s_add_u32 s0, s20, s0
	v_lshl_or_b32 v2, v26, 5, v2
	v_and_b32_e32 v18, 60, v24
	s_addc_u32 s1, s21, s1
	s_mov_b32 s15, s33
	v_add_u32_e32 v31, 0x190, v2
	v_lshl_add_u64 v[24:25], s[0:1], 0, v[18:19]
	s_mov_b64 s[2:3], 0
	v_mov_b32_e32 v21, v19
	v_mov_b32_e32 v20, v19
	s_branch .LBB12_40
.LBB12_39:                              ;   in Loop: Header=BB12_40 Depth=1
	s_or_b64 exec, exec, s[0:1]
	s_waitcnt vmcnt(1) lgkmcnt(0)
	v_mul_f32_e32 v10, v2, v10
	v_mul_f32_e32 v6, v2, v6
	v_fmac_f32_e32 v10, v3, v11
	v_fmac_f32_e32 v6, v3, v7
	;; [unrolled: 1-line block ×4, first 2 shown]
	s_waitcnt vmcnt(0)
	v_pk_mul_f32 v[2:3], v[2:3], v[14:15]
	v_fmac_f32_e32 v10, v5, v13
	v_fmac_f32_e32 v6, v5, v9
	v_pk_mul_f32 v[4:5], v[4:5], v[16:17]
	v_add_f32_e32 v2, v3, v2
	v_add_f32_e32 v2, v4, v2
	v_add_u32_e32 v26, 2, v26
	v_add_f32_e32 v2, v5, v2
	v_cmp_le_i32_e32 vcc, s12, v26
	v_add_f32_e32 v21, v21, v10
	v_add_f32_e32 v20, v20, v6
	;; [unrolled: 1-line block ×3, first 2 shown]
	v_add_u32_e32 v30, 16, v30
	v_add_u32_e32 v31, 64, v31
	s_or_b64 s[2:3], vcc, s[2:3]
	v_lshl_add_u64 v[24:25], v[24:25], 0, 8
	s_andn2_b64 exec, exec, s[2:3]
	s_cbranch_execz .LBB12_46
.LBB12_40:                              ; =>This Inner Loop Header: Depth=1
	global_load_dword v2, v[24:25], off
	v_cmp_eq_u32_e32 vcc, s14, v26
	v_add_u32_e32 v33, 1, v30
	v_or_b32_e32 v32, 3, v30
	v_or_b32_e32 v18, 2, v30
	s_waitcnt vmcnt(0)
	v_mad_i64_i32 v[2:3], s[0:1], v2, s13, 0
	v_lshl_add_u64 v[14:15], v[2:3], 2, v[22:23]
	global_load_dwordx4 v[6:9], v[14:15], off
	ds_read_b128 v[2:5], v31
	s_and_saveexec_b64 s[8:9], vcc
	s_cbranch_execnz .LBB12_43
; %bb.41:                               ;   in Loop: Header=BB12_40 Depth=1
	s_or_b64 exec, exec, s[8:9]
	global_load_dwordx4 v[10:13], v[14:15], off offset:1024
	s_and_saveexec_b64 s[8:9], vcc
	s_cbranch_execnz .LBB12_44
.LBB12_42:                              ;   in Loop: Header=BB12_40 Depth=1
	s_or_b64 exec, exec, s[8:9]
	global_load_dwordx4 v[14:17], v[14:15], off offset:2048
	s_and_saveexec_b64 s[0:1], vcc
	s_cbranch_execz .LBB12_39
	s_branch .LBB12_45
.LBB12_43:                              ;   in Loop: Header=BB12_40 Depth=1
	v_cmp_gt_i32_e64 s[0:1], s15, v33
	s_waitcnt vmcnt(0)
	s_nop 0
	v_cndmask_b32_e64 v7, 0, v7, s[0:1]
	v_cmp_gt_i32_e64 s[0:1], s33, v30
	s_nop 1
	v_cndmask_b32_e64 v6, 0, v6, s[0:1]
	v_cmp_gt_i32_e64 s[0:1], s15, v32
	;; [unrolled: 3-line block ×3, first 2 shown]
	s_nop 1
	v_cndmask_b32_e64 v8, 0, v8, s[0:1]
	s_or_b64 exec, exec, s[8:9]
	global_load_dwordx4 v[10:13], v[14:15], off offset:1024
	s_and_saveexec_b64 s[8:9], vcc
	s_cbranch_execz .LBB12_42
.LBB12_44:                              ;   in Loop: Header=BB12_40 Depth=1
	v_cmp_gt_i32_e64 s[0:1], s15, v33
	s_waitcnt vmcnt(0)
	s_nop 0
	v_cndmask_b32_e64 v11, 0, v11, s[0:1]
	v_cmp_gt_i32_e64 s[0:1], s33, v30
	s_nop 1
	v_cndmask_b32_e64 v10, 0, v10, s[0:1]
	v_cmp_gt_i32_e64 s[0:1], s15, v32
	;; [unrolled: 3-line block ×3, first 2 shown]
	s_nop 1
	v_cndmask_b32_e64 v12, 0, v12, s[0:1]
	s_or_b64 exec, exec, s[8:9]
	global_load_dwordx4 v[14:17], v[14:15], off offset:2048
	s_and_saveexec_b64 s[0:1], vcc
	s_cbranch_execz .LBB12_39
.LBB12_45:                              ;   in Loop: Header=BB12_40 Depth=1
	v_cmp_gt_i32_e32 vcc, s15, v33
	s_waitcnt vmcnt(0)
	s_nop 0
	v_cndmask_b32_e32 v15, 0, v15, vcc
	v_cmp_gt_i32_e32 vcc, s33, v30
	s_nop 1
	v_cndmask_b32_e32 v14, 0, v14, vcc
	v_cmp_gt_i32_e32 vcc, s15, v32
	;; [unrolled: 3-line block ×3, first 2 shown]
	s_nop 1
	v_cndmask_b32_e32 v16, 0, v16, vcc
	s_branch .LBB12_39
.LBB12_46:
	s_or_b64 exec, exec, s[2:3]
.LBB12_47:
	s_or_b64 exec, exec, s[6:7]
	ds_bpermute_b32 v2, v28, v20
	ds_bpermute_b32 v3, v28, v21
	;; [unrolled: 1-line block ×3, first 2 shown]
	v_and_b32_e32 v5, 0x3c1, v0
	v_cmp_ne_u32_e32 vcc, 64, v5
	s_waitcnt lgkmcnt(0)
	v_pk_add_f32 v[2:3], v[20:21], v[2:3]
	s_barrier
	s_and_saveexec_b64 s[0:1], vcc
	s_xor_b64 s[0:1], exec, s[0:1]
; %bb.48:
                                        ; implicit-def: $vgpr27
; %bb.49:
	s_or_saveexec_b64 s[0:1], s[0:1]
	v_add_f32_e32 v4, v19, v4
	s_xor_b64 exec, exec, s[0:1]
	s_cbranch_execz .LBB12_51
; %bb.50:
	v_mov_b32_e32 v6, 0x190
	v_lshl_add_u32 v6, v27, 1, v6
	ds_write2_b32 v6, v2, v3 offset1:32
	ds_write_b32 v6, v4 offset:256
.LBB12_51:
	s_or_b64 exec, exec, s[0:1]
	v_cmp_gt_u32_e32 vcc, 64, v0
	s_waitcnt lgkmcnt(0)
	s_barrier
	s_and_saveexec_b64 s[0:1], vcc
	s_cbranch_execz .LBB12_57
; %bb.52:
	v_mov_b32_e32 v0, 0x190
	v_cmp_eq_u32_e32 vcc, 0, v29
	v_lshl_add_u32 v0, v1, 2, v0
	s_and_saveexec_b64 s[2:3], vcc
	s_cbranch_execnz .LBB12_60
; %bb.53:
	s_or_b64 exec, exec, s[2:3]
	s_and_saveexec_b64 s[2:3], vcc
	s_cbranch_execnz .LBB12_61
.LBB12_54:
	s_or_b64 exec, exec, s[2:3]
	s_and_saveexec_b64 s[2:3], vcc
	s_cbranch_execz .LBB12_56
.LBB12_55:
	ds_read_b32 v0, v0 offset:256
	s_waitcnt lgkmcnt(0)
	v_add_f32_e32 v4, v4, v0
.LBB12_56:
	s_or_b64 exec, exec, s[2:3]
.LBB12_57:
	s_or_b64 exec, exec, s[0:1]
	v_cmp_eq_u32_e32 vcc, 0, v5
	s_barrier
	s_and_saveexec_b64 s[0:1], vcc
	s_cbranch_execz .LBB12_59
; %bb.58:
	s_mul_i32 s0, s10, s11
	s_mul_i32 s0, s0, s5
	s_mulk_i32 s0, 0x60
	s_ashr_i32 s1, s0, 31
	s_lshl_b64 s[0:1], s[0:1], 2
	s_add_u32 s2, s18, s0
	s_mul_i32 s0, s11, s16
	s_addc_u32 s3, s19, s1
	s_ashr_i32 s1, s0, 31
	s_lshl_b64 s[0:1], s[0:1], 2
	s_add_u32 s2, s2, s0
	s_mul_i32 s0, s4, 0x60
	s_addc_u32 s3, s3, s1
	s_ashr_i32 s1, s0, 31
	s_lshl_b64 s[0:1], s[0:1], 2
	s_add_u32 s0, s2, s0
	s_addc_u32 s1, s3, s1
	v_lshlrev_b32_e32 v0, 2, v1
	global_store_dword v0, v2, s[0:1]
	global_store_dword v0, v3, s[0:1] offset:128
	global_store_dword v0, v4, s[0:1] offset:256
.LBB12_59:
	s_endpgm
.LBB12_60:
	ds_read_b32 v6, v0
	s_waitcnt lgkmcnt(0)
	v_add_f32_e32 v2, v2, v6
	s_or_b64 exec, exec, s[2:3]
	s_and_saveexec_b64 s[2:3], vcc
	s_cbranch_execz .LBB12_54
.LBB12_61:
	ds_read_b32 v6, v0 offset:128
	s_waitcnt lgkmcnt(0)
	v_add_f32_e32 v3, v3, v6
	s_or_b64 exec, exec, s[2:3]
	s_and_saveexec_b64 s[2:3], vcc
	s_cbranch_execnz .LBB12_55
	s_branch .LBB12_56
	.section	.rodata,"a",@progbits
	.p2align	6, 0x0
	.amdhsa_kernel _ZN4vllm25paged_attention_v1_kernelIffLi96ELi8ELi128ELNS_18Fp8KVCacheDataTypeE0ELb0EEEvPT_PKS2_PKT0_S8_ifPKiSA_iPKfiiiSC_SC_iiiii
		.amdhsa_group_segment_fixed_size 400
		.amdhsa_private_segment_fixed_size 0
		.amdhsa_kernarg_size 384
		.amdhsa_user_sgpr_count 2
		.amdhsa_user_sgpr_dispatch_ptr 0
		.amdhsa_user_sgpr_queue_ptr 0
		.amdhsa_user_sgpr_kernarg_segment_ptr 1
		.amdhsa_user_sgpr_dispatch_id 0
		.amdhsa_user_sgpr_kernarg_preload_length 0
		.amdhsa_user_sgpr_kernarg_preload_offset 0
		.amdhsa_user_sgpr_private_segment_size 0
		.amdhsa_uses_dynamic_stack 0
		.amdhsa_enable_private_segment 0
		.amdhsa_system_sgpr_workgroup_id_x 1
		.amdhsa_system_sgpr_workgroup_id_y 1
		.amdhsa_system_sgpr_workgroup_id_z 1
		.amdhsa_system_sgpr_workgroup_info 0
		.amdhsa_system_vgpr_workitem_id 0
		.amdhsa_next_free_vgpr 45
		.amdhsa_next_free_sgpr 34
		.amdhsa_accum_offset 48
		.amdhsa_reserve_vcc 1
		.amdhsa_float_round_mode_32 0
		.amdhsa_float_round_mode_16_64 0
		.amdhsa_float_denorm_mode_32 3
		.amdhsa_float_denorm_mode_16_64 3
		.amdhsa_dx10_clamp 1
		.amdhsa_ieee_mode 1
		.amdhsa_fp16_overflow 0
		.amdhsa_tg_split 0
		.amdhsa_exception_fp_ieee_invalid_op 0
		.amdhsa_exception_fp_denorm_src 0
		.amdhsa_exception_fp_ieee_div_zero 0
		.amdhsa_exception_fp_ieee_overflow 0
		.amdhsa_exception_fp_ieee_underflow 0
		.amdhsa_exception_fp_ieee_inexact 0
		.amdhsa_exception_int_div_zero 0
	.end_amdhsa_kernel
	.section	.text._ZN4vllm25paged_attention_v1_kernelIffLi96ELi8ELi128ELNS_18Fp8KVCacheDataTypeE0ELb0EEEvPT_PKS2_PKT0_S8_ifPKiSA_iPKfiiiSC_SC_iiiii,"axG",@progbits,_ZN4vllm25paged_attention_v1_kernelIffLi96ELi8ELi128ELNS_18Fp8KVCacheDataTypeE0ELb0EEEvPT_PKS2_PKT0_S8_ifPKiSA_iPKfiiiSC_SC_iiiii,comdat
.Lfunc_end12:
	.size	_ZN4vllm25paged_attention_v1_kernelIffLi96ELi8ELi128ELNS_18Fp8KVCacheDataTypeE0ELb0EEEvPT_PKS2_PKT0_S8_ifPKiSA_iPKfiiiSC_SC_iiiii, .Lfunc_end12-_ZN4vllm25paged_attention_v1_kernelIffLi96ELi8ELi128ELNS_18Fp8KVCacheDataTypeE0ELb0EEEvPT_PKS2_PKT0_S8_ifPKiSA_iPKfiiiSC_SC_iiiii
                                        ; -- End function
	.set _ZN4vllm25paged_attention_v1_kernelIffLi96ELi8ELi128ELNS_18Fp8KVCacheDataTypeE0ELb0EEEvPT_PKS2_PKT0_S8_ifPKiSA_iPKfiiiSC_SC_iiiii.num_vgpr, 45
	.set _ZN4vllm25paged_attention_v1_kernelIffLi96ELi8ELi128ELNS_18Fp8KVCacheDataTypeE0ELb0EEEvPT_PKS2_PKT0_S8_ifPKiSA_iPKfiiiSC_SC_iiiii.num_agpr, 0
	.set _ZN4vllm25paged_attention_v1_kernelIffLi96ELi8ELi128ELNS_18Fp8KVCacheDataTypeE0ELb0EEEvPT_PKS2_PKT0_S8_ifPKiSA_iPKfiiiSC_SC_iiiii.numbered_sgpr, 34
	.set _ZN4vllm25paged_attention_v1_kernelIffLi96ELi8ELi128ELNS_18Fp8KVCacheDataTypeE0ELb0EEEvPT_PKS2_PKT0_S8_ifPKiSA_iPKfiiiSC_SC_iiiii.num_named_barrier, 0
	.set _ZN4vllm25paged_attention_v1_kernelIffLi96ELi8ELi128ELNS_18Fp8KVCacheDataTypeE0ELb0EEEvPT_PKS2_PKT0_S8_ifPKiSA_iPKfiiiSC_SC_iiiii.private_seg_size, 0
	.set _ZN4vllm25paged_attention_v1_kernelIffLi96ELi8ELi128ELNS_18Fp8KVCacheDataTypeE0ELb0EEEvPT_PKS2_PKT0_S8_ifPKiSA_iPKfiiiSC_SC_iiiii.uses_vcc, 1
	.set _ZN4vllm25paged_attention_v1_kernelIffLi96ELi8ELi128ELNS_18Fp8KVCacheDataTypeE0ELb0EEEvPT_PKS2_PKT0_S8_ifPKiSA_iPKfiiiSC_SC_iiiii.uses_flat_scratch, 0
	.set _ZN4vllm25paged_attention_v1_kernelIffLi96ELi8ELi128ELNS_18Fp8KVCacheDataTypeE0ELb0EEEvPT_PKS2_PKT0_S8_ifPKiSA_iPKfiiiSC_SC_iiiii.has_dyn_sized_stack, 0
	.set _ZN4vllm25paged_attention_v1_kernelIffLi96ELi8ELi128ELNS_18Fp8KVCacheDataTypeE0ELb0EEEvPT_PKS2_PKT0_S8_ifPKiSA_iPKfiiiSC_SC_iiiii.has_recursion, 0
	.set _ZN4vllm25paged_attention_v1_kernelIffLi96ELi8ELi128ELNS_18Fp8KVCacheDataTypeE0ELb0EEEvPT_PKS2_PKT0_S8_ifPKiSA_iPKfiiiSC_SC_iiiii.has_indirect_call, 0
	.section	.AMDGPU.csdata,"",@progbits
; Kernel info:
; codeLenInByte = 3628
; TotalNumSgprs: 40
; NumVgprs: 45
; NumAgprs: 0
; TotalNumVgprs: 45
; ScratchSize: 0
; MemoryBound: 0
; FloatMode: 240
; IeeeMode: 1
; LDSByteSize: 400 bytes/workgroup (compile time only)
; SGPRBlocks: 4
; VGPRBlocks: 5
; NumSGPRsForWavesPerEU: 40
; NumVGPRsForWavesPerEU: 45
; AccumOffset: 48
; Occupancy: 8
; WaveLimiterHint : 1
; COMPUTE_PGM_RSRC2:SCRATCH_EN: 0
; COMPUTE_PGM_RSRC2:USER_SGPR: 2
; COMPUTE_PGM_RSRC2:TRAP_HANDLER: 0
; COMPUTE_PGM_RSRC2:TGID_X_EN: 1
; COMPUTE_PGM_RSRC2:TGID_Y_EN: 1
; COMPUTE_PGM_RSRC2:TGID_Z_EN: 1
; COMPUTE_PGM_RSRC2:TIDIG_COMP_CNT: 0
; COMPUTE_PGM_RSRC3_GFX90A:ACCUM_OFFSET: 11
; COMPUTE_PGM_RSRC3_GFX90A:TG_SPLIT: 0
	.section	.text._ZN4vllm25paged_attention_v1_kernelIffLi112ELi8ELi128ELNS_18Fp8KVCacheDataTypeE0ELb0EEEvPT_PKS2_PKT0_S8_ifPKiSA_iPKfiiiSC_SC_iiiii,"axG",@progbits,_ZN4vllm25paged_attention_v1_kernelIffLi112ELi8ELi128ELNS_18Fp8KVCacheDataTypeE0ELb0EEEvPT_PKS2_PKT0_S8_ifPKiSA_iPKfiiiSC_SC_iiiii,comdat
	.protected	_ZN4vllm25paged_attention_v1_kernelIffLi112ELi8ELi128ELNS_18Fp8KVCacheDataTypeE0ELb0EEEvPT_PKS2_PKT0_S8_ifPKiSA_iPKfiiiSC_SC_iiiii ; -- Begin function _ZN4vllm25paged_attention_v1_kernelIffLi112ELi8ELi128ELNS_18Fp8KVCacheDataTypeE0ELb0EEEvPT_PKS2_PKT0_S8_ifPKiSA_iPKfiiiSC_SC_iiiii
	.globl	_ZN4vllm25paged_attention_v1_kernelIffLi112ELi8ELi128ELNS_18Fp8KVCacheDataTypeE0ELb0EEEvPT_PKS2_PKT0_S8_ifPKiSA_iPKfiiiSC_SC_iiiii
	.p2align	8
	.type	_ZN4vllm25paged_attention_v1_kernelIffLi112ELi8ELi128ELNS_18Fp8KVCacheDataTypeE0ELb0EEEvPT_PKS2_PKT0_S8_ifPKiSA_iPKfiiiSC_SC_iiiii,@function
_ZN4vllm25paged_attention_v1_kernelIffLi112ELi8ELi128ELNS_18Fp8KVCacheDataTypeE0ELb0EEEvPT_PKS2_PKT0_S8_ifPKiSA_iPKfiiiSC_SC_iiiii: ; @_ZN4vllm25paged_attention_v1_kernelIffLi112ELi8ELi128ELNS_18Fp8KVCacheDataTypeE0ELb0EEEvPT_PKS2_PKT0_S8_ifPKiSA_iPKfiiiSC_SC_iiiii
; %bb.0:
	s_load_dword s5, s[0:1], 0x80
	s_load_dwordx2 s[6:7], s[0:1], 0x30
	s_load_dwordx2 s[8:9], s[0:1], 0x20
	s_mov_b32 s10, s3
	s_ashr_i32 s11, s3, 31
	s_lshl_b64 s[12:13], s[10:11], 2
	s_waitcnt lgkmcnt(0)
	s_add_u32 s6, s6, s12
	s_addc_u32 s7, s7, s13
	s_abs_i32 s3, s8
	v_cvt_f32_u32_e32 v1, s3
	s_sub_i32 s12, 0, s3
	s_abs_i32 s11, s5
	s_xor_b32 s8, s5, s8
	v_rcp_iflag_f32_e32 v1, v1
	s_ashr_i32 s8, s8, 31
	v_mul_f32_e32 v1, 0x4f7ffffe, v1
	v_cvt_u32_f32_e32 v1, v1
	s_nop 0
	v_readfirstlane_b32 s13, v1
	s_mul_i32 s12, s12, s13
	s_mul_hi_u32 s12, s13, s12
	s_add_i32 s13, s13, s12
	s_mul_hi_u32 s12, s11, s13
	s_mul_i32 s13, s12, s3
	s_sub_i32 s11, s11, s13
	s_add_i32 s13, s12, 1
	s_sub_i32 s14, s11, s3
	s_cmp_ge_u32 s11, s3
	s_cselect_b32 s12, s13, s12
	s_cselect_b32 s11, s14, s11
	s_add_i32 s13, s12, 1
	s_cmp_ge_u32 s11, s3
	s_cselect_b32 s3, s13, s12
	s_xor_b32 s3, s3, s8
	s_sub_i32 s14, s3, s8
	s_abs_i32 s11, s14
	v_cvt_f32_u32_e32 v1, s11
	s_load_dwordx2 s[12:13], s[0:1], 0x40
	s_sub_i32 s3, 0, s11
	s_abs_i32 s18, s2
	v_rcp_iflag_f32_e32 v1, v1
	s_mov_b32 s8, 0
	v_mul_f32_e32 v1, 0x4f7ffffe, v1
	v_cvt_u32_f32_e32 v1, v1
	s_nop 0
	v_readfirstlane_b32 s15, v1
	s_mul_i32 s3, s3, s15
	s_mul_hi_u32 s3, s15, s3
	s_add_i32 s15, s15, s3
	s_waitcnt lgkmcnt(0)
	s_cmp_eq_u64 s[12:13], 0
	s_mul_hi_u32 s19, s18, s15
	s_cbranch_scc1 .LBB13_2
; %bb.1:
	s_ashr_i32 s3, s2, 31
	s_lshl_b64 s[16:17], s[2:3], 2
	s_add_u32 s12, s12, s16
	s_addc_u32 s13, s13, s17
	s_load_dword s8, s[12:13], 0x0
.LBB13_2:
	s_load_dword s33, s[6:7], 0x0
	s_ashr_i32 s7, s14, 31
	s_load_dwordx4 s[12:15], s[0:1], 0x48
	s_movk_i32 s3, 0x70
	s_ashr_i32 s6, s2, 31
	v_and_b32_e32 v16, 7, v0
	s_mul_i32 s16, s2, 0x70
	v_cmp_gt_u32_e32 vcc, s3, v0
	v_lshlrev_b32_e32 v20, 2, v0
	v_lshrrev_b32_e32 v1, 1, v0
	s_and_saveexec_b64 s[2:3], vcc
	s_cbranch_execz .LBB13_4
; %bb.3:
	s_load_dwordx2 s[20:21], s[0:1], 0x8
	s_waitcnt lgkmcnt(0)
	s_mul_i32 s22, s12, s10
	s_ashr_i32 s23, s22, 31
	s_lshl_b64 s[22:23], s[22:23], 2
	v_and_b32_e32 v3, 0x1fc, v1
	s_add_u32 s12, s20, s22
	s_addc_u32 s15, s21, s23
	s_ashr_i32 s17, s16, 31
	s_lshl_b64 s[20:21], s[16:17], 2
	s_add_u32 s20, s12, s20
	s_addc_u32 s21, s15, s21
	global_load_dword v2, v20, s[20:21]
	v_mad_u32_u24 v3, v16, 56, v3
	s_waitcnt vmcnt(0)
	ds_write_b32 v3, v2
.LBB13_4:
	s_or_b64 exec, exec, s[2:3]
	s_waitcnt lgkmcnt(0)
	s_add_i32 s3, s33, 7
	s_ashr_i32 s12, s3, 31
	s_lshr_b32 s12, s12, 29
	s_add_i32 s3, s3, s12
	s_ashr_i32 s17, s3, 3
	s_xor_b32 s3, s6, s7
	s_mul_i32 s6, s19, s11
	s_sub_i32 s6, s18, s6
	s_add_i32 s7, s19, 1
	s_sub_i32 s12, s6, s11
	s_load_dwordx2 s[20:21], s[0:1], 0x28
	s_load_dword s2, s[0:1], 0x38
	s_cmp_ge_u32 s6, s11
	s_cselect_b32 s7, s7, s19
	s_cselect_b32 s6, s12, s6
	s_add_i32 s12, s7, 1
	s_cmp_ge_u32 s6, s11
	s_cselect_b32 s6, s12, s7
	v_lshrrev_b32_e32 v32, 6, v0
	s_xor_b32 s6, s6, s3
	s_waitcnt lgkmcnt(0)
	s_mul_i32 s22, s2, s10
	s_sub_i32 s12, s6, s3
	s_ashr_i32 s23, s22, 31
	v_cmp_le_i32_e64 s[2:3], s17, v32
	v_mbcnt_lo_u32_b32 v17, -1, 0
	s_barrier
                                        ; implicit-def: $vgpr22
                                        ; implicit-def: $vgpr24
                                        ; implicit-def: $vgpr23
	s_and_saveexec_b64 s[6:7], s[2:3]
	s_xor_b64 s[6:7], exec, s[6:7]
; %bb.5:
	v_mbcnt_hi_u32_b32 v22, -1, v17
	v_and_b32_e32 v24, 64, v22
	v_add_u32_e32 v23, 64, v24
                                        ; implicit-def: $vgpr16
                                        ; implicit-def: $vgpr17
; %bb.6:
	s_or_saveexec_b64 s[26:27], s[6:7]
	s_load_dwordx2 s[18:19], s[0:1], 0x0
	s_load_dwordx2 s[24:25], s[0:1], 0x18
	s_load_dword s11, s[0:1], 0x88
	v_mov_b32_e32 v25, 0xff7fffff
	s_mul_i32 s14, s12, s14
	v_lshrrev_b32_e32 v21, 4, v0
	s_xor_b64 exec, exec, s[26:27]
	s_cbranch_execz .LBB13_12
; %bb.7:
	s_load_dwordx2 s[0:1], s[0:1], 0x10
	v_mbcnt_hi_u32_b32 v22, -1, v17
	v_and_b32_e32 v24, 64, v22
	v_add_u32_e32 v23, 64, v24
	v_xor_b32_e32 v17, 4, v22
	s_ashr_i32 s15, s14, 31
	v_cmp_lt_i32_e32 vcc, v17, v23
	s_lshl_b64 s[6:7], s[14:15], 2
	v_bfe_u32 v25, v0, 3, 3
	v_cndmask_b32_e32 v17, v22, v17, vcc
	s_waitcnt lgkmcnt(0)
	s_add_u32 s0, s0, s6
	v_lshlrev_b32_e32 v26, 2, v17
	v_xor_b32_e32 v17, 2, v22
	s_addc_u32 s1, s1, s7
	v_lshlrev_b32_e32 v18, 4, v25
	v_mov_b32_e32 v19, 0
	v_and_b32_e32 v4, 3, v0
	v_cmp_lt_i32_e32 vcc, v17, v23
	v_lshl_add_u64 v[2:3], s[0:1], 0, v[18:19]
	v_lshlrev_b32_e32 v18, 2, v4
	v_mul_u32_u24_e32 v14, 56, v16
	v_cndmask_b32_e32 v17, v22, v17, vcc
	v_lshl_add_u64 v[30:31], v[2:3], 0, v[18:19]
	ds_read2_b64 v[2:5], v14 offset1:1
	ds_read2_b64 v[6:9], v14 offset0:2 offset1:3
	ds_read2_b64 v[10:13], v14 offset0:4 offset1:5
	ds_read_b64 v[14:15], v14 offset:48
	v_lshlrev_b32_e32 v27, 2, v17
	v_xor_b32_e32 v17, 1, v22
	v_cmp_lt_i32_e32 vcc, v17, v23
	v_lshlrev_b32_e32 v33, 2, v25
	s_sub_i32 s15, 1, s33
	v_cndmask_b32_e32 v17, v22, v17, vcc
	v_cmp_eq_u32_e32 vcc, 0, v16
	v_lshlrev_b32_e32 v16, 5, v0
	v_and_b32_e32 v18, 0x80, v16
	s_lshl_b64 s[6:7], s[22:23], 2
	v_lshlrev_b32_e32 v28, 2, v17
	v_lshl_add_u64 v[16:17], v[30:31], 0, v[18:19]
	v_lshl_or_b32 v18, v32, 5, v33
	s_add_u32 s6, s20, s6
	v_add_u32_e32 v30, 0x1d0, v18
	v_and_b32_e32 v18, 60, v21
	s_addc_u32 s7, s21, s7
	s_mov_b32 s12, s13
	v_cmp_neq_f32_e64 s[0:1], s8, 0
	v_lshl_or_b32 v29, v32, 3, v25
	v_lshl_add_u64 v[18:19], s[6:7], 0, v[18:19]
	v_mov_b32_e32 v25, 0xff7fffff
	s_mov_b64 s[28:29], 0
	v_mov_b32_e32 v31, v32
	s_branch .LBB13_9
.LBB13_8:                               ;   in Loop: Header=BB13_9 Depth=1
	s_or_b64 exec, exec, s[30:31]
	v_add_u32_e32 v31, 2, v31
	v_cmp_le_i32_e64 s[6:7], s17, v31
	v_add_u32_e32 v29, 16, v29
	v_add_u32_e32 v30, 64, v30
	s_or_b64 s[28:29], s[6:7], s[28:29]
	v_lshl_add_u64 v[18:19], v[18:19], 0, 8
	s_andn2_b64 exec, exec, s[28:29]
	s_cbranch_execz .LBB13_11
.LBB13_9:                               ; =>This Inner Loop Header: Depth=1
	global_load_dword v33, v[18:19], off
	s_waitcnt vmcnt(0) lgkmcnt(0)
	v_mad_i64_i32 v[34:35], s[6:7], v33, s12, 0
	v_lshl_add_u64 v[34:35], v[34:35], 2, v[16:17]
	global_load_dword v33, v[34:35], off offset:256
	global_load_dword v36, v[34:35], off
	global_load_dword v37, v[34:35], off offset:512
	global_load_dword v38, v[34:35], off offset:768
	;; [unrolled: 1-line block ×12, first 2 shown]
	s_waitcnt vmcnt(13) lgkmcnt(3)
	v_mul_f32_e32 v33, v3, v33
	s_waitcnt vmcnt(12)
	v_fmac_f32_e32 v33, v2, v36
	s_waitcnt vmcnt(11)
	v_fmac_f32_e32 v33, v4, v37
	s_waitcnt vmcnt(10)
	v_fmac_f32_e32 v33, v5, v38
	s_waitcnt vmcnt(9) lgkmcnt(2)
	v_fmac_f32_e32 v33, v6, v39
	s_waitcnt vmcnt(8)
	v_fmac_f32_e32 v33, v7, v40
	s_waitcnt vmcnt(7)
	v_fmac_f32_e32 v33, v8, v41
	s_waitcnt vmcnt(6)
	v_fmac_f32_e32 v33, v9, v42
	s_waitcnt vmcnt(5) lgkmcnt(1)
	v_fmac_f32_e32 v33, v10, v43
	;; [unrolled: 8-line block ×3, first 2 shown]
	s_waitcnt vmcnt(0)
	v_fmac_f32_e32 v33, v15, v48
	ds_bpermute_b32 v34, v26, v33
	s_waitcnt lgkmcnt(0)
	v_add_f32_e32 v33, v33, v34
	ds_bpermute_b32 v34, v27, v33
	s_waitcnt lgkmcnt(0)
	v_add_f32_e32 v33, v33, v34
	ds_bpermute_b32 v34, v28, v33
	s_and_saveexec_b64 s[30:31], vcc
	s_cbranch_execz .LBB13_8
; %bb.10:                               ;   in Loop: Header=BB13_9 Depth=1
	v_add_u32_e32 v35, s15, v29
	v_cvt_f32_i32_e32 v35, v35
	s_waitcnt lgkmcnt(0)
	v_add_f32_e32 v33, v33, v34
	v_cmp_gt_i32_e64 s[6:7], s33, v29
	v_max_f32_e32 v34, v25, v25
	v_mul_f32_e32 v35, s8, v35
	v_cndmask_b32_e64 v35, 0, v35, s[0:1]
	v_fmac_f32_e32 v35, s9, v33
	v_cndmask_b32_e64 v33, 0, v35, s[6:7]
	ds_write_b32 v30, v33
	v_max_f32_e32 v33, v34, v35
	v_cndmask_b32_e64 v25, v25, v33, s[6:7]
	s_branch .LBB13_8
.LBB13_11:
	s_or_b64 exec, exec, s[28:29]
.LBB13_12:
	s_or_b64 exec, exec, s[26:27]
	v_xor_b32_e32 v2, 32, v22
	v_cmp_lt_i32_e32 vcc, v2, v23
	v_xor_b32_e32 v5, 16, v22
	v_max_f32_e32 v4, v25, v25
	v_cndmask_b32_e32 v2, v22, v2, vcc
	v_lshlrev_b32_e32 v3, 2, v2
	ds_bpermute_b32 v2, v3, v25
	v_cmp_lt_i32_e32 vcc, v5, v23
	v_xor_b32_e32 v7, 8, v22
	s_waitcnt lgkmcnt(0)
	v_max_f32_e32 v2, v2, v2
	v_max_f32_e32 v2, v4, v2
	v_cndmask_b32_e32 v4, v22, v5, vcc
	v_lshlrev_b32_e32 v6, 2, v4
	ds_bpermute_b32 v4, v6, v2
	v_cmp_lt_i32_e32 vcc, v7, v23
	s_waitcnt lgkmcnt(0)
	v_max_f32_e32 v4, v4, v4
	v_max_f32_e32 v5, v2, v4
	v_cndmask_b32_e32 v2, v22, v7, vcc
	v_lshlrev_b32_e32 v7, 2, v2
	ds_bpermute_b32 v8, v7, v5
	v_and_b32_e32 v4, 63, v0
	v_cmp_eq_u32_e32 vcc, 0, v4
	v_lshlrev_b32_e32 v2, 2, v32
	s_and_saveexec_b64 s[0:1], vcc
	s_cbranch_execz .LBB13_14
; %bb.13:
	s_waitcnt lgkmcnt(0)
	v_max_f32_e32 v8, v8, v8
	v_max_f32_e32 v5, v5, v5
	;; [unrolled: 1-line block ×3, first 2 shown]
	ds_write_b32 v2, v5 offset:448
.LBB13_14:
	s_or_b64 exec, exec, s[0:1]
	v_cmp_gt_u32_e64 s[0:1], 2, v4
	s_waitcnt lgkmcnt(0)
	v_mov_b32_e32 v8, 0xff7fffff
	v_lshlrev_b32_e32 v5, 2, v4
	s_barrier
	s_and_saveexec_b64 s[6:7], s[0:1]
; %bb.15:
	ds_read_b32 v8, v5 offset:448
; %bb.16:
	s_or_b64 exec, exec, s[6:7]
	v_xor_b32_e32 v9, 1, v22
	v_cmp_lt_i32_e64 s[6:7], v9, v23
	s_nop 1
	v_cndmask_b32_e64 v9, v22, v9, s[6:7]
	v_lshlrev_b32_e32 v33, 2, v9
	s_waitcnt lgkmcnt(0)
	ds_bpermute_b32 v9, v33, v8
	v_max_f32_e32 v8, v8, v8
	s_lshl_b32 s6, s17, 3
	s_min_i32 s12, s6, s33
	v_cmp_gt_i32_e64 s[6:7], s12, v0
	s_waitcnt lgkmcnt(0)
	v_max_f32_e32 v9, v9, v9
	v_max_f32_e32 v8, v8, v9
	v_lshlrev_b32_e32 v9, 2, v24
	ds_bpermute_b32 v9, v9, v8
	v_mov_b32_e32 v8, 0
	s_and_saveexec_b64 s[26:27], s[6:7]
	s_cbranch_execz .LBB13_20
; %bb.17:
	v_mov_b32_e32 v8, 0x1d0
	v_lshl_add_u32 v10, v0, 2, v8
	v_mov_b32_e32 v8, 0
	s_mov_b64 s[28:29], 0
	v_mov_b32_e32 v11, v0
.LBB13_18:                              ; =>This Inner Loop Header: Depth=1
	ds_read_b32 v12, v10
	v_add_u32_e32 v11, 0x80, v11
	v_cmp_le_i32_e64 s[8:9], s12, v11
	s_or_b64 s[28:29], s[8:9], s[28:29]
	s_waitcnt lgkmcnt(0)
	v_sub_f32_e32 v12, v12, v9
	v_mul_f32_e32 v12, 0x3fb8aa3b, v12
	v_exp_f32_e32 v12, v12
	ds_write_b32 v10, v12
	v_add_f32_e32 v8, v8, v12
	v_add_u32_e32 v10, 0x200, v10
	s_andn2_b64 exec, exec, s[28:29]
	s_cbranch_execnz .LBB13_18
; %bb.19:
	s_or_b64 exec, exec, s[28:29]
.LBB13_20:
	s_or_b64 exec, exec, s[26:27]
	ds_bpermute_b32 v3, v3, v8
	s_waitcnt lgkmcnt(0)
	v_add_f32_e32 v3, v8, v3
	ds_bpermute_b32 v6, v6, v3
	s_waitcnt lgkmcnt(0)
	v_add_f32_e32 v3, v3, v6
	ds_bpermute_b32 v6, v7, v3
	v_xor_b32_e32 v7, 4, v22
	v_cmp_lt_i32_e64 s[8:9], v7, v23
	s_waitcnt lgkmcnt(0)
	v_add_f32_e32 v3, v3, v6
	v_cndmask_b32_e64 v7, v22, v7, s[8:9]
	v_lshlrev_b32_e32 v7, 2, v7
	ds_bpermute_b32 v6, v7, v3
	v_xor_b32_e32 v7, 2, v22
	v_cmp_lt_i32_e64 s[8:9], v7, v23
	s_waitcnt lgkmcnt(0)
	v_add_f32_e32 v3, v3, v6
	v_cndmask_b32_e64 v7, v22, v7, s[8:9]
	v_lshlrev_b32_e32 v6, 2, v7
	ds_bpermute_b32 v6, v6, v3
	s_waitcnt lgkmcnt(0)
	v_add_f32_e32 v3, v3, v6
	ds_bpermute_b32 v6, v33, v3
	s_waitcnt lgkmcnt(0)
	v_add_f32_e32 v3, v3, v6
	s_and_saveexec_b64 s[8:9], vcc
; %bb.21:
	ds_write_b32 v2, v3 offset:456
; %bb.22:
	s_or_b64 exec, exec, s[8:9]
	s_waitcnt lgkmcnt(0)
	s_barrier
	s_and_saveexec_b64 s[8:9], s[0:1]
; %bb.23:
	ds_read_b32 v3, v5 offset:456
; %bb.24:
	s_or_b64 exec, exec, s[8:9]
	s_waitcnt lgkmcnt(0)
	ds_bpermute_b32 v2, v33, v3
	v_lshlrev_b32_e32 v5, 2, v22
	s_waitcnt lgkmcnt(0)
	v_add_f32_e32 v2, v3, v2
	v_and_b32_e32 v3, 0xffffff00, v5
	ds_bpermute_b32 v2, v3, v2
	s_and_saveexec_b64 s[0:1], s[6:7]
	s_cbranch_execz .LBB13_37
; %bb.25:
	s_waitcnt lgkmcnt(0)
	v_add_f32_e32 v2, 0x358637bd, v2
	v_div_scale_f32 v3, s[6:7], v2, v2, 1.0
	v_rcp_f32_e32 v5, v3
	v_div_scale_f32 v6, vcc, 1.0, v2, 1.0
	s_movk_i32 s6, 0x7f
	v_fma_f32 v7, -v3, v5, 1.0
	v_fmac_f32_e32 v5, v7, v5
	v_mul_f32_e32 v7, v6, v5
	v_fma_f32 v8, -v3, v7, v6
	v_fmac_f32_e32 v7, v8, v5
	v_fma_f32 v3, -v3, v7, v6
	v_div_fmas_f32 v3, v3, v5, v7
	v_xad_u32 v5, v0, -1, s12
	v_div_fixup_f32 v2, v3, v2, 1.0
	v_cmp_lt_u32_e32 vcc, s6, v5
	s_mov_b64 s[8:9], -1
	v_mov_b32_e32 v3, v0
	s_and_saveexec_b64 s[6:7], vcc
	s_cbranch_execz .LBB13_34
; %bb.26:
	v_lshrrev_b32_e32 v5, 7, v5
	v_add_u32_e32 v7, -1, v5
	v_lshrrev_b32_e32 v6, 1, v7
	v_mov_b32_e32 v3, v2
	v_add_u32_e32 v6, 1, v6
	v_cmp_lt_u32_e32 vcc, 13, v7
	v_mov_b32_e32 v9, 0
	s_and_saveexec_b64 s[8:9], vcc
	s_cbranch_execz .LBB13_30
; %bb.27:
	v_mov_b32_e32 v8, 0x1d0
	v_and_b32_e32 v7, -8, v6
	v_lshl_add_u32 v8, v0, 2, v8
	s_mov_b32 s15, 0
	s_mov_b64 s[26:27], 0
.LBB13_28:                              ; =>This Inner Loop Header: Depth=1
	ds_read2st64_b32 v[10:11], v8 offset1:2
	ds_read2st64_b32 v[12:13], v8 offset0:4 offset1:6
	ds_read2st64_b32 v[14:15], v8 offset0:8 offset1:10
	;; [unrolled: 1-line block ×3, first 2 shown]
	v_add_u32_e32 v7, -8, v7
	s_waitcnt lgkmcnt(3)
	v_pk_mul_f32 v[10:11], v[2:3], v[10:11]
	s_waitcnt lgkmcnt(2)
	v_pk_mul_f32 v[12:13], v[2:3], v[12:13]
	ds_write2st64_b32 v8, v10, v11 offset1:2
	ds_write2st64_b32 v8, v12, v13 offset0:4 offset1:6
	ds_read2st64_b32 v[12:13], v8 offset0:16 offset1:18
	s_waitcnt lgkmcnt(4)
	v_pk_mul_f32 v[10:11], v[2:3], v[14:15]
	ds_write2st64_b32 v8, v10, v11 offset0:8 offset1:10
	s_waitcnt lgkmcnt(4)
	v_pk_mul_f32 v[10:11], v[2:3], v[16:17]
	ds_write2st64_b32 v8, v10, v11 offset0:12 offset1:14
	ds_read2st64_b32 v[10:11], v8 offset0:20 offset1:22
	s_waitcnt lgkmcnt(3)
	v_pk_mul_f32 v[12:13], v[2:3], v[12:13]
	ds_read2st64_b32 v[14:15], v8 offset0:24 offset1:26
	ds_write2st64_b32 v8, v12, v13 offset0:16 offset1:18
	ds_read2st64_b32 v[12:13], v8 offset0:28 offset1:30
	s_waitcnt lgkmcnt(3)
	v_pk_mul_f32 v[10:11], v[2:3], v[10:11]
	ds_write2st64_b32 v8, v10, v11 offset0:20 offset1:22
	s_waitcnt lgkmcnt(3)
	v_pk_mul_f32 v[10:11], v[2:3], v[14:15]
	ds_write2st64_b32 v8, v10, v11 offset0:24 offset1:26
	s_waitcnt lgkmcnt(2)
	v_pk_mul_f32 v[10:11], v[2:3], v[12:13]
	s_add_i32 s15, s15, 16
	v_cmp_eq_u32_e32 vcc, 0, v7
	ds_write2st64_b32 v8, v10, v11 offset0:28 offset1:30
	v_add_u32_e32 v8, 0x2000, v8
	s_or_b64 s[26:27], vcc, s[26:27]
	v_mov_b32_e32 v9, s15
	s_andn2_b64 exec, exec, s[26:27]
	s_cbranch_execnz .LBB13_28
; %bb.29:
	s_or_b64 exec, exec, s[26:27]
.LBB13_30:
	s_or_b64 exec, exec, s[8:9]
	v_and_b32_e32 v6, 7, v6
	v_cmp_ne_u32_e32 vcc, 0, v6
	s_and_saveexec_b64 s[8:9], vcc
	s_cbranch_execz .LBB13_33
; %bb.31:
	v_lshlrev_b32_e32 v7, 9, v9
	s_movk_i32 s15, 0x1d0
	v_add3_u32 v7, v7, v20, s15
	s_mov_b64 s[26:27], 0
.LBB13_32:                              ; =>This Inner Loop Header: Depth=1
	ds_read2st64_b32 v[8:9], v7 offset1:2
	v_add_u32_e32 v6, -1, v6
	v_cmp_eq_u32_e32 vcc, 0, v6
	s_or_b64 s[26:27], vcc, s[26:27]
	s_waitcnt lgkmcnt(0)
	v_pk_mul_f32 v[8:9], v[2:3], v[8:9]
	ds_write2st64_b32 v7, v8, v9 offset1:2
	v_add_u32_e32 v7, 0x400, v7
	s_andn2_b64 exec, exec, s[26:27]
	s_cbranch_execnz .LBB13_32
.LBB13_33:
	s_or_b64 exec, exec, s[8:9]
	v_add_u32_e32 v5, 1, v5
	v_and_b32_e32 v6, 0x3fffffe, v5
	v_cmp_ne_u32_e32 vcc, v5, v6
	v_lshl_add_u32 v3, v6, 7, v0
	s_orn2_b64 s[8:9], vcc, exec
.LBB13_34:
	s_or_b64 exec, exec, s[6:7]
	s_and_b64 exec, exec, s[8:9]
	s_cbranch_execz .LBB13_37
; %bb.35:
	v_mov_b32_e32 v5, 0x1d0
	v_lshl_add_u32 v5, v3, 2, v5
	s_mov_b64 s[6:7], 0
.LBB13_36:                              ; =>This Inner Loop Header: Depth=1
	ds_read_b32 v6, v5
	v_add_u32_e32 v3, 0x80, v3
	v_cmp_le_i32_e32 vcc, s12, v3
	s_or_b64 s[6:7], vcc, s[6:7]
	s_waitcnt lgkmcnt(0)
	v_mul_f32_e32 v6, v2, v6
	ds_write_b32 v5, v6
	v_add_u32_e32 v5, 0x200, v5
	s_andn2_b64 exec, exec, s[6:7]
	s_cbranch_execnz .LBB13_36
.LBB13_37:
	s_or_b64 exec, exec, s[0:1]
	v_lshrrev_b32_e32 v34, 1, v4
	s_waitcnt lgkmcnt(0)
	s_barrier
	s_and_saveexec_b64 s[0:1], s[2:3]
	s_xor_b64 s[0:1], exec, s[0:1]
; %bb.38:
	v_lshrrev_b32_e32 v34, 1, v4
                                        ; implicit-def: $vgpr32
                                        ; implicit-def: $vgpr20
                                        ; implicit-def: $vgpr21
; %bb.39:
	s_or_saveexec_b64 s[6:7], s[0:1]
	v_mov_b32_e32 v23, 0
	v_and_b32_e32 v35, 1, v0
	v_mov_b32_e32 v22, 0
	v_mov_b32_e32 v25, 0
	v_mov_b32_e32 v24, 0
	s_xor_b64 exec, exec, s[6:7]
	s_cbranch_execz .LBB13_53
; %bb.40:
	s_ashr_i32 s15, s14, 31
	s_lshl_b64 s[0:1], s[14:15], 2
	s_add_u32 s8, s24, s0
	v_or_b32_e32 v4, 0x60, v34
	s_movk_i32 s0, 0x70
	v_and_b32_e32 v3, 4, v20
	s_addc_u32 s9, s25, s1
	s_add_i32 s24, s17, -1
	v_cmp_gt_u32_e32 vcc, s0, v4
	s_lshl_b64 s[0:1], s[22:23], 2
	v_lshl_or_b32 v2, v34, 3, v3
	v_lshl_or_b32 v4, v4, 3, v3
	;; [unrolled: 1-line block ×3, first 2 shown]
	v_lshlrev_b32_e32 v3, 4, v35
	s_add_u32 s0, s20, s0
	v_mov_b32_e32 v27, 0
	v_lshl_or_b32 v3, v32, 5, v3
	v_and_b32_e32 v26, 60, v21
	s_addc_u32 s1, s21, s1
	s_mov_b32 s26, s13
	s_mov_b32 s25, s33
	v_add_u32_e32 v37, 0x1d0, v3
	v_lshl_add_u64 v[28:29], s[0:1], 0, v[26:27]
	s_mov_b64 s[12:13], 0
	v_lshlrev_b32_e32 v30, 2, v2
	v_mov_b32_e32 v31, v27
	v_lshlrev_b32_e32 v26, 2, v4
	v_mov_b32_e32 v23, v27
	v_mov_b32_e32 v22, v27
	;; [unrolled: 1-line block ×4, first 2 shown]
	s_branch .LBB13_43
.LBB13_41:                              ;   in Loop: Header=BB13_43 Depth=1
	s_or_b64 exec, exec, s[14:15]
	s_waitcnt vmcnt(0) lgkmcnt(0)
	v_pk_mul_f32 v[18:19], v[6:7], v[18:19]
	v_pk_mul_f32 v[20:21], v[8:9], v[20:21]
	v_add_f32_e32 v18, v19, v18
	v_add_f32_e32 v18, v20, v18
	;; [unrolled: 1-line block ×4, first 2 shown]
.LBB13_42:                              ;   in Loop: Header=BB13_43 Depth=1
	s_or_b64 exec, exec, s[2:3]
	s_waitcnt vmcnt(0) lgkmcnt(0)
	v_mul_f32_e32 v14, v6, v14
	v_mul_f32_e32 v10, v6, v10
	;; [unrolled: 1-line block ×3, first 2 shown]
	v_fmac_f32_e32 v14, v7, v15
	v_fmac_f32_e32 v10, v7, v11
	v_fmac_f32_e32 v2, v7, v3
	v_fmac_f32_e32 v14, v8, v16
	v_fmac_f32_e32 v10, v8, v12
	v_fmac_f32_e32 v2, v8, v4
	v_add_u32_e32 v32, 2, v32
	v_fmac_f32_e32 v14, v9, v17
	v_fmac_f32_e32 v10, v9, v13
	v_fmac_f32_e32 v2, v9, v5
	v_cmp_le_i32_e64 s[0:1], s17, v32
	v_add_f32_e32 v22, v22, v14
	v_add_f32_e32 v25, v25, v10
	;; [unrolled: 1-line block ×3, first 2 shown]
	v_add_u32_e32 v36, 16, v36
	v_add_u32_e32 v37, 64, v37
	s_or_b64 s[12:13], s[0:1], s[12:13]
	v_lshl_add_u64 v[28:29], v[28:29], 0, 8
	s_andn2_b64 exec, exec, s[12:13]
	s_cbranch_execz .LBB13_52
.LBB13_43:                              ; =>This Inner Loop Header: Depth=1
	global_load_dword v2, v[28:29], off
	ds_read_b128 v[6:9], v37
	s_waitcnt vmcnt(0)
	v_mad_i64_i32 v[2:3], s[0:1], v2, s26, 0
	v_lshl_add_u64 v[18:19], v[2:3], 2, s[8:9]
	v_lshl_add_u64 v[14:15], v[18:19], 0, v[30:31]
	global_load_dwordx4 v[2:5], v[14:15], off
	v_cmp_eq_u32_e64 s[0:1], s24, v32
	s_and_saveexec_b64 s[14:15], s[0:1]
	s_cbranch_execnz .LBB13_47
; %bb.44:                               ;   in Loop: Header=BB13_43 Depth=1
	s_or_b64 exec, exec, s[14:15]
	global_load_dwordx4 v[10:13], v[14:15], off offset:1024
	s_and_saveexec_b64 s[14:15], s[0:1]
	s_cbranch_execnz .LBB13_48
.LBB13_45:                              ;   in Loop: Header=BB13_43 Depth=1
	s_or_b64 exec, exec, s[14:15]
	global_load_dwordx4 v[14:17], v[14:15], off offset:2048
	s_and_saveexec_b64 s[14:15], s[0:1]
	s_cbranch_execnz .LBB13_49
.LBB13_46:                              ;   in Loop: Header=BB13_43 Depth=1
	s_or_b64 exec, exec, s[14:15]
	s_and_saveexec_b64 s[2:3], vcc
	s_cbranch_execz .LBB13_42
	s_branch .LBB13_50
.LBB13_47:                              ;   in Loop: Header=BB13_43 Depth=1
	v_add_u32_e32 v10, 1, v36
	v_cmp_gt_i32_e64 s[2:3], s25, v10
	v_or_b32_e32 v10, 3, v36
	v_or_b32_e32 v11, 2, v36
	s_waitcnt vmcnt(0)
	v_cndmask_b32_e64 v3, 0, v3, s[2:3]
	v_cmp_gt_i32_e64 s[2:3], s33, v36
	s_nop 1
	v_cndmask_b32_e64 v2, 0, v2, s[2:3]
	v_cmp_gt_i32_e64 s[2:3], s25, v10
	s_nop 1
	;; [unrolled: 3-line block ×3, first 2 shown]
	v_cndmask_b32_e64 v4, 0, v4, s[2:3]
	s_or_b64 exec, exec, s[14:15]
	global_load_dwordx4 v[10:13], v[14:15], off offset:1024
	s_and_saveexec_b64 s[14:15], s[0:1]
	s_cbranch_execz .LBB13_45
.LBB13_48:                              ;   in Loop: Header=BB13_43 Depth=1
	v_add_u32_e32 v16, 1, v36
	v_cmp_gt_i32_e64 s[2:3], s25, v16
	v_or_b32_e32 v16, 3, v36
	v_or_b32_e32 v17, 2, v36
	s_waitcnt vmcnt(0)
	v_cndmask_b32_e64 v11, 0, v11, s[2:3]
	v_cmp_gt_i32_e64 s[2:3], s33, v36
	s_nop 1
	v_cndmask_b32_e64 v10, 0, v10, s[2:3]
	v_cmp_gt_i32_e64 s[2:3], s25, v16
	s_nop 1
	;; [unrolled: 3-line block ×3, first 2 shown]
	v_cndmask_b32_e64 v12, 0, v12, s[2:3]
	s_or_b64 exec, exec, s[14:15]
	global_load_dwordx4 v[14:17], v[14:15], off offset:2048
	s_and_saveexec_b64 s[14:15], s[0:1]
	s_cbranch_execz .LBB13_46
.LBB13_49:                              ;   in Loop: Header=BB13_43 Depth=1
	v_add_u32_e32 v20, 1, v36
	v_cmp_gt_i32_e64 s[2:3], s25, v20
	v_or_b32_e32 v20, 3, v36
	v_or_b32_e32 v21, 2, v36
	s_waitcnt vmcnt(0)
	v_cndmask_b32_e64 v15, 0, v15, s[2:3]
	v_cmp_gt_i32_e64 s[2:3], s33, v36
	s_nop 1
	v_cndmask_b32_e64 v14, 0, v14, s[2:3]
	v_cmp_gt_i32_e64 s[2:3], s25, v20
	s_nop 1
	;; [unrolled: 3-line block ×3, first 2 shown]
	v_cndmask_b32_e64 v16, 0, v16, s[2:3]
	s_or_b64 exec, exec, s[14:15]
	s_and_saveexec_b64 s[2:3], vcc
	s_cbranch_execz .LBB13_42
.LBB13_50:                              ;   in Loop: Header=BB13_43 Depth=1
	v_lshl_add_u64 v[18:19], v[18:19], 0, v[26:27]
	global_load_dwordx4 v[18:21], v[18:19], off
	s_and_saveexec_b64 s[14:15], s[0:1]
	s_cbranch_execz .LBB13_41
; %bb.51:                               ;   in Loop: Header=BB13_43 Depth=1
	v_add_u32_e32 v38, 1, v36
	v_cmp_gt_i32_e64 s[0:1], s25, v38
	v_or_b32_e32 v38, 3, v36
	v_or_b32_e32 v39, 2, v36
	s_waitcnt vmcnt(0)
	v_cndmask_b32_e64 v19, 0, v19, s[0:1]
	v_cmp_gt_i32_e64 s[0:1], s33, v36
	s_nop 1
	v_cndmask_b32_e64 v18, 0, v18, s[0:1]
	v_cmp_gt_i32_e64 s[0:1], s25, v38
	s_nop 1
	v_cndmask_b32_e64 v21, 0, v21, s[0:1]
	v_cmp_gt_i32_e64 s[0:1], s33, v39
	s_nop 1
	v_cndmask_b32_e64 v20, 0, v20, s[0:1]
	s_branch .LBB13_41
.LBB13_52:
	s_or_b64 exec, exec, s[12:13]
.LBB13_53:
	s_or_b64 exec, exec, s[6:7]
	ds_bpermute_b32 v2, v33, v24
	ds_bpermute_b32 v3, v33, v25
	;; [unrolled: 1-line block ×4, first 2 shown]
	v_cmp_eq_u32_e32 vcc, 0, v35
	s_waitcnt lgkmcnt(0)
	v_pk_add_f32 v[4:5], v[24:25], v[2:3]
	s_barrier
	v_pk_add_f32 v[2:3], v[22:23], v[6:7]
	v_and_b32_e32 v6, 0x3c0, v0
	v_cmp_eq_u32_e64 s[0:1], 64, v6
	s_and_saveexec_b64 s[2:3], s[0:1]
	s_cbranch_execz .LBB13_58
; %bb.54:
	s_and_saveexec_b64 s[0:1], vcc
	s_cbranch_execz .LBB13_56
; %bb.55:
	v_mov_b32_e32 v6, 0x1d0
	v_lshl_add_u32 v6, v34, 2, v6
	ds_write2_b32 v6, v4, v5 offset1:32
	ds_write_b32 v6, v2 offset:256
.LBB13_56:
	s_or_b64 exec, exec, s[0:1]
	v_or_b32_e32 v6, 0x60, v34
	s_movk_i32 s0, 0x70
	v_cmp_gt_u32_e64 s[0:1], s0, v6
	s_and_b64 s[0:1], vcc, s[0:1]
	s_and_b64 exec, exec, s[0:1]
; %bb.57:
	v_mov_b32_e32 v6, 0x1d0
	v_lshl_add_u32 v6, v34, 2, v6
	ds_write_b32 v6, v3 offset:384
.LBB13_58:
	s_or_b64 exec, exec, s[2:3]
	v_cmp_gt_u32_e64 s[0:1], 64, v0
	s_waitcnt lgkmcnt(0)
	s_barrier
	s_and_saveexec_b64 s[6:7], s[0:1]
	s_cbranch_execz .LBB13_68
; %bb.59:
	s_and_saveexec_b64 s[2:3], vcc
	s_cbranch_execz .LBB13_61
; %bb.60:
	v_mov_b32_e32 v0, 0x1d0
	v_lshl_add_u32 v0, v1, 2, v0
	ds_read_b32 v0, v0
	s_waitcnt lgkmcnt(0)
	v_add_f32_e32 v4, v4, v0
.LBB13_61:
	s_or_b64 exec, exec, s[2:3]
	v_or_b32_e32 v0, 32, v1
	s_movk_i32 s8, 0x70
	v_cmp_gt_u32_e64 s[2:3], s8, v0
	s_and_b64 s[12:13], vcc, s[2:3]
	s_and_saveexec_b64 s[2:3], s[12:13]
	s_cbranch_execz .LBB13_63
; %bb.62:
	v_mov_b32_e32 v0, 0x1d0
	v_lshl_add_u32 v0, v1, 2, v0
	ds_read_b32 v0, v0 offset:128
	s_waitcnt lgkmcnt(0)
	v_add_f32_e32 v5, v5, v0
.LBB13_63:
	s_or_b64 exec, exec, s[2:3]
	v_or_b32_e32 v0, 64, v1
	v_cmp_gt_u32_e64 s[2:3], s8, v0
	s_and_b64 s[8:9], vcc, s[2:3]
	s_and_saveexec_b64 s[2:3], s[8:9]
	s_cbranch_execz .LBB13_65
; %bb.64:
	v_mov_b32_e32 v0, 0x1d0
	v_lshl_add_u32 v0, v1, 2, v0
	ds_read_b32 v0, v0 offset:256
	s_waitcnt lgkmcnt(0)
	v_add_f32_e32 v2, v2, v0
.LBB13_65:
	s_or_b64 exec, exec, s[2:3]
	v_or_b32_e32 v0, 0x60, v1
	s_movk_i32 s2, 0x70
	v_cmp_gt_u32_e64 s[2:3], s2, v0
	s_and_b64 s[8:9], vcc, s[2:3]
	s_and_saveexec_b64 s[2:3], s[8:9]
	s_cbranch_execz .LBB13_67
; %bb.66:
	v_mov_b32_e32 v0, 0x1d0
	v_lshl_add_u32 v0, v1, 2, v0
	ds_read_b32 v0, v0 offset:384
	s_waitcnt lgkmcnt(0)
	v_add_f32_e32 v3, v3, v0
.LBB13_67:
	s_or_b64 exec, exec, s[2:3]
.LBB13_68:
	s_or_b64 exec, exec, s[6:7]
	s_barrier
	s_and_saveexec_b64 s[2:3], s[0:1]
	s_cbranch_execz .LBB13_77
; %bb.69:
	s_mul_i32 s0, s10, s11
	s_mul_i32 s0, s0, s5
	s_mulk_i32 s0, 0x70
	s_ashr_i32 s1, s0, 31
	s_lshl_b64 s[0:1], s[0:1], 2
	s_add_u32 s2, s18, s0
	s_mul_i32 s0, s11, s16
	s_addc_u32 s3, s19, s1
	s_ashr_i32 s1, s0, 31
	s_lshl_b64 s[0:1], s[0:1], 2
	s_add_u32 s2, s2, s0
	s_mul_i32 s0, s4, 0x70
	s_addc_u32 s3, s3, s1
	s_ashr_i32 s1, s0, 31
	s_lshl_b64 s[0:1], s[0:1], 2
	s_add_u32 s2, s2, s0
	s_movk_i32 s5, 0x70
	s_addc_u32 s3, s3, s1
	v_lshlrev_b32_e32 v0, 2, v1
	s_and_saveexec_b64 s[0:1], vcc
	s_cbranch_execz .LBB13_71
; %bb.70:
	global_store_dword v0, v4, s[2:3]
.LBB13_71:
	s_or_b64 exec, exec, s[0:1]
	v_or_b32_e32 v4, 32, v1
	v_cmp_gt_u32_e64 s[0:1], s5, v4
	s_and_b64 s[4:5], vcc, s[0:1]
	s_and_saveexec_b64 s[0:1], s[4:5]
	s_cbranch_execz .LBB13_73
; %bb.72:
	global_store_dword v0, v5, s[2:3] offset:128
.LBB13_73:
	s_or_b64 exec, exec, s[0:1]
	v_or_b32_e32 v4, 64, v1
	s_movk_i32 s4, 0x70
	v_cmp_gt_u32_e64 s[0:1], s4, v4
	s_and_b64 s[6:7], vcc, s[0:1]
	s_and_saveexec_b64 s[0:1], s[6:7]
	s_cbranch_execz .LBB13_75
; %bb.74:
	global_store_dword v0, v2, s[2:3] offset:256
.LBB13_75:
	s_or_b64 exec, exec, s[0:1]
	v_or_b32_e32 v1, 0x60, v1
	v_cmp_gt_u32_e64 s[0:1], s4, v1
	s_and_b64 s[0:1], vcc, s[0:1]
	s_and_b64 exec, exec, s[0:1]
	s_cbranch_execz .LBB13_77
; %bb.76:
	global_store_dword v0, v3, s[2:3] offset:384
.LBB13_77:
	s_endpgm
	.section	.rodata,"a",@progbits
	.p2align	6, 0x0
	.amdhsa_kernel _ZN4vllm25paged_attention_v1_kernelIffLi112ELi8ELi128ELNS_18Fp8KVCacheDataTypeE0ELb0EEEvPT_PKS2_PKT0_S8_ifPKiSA_iPKfiiiSC_SC_iiiii
		.amdhsa_group_segment_fixed_size 464
		.amdhsa_private_segment_fixed_size 0
		.amdhsa_kernarg_size 384
		.amdhsa_user_sgpr_count 2
		.amdhsa_user_sgpr_dispatch_ptr 0
		.amdhsa_user_sgpr_queue_ptr 0
		.amdhsa_user_sgpr_kernarg_segment_ptr 1
		.amdhsa_user_sgpr_dispatch_id 0
		.amdhsa_user_sgpr_kernarg_preload_length 0
		.amdhsa_user_sgpr_kernarg_preload_offset 0
		.amdhsa_user_sgpr_private_segment_size 0
		.amdhsa_uses_dynamic_stack 0
		.amdhsa_enable_private_segment 0
		.amdhsa_system_sgpr_workgroup_id_x 1
		.amdhsa_system_sgpr_workgroup_id_y 1
		.amdhsa_system_sgpr_workgroup_id_z 1
		.amdhsa_system_sgpr_workgroup_info 0
		.amdhsa_system_vgpr_workitem_id 0
		.amdhsa_next_free_vgpr 49
		.amdhsa_next_free_sgpr 34
		.amdhsa_accum_offset 52
		.amdhsa_reserve_vcc 1
		.amdhsa_float_round_mode_32 0
		.amdhsa_float_round_mode_16_64 0
		.amdhsa_float_denorm_mode_32 3
		.amdhsa_float_denorm_mode_16_64 3
		.amdhsa_dx10_clamp 1
		.amdhsa_ieee_mode 1
		.amdhsa_fp16_overflow 0
		.amdhsa_tg_split 0
		.amdhsa_exception_fp_ieee_invalid_op 0
		.amdhsa_exception_fp_denorm_src 0
		.amdhsa_exception_fp_ieee_div_zero 0
		.amdhsa_exception_fp_ieee_overflow 0
		.amdhsa_exception_fp_ieee_underflow 0
		.amdhsa_exception_fp_ieee_inexact 0
		.amdhsa_exception_int_div_zero 0
	.end_amdhsa_kernel
	.section	.text._ZN4vllm25paged_attention_v1_kernelIffLi112ELi8ELi128ELNS_18Fp8KVCacheDataTypeE0ELb0EEEvPT_PKS2_PKT0_S8_ifPKiSA_iPKfiiiSC_SC_iiiii,"axG",@progbits,_ZN4vllm25paged_attention_v1_kernelIffLi112ELi8ELi128ELNS_18Fp8KVCacheDataTypeE0ELb0EEEvPT_PKS2_PKT0_S8_ifPKiSA_iPKfiiiSC_SC_iiiii,comdat
.Lfunc_end13:
	.size	_ZN4vllm25paged_attention_v1_kernelIffLi112ELi8ELi128ELNS_18Fp8KVCacheDataTypeE0ELb0EEEvPT_PKS2_PKT0_S8_ifPKiSA_iPKfiiiSC_SC_iiiii, .Lfunc_end13-_ZN4vllm25paged_attention_v1_kernelIffLi112ELi8ELi128ELNS_18Fp8KVCacheDataTypeE0ELb0EEEvPT_PKS2_PKT0_S8_ifPKiSA_iPKfiiiSC_SC_iiiii
                                        ; -- End function
	.set _ZN4vllm25paged_attention_v1_kernelIffLi112ELi8ELi128ELNS_18Fp8KVCacheDataTypeE0ELb0EEEvPT_PKS2_PKT0_S8_ifPKiSA_iPKfiiiSC_SC_iiiii.num_vgpr, 49
	.set _ZN4vllm25paged_attention_v1_kernelIffLi112ELi8ELi128ELNS_18Fp8KVCacheDataTypeE0ELb0EEEvPT_PKS2_PKT0_S8_ifPKiSA_iPKfiiiSC_SC_iiiii.num_agpr, 0
	.set _ZN4vllm25paged_attention_v1_kernelIffLi112ELi8ELi128ELNS_18Fp8KVCacheDataTypeE0ELb0EEEvPT_PKS2_PKT0_S8_ifPKiSA_iPKfiiiSC_SC_iiiii.numbered_sgpr, 34
	.set _ZN4vllm25paged_attention_v1_kernelIffLi112ELi8ELi128ELNS_18Fp8KVCacheDataTypeE0ELb0EEEvPT_PKS2_PKT0_S8_ifPKiSA_iPKfiiiSC_SC_iiiii.num_named_barrier, 0
	.set _ZN4vllm25paged_attention_v1_kernelIffLi112ELi8ELi128ELNS_18Fp8KVCacheDataTypeE0ELb0EEEvPT_PKS2_PKT0_S8_ifPKiSA_iPKfiiiSC_SC_iiiii.private_seg_size, 0
	.set _ZN4vllm25paged_attention_v1_kernelIffLi112ELi8ELi128ELNS_18Fp8KVCacheDataTypeE0ELb0EEEvPT_PKS2_PKT0_S8_ifPKiSA_iPKfiiiSC_SC_iiiii.uses_vcc, 1
	.set _ZN4vllm25paged_attention_v1_kernelIffLi112ELi8ELi128ELNS_18Fp8KVCacheDataTypeE0ELb0EEEvPT_PKS2_PKT0_S8_ifPKiSA_iPKfiiiSC_SC_iiiii.uses_flat_scratch, 0
	.set _ZN4vllm25paged_attention_v1_kernelIffLi112ELi8ELi128ELNS_18Fp8KVCacheDataTypeE0ELb0EEEvPT_PKS2_PKT0_S8_ifPKiSA_iPKfiiiSC_SC_iiiii.has_dyn_sized_stack, 0
	.set _ZN4vllm25paged_attention_v1_kernelIffLi112ELi8ELi128ELNS_18Fp8KVCacheDataTypeE0ELb0EEEvPT_PKS2_PKT0_S8_ifPKiSA_iPKfiiiSC_SC_iiiii.has_recursion, 0
	.set _ZN4vllm25paged_attention_v1_kernelIffLi112ELi8ELi128ELNS_18Fp8KVCacheDataTypeE0ELb0EEEvPT_PKS2_PKT0_S8_ifPKiSA_iPKfiiiSC_SC_iiiii.has_indirect_call, 0
	.section	.AMDGPU.csdata,"",@progbits
; Kernel info:
; codeLenInByte = 4236
; TotalNumSgprs: 40
; NumVgprs: 49
; NumAgprs: 0
; TotalNumVgprs: 49
; ScratchSize: 0
; MemoryBound: 0
; FloatMode: 240
; IeeeMode: 1
; LDSByteSize: 464 bytes/workgroup (compile time only)
; SGPRBlocks: 4
; VGPRBlocks: 6
; NumSGPRsForWavesPerEU: 40
; NumVGPRsForWavesPerEU: 49
; AccumOffset: 52
; Occupancy: 8
; WaveLimiterHint : 1
; COMPUTE_PGM_RSRC2:SCRATCH_EN: 0
; COMPUTE_PGM_RSRC2:USER_SGPR: 2
; COMPUTE_PGM_RSRC2:TRAP_HANDLER: 0
; COMPUTE_PGM_RSRC2:TGID_X_EN: 1
; COMPUTE_PGM_RSRC2:TGID_Y_EN: 1
; COMPUTE_PGM_RSRC2:TGID_Z_EN: 1
; COMPUTE_PGM_RSRC2:TIDIG_COMP_CNT: 0
; COMPUTE_PGM_RSRC3_GFX90A:ACCUM_OFFSET: 12
; COMPUTE_PGM_RSRC3_GFX90A:TG_SPLIT: 0
	.section	.text._ZN4vllm25paged_attention_v1_kernelIffLi120ELi8ELi128ELNS_18Fp8KVCacheDataTypeE0ELb0EEEvPT_PKS2_PKT0_S8_ifPKiSA_iPKfiiiSC_SC_iiiii,"axG",@progbits,_ZN4vllm25paged_attention_v1_kernelIffLi120ELi8ELi128ELNS_18Fp8KVCacheDataTypeE0ELb0EEEvPT_PKS2_PKT0_S8_ifPKiSA_iPKfiiiSC_SC_iiiii,comdat
	.protected	_ZN4vllm25paged_attention_v1_kernelIffLi120ELi8ELi128ELNS_18Fp8KVCacheDataTypeE0ELb0EEEvPT_PKS2_PKT0_S8_ifPKiSA_iPKfiiiSC_SC_iiiii ; -- Begin function _ZN4vllm25paged_attention_v1_kernelIffLi120ELi8ELi128ELNS_18Fp8KVCacheDataTypeE0ELb0EEEvPT_PKS2_PKT0_S8_ifPKiSA_iPKfiiiSC_SC_iiiii
	.globl	_ZN4vllm25paged_attention_v1_kernelIffLi120ELi8ELi128ELNS_18Fp8KVCacheDataTypeE0ELb0EEEvPT_PKS2_PKT0_S8_ifPKiSA_iPKfiiiSC_SC_iiiii
	.p2align	8
	.type	_ZN4vllm25paged_attention_v1_kernelIffLi120ELi8ELi128ELNS_18Fp8KVCacheDataTypeE0ELb0EEEvPT_PKS2_PKT0_S8_ifPKiSA_iPKfiiiSC_SC_iiiii,@function
_ZN4vllm25paged_attention_v1_kernelIffLi120ELi8ELi128ELNS_18Fp8KVCacheDataTypeE0ELb0EEEvPT_PKS2_PKT0_S8_ifPKiSA_iPKfiiiSC_SC_iiiii: ; @_ZN4vllm25paged_attention_v1_kernelIffLi120ELi8ELi128ELNS_18Fp8KVCacheDataTypeE0ELb0EEEvPT_PKS2_PKT0_S8_ifPKiSA_iPKfiiiSC_SC_iiiii
; %bb.0:
	s_load_dword s5, s[0:1], 0x80
	s_load_dwordx2 s[6:7], s[0:1], 0x30
	s_load_dwordx2 s[8:9], s[0:1], 0x20
	s_mov_b32 s10, s3
	s_ashr_i32 s11, s3, 31
	s_lshl_b64 s[12:13], s[10:11], 2
	s_waitcnt lgkmcnt(0)
	s_add_u32 s6, s6, s12
	s_addc_u32 s7, s7, s13
	s_abs_i32 s3, s8
	v_cvt_f32_u32_e32 v1, s3
	s_sub_i32 s12, 0, s3
	s_abs_i32 s11, s5
	s_xor_b32 s8, s5, s8
	v_rcp_iflag_f32_e32 v1, v1
	s_ashr_i32 s8, s8, 31
	v_mul_f32_e32 v1, 0x4f7ffffe, v1
	v_cvt_u32_f32_e32 v1, v1
	s_nop 0
	v_readfirstlane_b32 s13, v1
	s_mul_i32 s12, s12, s13
	s_mul_hi_u32 s12, s13, s12
	s_add_i32 s13, s13, s12
	s_mul_hi_u32 s12, s11, s13
	s_mul_i32 s13, s12, s3
	s_sub_i32 s11, s11, s13
	s_add_i32 s13, s12, 1
	s_sub_i32 s14, s11, s3
	s_cmp_ge_u32 s11, s3
	s_cselect_b32 s12, s13, s12
	s_cselect_b32 s11, s14, s11
	s_add_i32 s13, s12, 1
	s_cmp_ge_u32 s11, s3
	s_cselect_b32 s3, s13, s12
	s_xor_b32 s3, s3, s8
	s_sub_i32 s14, s3, s8
	s_abs_i32 s11, s14
	v_cvt_f32_u32_e32 v1, s11
	s_load_dwordx2 s[12:13], s[0:1], 0x40
	s_sub_i32 s3, 0, s11
	s_abs_i32 s18, s2
	v_rcp_iflag_f32_e32 v1, v1
	s_mov_b32 s8, 0
	v_mul_f32_e32 v1, 0x4f7ffffe, v1
	v_cvt_u32_f32_e32 v1, v1
	s_nop 0
	v_readfirstlane_b32 s15, v1
	s_mul_i32 s3, s3, s15
	s_mul_hi_u32 s3, s15, s3
	s_add_i32 s15, s15, s3
	s_waitcnt lgkmcnt(0)
	s_cmp_eq_u64 s[12:13], 0
	s_mul_hi_u32 s19, s18, s15
	s_cbranch_scc1 .LBB14_2
; %bb.1:
	s_ashr_i32 s3, s2, 31
	s_lshl_b64 s[16:17], s[2:3], 2
	s_add_u32 s12, s12, s16
	s_addc_u32 s13, s13, s17
	s_load_dword s8, s[12:13], 0x0
.LBB14_2:
	s_load_dword s33, s[6:7], 0x0
	s_ashr_i32 s7, s14, 31
	s_load_dwordx4 s[12:15], s[0:1], 0x48
	s_movk_i32 s3, 0x78
	s_ashr_i32 s6, s2, 31
	v_and_b32_e32 v16, 7, v0
	s_mul_i32 s16, s2, 0x78
	v_cmp_gt_u32_e32 vcc, s3, v0
	v_lshlrev_b32_e32 v20, 2, v0
	v_lshrrev_b32_e32 v1, 1, v0
	s_and_saveexec_b64 s[2:3], vcc
	s_cbranch_execz .LBB14_4
; %bb.3:
	s_load_dwordx2 s[20:21], s[0:1], 0x8
	s_waitcnt lgkmcnt(0)
	s_mul_i32 s22, s12, s10
	s_ashr_i32 s23, s22, 31
	s_lshl_b64 s[22:23], s[22:23], 2
	v_and_b32_e32 v3, 0x1fc, v1
	s_add_u32 s12, s20, s22
	s_addc_u32 s15, s21, s23
	s_ashr_i32 s17, s16, 31
	s_lshl_b64 s[20:21], s[16:17], 2
	s_add_u32 s20, s12, s20
	s_addc_u32 s21, s15, s21
	global_load_dword v2, v20, s[20:21]
	v_mad_u32_u24 v3, v16, 60, v3
	s_waitcnt vmcnt(0)
	ds_write_b32 v3, v2
.LBB14_4:
	s_or_b64 exec, exec, s[2:3]
	s_waitcnt lgkmcnt(0)
	s_add_i32 s3, s33, 7
	s_ashr_i32 s12, s3, 31
	s_lshr_b32 s12, s12, 29
	s_add_i32 s3, s3, s12
	s_ashr_i32 s17, s3, 3
	s_xor_b32 s3, s6, s7
	s_mul_i32 s6, s19, s11
	s_sub_i32 s6, s18, s6
	s_add_i32 s7, s19, 1
	s_sub_i32 s12, s6, s11
	s_load_dwordx2 s[20:21], s[0:1], 0x28
	s_load_dword s2, s[0:1], 0x38
	s_cmp_ge_u32 s6, s11
	s_cselect_b32 s7, s7, s19
	s_cselect_b32 s6, s12, s6
	s_add_i32 s12, s7, 1
	s_cmp_ge_u32 s6, s11
	s_cselect_b32 s6, s12, s7
	v_lshrrev_b32_e32 v32, 6, v0
	s_xor_b32 s6, s6, s3
	s_waitcnt lgkmcnt(0)
	s_mul_i32 s22, s2, s10
	s_sub_i32 s12, s6, s3
	s_ashr_i32 s23, s22, 31
	v_cmp_le_i32_e64 s[2:3], s17, v32
	v_mbcnt_lo_u32_b32 v17, -1, 0
	s_barrier
                                        ; implicit-def: $vgpr22
                                        ; implicit-def: $vgpr24
                                        ; implicit-def: $vgpr23
	s_and_saveexec_b64 s[6:7], s[2:3]
	s_xor_b64 s[6:7], exec, s[6:7]
; %bb.5:
	v_mbcnt_hi_u32_b32 v22, -1, v17
	v_and_b32_e32 v24, 64, v22
	v_add_u32_e32 v23, 64, v24
                                        ; implicit-def: $vgpr16
                                        ; implicit-def: $vgpr17
; %bb.6:
	s_or_saveexec_b64 s[26:27], s[6:7]
	s_load_dwordx2 s[18:19], s[0:1], 0x0
	s_load_dwordx2 s[24:25], s[0:1], 0x18
	s_load_dword s11, s[0:1], 0x88
	v_mov_b32_e32 v26, 0xff7fffff
	s_mul_i32 s14, s12, s14
	v_lshrrev_b32_e32 v21, 4, v0
	s_xor_b64 exec, exec, s[26:27]
	s_cbranch_execz .LBB14_12
; %bb.7:
	s_load_dwordx2 s[0:1], s[0:1], 0x10
	s_ashr_i32 s15, s14, 31
	s_lshl_b64 s[6:7], s[14:15], 2
	v_bfe_u32 v26, v0, 3, 3
	v_mbcnt_hi_u32_b32 v22, -1, v17
	s_waitcnt lgkmcnt(0)
	s_add_u32 s0, s0, s6
	s_addc_u32 s1, s1, s7
	v_lshlrev_b32_e32 v18, 4, v26
	v_mov_b32_e32 v19, 0
	v_and_b32_e32 v4, 3, v0
	v_and_b32_e32 v24, 64, v22
	v_lshl_add_u64 v[2:3], s[0:1], 0, v[18:19]
	v_lshlrev_b32_e32 v18, 2, v4
	v_add_u32_e32 v23, 64, v24
	v_xor_b32_e32 v17, 4, v22
	v_lshl_add_u64 v[30:31], v[2:3], 0, v[18:19]
	v_mul_u32_u24_e32 v18, 60, v16
	v_cmp_lt_i32_e32 vcc, v17, v23
	ds_read2_b32 v[2:3], v18 offset1:1
	ds_read2_b32 v[4:5], v18 offset0:2 offset1:3
	ds_read2_b32 v[6:7], v18 offset0:4 offset1:5
	ds_read2_b32 v[8:9], v18 offset0:6 offset1:7
	ds_read2_b32 v[10:11], v18 offset0:8 offset1:9
	ds_read2_b32 v[12:13], v18 offset0:10 offset1:11
	ds_read2_b32 v[14:15], v18 offset0:12 offset1:13
	ds_read_b32 v25, v18 offset:56
	v_cndmask_b32_e32 v17, v22, v17, vcc
	v_lshlrev_b32_e32 v27, 2, v17
	v_xor_b32_e32 v17, 2, v22
	v_cmp_lt_i32_e32 vcc, v17, v23
	v_lshlrev_b32_e32 v33, 2, v26
	s_sub_i32 s15, 1, s33
	v_cndmask_b32_e32 v17, v22, v17, vcc
	v_lshlrev_b32_e32 v28, 2, v17
	v_xor_b32_e32 v17, 1, v22
	v_cmp_lt_i32_e32 vcc, v17, v23
	s_lshl_b64 s[6:7], s[22:23], 2
	s_add_u32 s6, s20, s6
	v_cndmask_b32_e32 v17, v22, v17, vcc
	v_cmp_eq_u32_e32 vcc, 0, v16
	v_lshlrev_b32_e32 v16, 5, v0
	v_and_b32_e32 v18, 0x80, v16
	v_lshlrev_b32_e32 v29, 2, v17
	v_lshl_add_u64 v[16:17], v[30:31], 0, v[18:19]
	v_lshl_or_b32 v18, v32, 5, v33
	v_add_u32_e32 v31, 0x1f0, v18
	v_and_b32_e32 v18, 60, v21
	s_addc_u32 s7, s21, s7
	s_mov_b32 s12, s13
	v_cmp_neq_f32_e64 s[0:1], s8, 0
	v_lshl_or_b32 v30, v32, 3, v26
	v_lshl_add_u64 v[18:19], s[6:7], 0, v[18:19]
	v_mov_b32_e32 v26, 0xff7fffff
	s_mov_b64 s[28:29], 0
	v_mov_b32_e32 v33, v32
	s_branch .LBB14_9
.LBB14_8:                               ;   in Loop: Header=BB14_9 Depth=1
	s_or_b64 exec, exec, s[30:31]
	v_add_u32_e32 v33, 2, v33
	v_cmp_le_i32_e64 s[6:7], s17, v33
	v_add_u32_e32 v30, 16, v30
	v_add_u32_e32 v31, 64, v31
	s_or_b64 s[28:29], s[6:7], s[28:29]
	v_lshl_add_u64 v[18:19], v[18:19], 0, 8
	s_andn2_b64 exec, exec, s[28:29]
	s_cbranch_execz .LBB14_11
.LBB14_9:                               ; =>This Inner Loop Header: Depth=1
	global_load_dword v34, v[18:19], off
	s_waitcnt vmcnt(0) lgkmcnt(0)
	v_mad_i64_i32 v[34:35], s[6:7], v34, s12, 0
	v_lshl_add_u64 v[34:35], v[34:35], 2, v[16:17]
	global_load_dword v36, v[34:35], off offset:256
	global_load_dword v37, v[34:35], off
	global_load_dword v38, v[34:35], off offset:512
	global_load_dword v39, v[34:35], off offset:768
	;; [unrolled: 1-line block ×13, first 2 shown]
	s_waitcnt vmcnt(14) lgkmcnt(7)
	v_mul_f32_e32 v34, v3, v36
	s_waitcnt vmcnt(13)
	v_fmac_f32_e32 v34, v2, v37
	s_waitcnt vmcnt(12) lgkmcnt(6)
	v_fmac_f32_e32 v34, v4, v38
	s_waitcnt vmcnt(11)
	v_fmac_f32_e32 v34, v5, v39
	s_waitcnt vmcnt(10) lgkmcnt(5)
	v_fmac_f32_e32 v34, v6, v40
	;; [unrolled: 4-line block ×7, first 2 shown]
	ds_bpermute_b32 v35, v27, v34
	s_waitcnt lgkmcnt(0)
	v_add_f32_e32 v34, v34, v35
	ds_bpermute_b32 v35, v28, v34
	s_waitcnt lgkmcnt(0)
	v_add_f32_e32 v34, v34, v35
	ds_bpermute_b32 v35, v29, v34
	s_and_saveexec_b64 s[30:31], vcc
	s_cbranch_execz .LBB14_8
; %bb.10:                               ;   in Loop: Header=BB14_9 Depth=1
	v_add_u32_e32 v36, s15, v30
	v_cvt_f32_i32_e32 v36, v36
	s_waitcnt lgkmcnt(0)
	v_add_f32_e32 v34, v34, v35
	v_cmp_gt_i32_e64 s[6:7], s33, v30
	v_max_f32_e32 v35, v26, v26
	v_mul_f32_e32 v36, s8, v36
	v_cndmask_b32_e64 v36, 0, v36, s[0:1]
	v_fmac_f32_e32 v36, s9, v34
	v_cndmask_b32_e64 v34, 0, v36, s[6:7]
	ds_write_b32 v31, v34
	v_max_f32_e32 v34, v35, v36
	v_cndmask_b32_e64 v26, v26, v34, s[6:7]
	s_branch .LBB14_8
.LBB14_11:
	s_or_b64 exec, exec, s[28:29]
.LBB14_12:
	s_or_b64 exec, exec, s[26:27]
	v_xor_b32_e32 v2, 32, v22
	v_cmp_lt_i32_e32 vcc, v2, v23
	v_xor_b32_e32 v5, 16, v22
	v_max_f32_e32 v4, v26, v26
	v_cndmask_b32_e32 v2, v22, v2, vcc
	v_lshlrev_b32_e32 v3, 2, v2
	ds_bpermute_b32 v2, v3, v26
	v_cmp_lt_i32_e32 vcc, v5, v23
	v_xor_b32_e32 v7, 8, v22
	s_waitcnt lgkmcnt(0)
	v_max_f32_e32 v2, v2, v2
	v_max_f32_e32 v2, v4, v2
	v_cndmask_b32_e32 v4, v22, v5, vcc
	v_lshlrev_b32_e32 v6, 2, v4
	ds_bpermute_b32 v4, v6, v2
	v_cmp_lt_i32_e32 vcc, v7, v23
	s_waitcnt lgkmcnt(0)
	v_max_f32_e32 v4, v4, v4
	v_max_f32_e32 v5, v2, v4
	v_cndmask_b32_e32 v2, v22, v7, vcc
	v_lshlrev_b32_e32 v7, 2, v2
	ds_bpermute_b32 v8, v7, v5
	v_and_b32_e32 v4, 63, v0
	v_cmp_eq_u32_e32 vcc, 0, v4
	v_lshlrev_b32_e32 v2, 2, v32
	s_and_saveexec_b64 s[0:1], vcc
	s_cbranch_execz .LBB14_14
; %bb.13:
	s_waitcnt lgkmcnt(0)
	v_max_f32_e32 v8, v8, v8
	v_max_f32_e32 v5, v5, v5
	;; [unrolled: 1-line block ×3, first 2 shown]
	ds_write_b32 v2, v5 offset:480
.LBB14_14:
	s_or_b64 exec, exec, s[0:1]
	v_cmp_gt_u32_e64 s[0:1], 2, v4
	s_waitcnt lgkmcnt(0)
	v_mov_b32_e32 v8, 0xff7fffff
	v_lshlrev_b32_e32 v5, 2, v4
	s_barrier
	s_and_saveexec_b64 s[6:7], s[0:1]
; %bb.15:
	ds_read_b32 v8, v5 offset:480
; %bb.16:
	s_or_b64 exec, exec, s[6:7]
	v_xor_b32_e32 v9, 1, v22
	v_cmp_lt_i32_e64 s[6:7], v9, v23
	s_nop 1
	v_cndmask_b32_e64 v9, v22, v9, s[6:7]
	v_lshlrev_b32_e32 v33, 2, v9
	s_waitcnt lgkmcnt(0)
	ds_bpermute_b32 v9, v33, v8
	v_max_f32_e32 v8, v8, v8
	s_lshl_b32 s6, s17, 3
	s_min_i32 s12, s6, s33
	v_cmp_gt_i32_e64 s[6:7], s12, v0
	s_waitcnt lgkmcnt(0)
	v_max_f32_e32 v9, v9, v9
	v_max_f32_e32 v8, v8, v9
	v_lshlrev_b32_e32 v9, 2, v24
	ds_bpermute_b32 v9, v9, v8
	v_mov_b32_e32 v8, 0
	s_and_saveexec_b64 s[26:27], s[6:7]
	s_cbranch_execz .LBB14_20
; %bb.17:
	v_mov_b32_e32 v8, 0x1f0
	v_lshl_add_u32 v10, v0, 2, v8
	v_mov_b32_e32 v8, 0
	s_mov_b64 s[28:29], 0
	v_mov_b32_e32 v11, v0
.LBB14_18:                              ; =>This Inner Loop Header: Depth=1
	ds_read_b32 v12, v10
	v_add_u32_e32 v11, 0x80, v11
	v_cmp_le_i32_e64 s[8:9], s12, v11
	s_or_b64 s[28:29], s[8:9], s[28:29]
	s_waitcnt lgkmcnt(0)
	v_sub_f32_e32 v12, v12, v9
	v_mul_f32_e32 v12, 0x3fb8aa3b, v12
	v_exp_f32_e32 v12, v12
	ds_write_b32 v10, v12
	v_add_f32_e32 v8, v8, v12
	v_add_u32_e32 v10, 0x200, v10
	s_andn2_b64 exec, exec, s[28:29]
	s_cbranch_execnz .LBB14_18
; %bb.19:
	s_or_b64 exec, exec, s[28:29]
.LBB14_20:
	s_or_b64 exec, exec, s[26:27]
	ds_bpermute_b32 v3, v3, v8
	s_waitcnt lgkmcnt(0)
	v_add_f32_e32 v3, v8, v3
	ds_bpermute_b32 v6, v6, v3
	s_waitcnt lgkmcnt(0)
	v_add_f32_e32 v3, v3, v6
	ds_bpermute_b32 v6, v7, v3
	v_xor_b32_e32 v7, 4, v22
	v_cmp_lt_i32_e64 s[8:9], v7, v23
	s_waitcnt lgkmcnt(0)
	v_add_f32_e32 v3, v3, v6
	v_cndmask_b32_e64 v7, v22, v7, s[8:9]
	v_lshlrev_b32_e32 v7, 2, v7
	ds_bpermute_b32 v6, v7, v3
	v_xor_b32_e32 v7, 2, v22
	v_cmp_lt_i32_e64 s[8:9], v7, v23
	s_waitcnt lgkmcnt(0)
	v_add_f32_e32 v3, v3, v6
	v_cndmask_b32_e64 v7, v22, v7, s[8:9]
	v_lshlrev_b32_e32 v6, 2, v7
	ds_bpermute_b32 v6, v6, v3
	s_waitcnt lgkmcnt(0)
	v_add_f32_e32 v3, v3, v6
	ds_bpermute_b32 v6, v33, v3
	s_waitcnt lgkmcnt(0)
	v_add_f32_e32 v3, v3, v6
	s_and_saveexec_b64 s[8:9], vcc
; %bb.21:
	ds_write_b32 v2, v3 offset:488
; %bb.22:
	s_or_b64 exec, exec, s[8:9]
	s_waitcnt lgkmcnt(0)
	s_barrier
	s_and_saveexec_b64 s[8:9], s[0:1]
; %bb.23:
	ds_read_b32 v3, v5 offset:488
; %bb.24:
	s_or_b64 exec, exec, s[8:9]
	s_waitcnt lgkmcnt(0)
	ds_bpermute_b32 v2, v33, v3
	v_lshlrev_b32_e32 v5, 2, v22
	s_waitcnt lgkmcnt(0)
	v_add_f32_e32 v2, v3, v2
	v_and_b32_e32 v3, 0xffffff00, v5
	ds_bpermute_b32 v2, v3, v2
	s_and_saveexec_b64 s[0:1], s[6:7]
	s_cbranch_execz .LBB14_37
; %bb.25:
	s_waitcnt lgkmcnt(0)
	v_add_f32_e32 v2, 0x358637bd, v2
	v_div_scale_f32 v3, s[6:7], v2, v2, 1.0
	v_rcp_f32_e32 v5, v3
	v_div_scale_f32 v6, vcc, 1.0, v2, 1.0
	s_movk_i32 s6, 0x7f
	v_fma_f32 v7, -v3, v5, 1.0
	v_fmac_f32_e32 v5, v7, v5
	v_mul_f32_e32 v7, v6, v5
	v_fma_f32 v8, -v3, v7, v6
	v_fmac_f32_e32 v7, v8, v5
	v_fma_f32 v3, -v3, v7, v6
	v_div_fmas_f32 v3, v3, v5, v7
	v_xad_u32 v5, v0, -1, s12
	v_div_fixup_f32 v2, v3, v2, 1.0
	v_cmp_lt_u32_e32 vcc, s6, v5
	s_mov_b64 s[8:9], -1
	v_mov_b32_e32 v3, v0
	s_and_saveexec_b64 s[6:7], vcc
	s_cbranch_execz .LBB14_34
; %bb.26:
	v_lshrrev_b32_e32 v5, 7, v5
	v_add_u32_e32 v7, -1, v5
	v_lshrrev_b32_e32 v6, 1, v7
	v_mov_b32_e32 v3, v2
	v_add_u32_e32 v6, 1, v6
	v_cmp_lt_u32_e32 vcc, 13, v7
	v_mov_b32_e32 v9, 0
	s_and_saveexec_b64 s[8:9], vcc
	s_cbranch_execz .LBB14_30
; %bb.27:
	v_mov_b32_e32 v8, 0x1f0
	v_and_b32_e32 v7, -8, v6
	v_lshl_add_u32 v8, v0, 2, v8
	s_mov_b32 s15, 0
	s_mov_b64 s[26:27], 0
.LBB14_28:                              ; =>This Inner Loop Header: Depth=1
	ds_read2st64_b32 v[10:11], v8 offset1:2
	ds_read2st64_b32 v[12:13], v8 offset0:4 offset1:6
	ds_read2st64_b32 v[14:15], v8 offset0:8 offset1:10
	;; [unrolled: 1-line block ×3, first 2 shown]
	v_add_u32_e32 v7, -8, v7
	s_waitcnt lgkmcnt(3)
	v_pk_mul_f32 v[10:11], v[2:3], v[10:11]
	s_waitcnt lgkmcnt(2)
	v_pk_mul_f32 v[12:13], v[2:3], v[12:13]
	ds_write2st64_b32 v8, v10, v11 offset1:2
	ds_write2st64_b32 v8, v12, v13 offset0:4 offset1:6
	ds_read2st64_b32 v[12:13], v8 offset0:16 offset1:18
	s_waitcnt lgkmcnt(4)
	v_pk_mul_f32 v[10:11], v[2:3], v[14:15]
	ds_write2st64_b32 v8, v10, v11 offset0:8 offset1:10
	s_waitcnt lgkmcnt(4)
	v_pk_mul_f32 v[10:11], v[2:3], v[16:17]
	ds_write2st64_b32 v8, v10, v11 offset0:12 offset1:14
	ds_read2st64_b32 v[10:11], v8 offset0:20 offset1:22
	s_waitcnt lgkmcnt(3)
	v_pk_mul_f32 v[12:13], v[2:3], v[12:13]
	ds_read2st64_b32 v[14:15], v8 offset0:24 offset1:26
	ds_write2st64_b32 v8, v12, v13 offset0:16 offset1:18
	ds_read2st64_b32 v[12:13], v8 offset0:28 offset1:30
	s_waitcnt lgkmcnt(3)
	v_pk_mul_f32 v[10:11], v[2:3], v[10:11]
	ds_write2st64_b32 v8, v10, v11 offset0:20 offset1:22
	s_waitcnt lgkmcnt(3)
	v_pk_mul_f32 v[10:11], v[2:3], v[14:15]
	ds_write2st64_b32 v8, v10, v11 offset0:24 offset1:26
	s_waitcnt lgkmcnt(2)
	v_pk_mul_f32 v[10:11], v[2:3], v[12:13]
	s_add_i32 s15, s15, 16
	v_cmp_eq_u32_e32 vcc, 0, v7
	ds_write2st64_b32 v8, v10, v11 offset0:28 offset1:30
	v_add_u32_e32 v8, 0x2000, v8
	s_or_b64 s[26:27], vcc, s[26:27]
	v_mov_b32_e32 v9, s15
	s_andn2_b64 exec, exec, s[26:27]
	s_cbranch_execnz .LBB14_28
; %bb.29:
	s_or_b64 exec, exec, s[26:27]
.LBB14_30:
	s_or_b64 exec, exec, s[8:9]
	v_and_b32_e32 v6, 7, v6
	v_cmp_ne_u32_e32 vcc, 0, v6
	s_and_saveexec_b64 s[8:9], vcc
	s_cbranch_execz .LBB14_33
; %bb.31:
	v_lshlrev_b32_e32 v7, 9, v9
	s_movk_i32 s15, 0x1f0
	v_add3_u32 v7, v7, v20, s15
	s_mov_b64 s[26:27], 0
.LBB14_32:                              ; =>This Inner Loop Header: Depth=1
	ds_read2st64_b32 v[8:9], v7 offset1:2
	v_add_u32_e32 v6, -1, v6
	v_cmp_eq_u32_e32 vcc, 0, v6
	s_or_b64 s[26:27], vcc, s[26:27]
	s_waitcnt lgkmcnt(0)
	v_pk_mul_f32 v[8:9], v[2:3], v[8:9]
	ds_write2st64_b32 v7, v8, v9 offset1:2
	v_add_u32_e32 v7, 0x400, v7
	s_andn2_b64 exec, exec, s[26:27]
	s_cbranch_execnz .LBB14_32
.LBB14_33:
	s_or_b64 exec, exec, s[8:9]
	v_add_u32_e32 v5, 1, v5
	v_and_b32_e32 v6, 0x3fffffe, v5
	v_cmp_ne_u32_e32 vcc, v5, v6
	v_lshl_add_u32 v3, v6, 7, v0
	s_orn2_b64 s[8:9], vcc, exec
.LBB14_34:
	s_or_b64 exec, exec, s[6:7]
	s_and_b64 exec, exec, s[8:9]
	s_cbranch_execz .LBB14_37
; %bb.35:
	v_mov_b32_e32 v5, 0x1f0
	v_lshl_add_u32 v5, v3, 2, v5
	s_mov_b64 s[6:7], 0
.LBB14_36:                              ; =>This Inner Loop Header: Depth=1
	ds_read_b32 v6, v5
	v_add_u32_e32 v3, 0x80, v3
	v_cmp_le_i32_e32 vcc, s12, v3
	s_or_b64 s[6:7], vcc, s[6:7]
	s_waitcnt lgkmcnt(0)
	v_mul_f32_e32 v6, v2, v6
	ds_write_b32 v5, v6
	v_add_u32_e32 v5, 0x200, v5
	s_andn2_b64 exec, exec, s[6:7]
	s_cbranch_execnz .LBB14_36
.LBB14_37:
	s_or_b64 exec, exec, s[0:1]
	v_lshrrev_b32_e32 v34, 1, v4
	s_waitcnt lgkmcnt(0)
	s_barrier
	s_and_saveexec_b64 s[0:1], s[2:3]
	s_xor_b64 s[0:1], exec, s[0:1]
; %bb.38:
	v_lshrrev_b32_e32 v34, 1, v4
                                        ; implicit-def: $vgpr32
                                        ; implicit-def: $vgpr20
                                        ; implicit-def: $vgpr21
; %bb.39:
	s_or_saveexec_b64 s[6:7], s[0:1]
	v_mov_b32_e32 v23, 0
	v_and_b32_e32 v35, 1, v0
	v_mov_b32_e32 v22, 0
	v_mov_b32_e32 v25, 0
	;; [unrolled: 1-line block ×3, first 2 shown]
	s_xor_b64 exec, exec, s[6:7]
	s_cbranch_execz .LBB14_53
; %bb.40:
	s_ashr_i32 s15, s14, 31
	s_lshl_b64 s[0:1], s[14:15], 2
	s_add_u32 s8, s24, s0
	v_or_b32_e32 v4, 0x60, v34
	s_movk_i32 s0, 0x78
	v_and_b32_e32 v3, 4, v20
	s_addc_u32 s9, s25, s1
	s_add_i32 s24, s17, -1
	v_cmp_gt_u32_e32 vcc, s0, v4
	s_lshl_b64 s[0:1], s[22:23], 2
	v_lshl_or_b32 v2, v34, 3, v3
	v_lshl_or_b32 v4, v4, 3, v3
	;; [unrolled: 1-line block ×3, first 2 shown]
	v_lshlrev_b32_e32 v3, 4, v35
	s_add_u32 s0, s20, s0
	v_mov_b32_e32 v27, 0
	v_lshl_or_b32 v3, v32, 5, v3
	v_and_b32_e32 v26, 60, v21
	s_addc_u32 s1, s21, s1
	s_mov_b32 s26, s13
	s_mov_b32 s25, s33
	v_add_u32_e32 v37, 0x1f0, v3
	v_lshl_add_u64 v[28:29], s[0:1], 0, v[26:27]
	s_mov_b64 s[12:13], 0
	v_lshlrev_b32_e32 v30, 2, v2
	v_mov_b32_e32 v31, v27
	v_lshlrev_b32_e32 v26, 2, v4
	v_mov_b32_e32 v23, v27
	v_mov_b32_e32 v22, v27
	;; [unrolled: 1-line block ×4, first 2 shown]
	s_branch .LBB14_43
.LBB14_41:                              ;   in Loop: Header=BB14_43 Depth=1
	s_or_b64 exec, exec, s[14:15]
	s_waitcnt vmcnt(0) lgkmcnt(0)
	v_pk_mul_f32 v[18:19], v[6:7], v[18:19]
	v_pk_mul_f32 v[20:21], v[8:9], v[20:21]
	v_add_f32_e32 v18, v19, v18
	v_add_f32_e32 v18, v20, v18
	;; [unrolled: 1-line block ×4, first 2 shown]
.LBB14_42:                              ;   in Loop: Header=BB14_43 Depth=1
	s_or_b64 exec, exec, s[2:3]
	s_waitcnt vmcnt(0) lgkmcnt(0)
	v_mul_f32_e32 v14, v6, v14
	v_mul_f32_e32 v10, v6, v10
	;; [unrolled: 1-line block ×3, first 2 shown]
	v_fmac_f32_e32 v14, v7, v15
	v_fmac_f32_e32 v10, v7, v11
	v_fmac_f32_e32 v2, v7, v3
	v_fmac_f32_e32 v14, v8, v16
	v_fmac_f32_e32 v10, v8, v12
	v_fmac_f32_e32 v2, v8, v4
	v_add_u32_e32 v32, 2, v32
	v_fmac_f32_e32 v14, v9, v17
	v_fmac_f32_e32 v10, v9, v13
	;; [unrolled: 1-line block ×3, first 2 shown]
	v_cmp_le_i32_e64 s[0:1], s17, v32
	v_add_f32_e32 v22, v22, v14
	v_add_f32_e32 v25, v25, v10
	;; [unrolled: 1-line block ×3, first 2 shown]
	v_add_u32_e32 v36, 16, v36
	v_add_u32_e32 v37, 64, v37
	s_or_b64 s[12:13], s[0:1], s[12:13]
	v_lshl_add_u64 v[28:29], v[28:29], 0, 8
	s_andn2_b64 exec, exec, s[12:13]
	s_cbranch_execz .LBB14_52
.LBB14_43:                              ; =>This Inner Loop Header: Depth=1
	global_load_dword v2, v[28:29], off
	ds_read_b128 v[6:9], v37
	s_waitcnt vmcnt(0)
	v_mad_i64_i32 v[2:3], s[0:1], v2, s26, 0
	v_lshl_add_u64 v[18:19], v[2:3], 2, s[8:9]
	v_lshl_add_u64 v[14:15], v[18:19], 0, v[30:31]
	global_load_dwordx4 v[2:5], v[14:15], off
	v_cmp_eq_u32_e64 s[0:1], s24, v32
	s_and_saveexec_b64 s[14:15], s[0:1]
	s_cbranch_execnz .LBB14_47
; %bb.44:                               ;   in Loop: Header=BB14_43 Depth=1
	s_or_b64 exec, exec, s[14:15]
	global_load_dwordx4 v[10:13], v[14:15], off offset:1024
	s_and_saveexec_b64 s[14:15], s[0:1]
	s_cbranch_execnz .LBB14_48
.LBB14_45:                              ;   in Loop: Header=BB14_43 Depth=1
	s_or_b64 exec, exec, s[14:15]
	global_load_dwordx4 v[14:17], v[14:15], off offset:2048
	s_and_saveexec_b64 s[14:15], s[0:1]
	s_cbranch_execnz .LBB14_49
.LBB14_46:                              ;   in Loop: Header=BB14_43 Depth=1
	s_or_b64 exec, exec, s[14:15]
	s_and_saveexec_b64 s[2:3], vcc
	s_cbranch_execz .LBB14_42
	s_branch .LBB14_50
.LBB14_47:                              ;   in Loop: Header=BB14_43 Depth=1
	v_add_u32_e32 v10, 1, v36
	v_cmp_gt_i32_e64 s[2:3], s25, v10
	v_or_b32_e32 v10, 3, v36
	v_or_b32_e32 v11, 2, v36
	s_waitcnt vmcnt(0)
	v_cndmask_b32_e64 v3, 0, v3, s[2:3]
	v_cmp_gt_i32_e64 s[2:3], s33, v36
	s_nop 1
	v_cndmask_b32_e64 v2, 0, v2, s[2:3]
	v_cmp_gt_i32_e64 s[2:3], s25, v10
	s_nop 1
	;; [unrolled: 3-line block ×3, first 2 shown]
	v_cndmask_b32_e64 v4, 0, v4, s[2:3]
	s_or_b64 exec, exec, s[14:15]
	global_load_dwordx4 v[10:13], v[14:15], off offset:1024
	s_and_saveexec_b64 s[14:15], s[0:1]
	s_cbranch_execz .LBB14_45
.LBB14_48:                              ;   in Loop: Header=BB14_43 Depth=1
	v_add_u32_e32 v16, 1, v36
	v_cmp_gt_i32_e64 s[2:3], s25, v16
	v_or_b32_e32 v16, 3, v36
	v_or_b32_e32 v17, 2, v36
	s_waitcnt vmcnt(0)
	v_cndmask_b32_e64 v11, 0, v11, s[2:3]
	v_cmp_gt_i32_e64 s[2:3], s33, v36
	s_nop 1
	v_cndmask_b32_e64 v10, 0, v10, s[2:3]
	v_cmp_gt_i32_e64 s[2:3], s25, v16
	s_nop 1
	;; [unrolled: 3-line block ×3, first 2 shown]
	v_cndmask_b32_e64 v12, 0, v12, s[2:3]
	s_or_b64 exec, exec, s[14:15]
	global_load_dwordx4 v[14:17], v[14:15], off offset:2048
	s_and_saveexec_b64 s[14:15], s[0:1]
	s_cbranch_execz .LBB14_46
.LBB14_49:                              ;   in Loop: Header=BB14_43 Depth=1
	v_add_u32_e32 v20, 1, v36
	v_cmp_gt_i32_e64 s[2:3], s25, v20
	v_or_b32_e32 v20, 3, v36
	v_or_b32_e32 v21, 2, v36
	s_waitcnt vmcnt(0)
	v_cndmask_b32_e64 v15, 0, v15, s[2:3]
	v_cmp_gt_i32_e64 s[2:3], s33, v36
	s_nop 1
	v_cndmask_b32_e64 v14, 0, v14, s[2:3]
	v_cmp_gt_i32_e64 s[2:3], s25, v20
	s_nop 1
	;; [unrolled: 3-line block ×3, first 2 shown]
	v_cndmask_b32_e64 v16, 0, v16, s[2:3]
	s_or_b64 exec, exec, s[14:15]
	s_and_saveexec_b64 s[2:3], vcc
	s_cbranch_execz .LBB14_42
.LBB14_50:                              ;   in Loop: Header=BB14_43 Depth=1
	v_lshl_add_u64 v[18:19], v[18:19], 0, v[26:27]
	global_load_dwordx4 v[18:21], v[18:19], off
	s_and_saveexec_b64 s[14:15], s[0:1]
	s_cbranch_execz .LBB14_41
; %bb.51:                               ;   in Loop: Header=BB14_43 Depth=1
	v_add_u32_e32 v38, 1, v36
	v_cmp_gt_i32_e64 s[0:1], s25, v38
	v_or_b32_e32 v38, 3, v36
	v_or_b32_e32 v39, 2, v36
	s_waitcnt vmcnt(0)
	v_cndmask_b32_e64 v19, 0, v19, s[0:1]
	v_cmp_gt_i32_e64 s[0:1], s33, v36
	s_nop 1
	v_cndmask_b32_e64 v18, 0, v18, s[0:1]
	v_cmp_gt_i32_e64 s[0:1], s25, v38
	s_nop 1
	v_cndmask_b32_e64 v21, 0, v21, s[0:1]
	v_cmp_gt_i32_e64 s[0:1], s33, v39
	s_nop 1
	v_cndmask_b32_e64 v20, 0, v20, s[0:1]
	s_branch .LBB14_41
.LBB14_52:
	s_or_b64 exec, exec, s[12:13]
.LBB14_53:
	s_or_b64 exec, exec, s[6:7]
	ds_bpermute_b32 v2, v33, v24
	ds_bpermute_b32 v3, v33, v25
	;; [unrolled: 1-line block ×4, first 2 shown]
	v_cmp_eq_u32_e32 vcc, 0, v35
	s_waitcnt lgkmcnt(0)
	v_pk_add_f32 v[4:5], v[24:25], v[2:3]
	s_barrier
	v_pk_add_f32 v[2:3], v[22:23], v[6:7]
	v_and_b32_e32 v6, 0x3c0, v0
	v_cmp_eq_u32_e64 s[0:1], 64, v6
	s_and_saveexec_b64 s[2:3], s[0:1]
	s_cbranch_execz .LBB14_58
; %bb.54:
	s_and_saveexec_b64 s[0:1], vcc
	s_cbranch_execz .LBB14_56
; %bb.55:
	v_mov_b32_e32 v6, 0x1f0
	v_lshl_add_u32 v6, v34, 2, v6
	ds_write2_b32 v6, v4, v5 offset1:32
	ds_write_b32 v6, v2 offset:256
.LBB14_56:
	s_or_b64 exec, exec, s[0:1]
	v_or_b32_e32 v6, 0x60, v34
	s_movk_i32 s0, 0x78
	v_cmp_gt_u32_e64 s[0:1], s0, v6
	s_and_b64 s[0:1], vcc, s[0:1]
	s_and_b64 exec, exec, s[0:1]
; %bb.57:
	v_mov_b32_e32 v6, 0x1f0
	v_lshl_add_u32 v6, v34, 2, v6
	ds_write_b32 v6, v3 offset:384
.LBB14_58:
	s_or_b64 exec, exec, s[2:3]
	v_cmp_gt_u32_e64 s[0:1], 64, v0
	s_waitcnt lgkmcnt(0)
	s_barrier
	s_and_saveexec_b64 s[6:7], s[0:1]
	s_cbranch_execz .LBB14_68
; %bb.59:
	s_and_saveexec_b64 s[2:3], vcc
	s_cbranch_execz .LBB14_61
; %bb.60:
	v_mov_b32_e32 v0, 0x1f0
	v_lshl_add_u32 v0, v1, 2, v0
	ds_read_b32 v0, v0
	s_waitcnt lgkmcnt(0)
	v_add_f32_e32 v4, v4, v0
.LBB14_61:
	s_or_b64 exec, exec, s[2:3]
	v_or_b32_e32 v0, 32, v1
	s_movk_i32 s8, 0x78
	v_cmp_gt_u32_e64 s[2:3], s8, v0
	s_and_b64 s[12:13], vcc, s[2:3]
	s_and_saveexec_b64 s[2:3], s[12:13]
	s_cbranch_execz .LBB14_63
; %bb.62:
	v_mov_b32_e32 v0, 0x1f0
	v_lshl_add_u32 v0, v1, 2, v0
	ds_read_b32 v0, v0 offset:128
	s_waitcnt lgkmcnt(0)
	v_add_f32_e32 v5, v5, v0
.LBB14_63:
	s_or_b64 exec, exec, s[2:3]
	v_or_b32_e32 v0, 64, v1
	v_cmp_gt_u32_e64 s[2:3], s8, v0
	s_and_b64 s[8:9], vcc, s[2:3]
	s_and_saveexec_b64 s[2:3], s[8:9]
	s_cbranch_execz .LBB14_65
; %bb.64:
	v_mov_b32_e32 v0, 0x1f0
	v_lshl_add_u32 v0, v1, 2, v0
	ds_read_b32 v0, v0 offset:256
	s_waitcnt lgkmcnt(0)
	v_add_f32_e32 v2, v2, v0
.LBB14_65:
	s_or_b64 exec, exec, s[2:3]
	v_or_b32_e32 v0, 0x60, v1
	s_movk_i32 s2, 0x78
	v_cmp_gt_u32_e64 s[2:3], s2, v0
	s_and_b64 s[8:9], vcc, s[2:3]
	s_and_saveexec_b64 s[2:3], s[8:9]
	s_cbranch_execz .LBB14_67
; %bb.66:
	v_mov_b32_e32 v0, 0x1f0
	v_lshl_add_u32 v0, v1, 2, v0
	ds_read_b32 v0, v0 offset:384
	s_waitcnt lgkmcnt(0)
	v_add_f32_e32 v3, v3, v0
.LBB14_67:
	s_or_b64 exec, exec, s[2:3]
.LBB14_68:
	s_or_b64 exec, exec, s[6:7]
	s_barrier
	s_and_saveexec_b64 s[2:3], s[0:1]
	s_cbranch_execz .LBB14_77
; %bb.69:
	s_mul_i32 s0, s10, s11
	s_mul_i32 s0, s0, s5
	s_mulk_i32 s0, 0x78
	s_ashr_i32 s1, s0, 31
	s_lshl_b64 s[0:1], s[0:1], 2
	s_add_u32 s2, s18, s0
	s_mul_i32 s0, s11, s16
	s_addc_u32 s3, s19, s1
	s_ashr_i32 s1, s0, 31
	s_lshl_b64 s[0:1], s[0:1], 2
	s_add_u32 s2, s2, s0
	s_mul_i32 s0, s4, 0x78
	s_addc_u32 s3, s3, s1
	s_ashr_i32 s1, s0, 31
	s_lshl_b64 s[0:1], s[0:1], 2
	s_add_u32 s2, s2, s0
	s_movk_i32 s5, 0x78
	s_addc_u32 s3, s3, s1
	v_lshlrev_b32_e32 v0, 2, v1
	s_and_saveexec_b64 s[0:1], vcc
	s_cbranch_execz .LBB14_71
; %bb.70:
	global_store_dword v0, v4, s[2:3]
.LBB14_71:
	s_or_b64 exec, exec, s[0:1]
	v_or_b32_e32 v4, 32, v1
	v_cmp_gt_u32_e64 s[0:1], s5, v4
	s_and_b64 s[4:5], vcc, s[0:1]
	s_and_saveexec_b64 s[0:1], s[4:5]
	s_cbranch_execz .LBB14_73
; %bb.72:
	global_store_dword v0, v5, s[2:3] offset:128
.LBB14_73:
	s_or_b64 exec, exec, s[0:1]
	v_or_b32_e32 v4, 64, v1
	s_movk_i32 s4, 0x78
	v_cmp_gt_u32_e64 s[0:1], s4, v4
	s_and_b64 s[6:7], vcc, s[0:1]
	s_and_saveexec_b64 s[0:1], s[6:7]
	s_cbranch_execz .LBB14_75
; %bb.74:
	global_store_dword v0, v2, s[2:3] offset:256
.LBB14_75:
	s_or_b64 exec, exec, s[0:1]
	v_or_b32_e32 v1, 0x60, v1
	v_cmp_gt_u32_e64 s[0:1], s4, v1
	s_and_b64 s[0:1], vcc, s[0:1]
	s_and_b64 exec, exec, s[0:1]
	s_cbranch_execz .LBB14_77
; %bb.76:
	global_store_dword v0, v3, s[2:3] offset:384
.LBB14_77:
	s_endpgm
	.section	.rodata,"a",@progbits
	.p2align	6, 0x0
	.amdhsa_kernel _ZN4vllm25paged_attention_v1_kernelIffLi120ELi8ELi128ELNS_18Fp8KVCacheDataTypeE0ELb0EEEvPT_PKS2_PKT0_S8_ifPKiSA_iPKfiiiSC_SC_iiiii
		.amdhsa_group_segment_fixed_size 496
		.amdhsa_private_segment_fixed_size 0
		.amdhsa_kernarg_size 384
		.amdhsa_user_sgpr_count 2
		.amdhsa_user_sgpr_dispatch_ptr 0
		.amdhsa_user_sgpr_queue_ptr 0
		.amdhsa_user_sgpr_kernarg_segment_ptr 1
		.amdhsa_user_sgpr_dispatch_id 0
		.amdhsa_user_sgpr_kernarg_preload_length 0
		.amdhsa_user_sgpr_kernarg_preload_offset 0
		.amdhsa_user_sgpr_private_segment_size 0
		.amdhsa_uses_dynamic_stack 0
		.amdhsa_enable_private_segment 0
		.amdhsa_system_sgpr_workgroup_id_x 1
		.amdhsa_system_sgpr_workgroup_id_y 1
		.amdhsa_system_sgpr_workgroup_id_z 1
		.amdhsa_system_sgpr_workgroup_info 0
		.amdhsa_system_vgpr_workitem_id 0
		.amdhsa_next_free_vgpr 51
		.amdhsa_next_free_sgpr 34
		.amdhsa_accum_offset 52
		.amdhsa_reserve_vcc 1
		.amdhsa_float_round_mode_32 0
		.amdhsa_float_round_mode_16_64 0
		.amdhsa_float_denorm_mode_32 3
		.amdhsa_float_denorm_mode_16_64 3
		.amdhsa_dx10_clamp 1
		.amdhsa_ieee_mode 1
		.amdhsa_fp16_overflow 0
		.amdhsa_tg_split 0
		.amdhsa_exception_fp_ieee_invalid_op 0
		.amdhsa_exception_fp_denorm_src 0
		.amdhsa_exception_fp_ieee_div_zero 0
		.amdhsa_exception_fp_ieee_overflow 0
		.amdhsa_exception_fp_ieee_underflow 0
		.amdhsa_exception_fp_ieee_inexact 0
		.amdhsa_exception_int_div_zero 0
	.end_amdhsa_kernel
	.section	.text._ZN4vllm25paged_attention_v1_kernelIffLi120ELi8ELi128ELNS_18Fp8KVCacheDataTypeE0ELb0EEEvPT_PKS2_PKT0_S8_ifPKiSA_iPKfiiiSC_SC_iiiii,"axG",@progbits,_ZN4vllm25paged_attention_v1_kernelIffLi120ELi8ELi128ELNS_18Fp8KVCacheDataTypeE0ELb0EEEvPT_PKS2_PKT0_S8_ifPKiSA_iPKfiiiSC_SC_iiiii,comdat
.Lfunc_end14:
	.size	_ZN4vllm25paged_attention_v1_kernelIffLi120ELi8ELi128ELNS_18Fp8KVCacheDataTypeE0ELb0EEEvPT_PKS2_PKT0_S8_ifPKiSA_iPKfiiiSC_SC_iiiii, .Lfunc_end14-_ZN4vllm25paged_attention_v1_kernelIffLi120ELi8ELi128ELNS_18Fp8KVCacheDataTypeE0ELb0EEEvPT_PKS2_PKT0_S8_ifPKiSA_iPKfiiiSC_SC_iiiii
                                        ; -- End function
	.set _ZN4vllm25paged_attention_v1_kernelIffLi120ELi8ELi128ELNS_18Fp8KVCacheDataTypeE0ELb0EEEvPT_PKS2_PKT0_S8_ifPKiSA_iPKfiiiSC_SC_iiiii.num_vgpr, 51
	.set _ZN4vllm25paged_attention_v1_kernelIffLi120ELi8ELi128ELNS_18Fp8KVCacheDataTypeE0ELb0EEEvPT_PKS2_PKT0_S8_ifPKiSA_iPKfiiiSC_SC_iiiii.num_agpr, 0
	.set _ZN4vllm25paged_attention_v1_kernelIffLi120ELi8ELi128ELNS_18Fp8KVCacheDataTypeE0ELb0EEEvPT_PKS2_PKT0_S8_ifPKiSA_iPKfiiiSC_SC_iiiii.numbered_sgpr, 34
	.set _ZN4vllm25paged_attention_v1_kernelIffLi120ELi8ELi128ELNS_18Fp8KVCacheDataTypeE0ELb0EEEvPT_PKS2_PKT0_S8_ifPKiSA_iPKfiiiSC_SC_iiiii.num_named_barrier, 0
	.set _ZN4vllm25paged_attention_v1_kernelIffLi120ELi8ELi128ELNS_18Fp8KVCacheDataTypeE0ELb0EEEvPT_PKS2_PKT0_S8_ifPKiSA_iPKfiiiSC_SC_iiiii.private_seg_size, 0
	.set _ZN4vllm25paged_attention_v1_kernelIffLi120ELi8ELi128ELNS_18Fp8KVCacheDataTypeE0ELb0EEEvPT_PKS2_PKT0_S8_ifPKiSA_iPKfiiiSC_SC_iiiii.uses_vcc, 1
	.set _ZN4vllm25paged_attention_v1_kernelIffLi120ELi8ELi128ELNS_18Fp8KVCacheDataTypeE0ELb0EEEvPT_PKS2_PKT0_S8_ifPKiSA_iPKfiiiSC_SC_iiiii.uses_flat_scratch, 0
	.set _ZN4vllm25paged_attention_v1_kernelIffLi120ELi8ELi128ELNS_18Fp8KVCacheDataTypeE0ELb0EEEvPT_PKS2_PKT0_S8_ifPKiSA_iPKfiiiSC_SC_iiiii.has_dyn_sized_stack, 0
	.set _ZN4vllm25paged_attention_v1_kernelIffLi120ELi8ELi128ELNS_18Fp8KVCacheDataTypeE0ELb0EEEvPT_PKS2_PKT0_S8_ifPKiSA_iPKfiiiSC_SC_iiiii.has_recursion, 0
	.set _ZN4vllm25paged_attention_v1_kernelIffLi120ELi8ELi128ELNS_18Fp8KVCacheDataTypeE0ELb0EEEvPT_PKS2_PKT0_S8_ifPKiSA_iPKfiiiSC_SC_iiiii.has_indirect_call, 0
	.section	.AMDGPU.csdata,"",@progbits
; Kernel info:
; codeLenInByte = 4284
; TotalNumSgprs: 40
; NumVgprs: 51
; NumAgprs: 0
; TotalNumVgprs: 51
; ScratchSize: 0
; MemoryBound: 0
; FloatMode: 240
; IeeeMode: 1
; LDSByteSize: 496 bytes/workgroup (compile time only)
; SGPRBlocks: 4
; VGPRBlocks: 6
; NumSGPRsForWavesPerEU: 40
; NumVGPRsForWavesPerEU: 51
; AccumOffset: 52
; Occupancy: 8
; WaveLimiterHint : 1
; COMPUTE_PGM_RSRC2:SCRATCH_EN: 0
; COMPUTE_PGM_RSRC2:USER_SGPR: 2
; COMPUTE_PGM_RSRC2:TRAP_HANDLER: 0
; COMPUTE_PGM_RSRC2:TGID_X_EN: 1
; COMPUTE_PGM_RSRC2:TGID_Y_EN: 1
; COMPUTE_PGM_RSRC2:TGID_Z_EN: 1
; COMPUTE_PGM_RSRC2:TIDIG_COMP_CNT: 0
; COMPUTE_PGM_RSRC3_GFX90A:ACCUM_OFFSET: 12
; COMPUTE_PGM_RSRC3_GFX90A:TG_SPLIT: 0
	.section	.text._ZN4vllm25paged_attention_v1_kernelIffLi128ELi8ELi128ELNS_18Fp8KVCacheDataTypeE0ELb0EEEvPT_PKS2_PKT0_S8_ifPKiSA_iPKfiiiSC_SC_iiiii,"axG",@progbits,_ZN4vllm25paged_attention_v1_kernelIffLi128ELi8ELi128ELNS_18Fp8KVCacheDataTypeE0ELb0EEEvPT_PKS2_PKT0_S8_ifPKiSA_iPKfiiiSC_SC_iiiii,comdat
	.protected	_ZN4vllm25paged_attention_v1_kernelIffLi128ELi8ELi128ELNS_18Fp8KVCacheDataTypeE0ELb0EEEvPT_PKS2_PKT0_S8_ifPKiSA_iPKfiiiSC_SC_iiiii ; -- Begin function _ZN4vllm25paged_attention_v1_kernelIffLi128ELi8ELi128ELNS_18Fp8KVCacheDataTypeE0ELb0EEEvPT_PKS2_PKT0_S8_ifPKiSA_iPKfiiiSC_SC_iiiii
	.globl	_ZN4vllm25paged_attention_v1_kernelIffLi128ELi8ELi128ELNS_18Fp8KVCacheDataTypeE0ELb0EEEvPT_PKS2_PKT0_S8_ifPKiSA_iPKfiiiSC_SC_iiiii
	.p2align	8
	.type	_ZN4vllm25paged_attention_v1_kernelIffLi128ELi8ELi128ELNS_18Fp8KVCacheDataTypeE0ELb0EEEvPT_PKS2_PKT0_S8_ifPKiSA_iPKfiiiSC_SC_iiiii,@function
_ZN4vllm25paged_attention_v1_kernelIffLi128ELi8ELi128ELNS_18Fp8KVCacheDataTypeE0ELb0EEEvPT_PKS2_PKT0_S8_ifPKiSA_iPKfiiiSC_SC_iiiii: ; @_ZN4vllm25paged_attention_v1_kernelIffLi128ELi8ELi128ELNS_18Fp8KVCacheDataTypeE0ELb0EEEvPT_PKS2_PKT0_S8_ifPKiSA_iPKfiiiSC_SC_iiiii
; %bb.0:
	s_load_dword s5, s[0:1], 0x80
	s_load_dwordx2 s[6:7], s[0:1], 0x30
	s_load_dwordx2 s[8:9], s[0:1], 0x20
	s_mov_b32 s10, s3
	s_ashr_i32 s11, s3, 31
	s_lshl_b64 s[12:13], s[10:11], 2
	s_waitcnt lgkmcnt(0)
	s_add_u32 s6, s6, s12
	s_addc_u32 s7, s7, s13
	s_abs_i32 s3, s8
	v_cvt_f32_u32_e32 v1, s3
	s_sub_i32 s12, 0, s3
	s_abs_i32 s11, s5
	s_xor_b32 s8, s5, s8
	v_rcp_iflag_f32_e32 v1, v1
	s_ashr_i32 s8, s8, 31
	v_mul_f32_e32 v1, 0x4f7ffffe, v1
	v_cvt_u32_f32_e32 v1, v1
	s_nop 0
	v_readfirstlane_b32 s13, v1
	s_mul_i32 s12, s12, s13
	s_mul_hi_u32 s12, s13, s12
	s_add_i32 s13, s13, s12
	s_mul_hi_u32 s12, s11, s13
	s_mul_i32 s13, s12, s3
	s_sub_i32 s11, s11, s13
	s_add_i32 s13, s12, 1
	s_sub_i32 s14, s11, s3
	s_cmp_ge_u32 s11, s3
	s_cselect_b32 s12, s13, s12
	s_cselect_b32 s11, s14, s11
	s_add_i32 s13, s12, 1
	s_cmp_ge_u32 s11, s3
	s_cselect_b32 s3, s13, s12
	s_xor_b32 s3, s3, s8
	s_sub_i32 s14, s3, s8
	s_abs_i32 s11, s14
	v_cvt_f32_u32_e32 v1, s11
	s_load_dwordx2 s[12:13], s[0:1], 0x40
	s_sub_i32 s3, 0, s11
	s_abs_i32 s18, s2
	v_rcp_iflag_f32_e32 v1, v1
	s_mov_b32 s8, 0
	v_mul_f32_e32 v1, 0x4f7ffffe, v1
	v_cvt_u32_f32_e32 v1, v1
	s_nop 0
	v_readfirstlane_b32 s15, v1
	s_mul_i32 s3, s3, s15
	s_mul_hi_u32 s3, s15, s3
	s_add_i32 s15, s15, s3
	s_waitcnt lgkmcnt(0)
	s_cmp_eq_u64 s[12:13], 0
	s_mul_hi_u32 s19, s18, s15
	s_cbranch_scc1 .LBB15_2
; %bb.1:
	s_ashr_i32 s3, s2, 31
	s_lshl_b64 s[16:17], s[2:3], 2
	s_add_u32 s12, s12, s16
	s_addc_u32 s13, s13, s17
	s_load_dword s8, s[12:13], 0x0
.LBB15_2:
	s_load_dword s33, s[6:7], 0x0
	s_ashr_i32 s7, s14, 31
	s_load_dwordx4 s[12:15], s[0:1], 0x48
	s_ashr_i32 s6, s2, 31
	s_lshl_b32 s16, s2, 7
	s_movk_i32 s2, 0x80
	v_and_b32_e32 v18, 7, v0
	v_cmp_gt_u32_e32 vcc, s2, v0
	v_lshlrev_b32_e32 v26, 2, v0
	v_lshrrev_b32_e32 v1, 1, v0
	s_and_saveexec_b64 s[2:3], vcc
	s_cbranch_execz .LBB15_4
; %bb.3:
	s_load_dwordx2 s[20:21], s[0:1], 0x8
	s_waitcnt lgkmcnt(0)
	s_mul_i32 s22, s12, s10
	s_ashr_i32 s23, s22, 31
	s_lshl_b64 s[22:23], s[22:23], 2
	v_and_b32_e32 v3, 0x1fc, v1
	s_add_u32 s12, s20, s22
	s_addc_u32 s15, s21, s23
	s_ashr_i32 s17, s16, 31
	s_lshl_b64 s[20:21], s[16:17], 2
	s_add_u32 s20, s12, s20
	s_addc_u32 s21, s15, s21
	global_load_dword v2, v26, s[20:21]
	v_lshl_add_u32 v3, v18, 6, v3
	s_waitcnt vmcnt(0)
	ds_write_b32 v3, v2
.LBB15_4:
	s_or_b64 exec, exec, s[2:3]
	s_waitcnt lgkmcnt(0)
	s_add_i32 s3, s33, 7
	s_ashr_i32 s12, s3, 31
	s_lshr_b32 s12, s12, 29
	s_add_i32 s3, s3, s12
	s_ashr_i32 s12, s3, 3
	s_xor_b32 s3, s6, s7
	s_mul_i32 s6, s19, s11
	s_sub_i32 s6, s18, s6
	s_add_i32 s7, s19, 1
	s_sub_i32 s15, s6, s11
	s_load_dwordx2 s[20:21], s[0:1], 0x28
	s_load_dword s2, s[0:1], 0x38
	s_cmp_ge_u32 s6, s11
	s_cselect_b32 s7, s7, s19
	s_cselect_b32 s6, s15, s6
	s_add_i32 s15, s7, 1
	s_cmp_ge_u32 s6, s11
	s_cselect_b32 s6, s15, s7
	v_lshrrev_b32_e32 v30, 6, v0
	s_xor_b32 s6, s6, s3
	s_waitcnt lgkmcnt(0)
	s_mul_i32 s22, s2, s10
	s_sub_i32 s15, s6, s3
	s_ashr_i32 s23, s22, 31
	v_cmp_gt_i32_e64 s[2:3], s12, v30
	v_cmp_le_i32_e32 vcc, s12, v30
	v_mbcnt_lo_u32_b32 v19, -1, 0
	s_barrier
                                        ; implicit-def: $vgpr22
                                        ; implicit-def: $vgpr24
                                        ; implicit-def: $vgpr23
	s_and_saveexec_b64 s[6:7], vcc
	s_xor_b64 s[6:7], exec, s[6:7]
; %bb.5:
	v_mbcnt_hi_u32_b32 v22, -1, v19
	v_and_b32_e32 v24, 64, v22
	v_add_u32_e32 v23, 64, v24
                                        ; implicit-def: $vgpr18
                                        ; implicit-def: $vgpr19
; %bb.6:
	s_or_saveexec_b64 s[26:27], s[6:7]
	s_load_dwordx2 s[18:19], s[0:1], 0x0
	s_load_dwordx2 s[24:25], s[0:1], 0x18
	s_load_dword s11, s[0:1], 0x88
	v_mov_b32_e32 v25, 0xff7fffff
	s_mul_i32 s14, s15, s14
	v_lshrrev_b32_e32 v28, 4, v0
	s_xor_b64 exec, exec, s[26:27]
	s_cbranch_execz .LBB15_12
; %bb.7:
	s_load_dwordx2 s[0:1], s[0:1], 0x10
	v_mbcnt_hi_u32_b32 v22, -1, v19
	v_and_b32_e32 v24, 64, v22
	v_add_u32_e32 v23, 64, v24
	v_xor_b32_e32 v19, 4, v22
	s_ashr_i32 s15, s14, 31
	v_cmp_lt_i32_e32 vcc, v19, v23
	s_lshl_b64 s[6:7], s[14:15], 2
	v_bfe_u32 v25, v0, 3, 3
	v_cndmask_b32_e32 v19, v22, v19, vcc
	s_waitcnt lgkmcnt(0)
	s_add_u32 s0, s0, s6
	v_lshlrev_b32_e32 v27, 2, v19
	v_xor_b32_e32 v19, 2, v22
	s_addc_u32 s1, s1, s7
	v_lshlrev_b32_e32 v20, 4, v25
	v_mov_b32_e32 v21, 0
	v_and_b32_e32 v4, 3, v0
	v_cmp_lt_i32_e32 vcc, v19, v23
	v_lshl_add_u64 v[2:3], s[0:1], 0, v[20:21]
	v_lshlrev_b32_e32 v20, 2, v4
	v_lshlrev_b32_e32 v14, 6, v18
	v_cndmask_b32_e32 v19, v22, v19, vcc
	v_lshl_add_u64 v[32:33], v[2:3], 0, v[20:21]
	ds_read_b128 v[2:5], v14
	ds_read_b128 v[6:9], v14 offset:16
	ds_read_b128 v[10:13], v14 offset:32
	;; [unrolled: 1-line block ×3, first 2 shown]
	v_lshlrev_b32_e32 v29, 2, v19
	v_xor_b32_e32 v19, 1, v22
	v_cmp_lt_i32_e32 vcc, v19, v23
	v_lshlrev_b32_e32 v34, 2, v25
	s_sub_i32 s15, 1, s33
	v_cndmask_b32_e32 v19, v22, v19, vcc
	v_cmp_eq_u32_e32 vcc, 0, v18
	v_lshlrev_b32_e32 v18, 5, v0
	v_and_b32_e32 v20, 0x80, v18
	s_lshl_b64 s[6:7], s[22:23], 2
	v_lshlrev_b32_e32 v31, 2, v19
	v_lshl_add_u64 v[18:19], v[32:33], 0, v[20:21]
	v_lshl_or_b32 v20, v30, 5, v34
	s_add_u32 s6, s20, s6
	v_add_u32_e32 v33, 0x210, v20
	v_and_b32_e32 v20, 60, v28
	s_addc_u32 s7, s21, s7
	s_mov_b32 s17, s13
	v_cmp_neq_f32_e64 s[0:1], s8, 0
	v_lshl_or_b32 v32, v30, 3, v25
	v_lshl_add_u64 v[20:21], s[6:7], 0, v[20:21]
	v_mov_b32_e32 v25, 0xff7fffff
	s_mov_b64 s[28:29], 0
	v_mov_b32_e32 v34, v30
	s_branch .LBB15_9
.LBB15_8:                               ;   in Loop: Header=BB15_9 Depth=1
	s_or_b64 exec, exec, s[30:31]
	v_add_u32_e32 v34, 2, v34
	v_cmp_le_i32_e64 s[6:7], s12, v34
	v_add_u32_e32 v32, 16, v32
	v_add_u32_e32 v33, 64, v33
	s_or_b64 s[28:29], s[6:7], s[28:29]
	v_lshl_add_u64 v[20:21], v[20:21], 0, 8
	s_andn2_b64 exec, exec, s[28:29]
	s_cbranch_execz .LBB15_11
.LBB15_9:                               ; =>This Inner Loop Header: Depth=1
	global_load_dword v35, v[20:21], off
	s_waitcnt vmcnt(0) lgkmcnt(0)
	v_mad_i64_i32 v[36:37], s[6:7], v35, s17, 0
	v_lshl_add_u64 v[36:37], v[36:37], 2, v[18:19]
	global_load_dword v35, v[36:37], off offset:256
	global_load_dword v38, v[36:37], off
	global_load_dword v39, v[36:37], off offset:512
	global_load_dword v40, v[36:37], off offset:768
	;; [unrolled: 1-line block ×13, first 2 shown]
	s_nop 0
	global_load_dword v36, v[36:37], off offset:3840
	s_waitcnt vmcnt(15) lgkmcnt(3)
	v_mul_f32_e32 v35, v3, v35
	s_waitcnt vmcnt(14)
	v_fmac_f32_e32 v35, v2, v38
	s_waitcnt vmcnt(13)
	v_fmac_f32_e32 v35, v4, v39
	s_waitcnt vmcnt(12)
	v_fmac_f32_e32 v35, v5, v40
	s_waitcnt vmcnt(11) lgkmcnt(2)
	v_fmac_f32_e32 v35, v6, v41
	s_waitcnt vmcnt(10)
	v_fmac_f32_e32 v35, v7, v42
	s_waitcnt vmcnt(9)
	v_fmac_f32_e32 v35, v8, v43
	s_waitcnt vmcnt(8)
	v_fmac_f32_e32 v35, v9, v44
	s_waitcnt vmcnt(7) lgkmcnt(1)
	v_fmac_f32_e32 v35, v10, v45
	;; [unrolled: 8-line block ×3, first 2 shown]
	s_waitcnt vmcnt(2)
	v_fmac_f32_e32 v35, v15, v50
	s_waitcnt vmcnt(1)
	v_fmac_f32_e32 v35, v16, v51
	;; [unrolled: 2-line block ×3, first 2 shown]
	ds_bpermute_b32 v36, v27, v35
	s_waitcnt lgkmcnt(0)
	v_add_f32_e32 v35, v35, v36
	ds_bpermute_b32 v36, v29, v35
	s_waitcnt lgkmcnt(0)
	v_add_f32_e32 v35, v35, v36
	ds_bpermute_b32 v36, v31, v35
	s_and_saveexec_b64 s[30:31], vcc
	s_cbranch_execz .LBB15_8
; %bb.10:                               ;   in Loop: Header=BB15_9 Depth=1
	v_add_u32_e32 v37, s15, v32
	v_cvt_f32_i32_e32 v37, v37
	s_waitcnt lgkmcnt(0)
	v_add_f32_e32 v35, v35, v36
	v_cmp_gt_i32_e64 s[6:7], s33, v32
	v_max_f32_e32 v36, v25, v25
	v_mul_f32_e32 v37, s8, v37
	v_cndmask_b32_e64 v37, 0, v37, s[0:1]
	v_fmac_f32_e32 v37, s9, v35
	v_cndmask_b32_e64 v35, 0, v37, s[6:7]
	ds_write_b32 v33, v35
	v_max_f32_e32 v35, v36, v37
	v_cndmask_b32_e64 v25, v25, v35, s[6:7]
	s_branch .LBB15_8
.LBB15_11:
	s_or_b64 exec, exec, s[28:29]
.LBB15_12:
	s_or_b64 exec, exec, s[26:27]
	v_xor_b32_e32 v2, 32, v22
	v_cmp_lt_i32_e32 vcc, v2, v23
	v_xor_b32_e32 v5, 16, v22
	v_max_f32_e32 v4, v25, v25
	v_cndmask_b32_e32 v2, v22, v2, vcc
	v_lshlrev_b32_e32 v3, 2, v2
	ds_bpermute_b32 v2, v3, v25
	v_cmp_lt_i32_e32 vcc, v5, v23
	v_xor_b32_e32 v6, 8, v22
	v_and_b32_e32 v31, 63, v0
	s_waitcnt lgkmcnt(0)
	v_max_f32_e32 v2, v2, v2
	v_max_f32_e32 v2, v4, v2
	v_cndmask_b32_e32 v4, v22, v5, vcc
	v_lshlrev_b32_e32 v5, 2, v4
	ds_bpermute_b32 v4, v5, v2
	v_cmp_lt_i32_e32 vcc, v6, v23
	s_waitcnt lgkmcnt(0)
	v_max_f32_e32 v4, v4, v4
	v_max_f32_e32 v4, v2, v4
	v_cndmask_b32_e32 v2, v22, v6, vcc
	v_lshlrev_b32_e32 v6, 2, v2
	ds_bpermute_b32 v7, v6, v4
	v_cmp_eq_u32_e32 vcc, 0, v31
	v_lshlrev_b32_e32 v2, 2, v30
	s_and_saveexec_b64 s[0:1], vcc
	s_cbranch_execz .LBB15_14
; %bb.13:
	s_waitcnt lgkmcnt(0)
	v_max_f32_e32 v7, v7, v7
	v_max_f32_e32 v4, v4, v4
	;; [unrolled: 1-line block ×3, first 2 shown]
	ds_write_b32 v2, v4 offset:512
.LBB15_14:
	s_or_b64 exec, exec, s[0:1]
	v_cmp_gt_u32_e64 s[0:1], 2, v31
	s_waitcnt lgkmcnt(0)
	v_mov_b32_e32 v7, 0xff7fffff
	v_lshlrev_b32_e32 v4, 2, v31
	s_barrier
	s_and_saveexec_b64 s[6:7], s[0:1]
; %bb.15:
	ds_read_b32 v7, v4 offset:512
; %bb.16:
	s_or_b64 exec, exec, s[6:7]
	v_xor_b32_e32 v8, 1, v22
	v_cmp_lt_i32_e64 s[6:7], v8, v23
	s_nop 1
	v_cndmask_b32_e64 v8, v22, v8, s[6:7]
	v_lshlrev_b32_e32 v32, 2, v8
	s_waitcnt lgkmcnt(0)
	ds_bpermute_b32 v8, v32, v7
	v_max_f32_e32 v7, v7, v7
	s_lshl_b32 s6, s12, 3
	s_min_i32 s15, s6, s33
	v_cmp_gt_i32_e64 s[6:7], s15, v0
	s_waitcnt lgkmcnt(0)
	v_max_f32_e32 v8, v8, v8
	v_max_f32_e32 v7, v7, v8
	v_lshlrev_b32_e32 v8, 2, v24
	ds_bpermute_b32 v8, v8, v7
	v_mov_b32_e32 v7, 0
	s_and_saveexec_b64 s[26:27], s[6:7]
	s_cbranch_execz .LBB15_20
; %bb.17:
	v_mov_b32_e32 v7, 0x210
	v_lshl_add_u32 v9, v0, 2, v7
	v_mov_b32_e32 v7, 0
	s_mov_b64 s[28:29], 0
	v_mov_b32_e32 v10, v0
.LBB15_18:                              ; =>This Inner Loop Header: Depth=1
	ds_read_b32 v11, v9
	v_add_u32_e32 v10, 0x80, v10
	v_cmp_le_i32_e64 s[8:9], s15, v10
	s_or_b64 s[28:29], s[8:9], s[28:29]
	s_waitcnt lgkmcnt(0)
	v_sub_f32_e32 v11, v11, v8
	v_mul_f32_e32 v11, 0x3fb8aa3b, v11
	v_exp_f32_e32 v11, v11
	ds_write_b32 v9, v11
	v_add_f32_e32 v7, v7, v11
	v_add_u32_e32 v9, 0x200, v9
	s_andn2_b64 exec, exec, s[28:29]
	s_cbranch_execnz .LBB15_18
; %bb.19:
	s_or_b64 exec, exec, s[28:29]
.LBB15_20:
	s_or_b64 exec, exec, s[26:27]
	ds_bpermute_b32 v3, v3, v7
	s_waitcnt lgkmcnt(0)
	v_add_f32_e32 v3, v7, v3
	ds_bpermute_b32 v5, v5, v3
	s_waitcnt lgkmcnt(0)
	v_add_f32_e32 v3, v3, v5
	ds_bpermute_b32 v5, v6, v3
	v_xor_b32_e32 v6, 4, v22
	v_cmp_lt_i32_e64 s[8:9], v6, v23
	s_waitcnt lgkmcnt(0)
	v_add_f32_e32 v3, v3, v5
	v_cndmask_b32_e64 v6, v22, v6, s[8:9]
	v_lshlrev_b32_e32 v6, 2, v6
	ds_bpermute_b32 v5, v6, v3
	v_xor_b32_e32 v6, 2, v22
	v_cmp_lt_i32_e64 s[8:9], v6, v23
	s_waitcnt lgkmcnt(0)
	v_add_f32_e32 v3, v3, v5
	v_cndmask_b32_e64 v6, v22, v6, s[8:9]
	v_lshlrev_b32_e32 v5, 2, v6
	ds_bpermute_b32 v5, v5, v3
	s_waitcnt lgkmcnt(0)
	v_add_f32_e32 v3, v3, v5
	ds_bpermute_b32 v5, v32, v3
	s_waitcnt lgkmcnt(0)
	v_add_f32_e32 v3, v3, v5
	s_and_saveexec_b64 s[8:9], vcc
; %bb.21:
	ds_write_b32 v2, v3 offset:520
; %bb.22:
	s_or_b64 exec, exec, s[8:9]
	s_waitcnt lgkmcnt(0)
	s_barrier
	s_and_saveexec_b64 s[8:9], s[0:1]
; %bb.23:
	ds_read_b32 v3, v4 offset:520
; %bb.24:
	s_or_b64 exec, exec, s[8:9]
	s_waitcnt lgkmcnt(0)
	ds_bpermute_b32 v2, v32, v3
	v_lshlrev_b32_e32 v4, 2, v22
	s_waitcnt lgkmcnt(0)
	v_add_f32_e32 v2, v3, v2
	v_and_b32_e32 v3, 0xffffff00, v4
	ds_bpermute_b32 v2, v3, v2
	s_and_saveexec_b64 s[0:1], s[6:7]
	s_cbranch_execz .LBB15_37
; %bb.25:
	s_waitcnt lgkmcnt(0)
	v_add_f32_e32 v2, 0x358637bd, v2
	v_div_scale_f32 v3, s[6:7], v2, v2, 1.0
	v_rcp_f32_e32 v4, v3
	v_div_scale_f32 v5, vcc, 1.0, v2, 1.0
	s_movk_i32 s6, 0x7f
	v_fma_f32 v6, -v3, v4, 1.0
	v_fmac_f32_e32 v4, v6, v4
	v_mul_f32_e32 v6, v5, v4
	v_fma_f32 v7, -v3, v6, v5
	v_fmac_f32_e32 v6, v7, v4
	v_fma_f32 v3, -v3, v6, v5
	v_div_fmas_f32 v3, v3, v4, v6
	v_xad_u32 v4, v0, -1, s15
	v_div_fixup_f32 v2, v3, v2, 1.0
	v_cmp_lt_u32_e32 vcc, s6, v4
	s_mov_b64 s[8:9], -1
	v_mov_b32_e32 v3, v0
	s_and_saveexec_b64 s[6:7], vcc
	s_cbranch_execz .LBB15_34
; %bb.26:
	v_lshrrev_b32_e32 v4, 7, v4
	v_add_u32_e32 v6, -1, v4
	v_lshrrev_b32_e32 v5, 1, v6
	v_mov_b32_e32 v3, v2
	v_add_u32_e32 v5, 1, v5
	v_cmp_lt_u32_e32 vcc, 13, v6
	v_mov_b32_e32 v8, 0
	s_and_saveexec_b64 s[8:9], vcc
	s_cbranch_execz .LBB15_30
; %bb.27:
	v_mov_b32_e32 v7, 0x210
	v_and_b32_e32 v6, -8, v5
	v_lshl_add_u32 v7, v0, 2, v7
	s_mov_b32 s17, 0
	s_mov_b64 s[26:27], 0
.LBB15_28:                              ; =>This Inner Loop Header: Depth=1
	ds_read2st64_b32 v[8:9], v7 offset1:2
	ds_read2st64_b32 v[10:11], v7 offset0:4 offset1:6
	ds_read2st64_b32 v[12:13], v7 offset0:8 offset1:10
	;; [unrolled: 1-line block ×3, first 2 shown]
	v_add_u32_e32 v6, -8, v6
	s_waitcnt lgkmcnt(3)
	v_pk_mul_f32 v[8:9], v[2:3], v[8:9]
	s_waitcnt lgkmcnt(2)
	v_pk_mul_f32 v[10:11], v[2:3], v[10:11]
	ds_write2st64_b32 v7, v8, v9 offset1:2
	ds_write2st64_b32 v7, v10, v11 offset0:4 offset1:6
	ds_read2st64_b32 v[10:11], v7 offset0:16 offset1:18
	s_waitcnt lgkmcnt(4)
	v_pk_mul_f32 v[8:9], v[2:3], v[12:13]
	ds_write2st64_b32 v7, v8, v9 offset0:8 offset1:10
	s_waitcnt lgkmcnt(4)
	v_pk_mul_f32 v[8:9], v[2:3], v[14:15]
	ds_write2st64_b32 v7, v8, v9 offset0:12 offset1:14
	ds_read2st64_b32 v[8:9], v7 offset0:20 offset1:22
	s_waitcnt lgkmcnt(3)
	v_pk_mul_f32 v[10:11], v[2:3], v[10:11]
	ds_read2st64_b32 v[12:13], v7 offset0:24 offset1:26
	ds_write2st64_b32 v7, v10, v11 offset0:16 offset1:18
	ds_read2st64_b32 v[10:11], v7 offset0:28 offset1:30
	s_waitcnt lgkmcnt(3)
	v_pk_mul_f32 v[8:9], v[2:3], v[8:9]
	ds_write2st64_b32 v7, v8, v9 offset0:20 offset1:22
	s_waitcnt lgkmcnt(3)
	v_pk_mul_f32 v[8:9], v[2:3], v[12:13]
	ds_write2st64_b32 v7, v8, v9 offset0:24 offset1:26
	s_waitcnt lgkmcnt(2)
	v_pk_mul_f32 v[8:9], v[2:3], v[10:11]
	s_add_i32 s17, s17, 16
	v_cmp_eq_u32_e32 vcc, 0, v6
	ds_write2st64_b32 v7, v8, v9 offset0:28 offset1:30
	v_add_u32_e32 v7, 0x2000, v7
	s_or_b64 s[26:27], vcc, s[26:27]
	v_mov_b32_e32 v8, s17
	s_andn2_b64 exec, exec, s[26:27]
	s_cbranch_execnz .LBB15_28
; %bb.29:
	s_or_b64 exec, exec, s[26:27]
.LBB15_30:
	s_or_b64 exec, exec, s[8:9]
	v_and_b32_e32 v5, 7, v5
	v_cmp_ne_u32_e32 vcc, 0, v5
	s_and_saveexec_b64 s[8:9], vcc
	s_cbranch_execz .LBB15_33
; %bb.31:
	v_lshlrev_b32_e32 v6, 9, v8
	s_movk_i32 s17, 0x210
	v_add3_u32 v6, v6, v26, s17
	s_mov_b64 s[26:27], 0
.LBB15_32:                              ; =>This Inner Loop Header: Depth=1
	ds_read2st64_b32 v[8:9], v6 offset1:2
	v_add_u32_e32 v5, -1, v5
	v_cmp_eq_u32_e32 vcc, 0, v5
	s_or_b64 s[26:27], vcc, s[26:27]
	s_waitcnt lgkmcnt(0)
	v_pk_mul_f32 v[8:9], v[2:3], v[8:9]
	ds_write2st64_b32 v6, v8, v9 offset1:2
	v_add_u32_e32 v6, 0x400, v6
	s_andn2_b64 exec, exec, s[26:27]
	s_cbranch_execnz .LBB15_32
.LBB15_33:
	s_or_b64 exec, exec, s[8:9]
	v_add_u32_e32 v4, 1, v4
	v_and_b32_e32 v5, 0x3fffffe, v4
	v_cmp_ne_u32_e32 vcc, v4, v5
	v_lshl_add_u32 v3, v5, 7, v0
	s_orn2_b64 s[8:9], vcc, exec
.LBB15_34:
	s_or_b64 exec, exec, s[6:7]
	s_and_b64 exec, exec, s[8:9]
	s_cbranch_execz .LBB15_37
; %bb.35:
	v_mov_b32_e32 v4, 0x210
	v_lshl_add_u32 v4, v3, 2, v4
	s_mov_b64 s[6:7], 0
.LBB15_36:                              ; =>This Inner Loop Header: Depth=1
	ds_read_b32 v5, v4
	v_add_u32_e32 v3, 0x80, v3
	v_cmp_le_i32_e32 vcc, s15, v3
	s_or_b64 s[6:7], vcc, s[6:7]
	s_waitcnt lgkmcnt(0)
	v_mul_f32_e32 v5, v2, v5
	ds_write_b32 v4, v5
	v_add_u32_e32 v4, 0x200, v4
	s_andn2_b64 exec, exec, s[6:7]
	s_cbranch_execnz .LBB15_36
.LBB15_37:
	s_or_b64 exec, exec, s[0:1]
	v_mov_b32_e32 v23, 0
	v_and_b32_e32 v33, 1, v0
	v_mov_b32_e32 v22, v23
	v_mov_b32_e32 v25, v23
	;; [unrolled: 1-line block ×3, first 2 shown]
	s_waitcnt lgkmcnt(0)
	s_barrier
	s_and_saveexec_b64 s[6:7], s[2:3]
	s_cbranch_execz .LBB15_49
; %bb.38:
	s_ashr_i32 s15, s14, 31
	s_lshl_b64 s[0:1], s[14:15], 2
	s_add_u32 s0, s24, s0
	v_lshlrev_b32_e32 v3, 4, v0
	s_addc_u32 s1, s25, s1
	v_and_b32_e32 v22, 0x3f0, v3
	v_mov_b32_e32 v23, 0
	v_and_b32_e32 v2, 4, v26
	s_add_i32 s14, s12, -1
	v_lshl_add_u64 v[26:27], s[0:1], 0, v[22:23]
	s_lshl_b64 s[0:1], s[22:23], 2
	v_lshl_or_b32 v34, v30, 3, v2
	v_lshlrev_b32_e32 v2, 4, v33
	s_add_u32 s0, s20, s0
	v_lshl_or_b32 v2, v30, 5, v2
	v_and_b32_e32 v22, 60, v28
	s_addc_u32 s1, s21, s1
	s_mov_b32 s15, s33
	v_add_u32_e32 v35, 0x210, v2
	v_lshl_add_u64 v[28:29], s[0:1], 0, v[22:23]
	s_mov_b64 s[2:3], 0
	v_mov_b32_e32 v22, v23
	v_mov_b32_e32 v25, v23
	v_mov_b32_e32 v24, v23
	s_branch .LBB15_40
.LBB15_39:                              ;   in Loop: Header=BB15_40 Depth=1
	s_or_b64 exec, exec, s[0:1]
	s_waitcnt vmcnt(1) lgkmcnt(0)
	v_mul_f32_e32 v14, v2, v14
	v_mul_f32_e32 v10, v2, v10
	;; [unrolled: 1-line block ×3, first 2 shown]
	v_fmac_f32_e32 v14, v3, v15
	v_fmac_f32_e32 v10, v3, v11
	;; [unrolled: 1-line block ×6, first 2 shown]
	s_waitcnt vmcnt(0)
	v_pk_mul_f32 v[2:3], v[2:3], v[18:19]
	v_fmac_f32_e32 v14, v5, v17
	v_fmac_f32_e32 v10, v5, v13
	;; [unrolled: 1-line block ×3, first 2 shown]
	v_pk_mul_f32 v[4:5], v[4:5], v[20:21]
	v_add_f32_e32 v2, v3, v2
	v_add_f32_e32 v2, v4, v2
	v_add_u32_e32 v30, 2, v30
	v_add_f32_e32 v2, v5, v2
	v_cmp_le_i32_e32 vcc, s12, v30
	v_add_f32_e32 v22, v22, v14
	v_add_f32_e32 v25, v25, v10
	;; [unrolled: 1-line block ×4, first 2 shown]
	v_add_u32_e32 v34, 16, v34
	v_add_u32_e32 v35, 64, v35
	s_or_b64 s[2:3], vcc, s[2:3]
	v_lshl_add_u64 v[28:29], v[28:29], 0, 8
	s_andn2_b64 exec, exec, s[2:3]
	s_cbranch_execz .LBB15_48
.LBB15_40:                              ; =>This Inner Loop Header: Depth=1
	global_load_dword v2, v[28:29], off
	v_cmp_eq_u32_e32 vcc, s14, v30
	v_add_u32_e32 v38, 1, v34
	v_or_b32_e32 v37, 3, v34
	v_or_b32_e32 v36, 2, v34
	s_waitcnt vmcnt(0)
	v_mad_i64_i32 v[2:3], s[0:1], v2, s13, 0
	v_lshl_add_u64 v[18:19], v[2:3], 2, v[26:27]
	global_load_dwordx4 v[6:9], v[18:19], off
	ds_read_b128 v[2:5], v35
	s_and_saveexec_b64 s[8:9], vcc
	s_cbranch_execnz .LBB15_44
; %bb.41:                               ;   in Loop: Header=BB15_40 Depth=1
	s_or_b64 exec, exec, s[8:9]
	global_load_dwordx4 v[10:13], v[18:19], off offset:1024
	s_and_saveexec_b64 s[8:9], vcc
	s_cbranch_execnz .LBB15_45
.LBB15_42:                              ;   in Loop: Header=BB15_40 Depth=1
	s_or_b64 exec, exec, s[8:9]
	global_load_dwordx4 v[14:17], v[18:19], off offset:2048
	s_and_saveexec_b64 s[8:9], vcc
	s_cbranch_execnz .LBB15_46
.LBB15_43:                              ;   in Loop: Header=BB15_40 Depth=1
	s_or_b64 exec, exec, s[8:9]
	global_load_dwordx4 v[18:21], v[18:19], off offset:3072
	s_and_saveexec_b64 s[0:1], vcc
	s_cbranch_execz .LBB15_39
	s_branch .LBB15_47
.LBB15_44:                              ;   in Loop: Header=BB15_40 Depth=1
	v_cmp_gt_i32_e64 s[0:1], s15, v38
	s_waitcnt vmcnt(0)
	s_nop 0
	v_cndmask_b32_e64 v7, 0, v7, s[0:1]
	v_cmp_gt_i32_e64 s[0:1], s33, v34
	s_nop 1
	v_cndmask_b32_e64 v6, 0, v6, s[0:1]
	v_cmp_gt_i32_e64 s[0:1], s15, v37
	;; [unrolled: 3-line block ×3, first 2 shown]
	s_nop 1
	v_cndmask_b32_e64 v8, 0, v8, s[0:1]
	s_or_b64 exec, exec, s[8:9]
	global_load_dwordx4 v[10:13], v[18:19], off offset:1024
	s_and_saveexec_b64 s[8:9], vcc
	s_cbranch_execz .LBB15_42
.LBB15_45:                              ;   in Loop: Header=BB15_40 Depth=1
	v_cmp_gt_i32_e64 s[0:1], s15, v38
	s_waitcnt vmcnt(0)
	s_nop 0
	v_cndmask_b32_e64 v11, 0, v11, s[0:1]
	v_cmp_gt_i32_e64 s[0:1], s33, v34
	s_nop 1
	v_cndmask_b32_e64 v10, 0, v10, s[0:1]
	v_cmp_gt_i32_e64 s[0:1], s15, v37
	;; [unrolled: 3-line block ×3, first 2 shown]
	s_nop 1
	v_cndmask_b32_e64 v12, 0, v12, s[0:1]
	s_or_b64 exec, exec, s[8:9]
	global_load_dwordx4 v[14:17], v[18:19], off offset:2048
	s_and_saveexec_b64 s[8:9], vcc
	s_cbranch_execz .LBB15_43
.LBB15_46:                              ;   in Loop: Header=BB15_40 Depth=1
	v_cmp_gt_i32_e64 s[0:1], s15, v38
	s_waitcnt vmcnt(0)
	s_nop 0
	v_cndmask_b32_e64 v15, 0, v15, s[0:1]
	v_cmp_gt_i32_e64 s[0:1], s33, v34
	s_nop 1
	v_cndmask_b32_e64 v14, 0, v14, s[0:1]
	v_cmp_gt_i32_e64 s[0:1], s15, v37
	;; [unrolled: 3-line block ×3, first 2 shown]
	s_nop 1
	v_cndmask_b32_e64 v16, 0, v16, s[0:1]
	s_or_b64 exec, exec, s[8:9]
	global_load_dwordx4 v[18:21], v[18:19], off offset:3072
	s_and_saveexec_b64 s[0:1], vcc
	s_cbranch_execz .LBB15_39
.LBB15_47:                              ;   in Loop: Header=BB15_40 Depth=1
	v_cmp_gt_i32_e32 vcc, s15, v38
	s_waitcnt vmcnt(0)
	s_nop 0
	v_cndmask_b32_e32 v19, 0, v19, vcc
	v_cmp_gt_i32_e32 vcc, s33, v34
	s_nop 1
	v_cndmask_b32_e32 v18, 0, v18, vcc
	v_cmp_gt_i32_e32 vcc, s15, v37
	;; [unrolled: 3-line block ×3, first 2 shown]
	s_nop 1
	v_cndmask_b32_e32 v20, 0, v20, vcc
	s_branch .LBB15_39
.LBB15_48:
	s_or_b64 exec, exec, s[2:3]
.LBB15_49:
	s_or_b64 exec, exec, s[6:7]
	ds_bpermute_b32 v2, v32, v24
	ds_bpermute_b32 v3, v32, v25
	;; [unrolled: 1-line block ×4, first 2 shown]
	v_and_b32_e32 v6, 0x3c1, v0
	v_cmp_ne_u32_e32 vcc, 64, v6
	s_waitcnt lgkmcnt(2)
	v_pk_add_f32 v[2:3], v[24:25], v[2:3]
	s_waitcnt lgkmcnt(0)
	s_barrier
	s_and_saveexec_b64 s[0:1], vcc
	s_xor_b64 s[0:1], exec, s[0:1]
; %bb.50:
                                        ; implicit-def: $vgpr31
; %bb.51:
	s_or_saveexec_b64 s[0:1], s[0:1]
	v_pk_add_f32 v[4:5], v[22:23], v[4:5]
	s_xor_b64 exec, exec, s[0:1]
	s_cbranch_execz .LBB15_53
; %bb.52:
	v_mov_b32_e32 v7, 0x210
	v_lshl_add_u32 v7, v31, 1, v7
	ds_write2_b32 v7, v2, v3 offset1:32
	ds_write2_b32 v7, v4, v5 offset0:64 offset1:96
.LBB15_53:
	s_or_b64 exec, exec, s[0:1]
	v_cmp_gt_u32_e32 vcc, 64, v0
	s_waitcnt lgkmcnt(0)
	s_barrier
	s_and_saveexec_b64 s[0:1], vcc
	s_cbranch_execz .LBB15_60
; %bb.54:
	v_mov_b32_e32 v0, 0x210
	v_cmp_eq_u32_e32 vcc, 0, v33
	v_lshl_add_u32 v0, v1, 2, v0
	s_and_saveexec_b64 s[2:3], vcc
	s_cbranch_execnz .LBB15_63
; %bb.55:
	s_or_b64 exec, exec, s[2:3]
	s_and_saveexec_b64 s[2:3], vcc
	s_cbranch_execnz .LBB15_64
.LBB15_56:
	s_or_b64 exec, exec, s[2:3]
	s_and_saveexec_b64 s[2:3], vcc
	s_cbranch_execnz .LBB15_65
.LBB15_57:
	s_or_b64 exec, exec, s[2:3]
	s_and_saveexec_b64 s[2:3], vcc
	s_cbranch_execz .LBB15_59
.LBB15_58:
	ds_read_b32 v0, v0 offset:384
	s_waitcnt lgkmcnt(0)
	v_add_f32_e32 v5, v5, v0
.LBB15_59:
	s_or_b64 exec, exec, s[2:3]
.LBB15_60:
	s_or_b64 exec, exec, s[0:1]
	v_cmp_eq_u32_e32 vcc, 0, v6
	s_barrier
	s_and_saveexec_b64 s[0:1], vcc
	s_cbranch_execz .LBB15_62
; %bb.61:
	s_mul_i32 s0, s10, s11
	s_mul_i32 s0, s0, s5
	s_lshl_b32 s0, s0, 7
	s_ashr_i32 s1, s0, 31
	s_lshl_b64 s[0:1], s[0:1], 2
	s_add_u32 s2, s18, s0
	s_mul_i32 s0, s11, s16
	s_addc_u32 s3, s19, s1
	s_ashr_i32 s1, s0, 31
	s_lshl_b64 s[0:1], s[0:1], 2
	s_add_u32 s2, s2, s0
	s_addc_u32 s3, s3, s1
	s_lshl_b32 s0, s4, 7
	s_ashr_i32 s1, s0, 31
	s_lshl_b64 s[0:1], s[0:1], 2
	s_add_u32 s0, s2, s0
	s_addc_u32 s1, s3, s1
	v_lshlrev_b32_e32 v0, 2, v1
	global_store_dword v0, v2, s[0:1]
	global_store_dword v0, v3, s[0:1] offset:128
	global_store_dword v0, v4, s[0:1] offset:256
	;; [unrolled: 1-line block ×3, first 2 shown]
.LBB15_62:
	s_endpgm
.LBB15_63:
	ds_read_b32 v7, v0
	s_waitcnt lgkmcnt(0)
	v_add_f32_e32 v2, v2, v7
	s_or_b64 exec, exec, s[2:3]
	s_and_saveexec_b64 s[2:3], vcc
	s_cbranch_execz .LBB15_56
.LBB15_64:
	ds_read_b32 v7, v0 offset:128
	s_waitcnt lgkmcnt(0)
	v_add_f32_e32 v3, v3, v7
	s_or_b64 exec, exec, s[2:3]
	s_and_saveexec_b64 s[2:3], vcc
	s_cbranch_execz .LBB15_57
.LBB15_65:
	ds_read_b32 v7, v0 offset:256
	s_waitcnt lgkmcnt(0)
	v_add_f32_e32 v4, v4, v7
	s_or_b64 exec, exec, s[2:3]
	s_and_saveexec_b64 s[2:3], vcc
	s_cbranch_execnz .LBB15_58
	s_branch .LBB15_59
	.section	.rodata,"a",@progbits
	.p2align	6, 0x0
	.amdhsa_kernel _ZN4vllm25paged_attention_v1_kernelIffLi128ELi8ELi128ELNS_18Fp8KVCacheDataTypeE0ELb0EEEvPT_PKS2_PKT0_S8_ifPKiSA_iPKfiiiSC_SC_iiiii
		.amdhsa_group_segment_fixed_size 528
		.amdhsa_private_segment_fixed_size 0
		.amdhsa_kernarg_size 384
		.amdhsa_user_sgpr_count 2
		.amdhsa_user_sgpr_dispatch_ptr 0
		.amdhsa_user_sgpr_queue_ptr 0
		.amdhsa_user_sgpr_kernarg_segment_ptr 1
		.amdhsa_user_sgpr_dispatch_id 0
		.amdhsa_user_sgpr_kernarg_preload_length 0
		.amdhsa_user_sgpr_kernarg_preload_offset 0
		.amdhsa_user_sgpr_private_segment_size 0
		.amdhsa_uses_dynamic_stack 0
		.amdhsa_enable_private_segment 0
		.amdhsa_system_sgpr_workgroup_id_x 1
		.amdhsa_system_sgpr_workgroup_id_y 1
		.amdhsa_system_sgpr_workgroup_id_z 1
		.amdhsa_system_sgpr_workgroup_info 0
		.amdhsa_system_vgpr_workitem_id 0
		.amdhsa_next_free_vgpr 52
		.amdhsa_next_free_sgpr 34
		.amdhsa_accum_offset 52
		.amdhsa_reserve_vcc 1
		.amdhsa_float_round_mode_32 0
		.amdhsa_float_round_mode_16_64 0
		.amdhsa_float_denorm_mode_32 3
		.amdhsa_float_denorm_mode_16_64 3
		.amdhsa_dx10_clamp 1
		.amdhsa_ieee_mode 1
		.amdhsa_fp16_overflow 0
		.amdhsa_tg_split 0
		.amdhsa_exception_fp_ieee_invalid_op 0
		.amdhsa_exception_fp_denorm_src 0
		.amdhsa_exception_fp_ieee_div_zero 0
		.amdhsa_exception_fp_ieee_overflow 0
		.amdhsa_exception_fp_ieee_underflow 0
		.amdhsa_exception_fp_ieee_inexact 0
		.amdhsa_exception_int_div_zero 0
	.end_amdhsa_kernel
	.section	.text._ZN4vllm25paged_attention_v1_kernelIffLi128ELi8ELi128ELNS_18Fp8KVCacheDataTypeE0ELb0EEEvPT_PKS2_PKT0_S8_ifPKiSA_iPKfiiiSC_SC_iiiii,"axG",@progbits,_ZN4vllm25paged_attention_v1_kernelIffLi128ELi8ELi128ELNS_18Fp8KVCacheDataTypeE0ELb0EEEvPT_PKS2_PKT0_S8_ifPKiSA_iPKfiiiSC_SC_iiiii,comdat
.Lfunc_end15:
	.size	_ZN4vllm25paged_attention_v1_kernelIffLi128ELi8ELi128ELNS_18Fp8KVCacheDataTypeE0ELb0EEEvPT_PKS2_PKT0_S8_ifPKiSA_iPKfiiiSC_SC_iiiii, .Lfunc_end15-_ZN4vllm25paged_attention_v1_kernelIffLi128ELi8ELi128ELNS_18Fp8KVCacheDataTypeE0ELb0EEEvPT_PKS2_PKT0_S8_ifPKiSA_iPKfiiiSC_SC_iiiii
                                        ; -- End function
	.set _ZN4vllm25paged_attention_v1_kernelIffLi128ELi8ELi128ELNS_18Fp8KVCacheDataTypeE0ELb0EEEvPT_PKS2_PKT0_S8_ifPKiSA_iPKfiiiSC_SC_iiiii.num_vgpr, 52
	.set _ZN4vllm25paged_attention_v1_kernelIffLi128ELi8ELi128ELNS_18Fp8KVCacheDataTypeE0ELb0EEEvPT_PKS2_PKT0_S8_ifPKiSA_iPKfiiiSC_SC_iiiii.num_agpr, 0
	.set _ZN4vllm25paged_attention_v1_kernelIffLi128ELi8ELi128ELNS_18Fp8KVCacheDataTypeE0ELb0EEEvPT_PKS2_PKT0_S8_ifPKiSA_iPKfiiiSC_SC_iiiii.numbered_sgpr, 34
	.set _ZN4vllm25paged_attention_v1_kernelIffLi128ELi8ELi128ELNS_18Fp8KVCacheDataTypeE0ELb0EEEvPT_PKS2_PKT0_S8_ifPKiSA_iPKfiiiSC_SC_iiiii.num_named_barrier, 0
	.set _ZN4vllm25paged_attention_v1_kernelIffLi128ELi8ELi128ELNS_18Fp8KVCacheDataTypeE0ELb0EEEvPT_PKS2_PKT0_S8_ifPKiSA_iPKfiiiSC_SC_iiiii.private_seg_size, 0
	.set _ZN4vllm25paged_attention_v1_kernelIffLi128ELi8ELi128ELNS_18Fp8KVCacheDataTypeE0ELb0EEEvPT_PKS2_PKT0_S8_ifPKiSA_iPKfiiiSC_SC_iiiii.uses_vcc, 1
	.set _ZN4vllm25paged_attention_v1_kernelIffLi128ELi8ELi128ELNS_18Fp8KVCacheDataTypeE0ELb0EEEvPT_PKS2_PKT0_S8_ifPKiSA_iPKfiiiSC_SC_iiiii.uses_flat_scratch, 0
	.set _ZN4vllm25paged_attention_v1_kernelIffLi128ELi8ELi128ELNS_18Fp8KVCacheDataTypeE0ELb0EEEvPT_PKS2_PKT0_S8_ifPKiSA_iPKfiiiSC_SC_iiiii.has_dyn_sized_stack, 0
	.set _ZN4vllm25paged_attention_v1_kernelIffLi128ELi8ELi128ELNS_18Fp8KVCacheDataTypeE0ELb0EEEvPT_PKS2_PKT0_S8_ifPKiSA_iPKfiiiSC_SC_iiiii.has_recursion, 0
	.set _ZN4vllm25paged_attention_v1_kernelIffLi128ELi8ELi128ELNS_18Fp8KVCacheDataTypeE0ELb0EEEvPT_PKS2_PKT0_S8_ifPKiSA_iPKfiiiSC_SC_iiiii.has_indirect_call, 0
	.section	.AMDGPU.csdata,"",@progbits
; Kernel info:
; codeLenInByte = 3912
; TotalNumSgprs: 40
; NumVgprs: 52
; NumAgprs: 0
; TotalNumVgprs: 52
; ScratchSize: 0
; MemoryBound: 0
; FloatMode: 240
; IeeeMode: 1
; LDSByteSize: 528 bytes/workgroup (compile time only)
; SGPRBlocks: 4
; VGPRBlocks: 6
; NumSGPRsForWavesPerEU: 40
; NumVGPRsForWavesPerEU: 52
; AccumOffset: 52
; Occupancy: 8
; WaveLimiterHint : 1
; COMPUTE_PGM_RSRC2:SCRATCH_EN: 0
; COMPUTE_PGM_RSRC2:USER_SGPR: 2
; COMPUTE_PGM_RSRC2:TRAP_HANDLER: 0
; COMPUTE_PGM_RSRC2:TGID_X_EN: 1
; COMPUTE_PGM_RSRC2:TGID_Y_EN: 1
; COMPUTE_PGM_RSRC2:TGID_Z_EN: 1
; COMPUTE_PGM_RSRC2:TIDIG_COMP_CNT: 0
; COMPUTE_PGM_RSRC3_GFX90A:ACCUM_OFFSET: 12
; COMPUTE_PGM_RSRC3_GFX90A:TG_SPLIT: 0
	.section	.text._ZN4vllm25paged_attention_v1_kernelIffLi192ELi8ELi128ELNS_18Fp8KVCacheDataTypeE0ELb0EEEvPT_PKS2_PKT0_S8_ifPKiSA_iPKfiiiSC_SC_iiiii,"axG",@progbits,_ZN4vllm25paged_attention_v1_kernelIffLi192ELi8ELi128ELNS_18Fp8KVCacheDataTypeE0ELb0EEEvPT_PKS2_PKT0_S8_ifPKiSA_iPKfiiiSC_SC_iiiii,comdat
	.protected	_ZN4vllm25paged_attention_v1_kernelIffLi192ELi8ELi128ELNS_18Fp8KVCacheDataTypeE0ELb0EEEvPT_PKS2_PKT0_S8_ifPKiSA_iPKfiiiSC_SC_iiiii ; -- Begin function _ZN4vllm25paged_attention_v1_kernelIffLi192ELi8ELi128ELNS_18Fp8KVCacheDataTypeE0ELb0EEEvPT_PKS2_PKT0_S8_ifPKiSA_iPKfiiiSC_SC_iiiii
	.globl	_ZN4vllm25paged_attention_v1_kernelIffLi192ELi8ELi128ELNS_18Fp8KVCacheDataTypeE0ELb0EEEvPT_PKS2_PKT0_S8_ifPKiSA_iPKfiiiSC_SC_iiiii
	.p2align	8
	.type	_ZN4vllm25paged_attention_v1_kernelIffLi192ELi8ELi128ELNS_18Fp8KVCacheDataTypeE0ELb0EEEvPT_PKS2_PKT0_S8_ifPKiSA_iPKfiiiSC_SC_iiiii,@function
_ZN4vllm25paged_attention_v1_kernelIffLi192ELi8ELi128ELNS_18Fp8KVCacheDataTypeE0ELb0EEEvPT_PKS2_PKT0_S8_ifPKiSA_iPKfiiiSC_SC_iiiii: ; @_ZN4vllm25paged_attention_v1_kernelIffLi192ELi8ELi128ELNS_18Fp8KVCacheDataTypeE0ELb0EEEvPT_PKS2_PKT0_S8_ifPKiSA_iPKfiiiSC_SC_iiiii
; %bb.0:
	s_load_dword s5, s[0:1], 0x80
	s_load_dwordx2 s[6:7], s[0:1], 0x30
	s_load_dwordx2 s[8:9], s[0:1], 0x20
	s_mov_b32 s10, s3
	s_ashr_i32 s11, s3, 31
	s_lshl_b64 s[12:13], s[10:11], 2
	s_waitcnt lgkmcnt(0)
	s_add_u32 s6, s6, s12
	s_addc_u32 s7, s7, s13
	s_abs_i32 s3, s8
	v_cvt_f32_u32_e32 v1, s3
	s_sub_i32 s12, 0, s3
	s_abs_i32 s11, s5
	s_xor_b32 s8, s5, s8
	v_rcp_iflag_f32_e32 v1, v1
	s_ashr_i32 s8, s8, 31
	v_mul_f32_e32 v1, 0x4f7ffffe, v1
	v_cvt_u32_f32_e32 v1, v1
	s_nop 0
	v_readfirstlane_b32 s13, v1
	s_mul_i32 s12, s12, s13
	s_mul_hi_u32 s12, s13, s12
	s_add_i32 s13, s13, s12
	s_mul_hi_u32 s12, s11, s13
	s_mul_i32 s13, s12, s3
	s_sub_i32 s11, s11, s13
	s_add_i32 s13, s12, 1
	s_sub_i32 s14, s11, s3
	s_cmp_ge_u32 s11, s3
	s_cselect_b32 s12, s13, s12
	s_cselect_b32 s11, s14, s11
	s_add_i32 s13, s12, 1
	s_cmp_ge_u32 s11, s3
	s_cselect_b32 s3, s13, s12
	s_xor_b32 s3, s3, s8
	s_sub_i32 s11, s3, s8
	s_abs_i32 s18, s11
	v_cvt_f32_u32_e32 v1, s18
	s_load_dwordx2 s[12:13], s[0:1], 0x40
	s_sub_i32 s3, 0, s18
	s_abs_i32 s19, s2
	v_rcp_iflag_f32_e32 v1, v1
	s_mov_b32 s8, 0
	v_mul_f32_e32 v1, 0x4f7ffffe, v1
	v_cvt_u32_f32_e32 v1, v1
	s_nop 0
	v_readfirstlane_b32 s14, v1
	s_mul_i32 s3, s3, s14
	s_mul_hi_u32 s3, s14, s3
	s_add_i32 s14, s14, s3
	s_waitcnt lgkmcnt(0)
	s_cmp_eq_u64 s[12:13], 0
	s_mul_hi_u32 s22, s19, s14
	s_cbranch_scc1 .LBB16_2
; %bb.1:
	s_ashr_i32 s3, s2, 31
	s_lshl_b64 s[14:15], s[2:3], 2
	s_add_u32 s12, s12, s14
	s_addc_u32 s13, s13, s15
	s_load_dword s8, s[12:13], 0x0
.LBB16_2:
	s_load_dword s33, s[6:7], 0x0
	s_ashr_i32 s24, s11, 31
	s_load_dword s11, s[0:1], 0x88
	s_load_dwordx4 s[12:15], s[0:1], 0x48
	s_movk_i32 s3, 0xc0
	s_ashr_i32 s23, s2, 31
	v_and_b32_e32 v26, 7, v0
	s_mul_i32 s16, s2, 0xc0
	v_cmp_gt_u32_e32 vcc, s3, v0
	v_lshlrev_b32_e32 v36, 2, v0
	s_and_saveexec_b64 s[2:3], vcc
	s_cbranch_execz .LBB16_5
; %bb.3:
	s_load_dwordx2 s[6:7], s[0:1], 0x8
	s_waitcnt lgkmcnt(0)
	s_mul_i32 s20, s12, s10
	s_ashr_i32 s21, s20, 31
	s_lshl_b64 s[20:21], s[20:21], 2
	v_lshrrev_b32_e32 v2, 3, v0
	s_add_u32 s12, s6, s20
	s_addc_u32 s15, s7, s21
	s_ashr_i32 s17, s16, 31
	s_lshl_b64 s[6:7], s[16:17], 2
	s_add_u32 s6, s12, s6
	s_addc_u32 s7, s15, s7
	global_load_dword v3, v36, s[6:7]
	s_movk_i32 s12, 0x60
	v_lshlrev_b32_e32 v1, 2, v2
	v_mad_u32_u24 v1, v26, s12, v1
	v_cmp_gt_u32_e32 vcc, 64, v0
	s_waitcnt vmcnt(0)
	ds_write_b32 v1, v3
	s_and_b64 exec, exec, vcc
	s_cbranch_execz .LBB16_5
; %bb.4:
	v_lshlrev_b32_e32 v2, 5, v2
	v_lshlrev_b32_e32 v3, 2, v26
	s_movk_i32 s12, 0x200
	v_or3_b32 v2, v2, v3, s12
	global_load_dword v2, v2, s[6:7]
	s_waitcnt vmcnt(0)
	ds_write_b32 v1, v2 offset:64
.LBB16_5:
	s_or_b64 exec, exec, s[2:3]
	s_waitcnt lgkmcnt(0)
	s_add_i32 s3, s33, 7
	s_ashr_i32 s6, s3, 31
	s_lshr_b32 s6, s6, 29
	s_add_i32 s3, s3, s6
	s_mul_i32 s6, s22, s18
	s_sub_i32 s6, s19, s6
	s_ashr_i32 s12, s3, 3
	s_xor_b32 s3, s23, s24
	s_add_i32 s7, s22, 1
	s_sub_i32 s15, s6, s18
	s_load_dwordx2 s[20:21], s[0:1], 0x28
	s_load_dword s2, s[0:1], 0x38
	s_cmp_ge_u32 s6, s18
	s_cselect_b32 s7, s7, s22
	s_cselect_b32 s6, s15, s6
	s_add_i32 s15, s7, 1
	s_cmp_ge_u32 s6, s18
	s_cselect_b32 s6, s15, s7
	v_lshrrev_b32_e32 v1, 6, v0
	s_xor_b32 s6, s6, s3
	s_waitcnt lgkmcnt(0)
	s_mul_i32 s22, s2, s10
	s_sub_i32 s15, s6, s3
	s_ashr_i32 s23, s22, 31
	v_cmp_gt_i32_e64 s[2:3], s12, v1
	v_cmp_le_i32_e32 vcc, s12, v1
	v_mbcnt_lo_u32_b32 v27, -1, 0
	s_barrier
                                        ; implicit-def: $vgpr30
                                        ; implicit-def: $vgpr32
                                        ; implicit-def: $vgpr31
	s_and_saveexec_b64 s[6:7], vcc
	s_xor_b64 s[6:7], exec, s[6:7]
; %bb.6:
	v_mbcnt_hi_u32_b32 v30, -1, v27
	v_and_b32_e32 v32, 64, v30
	v_add_u32_e32 v31, 64, v32
                                        ; implicit-def: $vgpr26
                                        ; implicit-def: $vgpr27
; %bb.7:
	s_or_saveexec_b64 s[26:27], s[6:7]
	s_load_dwordx2 s[18:19], s[0:1], 0x0
	s_load_dwordx2 s[24:25], s[0:1], 0x18
	v_mov_b32_e32 v33, 0xff7fffff
	s_mul_i32 s14, s15, s14
	v_lshrrev_b32_e32 v38, 4, v0
	s_xor_b64 exec, exec, s[26:27]
	s_cbranch_execz .LBB16_13
; %bb.8:
	s_load_dwordx2 s[0:1], s[0:1], 0x10
	v_mbcnt_hi_u32_b32 v30, -1, v27
	s_ashr_i32 s15, s14, 31
	v_and_b32_e32 v32, 64, v30
	s_lshl_b64 s[6:7], s[14:15], 2
	v_add_u32_e32 v31, 64, v32
	v_xor_b32_e32 v27, 4, v30
	v_bfe_u32 v33, v0, 3, 3
	s_waitcnt lgkmcnt(0)
	s_add_u32 s0, s0, s6
	v_cmp_lt_i32_e32 vcc, v27, v31
	s_addc_u32 s1, s1, s7
	v_lshlrev_b32_e32 v28, 4, v33
	v_mov_b32_e32 v29, 0
	v_and_b32_e32 v4, 3, v0
	v_cndmask_b32_e32 v27, v30, v27, vcc
	v_lshl_add_u64 v[2:3], s[0:1], 0, v[28:29]
	v_lshlrev_b32_e32 v28, 2, v4
	v_mul_u32_u24_e32 v22, 0x60, v26
	v_lshlrev_b32_e32 v34, 2, v27
	v_xor_b32_e32 v27, 2, v30
	v_lshl_add_u64 v[40:41], v[2:3], 0, v[28:29]
	ds_read_b128 v[2:5], v22
	ds_read_b128 v[6:9], v22 offset:16
	ds_read_b128 v[10:13], v22 offset:32
	;; [unrolled: 1-line block ×5, first 2 shown]
	v_cmp_lt_i32_e32 vcc, v27, v31
	v_lshlrev_b32_e32 v42, 2, v33
	s_sub_i32 s15, 1, s33
	v_cndmask_b32_e32 v27, v30, v27, vcc
	v_lshlrev_b32_e32 v35, 2, v27
	v_xor_b32_e32 v27, 1, v30
	v_cmp_lt_i32_e32 vcc, v27, v31
	s_lshl_b64 s[6:7], s[22:23], 2
	s_add_u32 s6, s20, s6
	v_cndmask_b32_e32 v27, v30, v27, vcc
	v_cmp_eq_u32_e32 vcc, 0, v26
	v_lshlrev_b32_e32 v26, 5, v0
	v_and_b32_e32 v28, 0x80, v26
	v_lshlrev_b32_e32 v37, 2, v27
	v_lshl_add_u64 v[26:27], v[40:41], 0, v[28:29]
	v_lshl_or_b32 v28, v1, 5, v42
	v_add_u32_e32 v40, 0x310, v28
	v_and_b32_e32 v28, 60, v38
	s_addc_u32 s7, s21, s7
	s_mov_b32 s17, s13
	v_cmp_neq_f32_e64 s[0:1], s8, 0
	v_lshl_or_b32 v39, v1, 3, v33
	v_lshl_add_u64 v[28:29], s[6:7], 0, v[28:29]
	v_mov_b32_e32 v33, 0xff7fffff
	s_mov_b64 s[28:29], 0
	s_movk_i32 s34, 0x1000
	v_mov_b32_e32 v41, v1
	s_branch .LBB16_10
.LBB16_9:                               ;   in Loop: Header=BB16_10 Depth=1
	s_or_b64 exec, exec, s[30:31]
	v_add_u32_e32 v41, 2, v41
	v_cmp_le_i32_e64 s[6:7], s12, v41
	v_add_u32_e32 v39, 16, v39
	v_add_u32_e32 v40, 64, v40
	s_or_b64 s[28:29], s[6:7], s[28:29]
	v_lshl_add_u64 v[28:29], v[28:29], 0, 8
	s_andn2_b64 exec, exec, s[28:29]
	s_cbranch_execz .LBB16_12
.LBB16_10:                              ; =>This Inner Loop Header: Depth=1
	global_load_dword v42, v[28:29], off
	s_waitcnt vmcnt(0) lgkmcnt(0)
	v_mad_i64_i32 v[42:43], s[6:7], v42, s17, 0
	v_lshl_add_u64 v[42:43], v[42:43], 2, v[26:27]
	global_load_dword v44, v[42:43], off
	global_load_dword v45, v[42:43], off offset:256
	global_load_dword v46, v[42:43], off offset:512
	;; [unrolled: 1-line block ×15, first 2 shown]
	v_add_co_u32_e64 v42, s[6:7], s34, v42
	s_nop 1
	v_addc_co_u32_e64 v43, s[6:7], 0, v43, s[6:7]
	global_load_dword v60, v[42:43], off
	global_load_dword v61, v[42:43], off offset:256
	global_load_dword v62, v[42:43], off offset:512
	;; [unrolled: 1-line block ×6, first 2 shown]
	s_nop 0
	global_load_dword v42, v[42:43], off offset:1792
	s_waitcnt vmcnt(22) lgkmcnt(5)
	v_mul_f32_e32 v43, v3, v45
	v_fmac_f32_e32 v43, v2, v44
	s_waitcnt vmcnt(21)
	v_fmac_f32_e32 v43, v4, v46
	s_waitcnt vmcnt(20)
	v_fmac_f32_e32 v43, v5, v47
	s_waitcnt vmcnt(19) lgkmcnt(4)
	v_fmac_f32_e32 v43, v6, v48
	s_waitcnt vmcnt(18)
	v_fmac_f32_e32 v43, v7, v49
	s_waitcnt vmcnt(17)
	v_fmac_f32_e32 v43, v8, v50
	s_waitcnt vmcnt(16)
	v_fmac_f32_e32 v43, v9, v51
	s_waitcnt vmcnt(15) lgkmcnt(3)
	v_fmac_f32_e32 v43, v10, v52
	s_waitcnt vmcnt(14)
	;; [unrolled: 8-line block ×5, first 2 shown]
	v_fmac_f32_e32 v43, v23, v65
	s_waitcnt vmcnt(1)
	v_fmac_f32_e32 v43, v24, v66
	s_waitcnt vmcnt(0)
	v_fmac_f32_e32 v43, v25, v42
	ds_bpermute_b32 v42, v34, v43
	s_waitcnt lgkmcnt(0)
	v_add_f32_e32 v42, v43, v42
	ds_bpermute_b32 v43, v35, v42
	s_waitcnt lgkmcnt(0)
	v_add_f32_e32 v42, v42, v43
	ds_bpermute_b32 v43, v37, v42
	s_and_saveexec_b64 s[30:31], vcc
	s_cbranch_execz .LBB16_9
; %bb.11:                               ;   in Loop: Header=BB16_10 Depth=1
	v_add_u32_e32 v44, s15, v39
	v_cvt_f32_i32_e32 v44, v44
	s_waitcnt lgkmcnt(0)
	v_add_f32_e32 v42, v42, v43
	v_cmp_gt_i32_e64 s[6:7], s33, v39
	v_max_f32_e32 v43, v33, v33
	v_mul_f32_e32 v44, s8, v44
	v_cndmask_b32_e64 v44, 0, v44, s[0:1]
	v_fmac_f32_e32 v44, s9, v42
	v_cndmask_b32_e64 v42, 0, v44, s[6:7]
	ds_write_b32 v40, v42
	v_max_f32_e32 v42, v43, v44
	v_cndmask_b32_e64 v33, v33, v42, s[6:7]
	s_branch .LBB16_9
.LBB16_12:
	s_or_b64 exec, exec, s[28:29]
.LBB16_13:
	s_or_b64 exec, exec, s[26:27]
	v_xor_b32_e32 v2, 32, v30
	v_cmp_lt_i32_e32 vcc, v2, v31
	v_xor_b32_e32 v5, 16, v30
	v_max_f32_e32 v4, v33, v33
	v_cndmask_b32_e32 v2, v30, v2, vcc
	v_lshlrev_b32_e32 v3, 2, v2
	ds_bpermute_b32 v2, v3, v33
	v_cmp_lt_i32_e32 vcc, v5, v31
	v_xor_b32_e32 v6, 8, v30
	v_and_b32_e32 v40, 63, v0
	s_waitcnt lgkmcnt(0)
	v_max_f32_e32 v2, v2, v2
	v_max_f32_e32 v2, v4, v2
	v_cndmask_b32_e32 v4, v30, v5, vcc
	v_lshlrev_b32_e32 v5, 2, v4
	ds_bpermute_b32 v4, v5, v2
	v_cmp_lt_i32_e32 vcc, v6, v31
	s_waitcnt lgkmcnt(0)
	v_max_f32_e32 v4, v4, v4
	v_max_f32_e32 v4, v2, v4
	v_cndmask_b32_e32 v2, v30, v6, vcc
	v_lshlrev_b32_e32 v6, 2, v2
	ds_bpermute_b32 v7, v6, v4
	v_cmp_eq_u32_e32 vcc, 0, v40
	v_lshlrev_b32_e32 v2, 2, v1
	s_and_saveexec_b64 s[0:1], vcc
	s_cbranch_execz .LBB16_15
; %bb.14:
	s_waitcnt lgkmcnt(0)
	v_max_f32_e32 v7, v7, v7
	v_max_f32_e32 v4, v4, v4
	;; [unrolled: 1-line block ×3, first 2 shown]
	ds_write_b32 v2, v4 offset:768
.LBB16_15:
	s_or_b64 exec, exec, s[0:1]
	v_cmp_gt_u32_e64 s[0:1], 2, v40
	s_waitcnt lgkmcnt(0)
	v_mov_b32_e32 v7, 0xff7fffff
	v_lshlrev_b32_e32 v4, 2, v40
	s_barrier
	s_and_saveexec_b64 s[6:7], s[0:1]
; %bb.16:
	ds_read_b32 v7, v4 offset:768
; %bb.17:
	s_or_b64 exec, exec, s[6:7]
	v_xor_b32_e32 v8, 1, v30
	v_cmp_lt_i32_e64 s[6:7], v8, v31
	s_nop 1
	v_cndmask_b32_e64 v8, v30, v8, s[6:7]
	v_lshlrev_b32_e32 v41, 2, v8
	s_waitcnt lgkmcnt(0)
	ds_bpermute_b32 v8, v41, v7
	v_max_f32_e32 v7, v7, v7
	s_lshl_b32 s6, s12, 3
	s_min_i32 s15, s6, s33
	v_cmp_gt_i32_e64 s[6:7], s15, v0
	s_waitcnt lgkmcnt(0)
	v_max_f32_e32 v8, v8, v8
	v_max_f32_e32 v7, v7, v8
	v_lshlrev_b32_e32 v8, 2, v32
	ds_bpermute_b32 v8, v8, v7
	v_mov_b32_e32 v7, 0
	s_and_saveexec_b64 s[26:27], s[6:7]
	s_cbranch_execz .LBB16_21
; %bb.18:
	v_mov_b32_e32 v7, 0x310
	v_lshl_add_u32 v9, v0, 2, v7
	v_mov_b32_e32 v7, 0
	s_mov_b64 s[28:29], 0
	v_mov_b32_e32 v10, v0
.LBB16_19:                              ; =>This Inner Loop Header: Depth=1
	ds_read_b32 v11, v9
	v_add_u32_e32 v10, 0x80, v10
	v_cmp_le_i32_e64 s[8:9], s15, v10
	s_or_b64 s[28:29], s[8:9], s[28:29]
	s_waitcnt lgkmcnt(0)
	v_sub_f32_e32 v11, v11, v8
	v_mul_f32_e32 v11, 0x3fb8aa3b, v11
	v_exp_f32_e32 v11, v11
	ds_write_b32 v9, v11
	v_add_f32_e32 v7, v7, v11
	v_add_u32_e32 v9, 0x200, v9
	s_andn2_b64 exec, exec, s[28:29]
	s_cbranch_execnz .LBB16_19
; %bb.20:
	s_or_b64 exec, exec, s[28:29]
.LBB16_21:
	s_or_b64 exec, exec, s[26:27]
	ds_bpermute_b32 v3, v3, v7
	s_waitcnt lgkmcnt(0)
	v_add_f32_e32 v3, v7, v3
	ds_bpermute_b32 v5, v5, v3
	s_waitcnt lgkmcnt(0)
	v_add_f32_e32 v3, v3, v5
	ds_bpermute_b32 v5, v6, v3
	v_xor_b32_e32 v6, 4, v30
	v_cmp_lt_i32_e64 s[8:9], v6, v31
	s_waitcnt lgkmcnt(0)
	v_add_f32_e32 v3, v3, v5
	v_cndmask_b32_e64 v6, v30, v6, s[8:9]
	v_lshlrev_b32_e32 v6, 2, v6
	ds_bpermute_b32 v5, v6, v3
	v_xor_b32_e32 v6, 2, v30
	v_cmp_lt_i32_e64 s[8:9], v6, v31
	s_waitcnt lgkmcnt(0)
	v_add_f32_e32 v3, v3, v5
	v_cndmask_b32_e64 v6, v30, v6, s[8:9]
	v_lshlrev_b32_e32 v5, 2, v6
	ds_bpermute_b32 v5, v5, v3
	s_waitcnt lgkmcnt(0)
	v_add_f32_e32 v3, v3, v5
	ds_bpermute_b32 v5, v41, v3
	s_waitcnt lgkmcnt(0)
	v_add_f32_e32 v3, v3, v5
	s_and_saveexec_b64 s[8:9], vcc
; %bb.22:
	ds_write_b32 v2, v3 offset:776
; %bb.23:
	s_or_b64 exec, exec, s[8:9]
	s_waitcnt lgkmcnt(0)
	s_barrier
	s_and_saveexec_b64 s[8:9], s[0:1]
; %bb.24:
	ds_read_b32 v3, v4 offset:776
; %bb.25:
	s_or_b64 exec, exec, s[8:9]
	s_waitcnt lgkmcnt(0)
	ds_bpermute_b32 v2, v41, v3
	v_lshlrev_b32_e32 v4, 2, v30
	s_waitcnt lgkmcnt(0)
	v_add_f32_e32 v2, v3, v2
	v_and_b32_e32 v3, 0xffffff00, v4
	ds_bpermute_b32 v2, v3, v2
	s_and_saveexec_b64 s[0:1], s[6:7]
	s_cbranch_execz .LBB16_38
; %bb.26:
	s_waitcnt lgkmcnt(0)
	v_add_f32_e32 v2, 0x358637bd, v2
	v_div_scale_f32 v3, s[6:7], v2, v2, 1.0
	v_rcp_f32_e32 v4, v3
	v_div_scale_f32 v5, vcc, 1.0, v2, 1.0
	s_movk_i32 s6, 0x7f
	v_fma_f32 v6, -v3, v4, 1.0
	v_fmac_f32_e32 v4, v6, v4
	v_mul_f32_e32 v6, v5, v4
	v_fma_f32 v7, -v3, v6, v5
	v_fmac_f32_e32 v6, v7, v4
	v_fma_f32 v3, -v3, v6, v5
	v_div_fmas_f32 v3, v3, v4, v6
	v_xad_u32 v4, v0, -1, s15
	v_div_fixup_f32 v2, v3, v2, 1.0
	v_cmp_lt_u32_e32 vcc, s6, v4
	s_mov_b64 s[8:9], -1
	v_mov_b32_e32 v3, v0
	s_and_saveexec_b64 s[6:7], vcc
	s_cbranch_execz .LBB16_35
; %bb.27:
	v_lshrrev_b32_e32 v4, 7, v4
	v_add_u32_e32 v6, -1, v4
	v_lshrrev_b32_e32 v5, 1, v6
	v_mov_b32_e32 v3, v2
	v_add_u32_e32 v5, 1, v5
	v_cmp_lt_u32_e32 vcc, 13, v6
	v_mov_b32_e32 v8, 0
	s_and_saveexec_b64 s[8:9], vcc
	s_cbranch_execz .LBB16_31
; %bb.28:
	v_mov_b32_e32 v7, 0x310
	v_and_b32_e32 v6, -8, v5
	v_lshl_add_u32 v7, v0, 2, v7
	s_mov_b32 s17, 0
	s_mov_b64 s[26:27], 0
.LBB16_29:                              ; =>This Inner Loop Header: Depth=1
	ds_read2st64_b32 v[8:9], v7 offset1:2
	ds_read2st64_b32 v[10:11], v7 offset0:4 offset1:6
	ds_read2st64_b32 v[12:13], v7 offset0:8 offset1:10
	;; [unrolled: 1-line block ×3, first 2 shown]
	v_add_u32_e32 v6, -8, v6
	s_waitcnt lgkmcnt(3)
	v_pk_mul_f32 v[8:9], v[2:3], v[8:9]
	s_waitcnt lgkmcnt(2)
	v_pk_mul_f32 v[10:11], v[2:3], v[10:11]
	ds_write2st64_b32 v7, v8, v9 offset1:2
	ds_write2st64_b32 v7, v10, v11 offset0:4 offset1:6
	ds_read2st64_b32 v[10:11], v7 offset0:16 offset1:18
	s_waitcnt lgkmcnt(4)
	v_pk_mul_f32 v[8:9], v[2:3], v[12:13]
	ds_write2st64_b32 v7, v8, v9 offset0:8 offset1:10
	s_waitcnt lgkmcnt(4)
	v_pk_mul_f32 v[8:9], v[2:3], v[14:15]
	ds_write2st64_b32 v7, v8, v9 offset0:12 offset1:14
	ds_read2st64_b32 v[8:9], v7 offset0:20 offset1:22
	s_waitcnt lgkmcnt(3)
	v_pk_mul_f32 v[10:11], v[2:3], v[10:11]
	ds_read2st64_b32 v[12:13], v7 offset0:24 offset1:26
	ds_write2st64_b32 v7, v10, v11 offset0:16 offset1:18
	ds_read2st64_b32 v[10:11], v7 offset0:28 offset1:30
	s_waitcnt lgkmcnt(3)
	v_pk_mul_f32 v[8:9], v[2:3], v[8:9]
	ds_write2st64_b32 v7, v8, v9 offset0:20 offset1:22
	s_waitcnt lgkmcnt(3)
	v_pk_mul_f32 v[8:9], v[2:3], v[12:13]
	ds_write2st64_b32 v7, v8, v9 offset0:24 offset1:26
	s_waitcnt lgkmcnt(2)
	v_pk_mul_f32 v[8:9], v[2:3], v[10:11]
	s_add_i32 s17, s17, 16
	v_cmp_eq_u32_e32 vcc, 0, v6
	ds_write2st64_b32 v7, v8, v9 offset0:28 offset1:30
	v_add_u32_e32 v7, 0x2000, v7
	s_or_b64 s[26:27], vcc, s[26:27]
	v_mov_b32_e32 v8, s17
	s_andn2_b64 exec, exec, s[26:27]
	s_cbranch_execnz .LBB16_29
; %bb.30:
	s_or_b64 exec, exec, s[26:27]
.LBB16_31:
	s_or_b64 exec, exec, s[8:9]
	v_and_b32_e32 v5, 7, v5
	v_cmp_ne_u32_e32 vcc, 0, v5
	s_and_saveexec_b64 s[8:9], vcc
	s_cbranch_execz .LBB16_34
; %bb.32:
	v_lshlrev_b32_e32 v6, 9, v8
	s_movk_i32 s17, 0x310
	v_add3_u32 v6, v6, v36, s17
	s_mov_b64 s[26:27], 0
.LBB16_33:                              ; =>This Inner Loop Header: Depth=1
	ds_read2st64_b32 v[8:9], v6 offset1:2
	v_add_u32_e32 v5, -1, v5
	v_cmp_eq_u32_e32 vcc, 0, v5
	s_or_b64 s[26:27], vcc, s[26:27]
	s_waitcnt lgkmcnt(0)
	v_pk_mul_f32 v[8:9], v[2:3], v[8:9]
	ds_write2st64_b32 v6, v8, v9 offset1:2
	v_add_u32_e32 v6, 0x400, v6
	s_andn2_b64 exec, exec, s[26:27]
	s_cbranch_execnz .LBB16_33
.LBB16_34:
	s_or_b64 exec, exec, s[8:9]
	v_add_u32_e32 v4, 1, v4
	v_and_b32_e32 v5, 0x3fffffe, v4
	v_cmp_ne_u32_e32 vcc, v4, v5
	v_lshl_add_u32 v3, v5, 7, v0
	s_orn2_b64 s[8:9], vcc, exec
.LBB16_35:
	s_or_b64 exec, exec, s[6:7]
	s_and_b64 exec, exec, s[8:9]
	s_cbranch_execz .LBB16_38
; %bb.36:
	v_mov_b32_e32 v4, 0x310
	v_lshl_add_u32 v4, v3, 2, v4
	s_mov_b64 s[6:7], 0
.LBB16_37:                              ; =>This Inner Loop Header: Depth=1
	ds_read_b32 v5, v4
	v_add_u32_e32 v3, 0x80, v3
	v_cmp_le_i32_e32 vcc, s15, v3
	s_or_b64 s[6:7], vcc, s[6:7]
	s_waitcnt lgkmcnt(0)
	v_mul_f32_e32 v5, v2, v5
	ds_write_b32 v4, v5
	v_add_u32_e32 v4, 0x200, v4
	s_andn2_b64 exec, exec, s[6:7]
	s_cbranch_execnz .LBB16_37
.LBB16_38:
	s_or_b64 exec, exec, s[0:1]
	v_mov_b32_e32 v31, 0
	v_and_b32_e32 v42, 1, v0
	v_mov_b32_e32 v30, v31
	v_mov_b32_e32 v33, v31
	;; [unrolled: 1-line block ×5, first 2 shown]
	s_waitcnt lgkmcnt(0)
	s_barrier
	s_and_saveexec_b64 s[6:7], s[2:3]
	s_cbranch_execz .LBB16_54
; %bb.39:
	s_ashr_i32 s15, s14, 31
	s_lshl_b64 s[0:1], s[14:15], 2
	s_add_u32 s0, s24, s0
	v_lshlrev_b32_e32 v3, 4, v0
	s_addc_u32 s1, s25, s1
	v_and_b32_e32 v30, 0x3f0, v3
	v_mov_b32_e32 v31, 0
	v_and_b32_e32 v2, 4, v36
	s_add_i32 s14, s12, -1
	v_lshl_add_u64 v[36:37], s[0:1], 0, v[30:31]
	s_lshl_b64 s[0:1], s[22:23], 2
	v_lshl_or_b32 v43, v1, 3, v2
	v_lshlrev_b32_e32 v2, 4, v42
	s_add_u32 s0, s20, s0
	v_lshl_or_b32 v2, v1, 5, v2
	v_and_b32_e32 v30, 60, v38
	s_addc_u32 s1, s21, s1
	s_mov_b32 s15, s33
	v_add_u32_e32 v44, 0x310, v2
	v_lshl_add_u64 v[38:39], s[0:1], 0, v[30:31]
	s_mov_b64 s[2:3], 0
	v_mov_b32_e32 v30, v31
	v_mov_b32_e32 v33, v31
	;; [unrolled: 1-line block ×5, first 2 shown]
	s_branch .LBB16_41
.LBB16_40:                              ;   in Loop: Header=BB16_41 Depth=1
	s_or_b64 exec, exec, s[8:9]
	s_waitcnt vmcnt(1) lgkmcnt(0)
	v_mul_f32_e32 v22, v2, v22
	v_mul_f32_e32 v18, v2, v18
	;; [unrolled: 1-line block ×5, first 2 shown]
	v_fmac_f32_e32 v22, v3, v23
	v_fmac_f32_e32 v18, v3, v19
	v_fmac_f32_e32 v14, v3, v15
	v_fmac_f32_e32 v10, v3, v11
	v_fmac_f32_e32 v6, v3, v7
	v_fmac_f32_e32 v22, v4, v24
	v_fmac_f32_e32 v18, v4, v20
	v_fmac_f32_e32 v14, v4, v16
	v_fmac_f32_e32 v10, v4, v12
	v_fmac_f32_e32 v6, v4, v8
	s_waitcnt vmcnt(0)
	v_pk_mul_f32 v[2:3], v[2:3], v[26:27]
	v_fmac_f32_e32 v22, v5, v25
	v_fmac_f32_e32 v18, v5, v21
	;; [unrolled: 1-line block ×5, first 2 shown]
	v_pk_mul_f32 v[4:5], v[4:5], v[28:29]
	v_add_f32_e32 v2, v3, v2
	v_add_f32_e32 v2, v4, v2
	v_add_u32_e32 v1, 2, v1
	v_add_f32_e32 v2, v5, v2
	v_cmp_le_i32_e32 vcc, s12, v1
	v_add_f32_e32 v30, v30, v22
	v_add_f32_e32 v33, v33, v18
	;; [unrolled: 1-line block ×6, first 2 shown]
	v_add_u32_e32 v43, 16, v43
	v_add_u32_e32 v44, 64, v44
	s_or_b64 s[2:3], vcc, s[2:3]
	v_lshl_add_u64 v[38:39], v[38:39], 0, 8
	s_andn2_b64 exec, exec, s[2:3]
	s_cbranch_execz .LBB16_53
.LBB16_41:                              ; =>This Inner Loop Header: Depth=1
	global_load_dword v2, v[38:39], off
	v_add_u32_e32 v47, 1, v43
	v_or_b32_e32 v46, 3, v43
	v_or_b32_e32 v45, 2, v43
	s_waitcnt vmcnt(0)
	v_mad_i64_i32 v[2:3], s[0:1], v2, s13, 0
	v_lshl_add_u64 v[26:27], v[2:3], 2, v[36:37]
	global_load_dwordx4 v[6:9], v[26:27], off
	ds_read_b128 v[2:5], v44
	v_cmp_eq_u32_e64 s[0:1], s14, v1
	s_and_saveexec_b64 s[8:9], s[0:1]
	s_cbranch_execnz .LBB16_50
; %bb.42:                               ;   in Loop: Header=BB16_41 Depth=1
	s_or_b64 exec, exec, s[8:9]
	global_load_dwordx4 v[10:13], v[26:27], off offset:1024
	s_and_saveexec_b64 s[8:9], s[0:1]
	s_cbranch_execnz .LBB16_51
.LBB16_43:                              ;   in Loop: Header=BB16_41 Depth=1
	s_or_b64 exec, exec, s[8:9]
	global_load_dwordx4 v[14:17], v[26:27], off offset:2048
	s_and_saveexec_b64 s[8:9], s[0:1]
	s_cbranch_execnz .LBB16_52
.LBB16_44:                              ;   in Loop: Header=BB16_41 Depth=1
	s_or_b64 exec, exec, s[8:9]
	global_load_dwordx4 v[18:21], v[26:27], off offset:3072
	s_and_saveexec_b64 s[8:9], s[0:1]
	s_cbranch_execz .LBB16_46
.LBB16_45:                              ;   in Loop: Header=BB16_41 Depth=1
	v_cmp_gt_i32_e32 vcc, s15, v47
	s_waitcnt vmcnt(0)
	s_nop 0
	v_cndmask_b32_e32 v19, 0, v19, vcc
	v_cmp_gt_i32_e32 vcc, s33, v43
	s_nop 1
	v_cndmask_b32_e32 v18, 0, v18, vcc
	v_cmp_gt_i32_e32 vcc, s15, v46
	s_nop 1
	v_cndmask_b32_e32 v21, 0, v21, vcc
	v_cmp_gt_i32_e32 vcc, s33, v45
	s_nop 1
	v_cndmask_b32_e32 v20, 0, v20, vcc
.LBB16_46:                              ;   in Loop: Header=BB16_41 Depth=1
	s_or_b64 exec, exec, s[8:9]
	v_add_co_u32_e32 v22, vcc, 0x1000, v26
	s_nop 1
	v_addc_co_u32_e32 v23, vcc, 0, v27, vcc
	global_load_dwordx4 v[22:25], v[22:23], off
	s_and_saveexec_b64 s[8:9], s[0:1]
	s_cbranch_execz .LBB16_48
; %bb.47:                               ;   in Loop: Header=BB16_41 Depth=1
	v_cmp_gt_i32_e32 vcc, s15, v47
	s_waitcnt vmcnt(0)
	s_nop 0
	v_cndmask_b32_e32 v23, 0, v23, vcc
	v_cmp_gt_i32_e32 vcc, s33, v43
	s_nop 1
	v_cndmask_b32_e32 v22, 0, v22, vcc
	v_cmp_gt_i32_e32 vcc, s15, v46
	;; [unrolled: 3-line block ×3, first 2 shown]
	s_nop 1
	v_cndmask_b32_e32 v24, 0, v24, vcc
.LBB16_48:                              ;   in Loop: Header=BB16_41 Depth=1
	s_or_b64 exec, exec, s[8:9]
	v_add_co_u32_e32 v26, vcc, 0x1000, v26
	s_nop 1
	v_addc_co_u32_e32 v27, vcc, 0, v27, vcc
	global_load_dwordx4 v[26:29], v[26:27], off offset:1024
	s_and_saveexec_b64 s[8:9], s[0:1]
	s_cbranch_execz .LBB16_40
; %bb.49:                               ;   in Loop: Header=BB16_41 Depth=1
	v_cmp_gt_i32_e32 vcc, s15, v47
	s_waitcnt vmcnt(0)
	s_nop 0
	v_cndmask_b32_e32 v27, 0, v27, vcc
	v_cmp_gt_i32_e32 vcc, s33, v43
	s_nop 1
	v_cndmask_b32_e32 v26, 0, v26, vcc
	v_cmp_gt_i32_e32 vcc, s15, v46
	;; [unrolled: 3-line block ×3, first 2 shown]
	s_nop 1
	v_cndmask_b32_e32 v28, 0, v28, vcc
	s_branch .LBB16_40
.LBB16_50:                              ;   in Loop: Header=BB16_41 Depth=1
	v_cmp_gt_i32_e32 vcc, s15, v47
	s_waitcnt vmcnt(0)
	s_nop 0
	v_cndmask_b32_e32 v7, 0, v7, vcc
	v_cmp_gt_i32_e32 vcc, s33, v43
	s_nop 1
	v_cndmask_b32_e32 v6, 0, v6, vcc
	v_cmp_gt_i32_e32 vcc, s15, v46
	;; [unrolled: 3-line block ×3, first 2 shown]
	s_nop 1
	v_cndmask_b32_e32 v8, 0, v8, vcc
	s_or_b64 exec, exec, s[8:9]
	global_load_dwordx4 v[10:13], v[26:27], off offset:1024
	s_and_saveexec_b64 s[8:9], s[0:1]
	s_cbranch_execz .LBB16_43
.LBB16_51:                              ;   in Loop: Header=BB16_41 Depth=1
	v_cmp_gt_i32_e32 vcc, s15, v47
	s_waitcnt vmcnt(0)
	s_nop 0
	v_cndmask_b32_e32 v11, 0, v11, vcc
	v_cmp_gt_i32_e32 vcc, s33, v43
	s_nop 1
	v_cndmask_b32_e32 v10, 0, v10, vcc
	v_cmp_gt_i32_e32 vcc, s15, v46
	;; [unrolled: 3-line block ×3, first 2 shown]
	s_nop 1
	v_cndmask_b32_e32 v12, 0, v12, vcc
	s_or_b64 exec, exec, s[8:9]
	global_load_dwordx4 v[14:17], v[26:27], off offset:2048
	s_and_saveexec_b64 s[8:9], s[0:1]
	s_cbranch_execz .LBB16_44
.LBB16_52:                              ;   in Loop: Header=BB16_41 Depth=1
	v_cmp_gt_i32_e32 vcc, s15, v47
	s_waitcnt vmcnt(0)
	s_nop 0
	v_cndmask_b32_e32 v15, 0, v15, vcc
	v_cmp_gt_i32_e32 vcc, s33, v43
	s_nop 1
	v_cndmask_b32_e32 v14, 0, v14, vcc
	v_cmp_gt_i32_e32 vcc, s15, v46
	;; [unrolled: 3-line block ×3, first 2 shown]
	s_nop 1
	v_cndmask_b32_e32 v16, 0, v16, vcc
	s_or_b64 exec, exec, s[8:9]
	global_load_dwordx4 v[18:21], v[26:27], off offset:3072
	s_and_saveexec_b64 s[8:9], s[0:1]
	s_cbranch_execnz .LBB16_45
	s_branch .LBB16_46
.LBB16_53:
	s_or_b64 exec, exec, s[2:3]
.LBB16_54:
	s_or_b64 exec, exec, s[6:7]
	ds_bpermute_b32 v2, v41, v34
	ds_bpermute_b32 v3, v41, v35
	ds_bpermute_b32 v4, v41, v32
	ds_bpermute_b32 v5, v41, v33
	ds_bpermute_b32 v6, v41, v30
	ds_bpermute_b32 v7, v41, v31
	v_and_b32_e32 v1, 0x3c1, v0
	s_waitcnt lgkmcnt(4)
	v_pk_add_f32 v[2:3], v[34:35], v[2:3]
	s_waitcnt lgkmcnt(2)
	v_pk_add_f32 v[4:5], v[32:33], v[4:5]
	v_cmp_ne_u32_e32 vcc, 64, v1
	s_waitcnt lgkmcnt(0)
	s_barrier
	s_and_saveexec_b64 s[0:1], vcc
	s_xor_b64 s[0:1], exec, s[0:1]
; %bb.55:
                                        ; implicit-def: $vgpr40
; %bb.56:
	s_or_saveexec_b64 s[0:1], s[0:1]
	v_pk_add_f32 v[6:7], v[30:31], v[6:7]
	s_xor_b64 exec, exec, s[0:1]
	s_cbranch_execz .LBB16_58
; %bb.57:
	v_mov_b32_e32 v8, 0x310
	v_lshl_add_u32 v8, v40, 1, v8
	ds_write2_b32 v8, v2, v3 offset1:32
	ds_write2_b32 v8, v4, v5 offset0:64 offset1:96
	ds_write2_b32 v8, v6, v7 offset0:128 offset1:160
.LBB16_58:
	s_or_b64 exec, exec, s[0:1]
	v_cmp_gt_u32_e32 vcc, 64, v0
	v_lshrrev_b32_e32 v0, 1, v0
	s_waitcnt lgkmcnt(0)
	s_barrier
	s_and_saveexec_b64 s[0:1], vcc
	s_cbranch_execz .LBB16_67
; %bb.59:
	v_mov_b32_e32 v8, 0x310
	v_cmp_eq_u32_e32 vcc, 0, v42
	v_lshl_add_u32 v8, v0, 2, v8
	s_and_saveexec_b64 s[2:3], vcc
	s_cbranch_execnz .LBB16_70
; %bb.60:
	s_or_b64 exec, exec, s[2:3]
	s_and_saveexec_b64 s[2:3], vcc
	s_cbranch_execnz .LBB16_71
.LBB16_61:
	s_or_b64 exec, exec, s[2:3]
	s_and_saveexec_b64 s[2:3], vcc
	s_cbranch_execnz .LBB16_72
.LBB16_62:
	s_or_b64 exec, exec, s[2:3]
	s_and_saveexec_b64 s[2:3], vcc
	s_cbranch_execnz .LBB16_73
.LBB16_63:
	s_or_b64 exec, exec, s[2:3]
	s_and_saveexec_b64 s[2:3], vcc
	s_cbranch_execnz .LBB16_74
.LBB16_64:
	s_or_b64 exec, exec, s[2:3]
	s_and_saveexec_b64 s[2:3], vcc
	s_cbranch_execz .LBB16_66
.LBB16_65:
	ds_read_b32 v8, v8 offset:640
	s_waitcnt lgkmcnt(0)
	v_add_f32_e32 v7, v7, v8
.LBB16_66:
	s_or_b64 exec, exec, s[2:3]
.LBB16_67:
	s_or_b64 exec, exec, s[0:1]
	v_cmp_eq_u32_e32 vcc, 0, v1
	s_barrier
	s_and_saveexec_b64 s[0:1], vcc
	s_cbranch_execz .LBB16_69
; %bb.68:
	s_mul_i32 s0, s10, s11
	s_mul_i32 s0, s0, s5
	s_mulk_i32 s0, 0xc0
	s_ashr_i32 s1, s0, 31
	s_lshl_b64 s[0:1], s[0:1], 2
	s_add_u32 s2, s18, s0
	s_mul_i32 s0, s11, s16
	s_addc_u32 s3, s19, s1
	s_ashr_i32 s1, s0, 31
	s_lshl_b64 s[0:1], s[0:1], 2
	s_add_u32 s2, s2, s0
	s_mul_i32 s0, s4, 0xc0
	s_addc_u32 s3, s3, s1
	s_ashr_i32 s1, s0, 31
	s_lshl_b64 s[0:1], s[0:1], 2
	s_add_u32 s0, s2, s0
	s_addc_u32 s1, s3, s1
	v_lshlrev_b32_e32 v0, 2, v0
	global_store_dword v0, v2, s[0:1]
	global_store_dword v0, v3, s[0:1] offset:128
	global_store_dword v0, v4, s[0:1] offset:256
	;; [unrolled: 1-line block ×5, first 2 shown]
.LBB16_69:
	s_endpgm
.LBB16_70:
	ds_read_b32 v9, v8
	s_waitcnt lgkmcnt(0)
	v_add_f32_e32 v2, v2, v9
	s_or_b64 exec, exec, s[2:3]
	s_and_saveexec_b64 s[2:3], vcc
	s_cbranch_execz .LBB16_61
.LBB16_71:
	ds_read_b32 v9, v8 offset:128
	s_waitcnt lgkmcnt(0)
	v_add_f32_e32 v3, v3, v9
	s_or_b64 exec, exec, s[2:3]
	s_and_saveexec_b64 s[2:3], vcc
	s_cbranch_execz .LBB16_62
.LBB16_72:
	ds_read_b32 v9, v8 offset:256
	s_waitcnt lgkmcnt(0)
	v_add_f32_e32 v4, v4, v9
	s_or_b64 exec, exec, s[2:3]
	s_and_saveexec_b64 s[2:3], vcc
	s_cbranch_execz .LBB16_63
.LBB16_73:
	ds_read_b32 v9, v8 offset:384
	s_waitcnt lgkmcnt(0)
	v_add_f32_e32 v5, v5, v9
	s_or_b64 exec, exec, s[2:3]
	s_and_saveexec_b64 s[2:3], vcc
	s_cbranch_execz .LBB16_64
.LBB16_74:
	ds_read_b32 v9, v8 offset:512
	s_waitcnt lgkmcnt(0)
	v_add_f32_e32 v6, v6, v9
	s_or_b64 exec, exec, s[2:3]
	s_and_saveexec_b64 s[2:3], vcc
	s_cbranch_execnz .LBB16_65
	s_branch .LBB16_66
	.section	.rodata,"a",@progbits
	.p2align	6, 0x0
	.amdhsa_kernel _ZN4vllm25paged_attention_v1_kernelIffLi192ELi8ELi128ELNS_18Fp8KVCacheDataTypeE0ELb0EEEvPT_PKS2_PKT0_S8_ifPKiSA_iPKfiiiSC_SC_iiiii
		.amdhsa_group_segment_fixed_size 784
		.amdhsa_private_segment_fixed_size 0
		.amdhsa_kernarg_size 384
		.amdhsa_user_sgpr_count 2
		.amdhsa_user_sgpr_dispatch_ptr 0
		.amdhsa_user_sgpr_queue_ptr 0
		.amdhsa_user_sgpr_kernarg_segment_ptr 1
		.amdhsa_user_sgpr_dispatch_id 0
		.amdhsa_user_sgpr_kernarg_preload_length 0
		.amdhsa_user_sgpr_kernarg_preload_offset 0
		.amdhsa_user_sgpr_private_segment_size 0
		.amdhsa_uses_dynamic_stack 0
		.amdhsa_enable_private_segment 0
		.amdhsa_system_sgpr_workgroup_id_x 1
		.amdhsa_system_sgpr_workgroup_id_y 1
		.amdhsa_system_sgpr_workgroup_id_z 1
		.amdhsa_system_sgpr_workgroup_info 0
		.amdhsa_system_vgpr_workitem_id 0
		.amdhsa_next_free_vgpr 67
		.amdhsa_next_free_sgpr 35
		.amdhsa_accum_offset 68
		.amdhsa_reserve_vcc 1
		.amdhsa_float_round_mode_32 0
		.amdhsa_float_round_mode_16_64 0
		.amdhsa_float_denorm_mode_32 3
		.amdhsa_float_denorm_mode_16_64 3
		.amdhsa_dx10_clamp 1
		.amdhsa_ieee_mode 1
		.amdhsa_fp16_overflow 0
		.amdhsa_tg_split 0
		.amdhsa_exception_fp_ieee_invalid_op 0
		.amdhsa_exception_fp_denorm_src 0
		.amdhsa_exception_fp_ieee_div_zero 0
		.amdhsa_exception_fp_ieee_overflow 0
		.amdhsa_exception_fp_ieee_underflow 0
		.amdhsa_exception_fp_ieee_inexact 0
		.amdhsa_exception_int_div_zero 0
	.end_amdhsa_kernel
	.section	.text._ZN4vllm25paged_attention_v1_kernelIffLi192ELi8ELi128ELNS_18Fp8KVCacheDataTypeE0ELb0EEEvPT_PKS2_PKT0_S8_ifPKiSA_iPKfiiiSC_SC_iiiii,"axG",@progbits,_ZN4vllm25paged_attention_v1_kernelIffLi192ELi8ELi128ELNS_18Fp8KVCacheDataTypeE0ELb0EEEvPT_PKS2_PKT0_S8_ifPKiSA_iPKfiiiSC_SC_iiiii,comdat
.Lfunc_end16:
	.size	_ZN4vllm25paged_attention_v1_kernelIffLi192ELi8ELi128ELNS_18Fp8KVCacheDataTypeE0ELb0EEEvPT_PKS2_PKT0_S8_ifPKiSA_iPKfiiiSC_SC_iiiii, .Lfunc_end16-_ZN4vllm25paged_attention_v1_kernelIffLi192ELi8ELi128ELNS_18Fp8KVCacheDataTypeE0ELb0EEEvPT_PKS2_PKT0_S8_ifPKiSA_iPKfiiiSC_SC_iiiii
                                        ; -- End function
	.set _ZN4vllm25paged_attention_v1_kernelIffLi192ELi8ELi128ELNS_18Fp8KVCacheDataTypeE0ELb0EEEvPT_PKS2_PKT0_S8_ifPKiSA_iPKfiiiSC_SC_iiiii.num_vgpr, 67
	.set _ZN4vllm25paged_attention_v1_kernelIffLi192ELi8ELi128ELNS_18Fp8KVCacheDataTypeE0ELb0EEEvPT_PKS2_PKT0_S8_ifPKiSA_iPKfiiiSC_SC_iiiii.num_agpr, 0
	.set _ZN4vllm25paged_attention_v1_kernelIffLi192ELi8ELi128ELNS_18Fp8KVCacheDataTypeE0ELb0EEEvPT_PKS2_PKT0_S8_ifPKiSA_iPKfiiiSC_SC_iiiii.numbered_sgpr, 35
	.set _ZN4vllm25paged_attention_v1_kernelIffLi192ELi8ELi128ELNS_18Fp8KVCacheDataTypeE0ELb0EEEvPT_PKS2_PKT0_S8_ifPKiSA_iPKfiiiSC_SC_iiiii.num_named_barrier, 0
	.set _ZN4vllm25paged_attention_v1_kernelIffLi192ELi8ELi128ELNS_18Fp8KVCacheDataTypeE0ELb0EEEvPT_PKS2_PKT0_S8_ifPKiSA_iPKfiiiSC_SC_iiiii.private_seg_size, 0
	.set _ZN4vllm25paged_attention_v1_kernelIffLi192ELi8ELi128ELNS_18Fp8KVCacheDataTypeE0ELb0EEEvPT_PKS2_PKT0_S8_ifPKiSA_iPKfiiiSC_SC_iiiii.uses_vcc, 1
	.set _ZN4vllm25paged_attention_v1_kernelIffLi192ELi8ELi128ELNS_18Fp8KVCacheDataTypeE0ELb0EEEvPT_PKS2_PKT0_S8_ifPKiSA_iPKfiiiSC_SC_iiiii.uses_flat_scratch, 0
	.set _ZN4vllm25paged_attention_v1_kernelIffLi192ELi8ELi128ELNS_18Fp8KVCacheDataTypeE0ELb0EEEvPT_PKS2_PKT0_S8_ifPKiSA_iPKfiiiSC_SC_iiiii.has_dyn_sized_stack, 0
	.set _ZN4vllm25paged_attention_v1_kernelIffLi192ELi8ELi128ELNS_18Fp8KVCacheDataTypeE0ELb0EEEvPT_PKS2_PKT0_S8_ifPKiSA_iPKfiiiSC_SC_iiiii.has_recursion, 0
	.set _ZN4vllm25paged_attention_v1_kernelIffLi192ELi8ELi128ELNS_18Fp8KVCacheDataTypeE0ELb0EEEvPT_PKS2_PKT0_S8_ifPKiSA_iPKfiiiSC_SC_iiiii.has_indirect_call, 0
	.section	.AMDGPU.csdata,"",@progbits
; Kernel info:
; codeLenInByte = 4416
; TotalNumSgprs: 41
; NumVgprs: 67
; NumAgprs: 0
; TotalNumVgprs: 67
; ScratchSize: 0
; MemoryBound: 0
; FloatMode: 240
; IeeeMode: 1
; LDSByteSize: 784 bytes/workgroup (compile time only)
; SGPRBlocks: 5
; VGPRBlocks: 8
; NumSGPRsForWavesPerEU: 41
; NumVGPRsForWavesPerEU: 67
; AccumOffset: 68
; Occupancy: 7
; WaveLimiterHint : 1
; COMPUTE_PGM_RSRC2:SCRATCH_EN: 0
; COMPUTE_PGM_RSRC2:USER_SGPR: 2
; COMPUTE_PGM_RSRC2:TRAP_HANDLER: 0
; COMPUTE_PGM_RSRC2:TGID_X_EN: 1
; COMPUTE_PGM_RSRC2:TGID_Y_EN: 1
; COMPUTE_PGM_RSRC2:TGID_Z_EN: 1
; COMPUTE_PGM_RSRC2:TIDIG_COMP_CNT: 0
; COMPUTE_PGM_RSRC3_GFX90A:ACCUM_OFFSET: 16
; COMPUTE_PGM_RSRC3_GFX90A:TG_SPLIT: 0
	.section	.text._ZN4vllm25paged_attention_v1_kernelIffLi256ELi8ELi128ELNS_18Fp8KVCacheDataTypeE0ELb0EEEvPT_PKS2_PKT0_S8_ifPKiSA_iPKfiiiSC_SC_iiiii,"axG",@progbits,_ZN4vllm25paged_attention_v1_kernelIffLi256ELi8ELi128ELNS_18Fp8KVCacheDataTypeE0ELb0EEEvPT_PKS2_PKT0_S8_ifPKiSA_iPKfiiiSC_SC_iiiii,comdat
	.protected	_ZN4vllm25paged_attention_v1_kernelIffLi256ELi8ELi128ELNS_18Fp8KVCacheDataTypeE0ELb0EEEvPT_PKS2_PKT0_S8_ifPKiSA_iPKfiiiSC_SC_iiiii ; -- Begin function _ZN4vllm25paged_attention_v1_kernelIffLi256ELi8ELi128ELNS_18Fp8KVCacheDataTypeE0ELb0EEEvPT_PKS2_PKT0_S8_ifPKiSA_iPKfiiiSC_SC_iiiii
	.globl	_ZN4vllm25paged_attention_v1_kernelIffLi256ELi8ELi128ELNS_18Fp8KVCacheDataTypeE0ELb0EEEvPT_PKS2_PKT0_S8_ifPKiSA_iPKfiiiSC_SC_iiiii
	.p2align	8
	.type	_ZN4vllm25paged_attention_v1_kernelIffLi256ELi8ELi128ELNS_18Fp8KVCacheDataTypeE0ELb0EEEvPT_PKS2_PKT0_S8_ifPKiSA_iPKfiiiSC_SC_iiiii,@function
_ZN4vllm25paged_attention_v1_kernelIffLi256ELi8ELi128ELNS_18Fp8KVCacheDataTypeE0ELb0EEEvPT_PKS2_PKT0_S8_ifPKiSA_iPKfiiiSC_SC_iiiii: ; @_ZN4vllm25paged_attention_v1_kernelIffLi256ELi8ELi128ELNS_18Fp8KVCacheDataTypeE0ELb0EEEvPT_PKS2_PKT0_S8_ifPKiSA_iPKfiiiSC_SC_iiiii
; %bb.0:
	s_load_dword s5, s[0:1], 0x80
	s_load_dwordx2 s[6:7], s[0:1], 0x30
	s_load_dwordx2 s[8:9], s[0:1], 0x20
	s_mov_b32 s10, s3
	s_ashr_i32 s11, s3, 31
	s_lshl_b64 s[12:13], s[10:11], 2
	s_waitcnt lgkmcnt(0)
	s_add_u32 s6, s6, s12
	s_addc_u32 s7, s7, s13
	s_abs_i32 s3, s8
	v_cvt_f32_u32_e32 v1, s3
	s_sub_i32 s12, 0, s3
	s_abs_i32 s11, s5
	s_xor_b32 s8, s5, s8
	v_rcp_iflag_f32_e32 v1, v1
	s_ashr_i32 s8, s8, 31
	v_mul_f32_e32 v1, 0x4f7ffffe, v1
	v_cvt_u32_f32_e32 v1, v1
	s_nop 0
	v_readfirstlane_b32 s13, v1
	s_mul_i32 s12, s12, s13
	s_mul_hi_u32 s12, s13, s12
	s_add_i32 s13, s13, s12
	s_mul_hi_u32 s12, s11, s13
	s_mul_i32 s13, s12, s3
	s_sub_i32 s11, s11, s13
	s_add_i32 s13, s12, 1
	s_sub_i32 s14, s11, s3
	s_cmp_ge_u32 s11, s3
	s_cselect_b32 s12, s13, s12
	s_cselect_b32 s11, s14, s11
	s_add_i32 s13, s12, 1
	s_cmp_ge_u32 s11, s3
	s_cselect_b32 s3, s13, s12
	s_xor_b32 s3, s3, s8
	s_sub_i32 s11, s3, s8
	s_abs_i32 s18, s11
	v_cvt_f32_u32_e32 v1, s18
	s_load_dwordx2 s[12:13], s[0:1], 0x40
	s_sub_i32 s3, 0, s18
	s_abs_i32 s19, s2
	v_rcp_iflag_f32_e32 v1, v1
	s_mov_b32 s8, 0
	v_mul_f32_e32 v1, 0x4f7ffffe, v1
	v_cvt_u32_f32_e32 v1, v1
	s_nop 0
	v_readfirstlane_b32 s14, v1
	s_mul_i32 s3, s3, s14
	s_mul_hi_u32 s3, s14, s3
	s_add_i32 s14, s14, s3
	s_waitcnt lgkmcnt(0)
	s_cmp_eq_u64 s[12:13], 0
	s_mul_hi_u32 s22, s19, s14
	s_cbranch_scc1 .LBB17_2
; %bb.1:
	s_ashr_i32 s3, s2, 31
	s_lshl_b64 s[14:15], s[2:3], 2
	s_add_u32 s12, s12, s14
	s_addc_u32 s13, s13, s15
	s_load_dword s8, s[12:13], 0x0
.LBB17_2:
	s_load_dword s33, s[6:7], 0x0
	s_ashr_i32 s24, s11, 31
	s_load_dword s11, s[0:1], 0x88
	s_load_dwordx4 s[12:15], s[0:1], 0x48
	s_ashr_i32 s23, s2, 31
	s_lshl_b32 s16, s2, 8
	s_movk_i32 s2, 0x100
	v_and_b32_e32 v34, 7, v0
	v_cmp_gt_u32_e32 vcc, s2, v0
	v_lshlrev_b32_e32 v46, 2, v0
	s_and_saveexec_b64 s[2:3], vcc
	s_cbranch_execz .LBB17_5
; %bb.3:
	s_load_dwordx2 s[6:7], s[0:1], 0x8
	s_waitcnt lgkmcnt(0)
	s_mul_i32 s20, s12, s10
	s_ashr_i32 s21, s20, 31
	s_lshl_b64 s[20:21], s[20:21], 2
	v_lshrrev_b32_e32 v1, 3, v0
	s_add_u32 s12, s6, s20
	s_addc_u32 s15, s7, s21
	s_ashr_i32 s17, s16, 31
	s_lshl_b64 s[6:7], s[16:17], 2
	s_add_u32 s6, s12, s6
	s_addc_u32 s7, s15, s7
	global_load_dword v3, v46, s[6:7]
	s_movk_i32 s12, 0x80
	v_lshlrev_b32_e32 v2, 2, v1
	v_lshl_add_u32 v2, v34, 7, v2
	v_cmp_gt_u32_e32 vcc, s12, v0
	s_waitcnt vmcnt(0)
	ds_write_b32 v2, v3
	s_and_b64 exec, exec, vcc
	s_cbranch_execz .LBB17_5
; %bb.4:
	v_lshlrev_b32_e32 v1, 5, v1
	v_lshlrev_b32_e32 v3, 2, v34
	s_movk_i32 s12, 0x200
	v_or3_b32 v1, v1, v3, s12
	global_load_dword v1, v1, s[6:7]
	s_waitcnt vmcnt(0)
	ds_write_b32 v2, v1 offset:64
.LBB17_5:
	s_or_b64 exec, exec, s[2:3]
	s_waitcnt lgkmcnt(0)
	s_add_i32 s3, s33, 7
	s_ashr_i32 s6, s3, 31
	s_lshr_b32 s6, s6, 29
	s_add_i32 s3, s3, s6
	s_mul_i32 s6, s22, s18
	s_sub_i32 s6, s19, s6
	s_ashr_i32 s12, s3, 3
	s_xor_b32 s3, s23, s24
	s_add_i32 s7, s22, 1
	s_sub_i32 s15, s6, s18
	s_load_dwordx2 s[20:21], s[0:1], 0x28
	s_load_dword s2, s[0:1], 0x38
	s_cmp_ge_u32 s6, s18
	s_cselect_b32 s7, s7, s22
	s_cselect_b32 s6, s15, s6
	s_add_i32 s15, s7, 1
	s_cmp_ge_u32 s6, s18
	s_cselect_b32 s6, s15, s7
	v_lshrrev_b32_e32 v1, 6, v0
	s_xor_b32 s6, s6, s3
	s_waitcnt lgkmcnt(0)
	s_mul_i32 s22, s2, s10
	s_sub_i32 s15, s6, s3
	s_ashr_i32 s23, s22, 31
	v_cmp_gt_i32_e64 s[2:3], s12, v1
	v_cmp_le_i32_e32 vcc, s12, v1
	v_mbcnt_lo_u32_b32 v35, -1, 0
	s_barrier
                                        ; implicit-def: $vgpr38
                                        ; implicit-def: $vgpr40
                                        ; implicit-def: $vgpr39
	s_and_saveexec_b64 s[6:7], vcc
	s_xor_b64 s[6:7], exec, s[6:7]
; %bb.6:
	v_mbcnt_hi_u32_b32 v38, -1, v35
	v_and_b32_e32 v40, 64, v38
	v_add_u32_e32 v39, 64, v40
                                        ; implicit-def: $vgpr34
                                        ; implicit-def: $vgpr35
; %bb.7:
	s_or_saveexec_b64 s[26:27], s[6:7]
	s_load_dwordx2 s[18:19], s[0:1], 0x0
	s_load_dwordx2 s[24:25], s[0:1], 0x18
	v_mov_b32_e32 v41, 0xff7fffff
	s_mul_i32 s14, s15, s14
	v_lshrrev_b32_e32 v48, 4, v0
	s_xor_b64 exec, exec, s[26:27]
	s_cbranch_execz .LBB17_13
; %bb.8:
	s_load_dwordx2 s[0:1], s[0:1], 0x10
	s_ashr_i32 s15, s14, 31
	s_lshl_b64 s[6:7], s[14:15], 2
	v_mbcnt_hi_u32_b32 v38, -1, v35
	v_bfe_u32 v41, v0, 3, 3
	s_waitcnt lgkmcnt(0)
	s_add_u32 s0, s0, s6
	v_and_b32_e32 v40, 64, v38
	s_addc_u32 s1, s1, s7
	v_lshlrev_b32_e32 v36, 4, v41
	v_mov_b32_e32 v37, 0
	v_and_b32_e32 v4, 3, v0
	v_add_u32_e32 v39, 64, v40
	v_xor_b32_e32 v35, 4, v38
	v_lshl_add_u64 v[2:3], s[0:1], 0, v[36:37]
	v_lshlrev_b32_e32 v36, 2, v4
	v_lshlrev_b32_e32 v30, 7, v34
	v_cmp_lt_i32_e32 vcc, v35, v39
	v_lshl_add_u64 v[50:51], v[2:3], 0, v[36:37]
	ds_read_b128 v[2:5], v30
	ds_read_b128 v[6:9], v30 offset:16
	ds_read_b128 v[10:13], v30 offset:32
	;; [unrolled: 1-line block ×7, first 2 shown]
	v_cndmask_b32_e32 v35, v38, v35, vcc
	v_lshlrev_b32_e32 v42, 2, v35
	v_xor_b32_e32 v35, 2, v38
	v_cmp_lt_i32_e32 vcc, v35, v39
	v_lshlrev_b32_e32 v47, 2, v41
	s_sub_i32 s15, 1, s33
	v_cndmask_b32_e32 v35, v38, v35, vcc
	v_lshlrev_b32_e32 v43, 2, v35
	v_xor_b32_e32 v35, 1, v38
	v_cmp_lt_i32_e32 vcc, v35, v39
	s_lshl_b64 s[6:7], s[22:23], 2
	s_add_u32 s6, s20, s6
	v_cndmask_b32_e32 v35, v38, v35, vcc
	v_cmp_eq_u32_e32 vcc, 0, v34
	v_lshlrev_b32_e32 v34, 5, v0
	v_and_b32_e32 v36, 0x80, v34
	v_lshlrev_b32_e32 v44, 2, v35
	v_lshl_add_u64 v[34:35], v[50:51], 0, v[36:37]
	v_lshl_or_b32 v36, v1, 5, v47
	v_add_u32_e32 v47, 0x410, v36
	v_and_b32_e32 v36, 60, v48
	s_addc_u32 s7, s21, s7
	s_mov_b32 s17, s13
	v_cmp_neq_f32_e64 s[0:1], s8, 0
	v_lshl_or_b32 v45, v1, 3, v41
	v_lshl_add_u64 v[36:37], s[6:7], 0, v[36:37]
	v_mov_b32_e32 v41, 0xff7fffff
	s_mov_b64 s[28:29], 0
	s_movk_i32 s34, 0x1000
	v_mov_b32_e32 v49, v1
	s_branch .LBB17_10
.LBB17_9:                               ;   in Loop: Header=BB17_10 Depth=1
	s_or_b64 exec, exec, s[30:31]
	v_add_u32_e32 v49, 2, v49
	v_cmp_le_i32_e64 s[6:7], s12, v49
	v_add_u32_e32 v45, 16, v45
	v_add_u32_e32 v47, 64, v47
	s_or_b64 s[28:29], s[6:7], s[28:29]
	v_lshl_add_u64 v[36:37], v[36:37], 0, 8
	s_andn2_b64 exec, exec, s[28:29]
	s_cbranch_execz .LBB17_12
.LBB17_10:                              ; =>This Inner Loop Header: Depth=1
	global_load_dword v50, v[36:37], off
	s_waitcnt vmcnt(0) lgkmcnt(0)
	v_mad_i64_i32 v[50:51], s[6:7], v50, s17, 0
	v_lshl_add_u64 v[50:51], v[50:51], 2, v[34:35]
	global_load_dword v52, v[50:51], off
	global_load_dword v53, v[50:51], off offset:256
	global_load_dword v54, v[50:51], off offset:512
	;; [unrolled: 1-line block ×15, first 2 shown]
	v_add_co_u32_e64 v50, s[6:7], s34, v50
	s_nop 1
	v_addc_co_u32_e64 v51, s[6:7], 0, v51, s[6:7]
	global_load_dword v68, v[50:51], off
	global_load_dword v69, v[50:51], off offset:256
	global_load_dword v70, v[50:51], off offset:512
	;; [unrolled: 1-line block ×14, first 2 shown]
	s_nop 0
	global_load_dword v50, v[50:51], off offset:3840
	s_waitcnt vmcnt(30) lgkmcnt(7)
	v_mul_f32_e32 v51, v3, v53
	v_fmac_f32_e32 v51, v2, v52
	s_waitcnt vmcnt(29)
	v_fmac_f32_e32 v51, v4, v54
	s_waitcnt vmcnt(28)
	v_fmac_f32_e32 v51, v5, v55
	s_waitcnt vmcnt(27) lgkmcnt(6)
	v_fmac_f32_e32 v51, v6, v56
	s_waitcnt vmcnt(26)
	v_fmac_f32_e32 v51, v7, v57
	s_waitcnt vmcnt(25)
	v_fmac_f32_e32 v51, v8, v58
	s_waitcnt vmcnt(24)
	v_fmac_f32_e32 v51, v9, v59
	s_waitcnt vmcnt(23) lgkmcnt(5)
	v_fmac_f32_e32 v51, v10, v60
	s_waitcnt vmcnt(22)
	;; [unrolled: 8-line block ×7, first 2 shown]
	v_fmac_f32_e32 v51, v31, v81
	s_waitcnt vmcnt(1)
	v_fmac_f32_e32 v51, v32, v82
	s_waitcnt vmcnt(0)
	v_fmac_f32_e32 v51, v33, v50
	ds_bpermute_b32 v50, v42, v51
	s_waitcnt lgkmcnt(0)
	v_add_f32_e32 v50, v51, v50
	ds_bpermute_b32 v51, v43, v50
	s_waitcnt lgkmcnt(0)
	v_add_f32_e32 v50, v50, v51
	ds_bpermute_b32 v51, v44, v50
	s_and_saveexec_b64 s[30:31], vcc
	s_cbranch_execz .LBB17_9
; %bb.11:                               ;   in Loop: Header=BB17_10 Depth=1
	v_add_u32_e32 v52, s15, v45
	v_cvt_f32_i32_e32 v52, v52
	s_waitcnt lgkmcnt(0)
	v_add_f32_e32 v50, v50, v51
	v_cmp_gt_i32_e64 s[6:7], s33, v45
	v_max_f32_e32 v51, v41, v41
	v_mul_f32_e32 v52, s8, v52
	v_cndmask_b32_e64 v52, 0, v52, s[0:1]
	v_fmac_f32_e32 v52, s9, v50
	v_cndmask_b32_e64 v50, 0, v52, s[6:7]
	ds_write_b32 v47, v50
	v_max_f32_e32 v50, v51, v52
	v_cndmask_b32_e64 v41, v41, v50, s[6:7]
	s_branch .LBB17_9
.LBB17_12:
	s_or_b64 exec, exec, s[28:29]
.LBB17_13:
	s_or_b64 exec, exec, s[26:27]
	v_xor_b32_e32 v2, 32, v38
	v_cmp_lt_i32_e32 vcc, v2, v39
	v_xor_b32_e32 v5, 16, v38
	v_max_f32_e32 v4, v41, v41
	v_cndmask_b32_e32 v2, v38, v2, vcc
	v_lshlrev_b32_e32 v3, 2, v2
	ds_bpermute_b32 v2, v3, v41
	v_cmp_lt_i32_e32 vcc, v5, v39
	v_xor_b32_e32 v6, 8, v38
	v_and_b32_e32 v50, 63, v0
	s_waitcnt lgkmcnt(0)
	v_max_f32_e32 v2, v2, v2
	v_max_f32_e32 v2, v4, v2
	v_cndmask_b32_e32 v4, v38, v5, vcc
	v_lshlrev_b32_e32 v5, 2, v4
	ds_bpermute_b32 v4, v5, v2
	v_cmp_lt_i32_e32 vcc, v6, v39
	s_waitcnt lgkmcnt(0)
	v_max_f32_e32 v4, v4, v4
	v_max_f32_e32 v4, v2, v4
	v_cndmask_b32_e32 v2, v38, v6, vcc
	v_lshlrev_b32_e32 v6, 2, v2
	ds_bpermute_b32 v7, v6, v4
	v_cmp_eq_u32_e32 vcc, 0, v50
	v_lshlrev_b32_e32 v2, 2, v1
	s_and_saveexec_b64 s[0:1], vcc
	s_cbranch_execz .LBB17_15
; %bb.14:
	s_waitcnt lgkmcnt(0)
	v_max_f32_e32 v7, v7, v7
	v_max_f32_e32 v4, v4, v4
	;; [unrolled: 1-line block ×3, first 2 shown]
	ds_write_b32 v2, v4 offset:1024
.LBB17_15:
	s_or_b64 exec, exec, s[0:1]
	v_cmp_gt_u32_e64 s[0:1], 2, v50
	s_waitcnt lgkmcnt(0)
	v_mov_b32_e32 v7, 0xff7fffff
	v_lshlrev_b32_e32 v4, 2, v50
	s_barrier
	s_and_saveexec_b64 s[6:7], s[0:1]
; %bb.16:
	ds_read_b32 v7, v4 offset:1024
; %bb.17:
	s_or_b64 exec, exec, s[6:7]
	v_xor_b32_e32 v8, 1, v38
	v_cmp_lt_i32_e64 s[6:7], v8, v39
	s_nop 1
	v_cndmask_b32_e64 v8, v38, v8, s[6:7]
	v_lshlrev_b32_e32 v51, 2, v8
	s_waitcnt lgkmcnt(0)
	ds_bpermute_b32 v8, v51, v7
	v_max_f32_e32 v7, v7, v7
	s_lshl_b32 s6, s12, 3
	s_min_i32 s15, s6, s33
	v_cmp_gt_i32_e64 s[6:7], s15, v0
	s_waitcnt lgkmcnt(0)
	v_max_f32_e32 v8, v8, v8
	v_max_f32_e32 v7, v7, v8
	v_lshlrev_b32_e32 v8, 2, v40
	ds_bpermute_b32 v8, v8, v7
	v_mov_b32_e32 v7, 0
	s_and_saveexec_b64 s[26:27], s[6:7]
	s_cbranch_execz .LBB17_21
; %bb.18:
	v_mov_b32_e32 v7, 0x410
	v_lshl_add_u32 v9, v0, 2, v7
	v_mov_b32_e32 v7, 0
	s_mov_b64 s[28:29], 0
	v_mov_b32_e32 v10, v0
.LBB17_19:                              ; =>This Inner Loop Header: Depth=1
	ds_read_b32 v11, v9
	v_add_u32_e32 v10, 0x80, v10
	v_cmp_le_i32_e64 s[8:9], s15, v10
	s_or_b64 s[28:29], s[8:9], s[28:29]
	s_waitcnt lgkmcnt(0)
	v_sub_f32_e32 v11, v11, v8
	v_mul_f32_e32 v11, 0x3fb8aa3b, v11
	v_exp_f32_e32 v11, v11
	ds_write_b32 v9, v11
	v_add_f32_e32 v7, v7, v11
	v_add_u32_e32 v9, 0x200, v9
	s_andn2_b64 exec, exec, s[28:29]
	s_cbranch_execnz .LBB17_19
; %bb.20:
	s_or_b64 exec, exec, s[28:29]
.LBB17_21:
	s_or_b64 exec, exec, s[26:27]
	ds_bpermute_b32 v3, v3, v7
	s_waitcnt lgkmcnt(0)
	v_add_f32_e32 v3, v7, v3
	ds_bpermute_b32 v5, v5, v3
	s_waitcnt lgkmcnt(0)
	v_add_f32_e32 v3, v3, v5
	ds_bpermute_b32 v5, v6, v3
	v_xor_b32_e32 v6, 4, v38
	v_cmp_lt_i32_e64 s[8:9], v6, v39
	s_waitcnt lgkmcnt(0)
	v_add_f32_e32 v3, v3, v5
	v_cndmask_b32_e64 v6, v38, v6, s[8:9]
	v_lshlrev_b32_e32 v6, 2, v6
	ds_bpermute_b32 v5, v6, v3
	v_xor_b32_e32 v6, 2, v38
	v_cmp_lt_i32_e64 s[8:9], v6, v39
	s_waitcnt lgkmcnt(0)
	v_add_f32_e32 v3, v3, v5
	v_cndmask_b32_e64 v6, v38, v6, s[8:9]
	v_lshlrev_b32_e32 v5, 2, v6
	ds_bpermute_b32 v5, v5, v3
	s_waitcnt lgkmcnt(0)
	v_add_f32_e32 v3, v3, v5
	ds_bpermute_b32 v5, v51, v3
	s_waitcnt lgkmcnt(0)
	v_add_f32_e32 v3, v3, v5
	s_and_saveexec_b64 s[8:9], vcc
; %bb.22:
	ds_write_b32 v2, v3 offset:1032
; %bb.23:
	s_or_b64 exec, exec, s[8:9]
	s_waitcnt lgkmcnt(0)
	s_barrier
	s_and_saveexec_b64 s[8:9], s[0:1]
; %bb.24:
	ds_read_b32 v3, v4 offset:1032
; %bb.25:
	s_or_b64 exec, exec, s[8:9]
	s_waitcnt lgkmcnt(0)
	ds_bpermute_b32 v2, v51, v3
	v_lshlrev_b32_e32 v4, 2, v38
	s_waitcnt lgkmcnt(0)
	v_add_f32_e32 v2, v3, v2
	v_and_b32_e32 v3, 0xffffff00, v4
	ds_bpermute_b32 v2, v3, v2
	s_and_saveexec_b64 s[0:1], s[6:7]
	s_cbranch_execz .LBB17_38
; %bb.26:
	s_waitcnt lgkmcnt(0)
	v_add_f32_e32 v2, 0x358637bd, v2
	v_div_scale_f32 v3, s[6:7], v2, v2, 1.0
	v_rcp_f32_e32 v4, v3
	v_div_scale_f32 v5, vcc, 1.0, v2, 1.0
	s_movk_i32 s6, 0x7f
	v_fma_f32 v6, -v3, v4, 1.0
	v_fmac_f32_e32 v4, v6, v4
	v_mul_f32_e32 v6, v5, v4
	v_fma_f32 v7, -v3, v6, v5
	v_fmac_f32_e32 v6, v7, v4
	v_fma_f32 v3, -v3, v6, v5
	v_div_fmas_f32 v3, v3, v4, v6
	v_xad_u32 v4, v0, -1, s15
	v_div_fixup_f32 v2, v3, v2, 1.0
	v_cmp_lt_u32_e32 vcc, s6, v4
	s_mov_b64 s[8:9], -1
	v_mov_b32_e32 v3, v0
	s_and_saveexec_b64 s[6:7], vcc
	s_cbranch_execz .LBB17_35
; %bb.27:
	v_lshrrev_b32_e32 v4, 7, v4
	v_add_u32_e32 v6, -1, v4
	v_lshrrev_b32_e32 v5, 1, v6
	v_mov_b32_e32 v3, v2
	v_add_u32_e32 v5, 1, v5
	v_cmp_lt_u32_e32 vcc, 13, v6
	v_mov_b32_e32 v8, 0
	s_and_saveexec_b64 s[8:9], vcc
	s_cbranch_execz .LBB17_31
; %bb.28:
	v_mov_b32_e32 v7, 0x410
	v_and_b32_e32 v6, -8, v5
	v_lshl_add_u32 v7, v0, 2, v7
	s_mov_b32 s17, 0
	s_mov_b64 s[26:27], 0
.LBB17_29:                              ; =>This Inner Loop Header: Depth=1
	ds_read2st64_b32 v[8:9], v7 offset1:2
	ds_read2st64_b32 v[10:11], v7 offset0:4 offset1:6
	ds_read2st64_b32 v[12:13], v7 offset0:8 offset1:10
	;; [unrolled: 1-line block ×3, first 2 shown]
	v_add_u32_e32 v6, -8, v6
	s_waitcnt lgkmcnt(3)
	v_pk_mul_f32 v[8:9], v[2:3], v[8:9]
	s_waitcnt lgkmcnt(2)
	v_pk_mul_f32 v[10:11], v[2:3], v[10:11]
	ds_write2st64_b32 v7, v8, v9 offset1:2
	ds_write2st64_b32 v7, v10, v11 offset0:4 offset1:6
	ds_read2st64_b32 v[10:11], v7 offset0:16 offset1:18
	s_waitcnt lgkmcnt(4)
	v_pk_mul_f32 v[8:9], v[2:3], v[12:13]
	ds_write2st64_b32 v7, v8, v9 offset0:8 offset1:10
	s_waitcnt lgkmcnt(4)
	v_pk_mul_f32 v[8:9], v[2:3], v[14:15]
	ds_write2st64_b32 v7, v8, v9 offset0:12 offset1:14
	ds_read2st64_b32 v[8:9], v7 offset0:20 offset1:22
	s_waitcnt lgkmcnt(3)
	v_pk_mul_f32 v[10:11], v[2:3], v[10:11]
	ds_read2st64_b32 v[12:13], v7 offset0:24 offset1:26
	ds_write2st64_b32 v7, v10, v11 offset0:16 offset1:18
	ds_read2st64_b32 v[10:11], v7 offset0:28 offset1:30
	s_waitcnt lgkmcnt(3)
	v_pk_mul_f32 v[8:9], v[2:3], v[8:9]
	ds_write2st64_b32 v7, v8, v9 offset0:20 offset1:22
	s_waitcnt lgkmcnt(3)
	v_pk_mul_f32 v[8:9], v[2:3], v[12:13]
	ds_write2st64_b32 v7, v8, v9 offset0:24 offset1:26
	s_waitcnt lgkmcnt(2)
	v_pk_mul_f32 v[8:9], v[2:3], v[10:11]
	s_add_i32 s17, s17, 16
	v_cmp_eq_u32_e32 vcc, 0, v6
	ds_write2st64_b32 v7, v8, v9 offset0:28 offset1:30
	v_add_u32_e32 v7, 0x2000, v7
	s_or_b64 s[26:27], vcc, s[26:27]
	v_mov_b32_e32 v8, s17
	s_andn2_b64 exec, exec, s[26:27]
	s_cbranch_execnz .LBB17_29
; %bb.30:
	s_or_b64 exec, exec, s[26:27]
.LBB17_31:
	s_or_b64 exec, exec, s[8:9]
	v_and_b32_e32 v5, 7, v5
	v_cmp_ne_u32_e32 vcc, 0, v5
	s_and_saveexec_b64 s[8:9], vcc
	s_cbranch_execz .LBB17_34
; %bb.32:
	v_lshlrev_b32_e32 v6, 9, v8
	s_movk_i32 s17, 0x410
	v_add3_u32 v6, v6, v46, s17
	s_mov_b64 s[26:27], 0
.LBB17_33:                              ; =>This Inner Loop Header: Depth=1
	ds_read2st64_b32 v[8:9], v6 offset1:2
	v_add_u32_e32 v5, -1, v5
	v_cmp_eq_u32_e32 vcc, 0, v5
	s_or_b64 s[26:27], vcc, s[26:27]
	s_waitcnt lgkmcnt(0)
	v_pk_mul_f32 v[8:9], v[2:3], v[8:9]
	ds_write2st64_b32 v6, v8, v9 offset1:2
	v_add_u32_e32 v6, 0x400, v6
	s_andn2_b64 exec, exec, s[26:27]
	s_cbranch_execnz .LBB17_33
.LBB17_34:
	s_or_b64 exec, exec, s[8:9]
	v_add_u32_e32 v4, 1, v4
	v_and_b32_e32 v5, 0x3fffffe, v4
	v_cmp_ne_u32_e32 vcc, v4, v5
	v_lshl_add_u32 v3, v5, 7, v0
	s_orn2_b64 s[8:9], vcc, exec
.LBB17_35:
	s_or_b64 exec, exec, s[6:7]
	s_and_b64 exec, exec, s[8:9]
	s_cbranch_execz .LBB17_38
; %bb.36:
	v_mov_b32_e32 v4, 0x410
	v_lshl_add_u32 v4, v3, 2, v4
	s_mov_b64 s[6:7], 0
.LBB17_37:                              ; =>This Inner Loop Header: Depth=1
	ds_read_b32 v5, v4
	v_add_u32_e32 v3, 0x80, v3
	v_cmp_le_i32_e32 vcc, s15, v3
	s_or_b64 s[6:7], vcc, s[6:7]
	s_waitcnt lgkmcnt(0)
	v_mul_f32_e32 v5, v2, v5
	ds_write_b32 v4, v5
	v_add_u32_e32 v4, 0x200, v4
	s_andn2_b64 exec, exec, s[6:7]
	s_cbranch_execnz .LBB17_37
.LBB17_38:
	s_or_b64 exec, exec, s[0:1]
	v_mov_b32_e32 v39, 0
	v_and_b32_e32 v52, 1, v0
	v_mov_b32_e32 v38, v39
	v_mov_b32_e32 v41, v39
	;; [unrolled: 1-line block ×7, first 2 shown]
	s_waitcnt lgkmcnt(0)
	s_barrier
	s_and_saveexec_b64 s[6:7], s[2:3]
	s_cbranch_execz .LBB17_58
; %bb.39:
	s_ashr_i32 s15, s14, 31
	s_lshl_b64 s[0:1], s[14:15], 2
	s_add_u32 s0, s24, s0
	v_lshlrev_b32_e32 v3, 4, v0
	s_addc_u32 s1, s25, s1
	v_and_b32_e32 v38, 0x3f0, v3
	v_mov_b32_e32 v39, 0
	v_and_b32_e32 v2, 4, v46
	s_add_i32 s14, s12, -1
	v_lshl_add_u64 v[46:47], s[0:1], 0, v[38:39]
	s_lshl_b64 s[0:1], s[22:23], 2
	v_lshl_or_b32 v53, v1, 3, v2
	v_lshlrev_b32_e32 v2, 4, v52
	s_add_u32 s0, s20, s0
	v_lshl_or_b32 v2, v1, 5, v2
	v_and_b32_e32 v38, 60, v48
	s_addc_u32 s1, s21, s1
	s_mov_b32 s15, s33
	v_add_u32_e32 v54, 0x410, v2
	v_lshl_add_u64 v[48:49], s[0:1], 0, v[38:39]
	s_mov_b64 s[2:3], 0
	v_mov_b32_e32 v38, v39
	v_mov_b32_e32 v41, v39
	;; [unrolled: 1-line block ×7, first 2 shown]
	s_branch .LBB17_41
.LBB17_40:                              ;   in Loop: Header=BB17_41 Depth=1
	s_or_b64 exec, exec, s[8:9]
	s_waitcnt vmcnt(1) lgkmcnt(0)
	v_mul_f32_e32 v34, v2, v34
	v_mul_f32_e32 v26, v2, v26
	;; [unrolled: 1-line block ×7, first 2 shown]
	v_fmac_f32_e32 v34, v3, v35
	v_fmac_f32_e32 v26, v3, v27
	v_fmac_f32_e32 v22, v3, v23
	v_fmac_f32_e32 v18, v3, v19
	v_fmac_f32_e32 v14, v3, v15
	v_fmac_f32_e32 v10, v3, v11
	v_fmac_f32_e32 v6, v3, v7
	v_fmac_f32_e32 v34, v4, v36
	v_fmac_f32_e32 v26, v4, v28
	v_fmac_f32_e32 v22, v4, v24
	v_fmac_f32_e32 v18, v4, v20
	v_fmac_f32_e32 v14, v4, v16
	v_fmac_f32_e32 v10, v4, v12
	v_fmac_f32_e32 v6, v4, v8
	s_waitcnt vmcnt(0)
	v_pk_mul_f32 v[2:3], v[2:3], v[30:31]
	v_fmac_f32_e32 v34, v5, v37
	v_fmac_f32_e32 v26, v5, v29
	;; [unrolled: 1-line block ×7, first 2 shown]
	v_pk_mul_f32 v[4:5], v[4:5], v[32:33]
	v_add_f32_e32 v2, v3, v2
	v_add_f32_e32 v2, v4, v2
	v_add_u32_e32 v1, 2, v1
	v_add_f32_e32 v2, v5, v2
	v_cmp_le_i32_e32 vcc, s12, v1
	v_add_f32_e32 v38, v38, v34
	v_add_f32_e32 v41, v41, v26
	;; [unrolled: 1-line block ×8, first 2 shown]
	v_add_u32_e32 v53, 16, v53
	v_add_u32_e32 v54, 64, v54
	s_or_b64 s[2:3], vcc, s[2:3]
	v_lshl_add_u64 v[48:49], v[48:49], 0, 8
	s_andn2_b64 exec, exec, s[2:3]
	s_cbranch_execz .LBB17_57
.LBB17_41:                              ; =>This Inner Loop Header: Depth=1
	global_load_dword v2, v[48:49], off
	v_add_u32_e32 v57, 1, v53
	v_or_b32_e32 v56, 3, v53
	v_or_b32_e32 v55, 2, v53
	s_waitcnt vmcnt(0)
	v_mad_i64_i32 v[2:3], s[0:1], v2, s13, 0
	v_lshl_add_u64 v[30:31], v[2:3], 2, v[46:47]
	global_load_dwordx4 v[6:9], v[30:31], off
	ds_read_b128 v[2:5], v54
	v_cmp_eq_u32_e64 s[0:1], s14, v1
	s_and_saveexec_b64 s[8:9], s[0:1]
	s_cbranch_execnz .LBB17_54
; %bb.42:                               ;   in Loop: Header=BB17_41 Depth=1
	s_or_b64 exec, exec, s[8:9]
	global_load_dwordx4 v[10:13], v[30:31], off offset:1024
	s_and_saveexec_b64 s[8:9], s[0:1]
	s_cbranch_execnz .LBB17_55
.LBB17_43:                              ;   in Loop: Header=BB17_41 Depth=1
	s_or_b64 exec, exec, s[8:9]
	global_load_dwordx4 v[14:17], v[30:31], off offset:2048
	s_and_saveexec_b64 s[8:9], s[0:1]
	s_cbranch_execnz .LBB17_56
.LBB17_44:                              ;   in Loop: Header=BB17_41 Depth=1
	s_or_b64 exec, exec, s[8:9]
	global_load_dwordx4 v[18:21], v[30:31], off offset:3072
	s_and_saveexec_b64 s[8:9], s[0:1]
	s_cbranch_execz .LBB17_46
.LBB17_45:                              ;   in Loop: Header=BB17_41 Depth=1
	v_cmp_gt_i32_e32 vcc, s15, v57
	s_waitcnt vmcnt(0)
	s_nop 0
	v_cndmask_b32_e32 v19, 0, v19, vcc
	v_cmp_gt_i32_e32 vcc, s33, v53
	s_nop 1
	v_cndmask_b32_e32 v18, 0, v18, vcc
	v_cmp_gt_i32_e32 vcc, s15, v56
	;; [unrolled: 3-line block ×3, first 2 shown]
	s_nop 1
	v_cndmask_b32_e32 v20, 0, v20, vcc
.LBB17_46:                              ;   in Loop: Header=BB17_41 Depth=1
	s_or_b64 exec, exec, s[8:9]
	v_add_co_u32_e32 v22, vcc, 0x1000, v30
	s_nop 1
	v_addc_co_u32_e32 v23, vcc, 0, v31, vcc
	global_load_dwordx4 v[22:25], v[22:23], off
	s_and_saveexec_b64 s[8:9], s[0:1]
	s_cbranch_execz .LBB17_48
; %bb.47:                               ;   in Loop: Header=BB17_41 Depth=1
	v_cmp_gt_i32_e32 vcc, s15, v57
	s_waitcnt vmcnt(0)
	s_nop 0
	v_cndmask_b32_e32 v23, 0, v23, vcc
	v_cmp_gt_i32_e32 vcc, s33, v53
	s_nop 1
	v_cndmask_b32_e32 v22, 0, v22, vcc
	v_cmp_gt_i32_e32 vcc, s15, v56
	s_nop 1
	v_cndmask_b32_e32 v25, 0, v25, vcc
	v_cmp_gt_i32_e32 vcc, s33, v55
	s_nop 1
	v_cndmask_b32_e32 v24, 0, v24, vcc
.LBB17_48:                              ;   in Loop: Header=BB17_41 Depth=1
	s_or_b64 exec, exec, s[8:9]
	v_add_co_u32_e32 v26, vcc, 0x1000, v30
	s_nop 1
	v_addc_co_u32_e32 v27, vcc, 0, v31, vcc
	global_load_dwordx4 v[26:29], v[26:27], off offset:1024
	s_and_saveexec_b64 s[8:9], s[0:1]
	s_cbranch_execz .LBB17_50
; %bb.49:                               ;   in Loop: Header=BB17_41 Depth=1
	v_cmp_gt_i32_e32 vcc, s15, v57
	s_waitcnt vmcnt(0)
	s_nop 0
	v_cndmask_b32_e32 v27, 0, v27, vcc
	v_cmp_gt_i32_e32 vcc, s33, v53
	s_nop 1
	v_cndmask_b32_e32 v26, 0, v26, vcc
	v_cmp_gt_i32_e32 vcc, s15, v56
	s_nop 1
	v_cndmask_b32_e32 v29, 0, v29, vcc
	v_cmp_gt_i32_e32 vcc, s33, v55
	s_nop 1
	v_cndmask_b32_e32 v28, 0, v28, vcc
.LBB17_50:                              ;   in Loop: Header=BB17_41 Depth=1
	s_or_b64 exec, exec, s[8:9]
	v_add_co_u32_e32 v32, vcc, 0x1000, v30
	s_nop 1
	v_addc_co_u32_e32 v33, vcc, 0, v31, vcc
	global_load_dwordx4 v[34:37], v[32:33], off offset:2048
	;; [unrolled: 22-line block ×3, first 2 shown]
	s_and_saveexec_b64 s[8:9], s[0:1]
	s_cbranch_execz .LBB17_40
; %bb.53:                               ;   in Loop: Header=BB17_41 Depth=1
	v_cmp_gt_i32_e32 vcc, s15, v57
	s_waitcnt vmcnt(0)
	s_nop 0
	v_cndmask_b32_e32 v31, 0, v31, vcc
	v_cmp_gt_i32_e32 vcc, s33, v53
	s_nop 1
	v_cndmask_b32_e32 v30, 0, v30, vcc
	v_cmp_gt_i32_e32 vcc, s15, v56
	;; [unrolled: 3-line block ×3, first 2 shown]
	s_nop 1
	v_cndmask_b32_e32 v32, 0, v32, vcc
	s_branch .LBB17_40
.LBB17_54:                              ;   in Loop: Header=BB17_41 Depth=1
	v_cmp_gt_i32_e32 vcc, s15, v57
	s_waitcnt vmcnt(0)
	s_nop 0
	v_cndmask_b32_e32 v7, 0, v7, vcc
	v_cmp_gt_i32_e32 vcc, s33, v53
	s_nop 1
	v_cndmask_b32_e32 v6, 0, v6, vcc
	v_cmp_gt_i32_e32 vcc, s15, v56
	;; [unrolled: 3-line block ×3, first 2 shown]
	s_nop 1
	v_cndmask_b32_e32 v8, 0, v8, vcc
	s_or_b64 exec, exec, s[8:9]
	global_load_dwordx4 v[10:13], v[30:31], off offset:1024
	s_and_saveexec_b64 s[8:9], s[0:1]
	s_cbranch_execz .LBB17_43
.LBB17_55:                              ;   in Loop: Header=BB17_41 Depth=1
	v_cmp_gt_i32_e32 vcc, s15, v57
	s_waitcnt vmcnt(0)
	s_nop 0
	v_cndmask_b32_e32 v11, 0, v11, vcc
	v_cmp_gt_i32_e32 vcc, s33, v53
	s_nop 1
	v_cndmask_b32_e32 v10, 0, v10, vcc
	v_cmp_gt_i32_e32 vcc, s15, v56
	;; [unrolled: 3-line block ×3, first 2 shown]
	s_nop 1
	v_cndmask_b32_e32 v12, 0, v12, vcc
	s_or_b64 exec, exec, s[8:9]
	global_load_dwordx4 v[14:17], v[30:31], off offset:2048
	s_and_saveexec_b64 s[8:9], s[0:1]
	s_cbranch_execz .LBB17_44
.LBB17_56:                              ;   in Loop: Header=BB17_41 Depth=1
	v_cmp_gt_i32_e32 vcc, s15, v57
	s_waitcnt vmcnt(0)
	s_nop 0
	v_cndmask_b32_e32 v15, 0, v15, vcc
	v_cmp_gt_i32_e32 vcc, s33, v53
	s_nop 1
	v_cndmask_b32_e32 v14, 0, v14, vcc
	v_cmp_gt_i32_e32 vcc, s15, v56
	;; [unrolled: 3-line block ×3, first 2 shown]
	s_nop 1
	v_cndmask_b32_e32 v16, 0, v16, vcc
	s_or_b64 exec, exec, s[8:9]
	global_load_dwordx4 v[18:21], v[30:31], off offset:3072
	s_and_saveexec_b64 s[8:9], s[0:1]
	s_cbranch_execnz .LBB17_45
	s_branch .LBB17_46
.LBB17_57:
	s_or_b64 exec, exec, s[2:3]
.LBB17_58:
	s_or_b64 exec, exec, s[6:7]
	ds_bpermute_b32 v2, v51, v44
	ds_bpermute_b32 v3, v51, v45
	;; [unrolled: 1-line block ×6, first 2 shown]
	s_waitcnt lgkmcnt(4)
	v_pk_add_f32 v[4:5], v[44:45], v[2:3]
	v_and_b32_e32 v1, 0x3c1, v0
	s_waitcnt lgkmcnt(2)
	v_pk_add_f32 v[2:3], v[42:43], v[6:7]
	v_cmp_ne_u32_e32 vcc, 64, v1
	s_waitcnt lgkmcnt(0)
	v_pk_add_f32 v[6:7], v[40:41], v[8:9]
	ds_bpermute_b32 v8, v51, v38
	ds_bpermute_b32 v9, v51, v39
	s_waitcnt lgkmcnt(0)
	s_barrier
	s_and_saveexec_b64 s[0:1], vcc
	s_xor_b64 s[0:1], exec, s[0:1]
; %bb.59:
                                        ; implicit-def: $vgpr50
; %bb.60:
	s_or_saveexec_b64 s[0:1], s[0:1]
	v_pk_add_f32 v[8:9], v[38:39], v[8:9]
	s_xor_b64 exec, exec, s[0:1]
	s_cbranch_execz .LBB17_62
; %bb.61:
	v_mov_b32_e32 v10, 0x410
	v_lshl_add_u32 v10, v50, 1, v10
	ds_write2_b32 v10, v4, v5 offset1:32
	ds_write2_b32 v10, v2, v3 offset0:64 offset1:96
	ds_write2_b32 v10, v6, v7 offset0:128 offset1:160
	;; [unrolled: 1-line block ×3, first 2 shown]
.LBB17_62:
	s_or_b64 exec, exec, s[0:1]
	v_cmp_gt_u32_e32 vcc, 64, v0
	v_lshrrev_b32_e32 v0, 1, v0
	s_waitcnt lgkmcnt(0)
	s_barrier
	s_and_saveexec_b64 s[0:1], vcc
	s_cbranch_execz .LBB17_73
; %bb.63:
	v_mov_b32_e32 v10, 0x410
	v_cmp_eq_u32_e32 vcc, 0, v52
	v_lshl_add_u32 v10, v0, 2, v10
	s_and_saveexec_b64 s[2:3], vcc
	s_cbranch_execnz .LBB17_76
; %bb.64:
	s_or_b64 exec, exec, s[2:3]
	s_and_saveexec_b64 s[2:3], vcc
	s_cbranch_execnz .LBB17_77
.LBB17_65:
	s_or_b64 exec, exec, s[2:3]
	s_and_saveexec_b64 s[2:3], vcc
	s_cbranch_execnz .LBB17_78
.LBB17_66:
	s_or_b64 exec, exec, s[2:3]
	s_and_saveexec_b64 s[2:3], vcc
	s_cbranch_execnz .LBB17_79
.LBB17_67:
	s_or_b64 exec, exec, s[2:3]
	s_and_saveexec_b64 s[2:3], vcc
	s_cbranch_execnz .LBB17_80
.LBB17_68:
	s_or_b64 exec, exec, s[2:3]
	s_and_saveexec_b64 s[2:3], vcc
	s_cbranch_execnz .LBB17_81
.LBB17_69:
	s_or_b64 exec, exec, s[2:3]
	s_and_saveexec_b64 s[2:3], vcc
	s_cbranch_execnz .LBB17_82
.LBB17_70:
	s_or_b64 exec, exec, s[2:3]
	s_and_saveexec_b64 s[2:3], vcc
	s_cbranch_execz .LBB17_72
.LBB17_71:
	ds_read_b32 v10, v10 offset:896
	s_waitcnt lgkmcnt(0)
	v_add_f32_e32 v9, v9, v10
.LBB17_72:
	s_or_b64 exec, exec, s[2:3]
.LBB17_73:
	s_or_b64 exec, exec, s[0:1]
	v_cmp_eq_u32_e32 vcc, 0, v1
	s_barrier
	s_and_saveexec_b64 s[0:1], vcc
	s_cbranch_execz .LBB17_75
; %bb.74:
	s_mul_i32 s0, s10, s11
	s_mul_i32 s0, s0, s5
	s_lshl_b32 s0, s0, 8
	s_ashr_i32 s1, s0, 31
	s_lshl_b64 s[0:1], s[0:1], 2
	s_add_u32 s2, s18, s0
	s_mul_i32 s0, s11, s16
	s_addc_u32 s3, s19, s1
	s_ashr_i32 s1, s0, 31
	s_lshl_b64 s[0:1], s[0:1], 2
	s_add_u32 s2, s2, s0
	s_addc_u32 s3, s3, s1
	s_lshl_b32 s0, s4, 8
	s_ashr_i32 s1, s0, 31
	s_lshl_b64 s[0:1], s[0:1], 2
	s_add_u32 s0, s2, s0
	s_addc_u32 s1, s3, s1
	v_lshlrev_b32_e32 v0, 2, v0
	global_store_dword v0, v4, s[0:1]
	global_store_dword v0, v5, s[0:1] offset:128
	global_store_dword v0, v2, s[0:1] offset:256
	;; [unrolled: 1-line block ×7, first 2 shown]
.LBB17_75:
	s_endpgm
.LBB17_76:
	ds_read_b32 v11, v10
	s_waitcnt lgkmcnt(0)
	v_add_f32_e32 v4, v4, v11
	s_or_b64 exec, exec, s[2:3]
	s_and_saveexec_b64 s[2:3], vcc
	s_cbranch_execz .LBB17_65
.LBB17_77:
	ds_read_b32 v11, v10 offset:128
	s_waitcnt lgkmcnt(0)
	v_add_f32_e32 v5, v5, v11
	s_or_b64 exec, exec, s[2:3]
	s_and_saveexec_b64 s[2:3], vcc
	s_cbranch_execz .LBB17_66
.LBB17_78:
	ds_read_b32 v11, v10 offset:256
	s_waitcnt lgkmcnt(0)
	v_add_f32_e32 v2, v2, v11
	s_or_b64 exec, exec, s[2:3]
	s_and_saveexec_b64 s[2:3], vcc
	s_cbranch_execz .LBB17_67
.LBB17_79:
	ds_read_b32 v11, v10 offset:384
	s_waitcnt lgkmcnt(0)
	v_add_f32_e32 v3, v3, v11
	s_or_b64 exec, exec, s[2:3]
	s_and_saveexec_b64 s[2:3], vcc
	s_cbranch_execz .LBB17_68
.LBB17_80:
	ds_read_b32 v11, v10 offset:512
	s_waitcnt lgkmcnt(0)
	v_add_f32_e32 v6, v6, v11
	s_or_b64 exec, exec, s[2:3]
	s_and_saveexec_b64 s[2:3], vcc
	s_cbranch_execz .LBB17_69
.LBB17_81:
	ds_read_b32 v11, v10 offset:640
	s_waitcnt lgkmcnt(0)
	v_add_f32_e32 v7, v7, v11
	s_or_b64 exec, exec, s[2:3]
	s_and_saveexec_b64 s[2:3], vcc
	s_cbranch_execz .LBB17_70
.LBB17_82:
	ds_read_b32 v11, v10 offset:768
	s_waitcnt lgkmcnt(0)
	v_add_f32_e32 v8, v8, v11
	s_or_b64 exec, exec, s[2:3]
	s_and_saveexec_b64 s[2:3], vcc
	s_cbranch_execnz .LBB17_71
	s_branch .LBB17_72
	.section	.rodata,"a",@progbits
	.p2align	6, 0x0
	.amdhsa_kernel _ZN4vllm25paged_attention_v1_kernelIffLi256ELi8ELi128ELNS_18Fp8KVCacheDataTypeE0ELb0EEEvPT_PKS2_PKT0_S8_ifPKiSA_iPKfiiiSC_SC_iiiii
		.amdhsa_group_segment_fixed_size 1040
		.amdhsa_private_segment_fixed_size 0
		.amdhsa_kernarg_size 384
		.amdhsa_user_sgpr_count 2
		.amdhsa_user_sgpr_dispatch_ptr 0
		.amdhsa_user_sgpr_queue_ptr 0
		.amdhsa_user_sgpr_kernarg_segment_ptr 1
		.amdhsa_user_sgpr_dispatch_id 0
		.amdhsa_user_sgpr_kernarg_preload_length 0
		.amdhsa_user_sgpr_kernarg_preload_offset 0
		.amdhsa_user_sgpr_private_segment_size 0
		.amdhsa_uses_dynamic_stack 0
		.amdhsa_enable_private_segment 0
		.amdhsa_system_sgpr_workgroup_id_x 1
		.amdhsa_system_sgpr_workgroup_id_y 1
		.amdhsa_system_sgpr_workgroup_id_z 1
		.amdhsa_system_sgpr_workgroup_info 0
		.amdhsa_system_vgpr_workitem_id 0
		.amdhsa_next_free_vgpr 83
		.amdhsa_next_free_sgpr 35
		.amdhsa_accum_offset 84
		.amdhsa_reserve_vcc 1
		.amdhsa_float_round_mode_32 0
		.amdhsa_float_round_mode_16_64 0
		.amdhsa_float_denorm_mode_32 3
		.amdhsa_float_denorm_mode_16_64 3
		.amdhsa_dx10_clamp 1
		.amdhsa_ieee_mode 1
		.amdhsa_fp16_overflow 0
		.amdhsa_tg_split 0
		.amdhsa_exception_fp_ieee_invalid_op 0
		.amdhsa_exception_fp_denorm_src 0
		.amdhsa_exception_fp_ieee_div_zero 0
		.amdhsa_exception_fp_ieee_overflow 0
		.amdhsa_exception_fp_ieee_underflow 0
		.amdhsa_exception_fp_ieee_inexact 0
		.amdhsa_exception_int_div_zero 0
	.end_amdhsa_kernel
	.section	.text._ZN4vllm25paged_attention_v1_kernelIffLi256ELi8ELi128ELNS_18Fp8KVCacheDataTypeE0ELb0EEEvPT_PKS2_PKT0_S8_ifPKiSA_iPKfiiiSC_SC_iiiii,"axG",@progbits,_ZN4vllm25paged_attention_v1_kernelIffLi256ELi8ELi128ELNS_18Fp8KVCacheDataTypeE0ELb0EEEvPT_PKS2_PKT0_S8_ifPKiSA_iPKfiiiSC_SC_iiiii,comdat
.Lfunc_end17:
	.size	_ZN4vllm25paged_attention_v1_kernelIffLi256ELi8ELi128ELNS_18Fp8KVCacheDataTypeE0ELb0EEEvPT_PKS2_PKT0_S8_ifPKiSA_iPKfiiiSC_SC_iiiii, .Lfunc_end17-_ZN4vllm25paged_attention_v1_kernelIffLi256ELi8ELi128ELNS_18Fp8KVCacheDataTypeE0ELb0EEEvPT_PKS2_PKT0_S8_ifPKiSA_iPKfiiiSC_SC_iiiii
                                        ; -- End function
	.set _ZN4vllm25paged_attention_v1_kernelIffLi256ELi8ELi128ELNS_18Fp8KVCacheDataTypeE0ELb0EEEvPT_PKS2_PKT0_S8_ifPKiSA_iPKfiiiSC_SC_iiiii.num_vgpr, 83
	.set _ZN4vllm25paged_attention_v1_kernelIffLi256ELi8ELi128ELNS_18Fp8KVCacheDataTypeE0ELb0EEEvPT_PKS2_PKT0_S8_ifPKiSA_iPKfiiiSC_SC_iiiii.num_agpr, 0
	.set _ZN4vllm25paged_attention_v1_kernelIffLi256ELi8ELi128ELNS_18Fp8KVCacheDataTypeE0ELb0EEEvPT_PKS2_PKT0_S8_ifPKiSA_iPKfiiiSC_SC_iiiii.numbered_sgpr, 35
	.set _ZN4vllm25paged_attention_v1_kernelIffLi256ELi8ELi128ELNS_18Fp8KVCacheDataTypeE0ELb0EEEvPT_PKS2_PKT0_S8_ifPKiSA_iPKfiiiSC_SC_iiiii.num_named_barrier, 0
	.set _ZN4vllm25paged_attention_v1_kernelIffLi256ELi8ELi128ELNS_18Fp8KVCacheDataTypeE0ELb0EEEvPT_PKS2_PKT0_S8_ifPKiSA_iPKfiiiSC_SC_iiiii.private_seg_size, 0
	.set _ZN4vllm25paged_attention_v1_kernelIffLi256ELi8ELi128ELNS_18Fp8KVCacheDataTypeE0ELb0EEEvPT_PKS2_PKT0_S8_ifPKiSA_iPKfiiiSC_SC_iiiii.uses_vcc, 1
	.set _ZN4vllm25paged_attention_v1_kernelIffLi256ELi8ELi128ELNS_18Fp8KVCacheDataTypeE0ELb0EEEvPT_PKS2_PKT0_S8_ifPKiSA_iPKfiiiSC_SC_iiiii.uses_flat_scratch, 0
	.set _ZN4vllm25paged_attention_v1_kernelIffLi256ELi8ELi128ELNS_18Fp8KVCacheDataTypeE0ELb0EEEvPT_PKS2_PKT0_S8_ifPKiSA_iPKfiiiSC_SC_iiiii.has_dyn_sized_stack, 0
	.set _ZN4vllm25paged_attention_v1_kernelIffLi256ELi8ELi128ELNS_18Fp8KVCacheDataTypeE0ELb0EEEvPT_PKS2_PKT0_S8_ifPKiSA_iPKfiiiSC_SC_iiiii.has_recursion, 0
	.set _ZN4vllm25paged_attention_v1_kernelIffLi256ELi8ELi128ELNS_18Fp8KVCacheDataTypeE0ELb0EEEvPT_PKS2_PKT0_S8_ifPKiSA_iPKfiiiSC_SC_iiiii.has_indirect_call, 0
	.section	.AMDGPU.csdata,"",@progbits
; Kernel info:
; codeLenInByte = 4912
; TotalNumSgprs: 41
; NumVgprs: 83
; NumAgprs: 0
; TotalNumVgprs: 83
; ScratchSize: 0
; MemoryBound: 0
; FloatMode: 240
; IeeeMode: 1
; LDSByteSize: 1040 bytes/workgroup (compile time only)
; SGPRBlocks: 5
; VGPRBlocks: 10
; NumSGPRsForWavesPerEU: 41
; NumVGPRsForWavesPerEU: 83
; AccumOffset: 84
; Occupancy: 5
; WaveLimiterHint : 1
; COMPUTE_PGM_RSRC2:SCRATCH_EN: 0
; COMPUTE_PGM_RSRC2:USER_SGPR: 2
; COMPUTE_PGM_RSRC2:TRAP_HANDLER: 0
; COMPUTE_PGM_RSRC2:TGID_X_EN: 1
; COMPUTE_PGM_RSRC2:TGID_Y_EN: 1
; COMPUTE_PGM_RSRC2:TGID_Z_EN: 1
; COMPUTE_PGM_RSRC2:TIDIG_COMP_CNT: 0
; COMPUTE_PGM_RSRC3_GFX90A:ACCUM_OFFSET: 20
; COMPUTE_PGM_RSRC3_GFX90A:TG_SPLIT: 0
	.section	.text._ZN4vllm25paged_attention_v1_kernelIffLi32ELi16ELi128ELNS_18Fp8KVCacheDataTypeE0ELb1EEEvPT_PKS2_PKT0_S8_ifPKiSA_iPKfiiiSC_SC_iiiii,"axG",@progbits,_ZN4vllm25paged_attention_v1_kernelIffLi32ELi16ELi128ELNS_18Fp8KVCacheDataTypeE0ELb1EEEvPT_PKS2_PKT0_S8_ifPKiSA_iPKfiiiSC_SC_iiiii,comdat
	.protected	_ZN4vllm25paged_attention_v1_kernelIffLi32ELi16ELi128ELNS_18Fp8KVCacheDataTypeE0ELb1EEEvPT_PKS2_PKT0_S8_ifPKiSA_iPKfiiiSC_SC_iiiii ; -- Begin function _ZN4vllm25paged_attention_v1_kernelIffLi32ELi16ELi128ELNS_18Fp8KVCacheDataTypeE0ELb1EEEvPT_PKS2_PKT0_S8_ifPKiSA_iPKfiiiSC_SC_iiiii
	.globl	_ZN4vllm25paged_attention_v1_kernelIffLi32ELi16ELi128ELNS_18Fp8KVCacheDataTypeE0ELb1EEEvPT_PKS2_PKT0_S8_ifPKiSA_iPKfiiiSC_SC_iiiii
	.p2align	8
	.type	_ZN4vllm25paged_attention_v1_kernelIffLi32ELi16ELi128ELNS_18Fp8KVCacheDataTypeE0ELb1EEEvPT_PKS2_PKT0_S8_ifPKiSA_iPKfiiiSC_SC_iiiii,@function
_ZN4vllm25paged_attention_v1_kernelIffLi32ELi16ELi128ELNS_18Fp8KVCacheDataTypeE0ELb1EEEvPT_PKS2_PKT0_S8_ifPKiSA_iPKfiiiSC_SC_iiiii: ; @_ZN4vllm25paged_attention_v1_kernelIffLi32ELi16ELi128ELNS_18Fp8KVCacheDataTypeE0ELb1EEEvPT_PKS2_PKT0_S8_ifPKiSA_iPKfiiiSC_SC_iiiii
; %bb.0:
	s_load_dword s5, s[0:1], 0x80
	s_load_dwordx2 s[6:7], s[0:1], 0x30
	s_load_dwordx2 s[30:31], s[0:1], 0x20
	s_mov_b32 s10, s3
	s_ashr_i32 s11, s3, 31
	s_lshl_b64 s[8:9], s[10:11], 2
	s_waitcnt lgkmcnt(0)
	s_add_u32 s6, s6, s8
	s_addc_u32 s7, s7, s9
	s_abs_i32 s3, s30
	v_cvt_f32_u32_e32 v1, s3
	s_sub_i32 s11, 0, s3
	s_abs_i32 s9, s5
	s_xor_b32 s8, s5, s30
	v_rcp_iflag_f32_e32 v1, v1
	s_ashr_i32 s8, s8, 31
	s_mov_b32 s42, 0
	v_mul_f32_e32 v1, 0x4f7ffffe, v1
	v_cvt_u32_f32_e32 v1, v1
	s_nop 0
	v_readfirstlane_b32 s12, v1
	s_mul_i32 s11, s11, s12
	s_mul_hi_u32 s11, s12, s11
	s_add_i32 s12, s12, s11
	s_mul_hi_u32 s11, s9, s12
	s_mul_i32 s12, s11, s3
	s_sub_i32 s9, s9, s12
	s_add_i32 s12, s11, 1
	s_sub_i32 s13, s9, s3
	s_cmp_ge_u32 s9, s3
	s_cselect_b32 s11, s12, s11
	s_cselect_b32 s9, s13, s9
	s_add_i32 s12, s11, 1
	s_cmp_ge_u32 s9, s3
	s_cselect_b32 s3, s12, s11
	s_xor_b32 s3, s3, s8
	s_sub_i32 s12, s3, s8
	s_abs_i32 s22, s12
	v_cvt_f32_u32_e32 v1, s22
	s_load_dwordx2 s[8:9], s[0:1], 0x40
	s_sub_i32 s3, 0, s22
	s_abs_i32 s23, s2
	v_rcp_iflag_f32_e32 v1, v1
	s_nop 0
	v_mul_f32_e32 v1, 0x4f7ffffe, v1
	v_cvt_u32_f32_e32 v1, v1
	s_nop 0
	v_readfirstlane_b32 s11, v1
	s_mul_i32 s3, s3, s11
	s_mul_hi_u32 s3, s11, s3
	s_add_i32 s11, s11, s3
	s_waitcnt lgkmcnt(0)
	s_cmp_eq_u64 s[8:9], 0
	s_mul_hi_u32 s24, s23, s11
	s_cbranch_scc1 .LBB18_2
; %bb.1:
	s_ashr_i32 s3, s2, 31
	s_lshl_b64 s[14:15], s[2:3], 2
	s_add_u32 s8, s8, s14
	s_addc_u32 s9, s9, s15
	s_load_dword s42, s[8:9], 0x0
.LBB18_2:
	s_load_dword s11, s[6:7], 0x0
	s_ashr_i32 s9, s12, 31
	s_load_dwordx4 s[12:15], s[0:1], 0x48
	v_lshrrev_b32_e32 v20, 2, v0
	s_ashr_i32 s8, s2, 31
	v_and_b32_e32 v21, 3, v0
	s_lshl_b32 s20, s2, 5
	v_cmp_gt_u32_e32 vcc, 32, v0
	v_lshlrev_b32_e32 v6, 2, v0
	v_lshlrev_b32_e32 v1, 2, v20
	s_and_saveexec_b64 s[6:7], vcc
	s_cbranch_execz .LBB18_4
; %bb.3:
	s_load_dwordx2 s[16:17], s[0:1], 0x8
	s_waitcnt lgkmcnt(0)
	s_mul_i32 s18, s12, s10
	s_ashr_i32 s19, s18, 31
	s_lshl_b64 s[18:19], s[18:19], 2
	v_lshl_add_u32 v3, v21, 5, v1
	s_add_u32 s3, s16, s18
	s_addc_u32 s12, s17, s19
	s_ashr_i32 s21, s20, 31
	s_lshl_b64 s[16:17], s[20:21], 2
	s_add_u32 s16, s3, s16
	s_addc_u32 s17, s12, s17
	global_load_dword v2, v6, s[16:17]
	s_waitcnt vmcnt(0)
	ds_write_b32 v3, v2
.LBB18_4:
	s_or_b64 exec, exec, s[6:7]
	s_mul_i32 s7, s24, s22
	s_sub_i32 s7, s23, s7
	s_xor_b32 s6, s8, s9
	s_add_i32 s8, s24, 1
	s_sub_i32 s9, s7, s22
	s_load_dwordx4 s[16:19], s[0:1], 0x68
	s_load_dword s3, s[0:1], 0x78
	s_cmp_ge_u32 s7, s22
	s_cselect_b32 s8, s8, s24
	s_cselect_b32 s7, s9, s7
	s_add_i32 s9, s8, 1
	s_cmp_ge_u32 s7, s22
	s_cselect_b32 s7, s9, s8
	s_waitcnt lgkmcnt(0)
	s_abs_i32 s21, s19
	v_cvt_f32_u32_e32 v2, s21
	s_xor_b32 s7, s7, s6
	s_sub_i32 s8, s7, s6
	s_sub_i32 s6, 0, s21
	v_rcp_iflag_f32_e32 v2, v2
	s_add_i32 s15, s11, -1
	s_abs_i32 s9, s15
	v_mul_f32_e32 v2, 0x4f7ffffe, v2
	v_cvt_u32_f32_e32 v2, v2
	s_barrier
	v_readfirstlane_b32 s33, v2
	s_mul_i32 s6, s6, s33
	s_mul_hi_u32 s6, s33, s6
	s_add_i32 s33, s33, s6
	s_cmp_lt_i32 s3, 0
	s_mul_hi_u32 s12, s9, s33
	s_cbranch_scc0 .LBB18_6
; %bb.5:
	s_mul_i32 s6, s16, s30
	s_add_i32 s6, s8, s6
	s_mul_i32 s6, s6, s3
	s_sub_i32 s40, 1, s6
	s_mov_b64 s[6:7], 0
	s_branch .LBB18_7
.LBB18_6:
	s_mov_b64 s[6:7], -1
                                        ; implicit-def: $sgpr40
.LBB18_7:
	s_load_dwordx2 s[24:25], s[0:1], 0x28
	s_ashr_i32 s15, s15, 31
	s_andn2_b64 vcc, exec, s[6:7]
	s_ashr_i32 s19, s19, 31
	s_cbranch_vccnz .LBB18_9
; %bb.8:
	s_mul_i32 s6, s5, s16
	s_add_i32 s2, s6, s2
	s_mul_i32 s2, s2, s3
	s_add_i32 s40, s2, 1
.LBB18_9:
	s_load_dword s2, s[0:1], 0x38
	s_load_dwordx2 s[22:23], s[0:1], 0x0
	s_load_dwordx2 s[28:29], s[0:1], 0x18
	s_load_dword s16, s[0:1], 0x88
	s_xor_b32 s3, s15, s19
	s_waitcnt lgkmcnt(0)
	s_mul_i32 s26, s2, s10
	s_mul_i32 s2, s12, s21
	s_sub_i32 s2, s9, s2
	s_ashr_i32 s27, s26, 31
	s_add_i32 s6, s12, 1
	s_sub_i32 s7, s2, s21
	s_cmp_ge_u32 s2, s21
	s_cselect_b32 s6, s6, s12
	s_cselect_b32 s2, s7, s2
	s_add_i32 s7, s6, 1
	s_cmp_ge_u32 s2, s21
	s_cselect_b32 s2, s7, s6
	s_xor_b32 s2, s2, s3
	s_sub_i32 s12, s2, s3
	s_add_i32 s2, s11, 15
	s_ashr_i32 s3, s2, 31
	s_lshr_b32 s3, s3, 28
	s_add_i32 s2, s2, s3
	s_ashr_i32 s41, s2, 4
	v_lshrrev_b32_e32 v22, 6, v0
	v_cmp_gt_i32_e64 s[2:3], s41, v22
	v_mov_b32_e32 v11, 0xff7fffff
	s_mul_i32 s14, s8, s14
	v_lshrrev_b32_e32 v7, 4, v0
	v_lshlrev_b32_e32 v23, 4, v22
	v_mbcnt_lo_u32_b32 v8, -1, 0
	s_and_saveexec_b64 s[34:35], s[2:3]
	s_cbranch_execz .LBB18_21
; %bb.10:
	s_load_dwordx2 s[0:1], s[0:1], 0x10
	s_ashr_i32 s15, s14, 31
	s_sub_i32 s30, s12, s17
	s_lshl_b64 s[6:7], s[14:15], 2
	v_bfe_u32 v9, v0, 2, 4
	s_waitcnt lgkmcnt(0)
	s_add_u32 s0, s0, s6
	s_addc_u32 s1, s1, s7
	s_abs_i32 s15, s18
	v_cvt_f32_u32_e32 v2, s15
	v_lshlrev_b32_e32 v4, 4, v9
	v_mov_b32_e32 v5, 0
	s_sub_i32 s6, 0, s15
	v_rcp_iflag_f32_e32 v10, v2
	v_lshl_add_u64 v[2:3], s[0:1], 0, v[4:5]
	v_lshlrev_b32_e32 v4, 2, v21
	v_lshl_add_u64 v[2:3], v[2:3], 0, v[4:5]
	v_mul_f32_e32 v4, 0x4f7ffffe, v10
	v_cvt_u32_f32_e32 v4, v4
	v_lshlrev_b32_e32 v11, 2, v9
	v_lshl_or_b32 v11, v22, 6, v11
	v_mbcnt_hi_u32_b32 v17, -1, v8
	v_mul_lo_u32 v12, s6, v4
	s_lshl_b64 s[6:7], s[26:27], 2
	v_mul_hi_u32 v12, v4, v12
	s_add_u32 s6, s24, s6
	v_add_u32_e32 v12, v4, v12
	v_and_b32_e32 v4, 60, v7
	s_addc_u32 s7, s25, s7
	v_subrev_u32_e32 v14, s11, v9
	v_add_u32_e32 v15, 0x90, v11
	v_and_b32_e32 v11, 64, v17
	v_cmp_eq_u32_e32 vcc, 0, v21
	s_mov_b32 s43, s13
	v_lshlrev_b32_e32 v10, 5, v21
	v_cmp_neq_f32_e64 s[0:1], s42, 0
	v_lshl_add_u64 v[4:5], s[6:7], 0, v[4:5]
	v_lshlrev_b32_e32 v13, 4, v22
	v_add_u32_e32 v14, 1, v14
	v_mov_b32_e32 v16, 0xff7fffff
	s_mov_b64 s[36:37], 0
	v_add_u32_e32 v18, 64, v11
	v_xor_b32_e32 v19, 2, v17
	v_xor_b32_e32 v24, 1, v17
	v_mov_b32_e32 v11, 0xff7fffff
	v_mov_b32_e32 v25, v22
	s_branch .LBB18_13
.LBB18_11:                              ;   in Loop: Header=BB18_13 Depth=1
	s_or_b64 exec, exec, s[38:39]
.LBB18_12:                              ;   in Loop: Header=BB18_13 Depth=1
	s_or_b64 exec, exec, s[8:9]
	v_add_u32_e32 v25, 2, v25
	v_cmp_le_i32_e64 s[6:7], s41, v25
	v_lshl_add_u64 v[4:5], v[4:5], 0, 8
	v_add_u32_e32 v13, 32, v13
	s_or_b64 s[36:37], s[6:7], s[36:37]
	v_add_u32_e32 v15, 0x80, v15
	s_andn2_b64 exec, exec, s[36:37]
	s_cbranch_execz .LBB18_20
.LBB18_13:                              ; =>This Inner Loop Header: Depth=1
	v_mul_hi_u32 v26, v13, s33
	s_waitcnt lgkmcnt(0)
	v_mul_lo_u32 v27, v26, s21
	v_sub_u32_e32 v27, v13, v27
	v_add_u32_e32 v28, 1, v26
	v_cmp_le_u32_e64 s[6:7], s21, v27
	s_nop 1
	v_cndmask_b32_e64 v26, v26, v28, s[6:7]
	v_subrev_u32_e32 v28, s21, v27
	v_cndmask_b32_e64 v27, v27, v28, s[6:7]
	v_add_u32_e32 v28, 1, v26
	v_cmp_le_u32_e64 s[6:7], s21, v27
	s_nop 1
	v_cndmask_b32_e64 v26, v26, v28, s[6:7]
	v_xor_b32_e32 v26, s19, v26
	v_subrev_u32_e32 v26, s19, v26
	v_add_u32_e32 v27, s40, v26
	v_sub_u32_e32 v29, 0, v27
	v_ashrrev_i32_e32 v28, 31, v27
	v_max_i32_e32 v27, v27, v29
	v_mul_hi_u32 v29, v27, v12
	v_mul_lo_u32 v29, v29, s15
	v_sub_u32_e32 v27, v27, v29
	v_subrev_u32_e32 v29, s15, v27
	v_cmp_le_u32_e64 s[6:7], s15, v27
	v_cmp_ge_i32_e64 s[8:9], s30, v26
	s_nop 0
	v_cndmask_b32_e64 v27, v27, v29, s[6:7]
	v_subrev_u32_e32 v29, s15, v27
	v_cmp_le_u32_e64 s[6:7], s15, v27
	s_nop 1
	v_cndmask_b32_e64 v27, v27, v29, s[6:7]
	v_xor_b32_e32 v27, v27, v28
	v_sub_u32_e32 v27, v27, v28
	v_cmp_ne_u32_e64 s[6:7], 0, v27
	s_and_b64 s[6:7], s[6:7], s[8:9]
	s_and_saveexec_b64 s[8:9], s[6:7]
	s_xor_b64 s[6:7], exec, s[8:9]
	s_cbranch_execz .LBB18_17
; %bb.14:                               ;   in Loop: Header=BB18_13 Depth=1
	s_and_saveexec_b64 s[8:9], vcc
; %bb.15:                               ;   in Loop: Header=BB18_13 Depth=1
	ds_write_b32 v15, v16
; %bb.16:                               ;   in Loop: Header=BB18_13 Depth=1
	s_or_b64 exec, exec, s[8:9]
.LBB18_17:                              ;   in Loop: Header=BB18_13 Depth=1
	s_andn2_saveexec_b64 s[8:9], s[6:7]
	s_cbranch_execz .LBB18_12
; %bb.18:                               ;   in Loop: Header=BB18_13 Depth=1
	global_load_dword v26, v[4:5], off
	s_waitcnt vmcnt(0)
	v_mad_i64_i32 v[26:27], s[6:7], v26, s43, 0
	v_lshl_add_u64 v[26:27], v[26:27], 2, v[2:3]
	global_load_dword v34, v[26:27], off offset:256
	global_load_dword v35, v[26:27], off
	global_load_dword v36, v[26:27], off offset:512
	global_load_dword v37, v[26:27], off offset:768
	;; [unrolled: 1-line block ×6, first 2 shown]
	ds_read_b128 v[26:29], v10
	ds_read_b128 v[30:33], v10 offset:16
	v_cmp_lt_i32_e64 s[6:7], v19, v18
	s_waitcnt vmcnt(7) lgkmcnt(1)
	v_mul_f32_e32 v27, v27, v34
	s_waitcnt vmcnt(6)
	v_fmac_f32_e32 v27, v26, v35
	s_waitcnt vmcnt(5)
	v_fmac_f32_e32 v27, v28, v36
	;; [unrolled: 2-line block ×3, first 2 shown]
	s_waitcnt vmcnt(3) lgkmcnt(0)
	v_fmac_f32_e32 v27, v30, v38
	s_waitcnt vmcnt(2)
	v_fmac_f32_e32 v27, v31, v39
	v_cndmask_b32_e64 v42, v17, v19, s[6:7]
	s_waitcnt vmcnt(1)
	v_fmac_f32_e32 v27, v32, v40
	v_lshlrev_b32_e32 v42, 2, v42
	s_waitcnt vmcnt(0)
	v_fmac_f32_e32 v27, v33, v41
	ds_bpermute_b32 v26, v42, v27
	v_cmp_lt_i32_e64 s[6:7], v24, v18
	s_waitcnt lgkmcnt(0)
	v_add_f32_e32 v26, v27, v26
	v_cndmask_b32_e64 v28, v17, v24, s[6:7]
	v_lshlrev_b32_e32 v28, 2, v28
	ds_bpermute_b32 v27, v28, v26
	s_and_saveexec_b64 s[38:39], vcc
	s_cbranch_execz .LBB18_11
; %bb.19:                               ;   in Loop: Header=BB18_13 Depth=1
	v_add_u32_e32 v28, v14, v13
	v_cvt_f32_i32_e32 v28, v28
	s_waitcnt lgkmcnt(0)
	v_add_f32_e32 v26, v26, v27
	v_add_u32_e32 v29, v9, v13
	v_cmp_gt_i32_e64 s[6:7], s11, v29
	v_mul_f32_e32 v27, s42, v28
	v_cndmask_b32_e64 v27, 0, v27, s[0:1]
	v_fmac_f32_e32 v27, s31, v26
	v_cndmask_b32_e64 v26, 0, v27, s[6:7]
	ds_write_b32 v15, v26
	v_max_f32_e32 v26, v11, v11
	v_max_f32_e32 v26, v26, v27
	v_cndmask_b32_e64 v11, v11, v26, s[6:7]
	s_branch .LBB18_11
.LBB18_20:
	s_or_b64 exec, exec, s[36:37]
.LBB18_21:
	s_or_b64 exec, exec, s[34:35]
	v_mbcnt_hi_u32_b32 v2, -1, v8
	v_and_b32_e32 v12, 64, v2
	v_add_u32_e32 v3, 64, v12
	v_xor_b32_e32 v4, 32, v2
	v_cmp_lt_i32_e32 vcc, v4, v3
	v_xor_b32_e32 v9, 16, v2
	v_max_f32_e32 v8, v11, v11
	v_cndmask_b32_e32 v4, v2, v4, vcc
	v_lshlrev_b32_e32 v4, 2, v4
	ds_bpermute_b32 v5, v4, v11
	v_cmp_lt_i32_e32 vcc, v9, v3
	v_xor_b32_e32 v10, 8, v2
	v_xor_b32_e32 v11, 4, v2
	v_and_b32_e32 v24, 63, v0
	s_waitcnt lgkmcnt(0)
	v_max_f32_e32 v5, v5, v5
	v_max_f32_e32 v8, v8, v5
	v_cndmask_b32_e32 v5, v2, v9, vcc
	v_lshlrev_b32_e32 v5, 2, v5
	ds_bpermute_b32 v9, v5, v8
	v_cmp_lt_i32_e32 vcc, v10, v3
	s_waitcnt lgkmcnt(0)
	v_max_f32_e32 v9, v9, v9
	v_max_f32_e32 v8, v8, v9
	v_cndmask_b32_e32 v9, v2, v10, vcc
	v_lshlrev_b32_e32 v10, 2, v9
	ds_bpermute_b32 v9, v10, v8
	v_cmp_lt_i32_e32 vcc, v11, v3
	s_waitcnt lgkmcnt(0)
	v_max_f32_e32 v9, v9, v9
	v_max_f32_e32 v9, v8, v9
	v_cndmask_b32_e32 v8, v2, v11, vcc
	v_lshlrev_b32_e32 v11, 2, v8
	ds_bpermute_b32 v13, v11, v9
	v_cmp_eq_u32_e32 vcc, 0, v24
	v_lshlrev_b32_e32 v8, 2, v22
	s_and_saveexec_b64 s[0:1], vcc
	s_cbranch_execz .LBB18_23
; %bb.22:
	s_waitcnt lgkmcnt(0)
	v_max_f32_e32 v13, v13, v13
	v_max_f32_e32 v9, v9, v9
	;; [unrolled: 1-line block ×3, first 2 shown]
	ds_write_b32 v8, v9 offset:128
.LBB18_23:
	s_or_b64 exec, exec, s[0:1]
	v_cmp_gt_u32_e64 s[0:1], 2, v24
	s_waitcnt lgkmcnt(0)
	v_mov_b32_e32 v13, 0xff7fffff
	v_lshlrev_b32_e32 v9, 2, v24
	s_barrier
	s_and_saveexec_b64 s[6:7], s[0:1]
; %bb.24:
	ds_read_b32 v13, v9 offset:128
; %bb.25:
	s_or_b64 exec, exec, s[6:7]
	v_xor_b32_e32 v14, 1, v2
	v_cmp_lt_i32_e64 s[6:7], v14, v3
	v_lshlrev_b32_e32 v12, 2, v12
	s_nop 0
	v_cndmask_b32_e64 v14, v2, v14, s[6:7]
	v_lshlrev_b32_e32 v25, 2, v14
	s_waitcnt lgkmcnt(0)
	ds_bpermute_b32 v14, v25, v13
	v_max_f32_e32 v13, v13, v13
	s_lshl_b32 s6, s41, 4
	s_min_i32 s15, s6, s11
	v_cmp_gt_i32_e64 s[6:7], s15, v0
	s_waitcnt lgkmcnt(0)
	v_max_f32_e32 v14, v14, v14
	v_max_f32_e32 v13, v13, v14
	ds_bpermute_b32 v13, v12, v13
	v_mov_b32_e32 v12, 0
	s_and_saveexec_b64 s[30:31], s[6:7]
	s_cbranch_execz .LBB18_29
; %bb.26:
	v_mov_b32_e32 v12, 0x90
	v_lshl_add_u32 v14, v0, 2, v12
	v_mov_b32_e32 v12, 0
	s_mov_b64 s[34:35], 0
	v_mov_b32_e32 v15, v0
.LBB18_27:                              ; =>This Inner Loop Header: Depth=1
	ds_read_b32 v16, v14
	v_add_u32_e32 v15, 0x80, v15
	v_cmp_le_i32_e64 s[8:9], s15, v15
	s_or_b64 s[34:35], s[8:9], s[34:35]
	s_waitcnt lgkmcnt(0)
	v_sub_f32_e32 v16, v16, v13
	v_mul_f32_e32 v16, 0x3fb8aa3b, v16
	v_exp_f32_e32 v16, v16
	ds_write_b32 v14, v16
	v_add_f32_e32 v12, v12, v16
	v_add_u32_e32 v14, 0x200, v14
	s_andn2_b64 exec, exec, s[34:35]
	s_cbranch_execnz .LBB18_27
; %bb.28:
	s_or_b64 exec, exec, s[34:35]
.LBB18_29:
	s_or_b64 exec, exec, s[30:31]
	ds_bpermute_b32 v4, v4, v12
	s_waitcnt lgkmcnt(0)
	v_add_f32_e32 v4, v12, v4
	ds_bpermute_b32 v5, v5, v4
	s_waitcnt lgkmcnt(0)
	v_add_f32_e32 v4, v4, v5
	ds_bpermute_b32 v5, v10, v4
	v_xor_b32_e32 v10, 2, v2
	v_cmp_lt_i32_e64 s[8:9], v10, v3
	s_waitcnt lgkmcnt(0)
	v_add_f32_e32 v4, v4, v5
	ds_bpermute_b32 v5, v11, v4
	v_cndmask_b32_e64 v3, v2, v10, s[8:9]
	v_lshlrev_b32_e32 v26, 2, v3
	s_waitcnt lgkmcnt(0)
	v_add_f32_e32 v4, v4, v5
	ds_bpermute_b32 v3, v26, v4
	s_waitcnt lgkmcnt(0)
	v_add_f32_e32 v3, v4, v3
	ds_bpermute_b32 v4, v25, v3
	s_waitcnt lgkmcnt(0)
	v_add_f32_e32 v3, v3, v4
	s_and_saveexec_b64 s[8:9], vcc
; %bb.30:
	ds_write_b32 v8, v3 offset:136
; %bb.31:
	s_or_b64 exec, exec, s[8:9]
	s_waitcnt lgkmcnt(0)
	s_barrier
	s_and_saveexec_b64 s[8:9], s[0:1]
; %bb.32:
	ds_read_b32 v3, v9 offset:136
; %bb.33:
	s_or_b64 exec, exec, s[8:9]
	s_waitcnt lgkmcnt(0)
	ds_bpermute_b32 v4, v25, v3
	v_lshlrev_b32_e32 v2, 2, v2
	v_and_b32_e32 v2, 0x100, v2
	s_waitcnt lgkmcnt(0)
	v_add_f32_e32 v3, v3, v4
	ds_bpermute_b32 v2, v2, v3
	s_and_saveexec_b64 s[0:1], s[6:7]
	s_cbranch_execz .LBB18_46
; %bb.34:
	s_waitcnt lgkmcnt(0)
	v_add_f32_e32 v2, 0x358637bd, v2
	v_div_scale_f32 v3, s[6:7], v2, v2, 1.0
	v_rcp_f32_e32 v4, v3
	v_div_scale_f32 v5, vcc, 1.0, v2, 1.0
	s_movk_i32 s6, 0x7f
	v_fma_f32 v8, -v3, v4, 1.0
	v_fmac_f32_e32 v4, v8, v4
	v_mul_f32_e32 v8, v5, v4
	v_fma_f32 v9, -v3, v8, v5
	v_fmac_f32_e32 v8, v9, v4
	v_fma_f32 v3, -v3, v8, v5
	v_div_fmas_f32 v3, v3, v4, v8
	v_xad_u32 v4, v0, -1, s15
	v_div_fixup_f32 v2, v3, v2, 1.0
	v_cmp_lt_u32_e32 vcc, s6, v4
	s_mov_b64 s[8:9], -1
	v_mov_b32_e32 v3, v0
	s_and_saveexec_b64 s[6:7], vcc
	s_cbranch_execz .LBB18_43
; %bb.35:
	v_lshrrev_b32_e32 v4, 7, v4
	v_add_u32_e32 v8, -1, v4
	v_lshrrev_b32_e32 v5, 1, v8
	v_mov_b32_e32 v3, v2
	v_add_u32_e32 v5, 1, v5
	v_cmp_lt_u32_e32 vcc, 13, v8
	v_mov_b32_e32 v10, 0
	s_and_saveexec_b64 s[8:9], vcc
	s_cbranch_execz .LBB18_39
; %bb.36:
	v_mov_b32_e32 v9, 0x90
	v_and_b32_e32 v8, -8, v5
	v_lshl_add_u32 v9, v0, 2, v9
	s_mov_b32 s34, 0
	s_mov_b64 s[30:31], 0
.LBB18_37:                              ; =>This Inner Loop Header: Depth=1
	ds_read2st64_b32 v[10:11], v9 offset1:2
	ds_read2st64_b32 v[12:13], v9 offset0:4 offset1:6
	ds_read2st64_b32 v[14:15], v9 offset0:8 offset1:10
	ds_read2st64_b32 v[16:17], v9 offset0:12 offset1:14
	v_add_u32_e32 v8, -8, v8
	s_waitcnt lgkmcnt(3)
	v_pk_mul_f32 v[10:11], v[2:3], v[10:11]
	s_waitcnt lgkmcnt(2)
	v_pk_mul_f32 v[12:13], v[2:3], v[12:13]
	ds_write2st64_b32 v9, v10, v11 offset1:2
	ds_write2st64_b32 v9, v12, v13 offset0:4 offset1:6
	ds_read2st64_b32 v[12:13], v9 offset0:16 offset1:18
	s_waitcnt lgkmcnt(4)
	v_pk_mul_f32 v[10:11], v[2:3], v[14:15]
	ds_write2st64_b32 v9, v10, v11 offset0:8 offset1:10
	s_waitcnt lgkmcnt(4)
	v_pk_mul_f32 v[10:11], v[2:3], v[16:17]
	ds_write2st64_b32 v9, v10, v11 offset0:12 offset1:14
	ds_read2st64_b32 v[10:11], v9 offset0:20 offset1:22
	s_waitcnt lgkmcnt(3)
	v_pk_mul_f32 v[12:13], v[2:3], v[12:13]
	ds_read2st64_b32 v[14:15], v9 offset0:24 offset1:26
	ds_write2st64_b32 v9, v12, v13 offset0:16 offset1:18
	ds_read2st64_b32 v[12:13], v9 offset0:28 offset1:30
	s_waitcnt lgkmcnt(3)
	v_pk_mul_f32 v[10:11], v[2:3], v[10:11]
	ds_write2st64_b32 v9, v10, v11 offset0:20 offset1:22
	s_waitcnt lgkmcnt(3)
	v_pk_mul_f32 v[10:11], v[2:3], v[14:15]
	ds_write2st64_b32 v9, v10, v11 offset0:24 offset1:26
	s_waitcnt lgkmcnt(2)
	v_pk_mul_f32 v[10:11], v[2:3], v[12:13]
	s_add_i32 s34, s34, 16
	v_cmp_eq_u32_e32 vcc, 0, v8
	ds_write2st64_b32 v9, v10, v11 offset0:28 offset1:30
	v_add_u32_e32 v9, 0x2000, v9
	s_or_b64 s[30:31], vcc, s[30:31]
	v_mov_b32_e32 v10, s34
	s_andn2_b64 exec, exec, s[30:31]
	s_cbranch_execnz .LBB18_37
; %bb.38:
	s_or_b64 exec, exec, s[30:31]
.LBB18_39:
	s_or_b64 exec, exec, s[8:9]
	v_and_b32_e32 v5, 7, v5
	v_cmp_ne_u32_e32 vcc, 0, v5
	s_and_saveexec_b64 s[8:9], vcc
	s_cbranch_execz .LBB18_42
; %bb.40:
	v_lshlrev_b32_e32 v8, 9, v10
	s_movk_i32 s30, 0x90
	v_add3_u32 v8, v8, v6, s30
	s_mov_b64 s[30:31], 0
.LBB18_41:                              ; =>This Inner Loop Header: Depth=1
	ds_read2st64_b32 v[10:11], v8 offset1:2
	v_add_u32_e32 v5, -1, v5
	v_cmp_eq_u32_e32 vcc, 0, v5
	s_or_b64 s[30:31], vcc, s[30:31]
	s_waitcnt lgkmcnt(0)
	v_pk_mul_f32 v[10:11], v[2:3], v[10:11]
	ds_write2st64_b32 v8, v10, v11 offset1:2
	v_add_u32_e32 v8, 0x400, v8
	s_andn2_b64 exec, exec, s[30:31]
	s_cbranch_execnz .LBB18_41
.LBB18_42:
	s_or_b64 exec, exec, s[8:9]
	v_add_u32_e32 v4, 1, v4
	v_and_b32_e32 v5, 0x3fffffe, v4
	v_cmp_ne_u32_e32 vcc, v4, v5
	v_lshl_add_u32 v3, v5, 7, v0
	s_orn2_b64 s[8:9], vcc, exec
.LBB18_43:
	s_or_b64 exec, exec, s[6:7]
	s_and_b64 exec, exec, s[8:9]
	s_cbranch_execz .LBB18_46
; %bb.44:
	v_mov_b32_e32 v4, 0x90
	v_lshl_add_u32 v4, v3, 2, v4
	s_mov_b64 s[6:7], 0
.LBB18_45:                              ; =>This Inner Loop Header: Depth=1
	ds_read_b32 v5, v4
	v_add_u32_e32 v3, 0x80, v3
	v_cmp_le_i32_e32 vcc, s15, v3
	s_or_b64 s[6:7], vcc, s[6:7]
	s_waitcnt lgkmcnt(0)
	v_mul_f32_e32 v5, v2, v5
	ds_write_b32 v4, v5
	v_add_u32_e32 v4, 0x200, v4
	s_andn2_b64 exec, exec, s[6:7]
	s_cbranch_execnz .LBB18_45
.LBB18_46:
	s_or_b64 exec, exec, s[0:1]
	v_mov_b32_e32 v15, 0
	v_mov_b32_e32 v14, 0
	s_waitcnt lgkmcnt(0)
	s_barrier
	s_and_saveexec_b64 s[6:7], s[2:3]
	s_cbranch_execz .LBB18_56
; %bb.47:
	s_ashr_i32 s15, s14, 31
	s_sub_i32 s17, s12, s17
	s_lshl_b64 s[0:1], s[14:15], 2
	s_add_u32 s0, s28, s0
	s_addc_u32 s1, s29, s1
	s_abs_i32 s14, s18
	v_cvt_f32_u32_e32 v2, s14
	v_lshlrev_b32_e32 v3, 4, v0
	v_and_b32_e32 v14, 0x3f0, v3
	v_mov_b32_e32 v15, 0
	v_rcp_iflag_f32_e32 v2, v2
	v_lshl_add_u64 v[16:17], s[0:1], 0, v[14:15]
	s_sub_i32 s0, 0, s14
	s_add_i32 s18, s41, -1
	v_mul_f32_e32 v2, 0x4f7ffffe, v2
	v_cvt_u32_f32_e32 v2, v2
	v_and_b32_e32 v14, 60, v7
	v_and_b32_e32 v27, 12, v6
	s_mov_b32 s15, s13
	v_mul_lo_u32 v3, s0, v2
	v_mul_hi_u32 v3, v2, v3
	s_lshl_b64 s[0:1], s[26:27], 2
	v_add_u32_e32 v28, v2, v3
	s_add_u32 s0, s24, s0
	v_lshlrev_b32_e32 v2, 4, v21
	s_addc_u32 s1, s25, s1
	v_lshl_or_b32 v2, v22, 6, v2
	s_mov_b32 s28, s11
	v_lshl_add_u64 v[18:19], s[0:1], 0, v[14:15]
	v_add_u32_e32 v29, 0x90, v2
	s_mov_b64 s[2:3], 0
	v_mov_b32_e32 v14, v15
	s_branch .LBB18_50
.LBB18_48:                              ;   in Loop: Header=BB18_50 Depth=1
	s_or_b64 exec, exec, s[0:1]
	s_waitcnt vmcnt(1) lgkmcnt(0)
	v_mul_f32_e32 v6, v2, v6
	v_fmac_f32_e32 v6, v3, v7
	v_fmac_f32_e32 v6, v4, v8
	s_waitcnt vmcnt(0)
	v_pk_mul_f32 v[2:3], v[2:3], v[10:11]
	v_fmac_f32_e32 v6, v5, v9
	v_pk_mul_f32 v[4:5], v[4:5], v[12:13]
	v_add_f32_e32 v2, v3, v2
	v_add_f32_e32 v2, v4, v2
	;; [unrolled: 1-line block ×5, first 2 shown]
.LBB18_49:                              ;   in Loop: Header=BB18_50 Depth=1
	s_or_b64 exec, exec, s[8:9]
	v_add_u32_e32 v22, 2, v22
	v_cmp_le_i32_e32 vcc, s41, v22
	v_lshl_add_u64 v[18:19], v[18:19], 0, 8
	v_add_u32_e32 v23, 32, v23
	s_or_b64 s[2:3], vcc, s[2:3]
	v_add_u32_e32 v29, 0x80, v29
	s_andn2_b64 exec, exec, s[2:3]
	s_cbranch_execz .LBB18_55
.LBB18_50:                              ; =>This Inner Loop Header: Depth=1
	v_mul_hi_u32 v2, v23, s33
	v_mul_lo_u32 v3, v2, s21
	v_sub_u32_e32 v3, v23, v3
	v_add_u32_e32 v4, 1, v2
	v_cmp_le_u32_e32 vcc, s21, v3
	s_nop 1
	v_cndmask_b32_e32 v2, v2, v4, vcc
	v_subrev_u32_e32 v4, s21, v3
	v_cndmask_b32_e32 v3, v3, v4, vcc
	v_add_u32_e32 v4, 1, v2
	v_cmp_le_u32_e32 vcc, s21, v3
	s_nop 1
	v_cndmask_b32_e32 v2, v2, v4, vcc
	v_xor_b32_e32 v2, s19, v2
	v_subrev_u32_e32 v2, s19, v2
	v_add_u32_e32 v3, s40, v2
	v_sub_u32_e32 v5, 0, v3
	v_ashrrev_i32_e32 v4, 31, v3
	v_max_i32_e32 v3, v3, v5
	v_mul_hi_u32 v5, v3, v28
	v_mul_lo_u32 v5, v5, s14
	v_sub_u32_e32 v3, v3, v5
	v_subrev_u32_e32 v5, s14, v3
	v_cmp_le_u32_e32 vcc, s14, v3
	v_cmp_lt_i32_e64 s[0:1], s17, v2
	s_nop 0
	v_cndmask_b32_e32 v3, v3, v5, vcc
	v_subrev_u32_e32 v5, s14, v3
	v_cmp_le_u32_e32 vcc, s14, v3
	s_nop 1
	v_cndmask_b32_e32 v3, v3, v5, vcc
	v_xor_b32_e32 v3, v3, v4
	v_sub_u32_e32 v3, v3, v4
	v_cmp_eq_u32_e32 vcc, 0, v3
	s_or_b64 s[0:1], vcc, s[0:1]
	s_and_saveexec_b64 s[8:9], s[0:1]
	s_cbranch_execz .LBB18_49
; %bb.51:                               ;   in Loop: Header=BB18_50 Depth=1
	global_load_dword v2, v[18:19], off
	v_add_u32_e32 v30, v27, v23
	v_cmp_eq_u32_e32 vcc, s18, v22
	v_add_u32_e32 v33, 1, v30
	v_or_b32_e32 v32, 3, v30
	v_or_b32_e32 v31, 2, v30
	s_waitcnt vmcnt(0)
	v_mad_i64_i32 v[2:3], s[0:1], v2, s15, 0
	v_lshl_add_u64 v[10:11], v[2:3], 2, v[16:17]
	global_load_dwordx4 v[6:9], v[10:11], off
	ds_read_b128 v[2:5], v29
	s_and_saveexec_b64 s[12:13], vcc
	s_cbranch_execz .LBB18_53
; %bb.52:                               ;   in Loop: Header=BB18_50 Depth=1
	v_cmp_gt_i32_e64 s[0:1], s28, v33
	s_waitcnt vmcnt(0)
	s_nop 0
	v_cndmask_b32_e64 v7, 0, v7, s[0:1]
	v_cmp_gt_i32_e64 s[0:1], s11, v30
	s_nop 1
	v_cndmask_b32_e64 v6, 0, v6, s[0:1]
	v_cmp_gt_i32_e64 s[0:1], s28, v32
	;; [unrolled: 3-line block ×3, first 2 shown]
	s_nop 1
	v_cndmask_b32_e64 v8, 0, v8, s[0:1]
.LBB18_53:                              ;   in Loop: Header=BB18_50 Depth=1
	s_or_b64 exec, exec, s[12:13]
	global_load_dwordx4 v[10:13], v[10:11], off offset:1024
	s_and_saveexec_b64 s[0:1], vcc
	s_cbranch_execz .LBB18_48
; %bb.54:                               ;   in Loop: Header=BB18_50 Depth=1
	v_cmp_gt_i32_e32 vcc, s28, v33
	s_waitcnt vmcnt(0)
	s_nop 0
	v_cndmask_b32_e32 v11, 0, v11, vcc
	v_cmp_gt_i32_e32 vcc, s11, v30
	s_nop 1
	v_cndmask_b32_e32 v10, 0, v10, vcc
	v_cmp_gt_i32_e32 vcc, s28, v32
	s_nop 1
	v_cndmask_b32_e32 v13, 0, v13, vcc
	v_cmp_gt_i32_e32 vcc, s11, v31
	s_nop 1
	v_cndmask_b32_e32 v12, 0, v12, vcc
	s_branch .LBB18_48
.LBB18_55:
	s_or_b64 exec, exec, s[2:3]
.LBB18_56:
	s_or_b64 exec, exec, s[6:7]
	ds_bpermute_b32 v2, v26, v14
	ds_bpermute_b32 v3, v26, v15
	v_and_b32_e32 v4, 0x3c3, v0
	v_cmp_eq_u32_e32 vcc, 64, v4
	s_waitcnt lgkmcnt(0)
	s_barrier
	v_pk_add_f32 v[2:3], v[14:15], v[2:3]
	ds_bpermute_b32 v6, v25, v2
	ds_bpermute_b32 v7, v25, v3
	s_waitcnt lgkmcnt(0)
	v_pk_add_f32 v[2:3], v[2:3], v[6:7]
	s_and_saveexec_b64 s[0:1], vcc
; %bb.57:
	v_add_u32_e32 v5, 0x90, v24
	ds_write2_b32 v5, v2, v3 offset1:16
; %bb.58:
	s_or_b64 exec, exec, s[0:1]
	v_cmp_gt_u32_e32 vcc, 64, v0
	s_waitcnt lgkmcnt(0)
	s_barrier
	s_and_saveexec_b64 s[0:1], vcc
	s_cbranch_execz .LBB18_64
; %bb.59:
	v_mov_b32_e32 v0, 0x90
	v_cmp_eq_u32_e32 vcc, 0, v21
	v_lshl_add_u32 v0, v20, 2, v0
	s_and_saveexec_b64 s[2:3], vcc
	s_cbranch_execz .LBB18_61
; %bb.60:
	ds_read_b32 v5, v0
	s_waitcnt lgkmcnt(0)
	v_add_f32_e32 v2, v2, v5
.LBB18_61:
	s_or_b64 exec, exec, s[2:3]
	s_and_saveexec_b64 s[2:3], vcc
	s_cbranch_execz .LBB18_63
; %bb.62:
	ds_read_b32 v0, v0 offset:64
	s_waitcnt lgkmcnt(0)
	v_add_f32_e32 v3, v3, v0
.LBB18_63:
	s_or_b64 exec, exec, s[2:3]
.LBB18_64:
	s_or_b64 exec, exec, s[0:1]
	v_cmp_eq_u32_e32 vcc, 0, v4
	s_barrier
	s_and_saveexec_b64 s[0:1], vcc
	s_cbranch_execz .LBB18_66
; %bb.65:
	s_mul_i32 s0, s10, s16
	s_mul_i32 s0, s0, s5
	s_lshl_b32 s0, s0, 5
	s_ashr_i32 s1, s0, 31
	s_lshl_b64 s[0:1], s[0:1], 2
	s_add_u32 s2, s22, s0
	s_mul_i32 s0, s16, s20
	s_addc_u32 s3, s23, s1
	s_ashr_i32 s1, s0, 31
	s_lshl_b64 s[0:1], s[0:1], 2
	s_add_u32 s2, s2, s0
	s_addc_u32 s3, s3, s1
	s_lshl_b32 s0, s4, 5
	s_ashr_i32 s1, s0, 31
	s_lshl_b64 s[0:1], s[0:1], 2
	s_add_u32 s0, s2, s0
	s_addc_u32 s1, s3, s1
	global_store_dword v1, v2, s[0:1]
	global_store_dword v1, v3, s[0:1] offset:64
.LBB18_66:
	s_endpgm
	.section	.rodata,"a",@progbits
	.p2align	6, 0x0
	.amdhsa_kernel _ZN4vllm25paged_attention_v1_kernelIffLi32ELi16ELi128ELNS_18Fp8KVCacheDataTypeE0ELb1EEEvPT_PKS2_PKT0_S8_ifPKiSA_iPKfiiiSC_SC_iiiii
		.amdhsa_group_segment_fixed_size 144
		.amdhsa_private_segment_fixed_size 0
		.amdhsa_kernarg_size 384
		.amdhsa_user_sgpr_count 2
		.amdhsa_user_sgpr_dispatch_ptr 0
		.amdhsa_user_sgpr_queue_ptr 0
		.amdhsa_user_sgpr_kernarg_segment_ptr 1
		.amdhsa_user_sgpr_dispatch_id 0
		.amdhsa_user_sgpr_kernarg_preload_length 0
		.amdhsa_user_sgpr_kernarg_preload_offset 0
		.amdhsa_user_sgpr_private_segment_size 0
		.amdhsa_uses_dynamic_stack 0
		.amdhsa_enable_private_segment 0
		.amdhsa_system_sgpr_workgroup_id_x 1
		.amdhsa_system_sgpr_workgroup_id_y 1
		.amdhsa_system_sgpr_workgroup_id_z 1
		.amdhsa_system_sgpr_workgroup_info 0
		.amdhsa_system_vgpr_workitem_id 0
		.amdhsa_next_free_vgpr 43
		.amdhsa_next_free_sgpr 44
		.amdhsa_accum_offset 44
		.amdhsa_reserve_vcc 1
		.amdhsa_float_round_mode_32 0
		.amdhsa_float_round_mode_16_64 0
		.amdhsa_float_denorm_mode_32 3
		.amdhsa_float_denorm_mode_16_64 3
		.amdhsa_dx10_clamp 1
		.amdhsa_ieee_mode 1
		.amdhsa_fp16_overflow 0
		.amdhsa_tg_split 0
		.amdhsa_exception_fp_ieee_invalid_op 0
		.amdhsa_exception_fp_denorm_src 0
		.amdhsa_exception_fp_ieee_div_zero 0
		.amdhsa_exception_fp_ieee_overflow 0
		.amdhsa_exception_fp_ieee_underflow 0
		.amdhsa_exception_fp_ieee_inexact 0
		.amdhsa_exception_int_div_zero 0
	.end_amdhsa_kernel
	.section	.text._ZN4vllm25paged_attention_v1_kernelIffLi32ELi16ELi128ELNS_18Fp8KVCacheDataTypeE0ELb1EEEvPT_PKS2_PKT0_S8_ifPKiSA_iPKfiiiSC_SC_iiiii,"axG",@progbits,_ZN4vllm25paged_attention_v1_kernelIffLi32ELi16ELi128ELNS_18Fp8KVCacheDataTypeE0ELb1EEEvPT_PKS2_PKT0_S8_ifPKiSA_iPKfiiiSC_SC_iiiii,comdat
.Lfunc_end18:
	.size	_ZN4vllm25paged_attention_v1_kernelIffLi32ELi16ELi128ELNS_18Fp8KVCacheDataTypeE0ELb1EEEvPT_PKS2_PKT0_S8_ifPKiSA_iPKfiiiSC_SC_iiiii, .Lfunc_end18-_ZN4vllm25paged_attention_v1_kernelIffLi32ELi16ELi128ELNS_18Fp8KVCacheDataTypeE0ELb1EEEvPT_PKS2_PKT0_S8_ifPKiSA_iPKfiiiSC_SC_iiiii
                                        ; -- End function
	.set _ZN4vllm25paged_attention_v1_kernelIffLi32ELi16ELi128ELNS_18Fp8KVCacheDataTypeE0ELb1EEEvPT_PKS2_PKT0_S8_ifPKiSA_iPKfiiiSC_SC_iiiii.num_vgpr, 43
	.set _ZN4vllm25paged_attention_v1_kernelIffLi32ELi16ELi128ELNS_18Fp8KVCacheDataTypeE0ELb1EEEvPT_PKS2_PKT0_S8_ifPKiSA_iPKfiiiSC_SC_iiiii.num_agpr, 0
	.set _ZN4vllm25paged_attention_v1_kernelIffLi32ELi16ELi128ELNS_18Fp8KVCacheDataTypeE0ELb1EEEvPT_PKS2_PKT0_S8_ifPKiSA_iPKfiiiSC_SC_iiiii.numbered_sgpr, 44
	.set _ZN4vllm25paged_attention_v1_kernelIffLi32ELi16ELi128ELNS_18Fp8KVCacheDataTypeE0ELb1EEEvPT_PKS2_PKT0_S8_ifPKiSA_iPKfiiiSC_SC_iiiii.num_named_barrier, 0
	.set _ZN4vllm25paged_attention_v1_kernelIffLi32ELi16ELi128ELNS_18Fp8KVCacheDataTypeE0ELb1EEEvPT_PKS2_PKT0_S8_ifPKiSA_iPKfiiiSC_SC_iiiii.private_seg_size, 0
	.set _ZN4vllm25paged_attention_v1_kernelIffLi32ELi16ELi128ELNS_18Fp8KVCacheDataTypeE0ELb1EEEvPT_PKS2_PKT0_S8_ifPKiSA_iPKfiiiSC_SC_iiiii.uses_vcc, 1
	.set _ZN4vllm25paged_attention_v1_kernelIffLi32ELi16ELi128ELNS_18Fp8KVCacheDataTypeE0ELb1EEEvPT_PKS2_PKT0_S8_ifPKiSA_iPKfiiiSC_SC_iiiii.uses_flat_scratch, 0
	.set _ZN4vllm25paged_attention_v1_kernelIffLi32ELi16ELi128ELNS_18Fp8KVCacheDataTypeE0ELb1EEEvPT_PKS2_PKT0_S8_ifPKiSA_iPKfiiiSC_SC_iiiii.has_dyn_sized_stack, 0
	.set _ZN4vllm25paged_attention_v1_kernelIffLi32ELi16ELi128ELNS_18Fp8KVCacheDataTypeE0ELb1EEEvPT_PKS2_PKT0_S8_ifPKiSA_iPKfiiiSC_SC_iiiii.has_recursion, 0
	.set _ZN4vllm25paged_attention_v1_kernelIffLi32ELi16ELi128ELNS_18Fp8KVCacheDataTypeE0ELb1EEEvPT_PKS2_PKT0_S8_ifPKiSA_iPKfiiiSC_SC_iiiii.has_indirect_call, 0
	.section	.AMDGPU.csdata,"",@progbits
; Kernel info:
; codeLenInByte = 3972
; TotalNumSgprs: 50
; NumVgprs: 43
; NumAgprs: 0
; TotalNumVgprs: 43
; ScratchSize: 0
; MemoryBound: 0
; FloatMode: 240
; IeeeMode: 1
; LDSByteSize: 144 bytes/workgroup (compile time only)
; SGPRBlocks: 6
; VGPRBlocks: 5
; NumSGPRsForWavesPerEU: 50
; NumVGPRsForWavesPerEU: 43
; AccumOffset: 44
; Occupancy: 8
; WaveLimiterHint : 1
; COMPUTE_PGM_RSRC2:SCRATCH_EN: 0
; COMPUTE_PGM_RSRC2:USER_SGPR: 2
; COMPUTE_PGM_RSRC2:TRAP_HANDLER: 0
; COMPUTE_PGM_RSRC2:TGID_X_EN: 1
; COMPUTE_PGM_RSRC2:TGID_Y_EN: 1
; COMPUTE_PGM_RSRC2:TGID_Z_EN: 1
; COMPUTE_PGM_RSRC2:TIDIG_COMP_CNT: 0
; COMPUTE_PGM_RSRC3_GFX90A:ACCUM_OFFSET: 10
; COMPUTE_PGM_RSRC3_GFX90A:TG_SPLIT: 0
	.section	.text._ZN4vllm25paged_attention_v1_kernelIffLi64ELi16ELi128ELNS_18Fp8KVCacheDataTypeE0ELb1EEEvPT_PKS2_PKT0_S8_ifPKiSA_iPKfiiiSC_SC_iiiii,"axG",@progbits,_ZN4vllm25paged_attention_v1_kernelIffLi64ELi16ELi128ELNS_18Fp8KVCacheDataTypeE0ELb1EEEvPT_PKS2_PKT0_S8_ifPKiSA_iPKfiiiSC_SC_iiiii,comdat
	.protected	_ZN4vllm25paged_attention_v1_kernelIffLi64ELi16ELi128ELNS_18Fp8KVCacheDataTypeE0ELb1EEEvPT_PKS2_PKT0_S8_ifPKiSA_iPKfiiiSC_SC_iiiii ; -- Begin function _ZN4vllm25paged_attention_v1_kernelIffLi64ELi16ELi128ELNS_18Fp8KVCacheDataTypeE0ELb1EEEvPT_PKS2_PKT0_S8_ifPKiSA_iPKfiiiSC_SC_iiiii
	.globl	_ZN4vllm25paged_attention_v1_kernelIffLi64ELi16ELi128ELNS_18Fp8KVCacheDataTypeE0ELb1EEEvPT_PKS2_PKT0_S8_ifPKiSA_iPKfiiiSC_SC_iiiii
	.p2align	8
	.type	_ZN4vllm25paged_attention_v1_kernelIffLi64ELi16ELi128ELNS_18Fp8KVCacheDataTypeE0ELb1EEEvPT_PKS2_PKT0_S8_ifPKiSA_iPKfiiiSC_SC_iiiii,@function
_ZN4vllm25paged_attention_v1_kernelIffLi64ELi16ELi128ELNS_18Fp8KVCacheDataTypeE0ELb1EEEvPT_PKS2_PKT0_S8_ifPKiSA_iPKfiiiSC_SC_iiiii: ; @_ZN4vllm25paged_attention_v1_kernelIffLi64ELi16ELi128ELNS_18Fp8KVCacheDataTypeE0ELb1EEEvPT_PKS2_PKT0_S8_ifPKiSA_iPKfiiiSC_SC_iiiii
; %bb.0:
	s_load_dword s5, s[0:1], 0x80
	s_load_dwordx2 s[6:7], s[0:1], 0x30
	s_load_dwordx2 s[34:35], s[0:1], 0x20
	s_mov_b32 s20, s3
	s_ashr_i32 s21, s3, 31
	s_lshl_b64 s[8:9], s[20:21], 2
	s_waitcnt lgkmcnt(0)
	s_add_u32 s6, s6, s8
	s_addc_u32 s7, s7, s9
	s_abs_i32 s3, s34
	v_cvt_f32_u32_e32 v1, s3
	s_sub_i32 s10, 0, s3
	s_abs_i32 s9, s5
	s_xor_b32 s8, s5, s34
	v_rcp_iflag_f32_e32 v1, v1
	s_ashr_i32 s8, s8, 31
	s_mov_b32 s44, 0
	v_mul_f32_e32 v1, 0x4f7ffffe, v1
	v_cvt_u32_f32_e32 v1, v1
	s_nop 0
	v_readfirstlane_b32 s11, v1
	s_mul_i32 s10, s10, s11
	s_mul_hi_u32 s10, s11, s10
	s_add_i32 s11, s11, s10
	s_mul_hi_u32 s10, s9, s11
	s_mul_i32 s11, s10, s3
	s_sub_i32 s9, s9, s11
	s_add_i32 s11, s10, 1
	s_sub_i32 s12, s9, s3
	s_cmp_ge_u32 s9, s3
	s_cselect_b32 s10, s11, s10
	s_cselect_b32 s9, s12, s9
	s_add_i32 s11, s10, 1
	s_cmp_ge_u32 s9, s3
	s_cselect_b32 s3, s11, s10
	s_xor_b32 s3, s3, s8
	s_sub_i32 s12, s3, s8
	s_abs_i32 s10, s12
	v_cvt_f32_u32_e32 v1, s10
	s_load_dwordx2 s[8:9], s[0:1], 0x40
	s_sub_i32 s3, 0, s10
	s_abs_i32 s11, s2
	v_rcp_iflag_f32_e32 v1, v1
	s_nop 0
	v_mul_f32_e32 v1, 0x4f7ffffe, v1
	v_cvt_u32_f32_e32 v1, v1
	s_nop 0
	v_readfirstlane_b32 s13, v1
	s_mul_i32 s3, s3, s13
	s_mul_hi_u32 s3, s13, s3
	s_add_i32 s13, s13, s3
	s_waitcnt lgkmcnt(0)
	s_cmp_eq_u64 s[8:9], 0
	s_mul_hi_u32 s24, s11, s13
	s_cbranch_scc1 .LBB19_2
; %bb.1:
	s_ashr_i32 s3, s2, 31
	s_lshl_b64 s[14:15], s[2:3], 2
	s_add_u32 s8, s8, s14
	s_addc_u32 s9, s9, s15
	s_load_dword s44, s[8:9], 0x0
.LBB19_2:
	s_load_dword s21, s[6:7], 0x0
	s_ashr_i32 s26, s12, 31
	s_load_dwordx4 s[12:15], s[0:1], 0x48
	v_lshrrev_b32_e32 v31, 2, v0
	s_ashr_i32 s25, s2, 31
	v_and_b32_e32 v32, 3, v0
	s_lshl_b32 s22, s2, 6
	v_cmp_gt_u32_e64 s[8:9], 64, v0
	v_lshlrev_b32_e32 v6, 2, v0
	v_lshlrev_b32_e32 v30, 2, v31
	s_and_saveexec_b64 s[6:7], s[8:9]
	s_cbranch_execz .LBB19_4
; %bb.3:
	s_load_dwordx2 s[16:17], s[0:1], 0x8
	s_waitcnt lgkmcnt(0)
	s_mul_i32 s18, s12, s20
	s_ashr_i32 s19, s18, 31
	s_lshl_b64 s[18:19], s[18:19], 2
	v_lshl_add_u32 v2, v32, 6, v30
	s_add_u32 s3, s16, s18
	s_addc_u32 s12, s17, s19
	s_ashr_i32 s23, s22, 31
	s_lshl_b64 s[16:17], s[22:23], 2
	s_add_u32 s16, s3, s16
	s_addc_u32 s17, s12, s17
	global_load_dword v1, v6, s[16:17]
	s_waitcnt vmcnt(0)
	ds_write_b32 v2, v1
.LBB19_4:
	s_or_b64 exec, exec, s[6:7]
	s_mul_i32 s7, s24, s10
	s_sub_i32 s7, s11, s7
	s_xor_b32 s6, s25, s26
	s_add_i32 s11, s24, 1
	s_waitcnt lgkmcnt(0)
	s_sub_i32 s12, s7, s10
	s_load_dwordx4 s[16:19], s[0:1], 0x68
	s_load_dword s3, s[0:1], 0x78
	s_cmp_ge_u32 s7, s10
	s_cselect_b32 s11, s11, s24
	s_cselect_b32 s7, s12, s7
	s_add_i32 s12, s11, 1
	s_cmp_ge_u32 s7, s10
	s_cselect_b32 s7, s12, s11
	s_waitcnt lgkmcnt(0)
	s_abs_i32 s23, s19
	v_cvt_f32_u32_e32 v1, s23
	s_xor_b32 s7, s7, s6
	s_sub_i32 s10, s7, s6
	s_sub_i32 s6, 0, s23
	v_rcp_iflag_f32_e32 v1, v1
	s_add_i32 s15, s21, -1
	s_abs_i32 s11, s15
	v_mul_f32_e32 v1, 0x4f7ffffe, v1
	v_cvt_u32_f32_e32 v1, v1
	s_barrier
	v_readfirstlane_b32 s33, v1
	s_mul_i32 s6, s6, s33
	s_mul_hi_u32 s6, s33, s6
	s_add_i32 s33, s33, s6
	s_cmp_lt_i32 s3, 0
	s_mul_hi_u32 s12, s11, s33
	s_cbranch_scc0 .LBB19_6
; %bb.5:
	s_mul_i32 s6, s16, s34
	s_add_i32 s6, s10, s6
	s_mul_i32 s6, s6, s3
	s_sub_i32 s42, 1, s6
	s_mov_b64 s[6:7], 0
	s_branch .LBB19_7
.LBB19_6:
	s_mov_b64 s[6:7], -1
                                        ; implicit-def: $sgpr42
.LBB19_7:
	s_load_dwordx2 s[26:27], s[0:1], 0x28
	s_ashr_i32 s15, s15, 31
	s_andn2_b64 vcc, exec, s[6:7]
	s_ashr_i32 s19, s19, 31
	s_cbranch_vccnz .LBB19_9
; %bb.8:
	s_mul_i32 s6, s5, s16
	s_add_i32 s2, s6, s2
	s_mul_i32 s2, s2, s3
	s_add_i32 s42, s2, 1
.LBB19_9:
	s_load_dword s2, s[0:1], 0x38
	s_load_dwordx2 s[24:25], s[0:1], 0x0
	s_load_dwordx2 s[30:31], s[0:1], 0x18
	s_load_dword s16, s[0:1], 0x88
	s_xor_b32 s3, s15, s19
	s_waitcnt lgkmcnt(0)
	s_mul_i32 s28, s2, s20
	s_mul_i32 s2, s12, s23
	s_sub_i32 s2, s11, s2
	s_ashr_i32 s29, s28, 31
	s_add_i32 s6, s12, 1
	s_sub_i32 s7, s2, s23
	s_cmp_ge_u32 s2, s23
	s_cselect_b32 s6, s6, s12
	s_cselect_b32 s2, s7, s2
	s_add_i32 s7, s6, 1
	s_cmp_ge_u32 s2, s23
	s_cselect_b32 s2, s7, s6
	s_xor_b32 s2, s2, s3
	s_sub_i32 s12, s2, s3
	s_add_i32 s2, s21, 15
	s_ashr_i32 s3, s2, 31
	s_lshr_b32 s3, s3, 28
	s_add_i32 s2, s2, s3
	s_ashr_i32 s43, s2, 4
	v_lshrrev_b32_e32 v1, 6, v0
	v_cmp_gt_i32_e64 s[2:3], s43, v1
	v_mov_b32_e32 v11, 0xff7fffff
	s_mul_i32 s14, s10, s14
	v_lshrrev_b32_e32 v7, 4, v0
	v_lshlrev_b32_e32 v33, 4, v1
	v_mbcnt_lo_u32_b32 v8, -1, 0
	s_and_saveexec_b64 s[36:37], s[2:3]
	s_cbranch_execz .LBB19_21
; %bb.10:
	s_load_dwordx2 s[0:1], s[0:1], 0x10
	s_ashr_i32 s15, s14, 31
	s_sub_i32 s34, s12, s17
	s_lshl_b64 s[6:7], s[14:15], 2
	v_bfe_u32 v9, v0, 2, 4
	s_waitcnt lgkmcnt(0)
	s_add_u32 s0, s0, s6
	s_addc_u32 s1, s1, s7
	s_abs_i32 s15, s18
	v_cvt_f32_u32_e32 v2, s15
	v_lshlrev_b32_e32 v4, 4, v9
	v_mov_b32_e32 v5, 0
	s_sub_i32 s6, 0, s15
	v_rcp_iflag_f32_e32 v10, v2
	v_lshl_add_u64 v[2:3], s[0:1], 0, v[4:5]
	v_lshlrev_b32_e32 v4, 2, v32
	v_lshl_add_u64 v[2:3], v[2:3], 0, v[4:5]
	v_mul_f32_e32 v4, 0x4f7ffffe, v10
	v_cvt_u32_f32_e32 v4, v4
	v_lshlrev_b32_e32 v11, 2, v9
	v_lshl_or_b32 v11, v1, 6, v11
	v_mbcnt_hi_u32_b32 v17, -1, v8
	v_mul_lo_u32 v12, s6, v4
	s_lshl_b64 s[6:7], s[28:29], 2
	v_mul_hi_u32 v12, v4, v12
	s_add_u32 s6, s26, s6
	v_add_u32_e32 v12, v4, v12
	v_and_b32_e32 v4, 60, v7
	s_addc_u32 s7, s27, s7
	v_subrev_u32_e32 v14, s21, v9
	v_add_u32_e32 v15, 0x110, v11
	v_and_b32_e32 v11, 64, v17
	v_cmp_eq_u32_e32 vcc, 0, v32
	s_mov_b32 s45, s13
	v_lshlrev_b32_e32 v10, 6, v32
	v_cmp_neq_f32_e64 s[0:1], s44, 0
	v_lshl_add_u64 v[4:5], s[6:7], 0, v[4:5]
	v_lshlrev_b32_e32 v13, 4, v1
	v_add_u32_e32 v14, 1, v14
	v_mov_b32_e32 v16, 0xff7fffff
	s_mov_b64 s[38:39], 0
	v_add_u32_e32 v18, 64, v11
	v_xor_b32_e32 v19, 2, v17
	v_xor_b32_e32 v20, 1, v17
	v_mov_b32_e32 v11, 0xff7fffff
	v_mov_b32_e32 v21, v1
	s_branch .LBB19_13
.LBB19_11:                              ;   in Loop: Header=BB19_13 Depth=1
	s_or_b64 exec, exec, s[40:41]
.LBB19_12:                              ;   in Loop: Header=BB19_13 Depth=1
	s_or_b64 exec, exec, s[10:11]
	v_add_u32_e32 v21, 2, v21
	v_cmp_le_i32_e64 s[6:7], s43, v21
	v_lshl_add_u64 v[4:5], v[4:5], 0, 8
	v_add_u32_e32 v13, 32, v13
	s_or_b64 s[38:39], s[6:7], s[38:39]
	v_add_u32_e32 v15, 0x80, v15
	s_andn2_b64 exec, exec, s[38:39]
	s_cbranch_execz .LBB19_20
.LBB19_13:                              ; =>This Inner Loop Header: Depth=1
	v_mul_hi_u32 v22, v13, s33
	s_waitcnt lgkmcnt(0)
	v_mul_lo_u32 v23, v22, s23
	v_sub_u32_e32 v23, v13, v23
	v_add_u32_e32 v24, 1, v22
	v_cmp_le_u32_e64 s[6:7], s23, v23
	s_nop 1
	v_cndmask_b32_e64 v22, v22, v24, s[6:7]
	v_subrev_u32_e32 v24, s23, v23
	v_cndmask_b32_e64 v23, v23, v24, s[6:7]
	v_add_u32_e32 v24, 1, v22
	v_cmp_le_u32_e64 s[6:7], s23, v23
	s_nop 1
	v_cndmask_b32_e64 v22, v22, v24, s[6:7]
	v_xor_b32_e32 v22, s19, v22
	v_subrev_u32_e32 v22, s19, v22
	v_add_u32_e32 v23, s42, v22
	v_sub_u32_e32 v25, 0, v23
	v_ashrrev_i32_e32 v24, 31, v23
	v_max_i32_e32 v23, v23, v25
	v_mul_hi_u32 v25, v23, v12
	v_mul_lo_u32 v25, v25, s15
	v_sub_u32_e32 v23, v23, v25
	v_subrev_u32_e32 v25, s15, v23
	v_cmp_le_u32_e64 s[6:7], s15, v23
	v_cmp_ge_i32_e64 s[10:11], s34, v22
	s_nop 0
	v_cndmask_b32_e64 v23, v23, v25, s[6:7]
	v_subrev_u32_e32 v25, s15, v23
	v_cmp_le_u32_e64 s[6:7], s15, v23
	s_nop 1
	v_cndmask_b32_e64 v23, v23, v25, s[6:7]
	v_xor_b32_e32 v23, v23, v24
	v_sub_u32_e32 v23, v23, v24
	v_cmp_ne_u32_e64 s[6:7], 0, v23
	s_and_b64 s[6:7], s[6:7], s[10:11]
	s_and_saveexec_b64 s[10:11], s[6:7]
	s_xor_b64 s[6:7], exec, s[10:11]
	s_cbranch_execz .LBB19_17
; %bb.14:                               ;   in Loop: Header=BB19_13 Depth=1
	s_and_saveexec_b64 s[10:11], vcc
; %bb.15:                               ;   in Loop: Header=BB19_13 Depth=1
	ds_write_b32 v15, v16
; %bb.16:                               ;   in Loop: Header=BB19_13 Depth=1
	s_or_b64 exec, exec, s[10:11]
.LBB19_17:                              ;   in Loop: Header=BB19_13 Depth=1
	s_andn2_saveexec_b64 s[10:11], s[6:7]
	s_cbranch_execz .LBB19_12
; %bb.18:                               ;   in Loop: Header=BB19_13 Depth=1
	global_load_dword v22, v[4:5], off
	s_waitcnt vmcnt(0)
	v_mad_i64_i32 v[22:23], s[6:7], v22, s45, 0
	v_lshl_add_u64 v[22:23], v[22:23], 2, v[2:3]
	global_load_dword v42, v[22:23], off offset:256
	global_load_dword v43, v[22:23], off
	global_load_dword v44, v[22:23], off offset:512
	global_load_dword v45, v[22:23], off offset:768
	;; [unrolled: 1-line block ×14, first 2 shown]
	ds_read_b128 v[22:25], v10
	ds_read_b128 v[26:29], v10 offset:16
	ds_read_b128 v[34:37], v10 offset:32
	;; [unrolled: 1-line block ×3, first 2 shown]
	v_cmp_lt_i32_e64 s[6:7], v19, v18
	s_waitcnt vmcnt(15) lgkmcnt(3)
	v_mul_f32_e32 v23, v23, v42
	s_waitcnt vmcnt(14)
	v_fmac_f32_e32 v23, v22, v43
	s_waitcnt vmcnt(13)
	v_fmac_f32_e32 v23, v24, v44
	s_waitcnt vmcnt(12)
	v_fmac_f32_e32 v23, v25, v45
	s_waitcnt vmcnt(11) lgkmcnt(2)
	v_fmac_f32_e32 v23, v26, v46
	s_waitcnt vmcnt(10)
	v_fmac_f32_e32 v23, v27, v47
	s_waitcnt vmcnt(9)
	v_fmac_f32_e32 v23, v28, v48
	s_waitcnt vmcnt(8)
	v_fmac_f32_e32 v23, v29, v49
	s_waitcnt vmcnt(7) lgkmcnt(1)
	v_fmac_f32_e32 v23, v34, v50
	s_waitcnt vmcnt(6)
	v_fmac_f32_e32 v23, v35, v51
	s_waitcnt vmcnt(5)
	v_fmac_f32_e32 v23, v36, v52
	s_waitcnt vmcnt(4)
	v_fmac_f32_e32 v23, v37, v53
	s_waitcnt vmcnt(3) lgkmcnt(0)
	v_fmac_f32_e32 v23, v38, v54
	s_waitcnt vmcnt(2)
	v_fmac_f32_e32 v23, v39, v55
	v_cndmask_b32_e64 v58, v17, v19, s[6:7]
	s_waitcnt vmcnt(1)
	v_fmac_f32_e32 v23, v40, v56
	v_lshlrev_b32_e32 v58, 2, v58
	s_waitcnt vmcnt(0)
	v_fmac_f32_e32 v23, v41, v57
	ds_bpermute_b32 v22, v58, v23
	v_cmp_lt_i32_e64 s[6:7], v20, v18
	s_waitcnt lgkmcnt(0)
	v_add_f32_e32 v22, v23, v22
	v_cndmask_b32_e64 v24, v17, v20, s[6:7]
	v_lshlrev_b32_e32 v24, 2, v24
	ds_bpermute_b32 v23, v24, v22
	s_and_saveexec_b64 s[40:41], vcc
	s_cbranch_execz .LBB19_11
; %bb.19:                               ;   in Loop: Header=BB19_13 Depth=1
	v_add_u32_e32 v24, v14, v13
	v_cvt_f32_i32_e32 v24, v24
	s_waitcnt lgkmcnt(0)
	v_add_f32_e32 v22, v22, v23
	v_add_u32_e32 v25, v9, v13
	v_cmp_gt_i32_e64 s[6:7], s21, v25
	v_mul_f32_e32 v23, s44, v24
	v_cndmask_b32_e64 v23, 0, v23, s[0:1]
	v_fmac_f32_e32 v23, s35, v22
	v_cndmask_b32_e64 v22, 0, v23, s[6:7]
	ds_write_b32 v15, v22
	v_max_f32_e32 v22, v11, v11
	v_max_f32_e32 v22, v22, v23
	v_cndmask_b32_e64 v11, v11, v22, s[6:7]
	s_branch .LBB19_11
.LBB19_20:
	s_or_b64 exec, exec, s[38:39]
.LBB19_21:
	s_or_b64 exec, exec, s[36:37]
	v_mbcnt_hi_u32_b32 v2, -1, v8
	v_and_b32_e32 v12, 64, v2
	v_add_u32_e32 v3, 64, v12
	v_xor_b32_e32 v4, 32, v2
	v_cmp_lt_i32_e32 vcc, v4, v3
	v_xor_b32_e32 v9, 16, v2
	v_max_f32_e32 v8, v11, v11
	v_cndmask_b32_e32 v4, v2, v4, vcc
	v_lshlrev_b32_e32 v4, 2, v4
	ds_bpermute_b32 v5, v4, v11
	v_cmp_lt_i32_e32 vcc, v9, v3
	v_xor_b32_e32 v10, 8, v2
	v_xor_b32_e32 v11, 4, v2
	v_and_b32_e32 v34, 63, v0
	s_waitcnt lgkmcnt(0)
	v_max_f32_e32 v5, v5, v5
	v_max_f32_e32 v8, v8, v5
	v_cndmask_b32_e32 v5, v2, v9, vcc
	v_lshlrev_b32_e32 v5, 2, v5
	ds_bpermute_b32 v9, v5, v8
	v_cmp_lt_i32_e32 vcc, v10, v3
	s_waitcnt lgkmcnt(0)
	v_max_f32_e32 v9, v9, v9
	v_max_f32_e32 v8, v8, v9
	v_cndmask_b32_e32 v9, v2, v10, vcc
	v_lshlrev_b32_e32 v10, 2, v9
	ds_bpermute_b32 v9, v10, v8
	v_cmp_lt_i32_e32 vcc, v11, v3
	s_waitcnt lgkmcnt(0)
	v_max_f32_e32 v9, v9, v9
	v_max_f32_e32 v9, v8, v9
	v_cndmask_b32_e32 v8, v2, v11, vcc
	v_lshlrev_b32_e32 v11, 2, v8
	ds_bpermute_b32 v13, v11, v9
	v_cmp_eq_u32_e32 vcc, 0, v34
	v_lshlrev_b32_e32 v8, 2, v1
	s_and_saveexec_b64 s[0:1], vcc
	s_cbranch_execz .LBB19_23
; %bb.22:
	s_waitcnt lgkmcnt(0)
	v_max_f32_e32 v13, v13, v13
	v_max_f32_e32 v9, v9, v9
	;; [unrolled: 1-line block ×3, first 2 shown]
	ds_write_b32 v8, v9 offset:256
.LBB19_23:
	s_or_b64 exec, exec, s[0:1]
	v_cmp_gt_u32_e64 s[0:1], 2, v34
	s_waitcnt lgkmcnt(0)
	v_mov_b32_e32 v13, 0xff7fffff
	v_lshlrev_b32_e32 v9, 2, v34
	s_barrier
	s_and_saveexec_b64 s[6:7], s[0:1]
; %bb.24:
	ds_read_b32 v13, v9 offset:256
; %bb.25:
	s_or_b64 exec, exec, s[6:7]
	v_xor_b32_e32 v14, 1, v2
	v_cmp_lt_i32_e64 s[6:7], v14, v3
	v_lshlrev_b32_e32 v12, 2, v12
	s_nop 0
	v_cndmask_b32_e64 v14, v2, v14, s[6:7]
	v_lshlrev_b32_e32 v35, 2, v14
	s_waitcnt lgkmcnt(0)
	ds_bpermute_b32 v14, v35, v13
	v_max_f32_e32 v13, v13, v13
	s_lshl_b32 s6, s43, 4
	s_min_i32 s15, s6, s21
	v_cmp_gt_i32_e64 s[6:7], s15, v0
	s_waitcnt lgkmcnt(0)
	v_max_f32_e32 v14, v14, v14
	v_max_f32_e32 v13, v13, v14
	ds_bpermute_b32 v13, v12, v13
	v_mov_b32_e32 v12, 0
	s_and_saveexec_b64 s[34:35], s[6:7]
	s_cbranch_execz .LBB19_29
; %bb.26:
	v_mov_b32_e32 v12, 0x110
	v_lshl_add_u32 v14, v0, 2, v12
	v_mov_b32_e32 v12, 0
	s_mov_b64 s[36:37], 0
	v_mov_b32_e32 v15, v0
.LBB19_27:                              ; =>This Inner Loop Header: Depth=1
	ds_read_b32 v16, v14
	v_add_u32_e32 v15, 0x80, v15
	v_cmp_le_i32_e64 s[10:11], s15, v15
	s_or_b64 s[36:37], s[10:11], s[36:37]
	s_waitcnt lgkmcnt(0)
	v_sub_f32_e32 v16, v16, v13
	v_mul_f32_e32 v16, 0x3fb8aa3b, v16
	v_exp_f32_e32 v16, v16
	ds_write_b32 v14, v16
	v_add_f32_e32 v12, v12, v16
	v_add_u32_e32 v14, 0x200, v14
	s_andn2_b64 exec, exec, s[36:37]
	s_cbranch_execnz .LBB19_27
; %bb.28:
	s_or_b64 exec, exec, s[36:37]
.LBB19_29:
	s_or_b64 exec, exec, s[34:35]
	ds_bpermute_b32 v4, v4, v12
	s_waitcnt lgkmcnt(0)
	v_add_f32_e32 v4, v12, v4
	ds_bpermute_b32 v5, v5, v4
	s_waitcnt lgkmcnt(0)
	v_add_f32_e32 v4, v4, v5
	ds_bpermute_b32 v5, v10, v4
	v_xor_b32_e32 v10, 2, v2
	v_cmp_lt_i32_e64 s[10:11], v10, v3
	s_waitcnt lgkmcnt(0)
	v_add_f32_e32 v4, v4, v5
	ds_bpermute_b32 v5, v11, v4
	v_cndmask_b32_e64 v3, v2, v10, s[10:11]
	v_lshlrev_b32_e32 v36, 2, v3
	s_waitcnt lgkmcnt(0)
	v_add_f32_e32 v4, v4, v5
	ds_bpermute_b32 v3, v36, v4
	s_waitcnt lgkmcnt(0)
	v_add_f32_e32 v3, v4, v3
	ds_bpermute_b32 v4, v35, v3
	s_waitcnt lgkmcnt(0)
	v_add_f32_e32 v3, v3, v4
	s_and_saveexec_b64 s[10:11], vcc
; %bb.30:
	ds_write_b32 v8, v3 offset:264
; %bb.31:
	s_or_b64 exec, exec, s[10:11]
	s_waitcnt lgkmcnt(0)
	s_barrier
	s_and_saveexec_b64 s[10:11], s[0:1]
; %bb.32:
	ds_read_b32 v3, v9 offset:264
; %bb.33:
	s_or_b64 exec, exec, s[10:11]
	s_waitcnt lgkmcnt(0)
	ds_bpermute_b32 v4, v35, v3
	v_lshlrev_b32_e32 v2, 2, v2
	v_and_b32_e32 v2, 0x100, v2
	s_waitcnt lgkmcnt(0)
	v_add_f32_e32 v3, v3, v4
	ds_bpermute_b32 v2, v2, v3
	s_and_saveexec_b64 s[0:1], s[6:7]
	s_cbranch_execz .LBB19_46
; %bb.34:
	s_waitcnt lgkmcnt(0)
	v_add_f32_e32 v2, 0x358637bd, v2
	v_div_scale_f32 v3, s[6:7], v2, v2, 1.0
	v_rcp_f32_e32 v4, v3
	v_div_scale_f32 v5, vcc, 1.0, v2, 1.0
	s_movk_i32 s6, 0x7f
	v_fma_f32 v8, -v3, v4, 1.0
	v_fmac_f32_e32 v4, v8, v4
	v_mul_f32_e32 v8, v5, v4
	v_fma_f32 v9, -v3, v8, v5
	v_fmac_f32_e32 v8, v9, v4
	v_fma_f32 v3, -v3, v8, v5
	v_div_fmas_f32 v3, v3, v4, v8
	v_xad_u32 v4, v0, -1, s15
	v_div_fixup_f32 v2, v3, v2, 1.0
	v_cmp_lt_u32_e32 vcc, s6, v4
	s_mov_b64 s[10:11], -1
	v_mov_b32_e32 v3, v0
	s_and_saveexec_b64 s[6:7], vcc
	s_cbranch_execz .LBB19_43
; %bb.35:
	v_lshrrev_b32_e32 v4, 7, v4
	v_add_u32_e32 v8, -1, v4
	v_lshrrev_b32_e32 v5, 1, v8
	v_mov_b32_e32 v3, v2
	v_add_u32_e32 v5, 1, v5
	v_cmp_lt_u32_e32 vcc, 13, v8
	v_mov_b32_e32 v10, 0
	s_and_saveexec_b64 s[10:11], vcc
	s_cbranch_execz .LBB19_39
; %bb.36:
	v_mov_b32_e32 v9, 0x110
	v_and_b32_e32 v8, -8, v5
	v_lshl_add_u32 v9, v0, 2, v9
	s_mov_b32 s36, 0
	s_mov_b64 s[34:35], 0
.LBB19_37:                              ; =>This Inner Loop Header: Depth=1
	ds_read2st64_b32 v[10:11], v9 offset1:2
	ds_read2st64_b32 v[12:13], v9 offset0:4 offset1:6
	ds_read2st64_b32 v[14:15], v9 offset0:8 offset1:10
	;; [unrolled: 1-line block ×3, first 2 shown]
	v_add_u32_e32 v8, -8, v8
	s_waitcnt lgkmcnt(3)
	v_pk_mul_f32 v[10:11], v[2:3], v[10:11]
	s_waitcnt lgkmcnt(2)
	v_pk_mul_f32 v[12:13], v[2:3], v[12:13]
	ds_write2st64_b32 v9, v10, v11 offset1:2
	ds_write2st64_b32 v9, v12, v13 offset0:4 offset1:6
	ds_read2st64_b32 v[12:13], v9 offset0:16 offset1:18
	s_waitcnt lgkmcnt(4)
	v_pk_mul_f32 v[10:11], v[2:3], v[14:15]
	ds_write2st64_b32 v9, v10, v11 offset0:8 offset1:10
	s_waitcnt lgkmcnt(4)
	v_pk_mul_f32 v[10:11], v[2:3], v[16:17]
	ds_write2st64_b32 v9, v10, v11 offset0:12 offset1:14
	ds_read2st64_b32 v[10:11], v9 offset0:20 offset1:22
	s_waitcnt lgkmcnt(3)
	v_pk_mul_f32 v[12:13], v[2:3], v[12:13]
	ds_read2st64_b32 v[14:15], v9 offset0:24 offset1:26
	ds_write2st64_b32 v9, v12, v13 offset0:16 offset1:18
	ds_read2st64_b32 v[12:13], v9 offset0:28 offset1:30
	s_waitcnt lgkmcnt(3)
	v_pk_mul_f32 v[10:11], v[2:3], v[10:11]
	ds_write2st64_b32 v9, v10, v11 offset0:20 offset1:22
	s_waitcnt lgkmcnt(3)
	v_pk_mul_f32 v[10:11], v[2:3], v[14:15]
	ds_write2st64_b32 v9, v10, v11 offset0:24 offset1:26
	s_waitcnt lgkmcnt(2)
	v_pk_mul_f32 v[10:11], v[2:3], v[12:13]
	s_add_i32 s36, s36, 16
	v_cmp_eq_u32_e32 vcc, 0, v8
	ds_write2st64_b32 v9, v10, v11 offset0:28 offset1:30
	v_add_u32_e32 v9, 0x2000, v9
	s_or_b64 s[34:35], vcc, s[34:35]
	v_mov_b32_e32 v10, s36
	s_andn2_b64 exec, exec, s[34:35]
	s_cbranch_execnz .LBB19_37
; %bb.38:
	s_or_b64 exec, exec, s[34:35]
.LBB19_39:
	s_or_b64 exec, exec, s[10:11]
	v_and_b32_e32 v5, 7, v5
	v_cmp_ne_u32_e32 vcc, 0, v5
	s_and_saveexec_b64 s[10:11], vcc
	s_cbranch_execz .LBB19_42
; %bb.40:
	v_lshlrev_b32_e32 v8, 9, v10
	s_movk_i32 s34, 0x110
	v_add3_u32 v8, v8, v6, s34
	s_mov_b64 s[34:35], 0
.LBB19_41:                              ; =>This Inner Loop Header: Depth=1
	ds_read2st64_b32 v[10:11], v8 offset1:2
	v_add_u32_e32 v5, -1, v5
	v_cmp_eq_u32_e32 vcc, 0, v5
	s_or_b64 s[34:35], vcc, s[34:35]
	s_waitcnt lgkmcnt(0)
	v_pk_mul_f32 v[10:11], v[2:3], v[10:11]
	ds_write2st64_b32 v8, v10, v11 offset1:2
	v_add_u32_e32 v8, 0x400, v8
	s_andn2_b64 exec, exec, s[34:35]
	s_cbranch_execnz .LBB19_41
.LBB19_42:
	s_or_b64 exec, exec, s[10:11]
	v_add_u32_e32 v4, 1, v4
	v_and_b32_e32 v5, 0x3fffffe, v4
	v_cmp_ne_u32_e32 vcc, v4, v5
	v_lshl_add_u32 v3, v5, 7, v0
	s_orn2_b64 s[10:11], vcc, exec
.LBB19_43:
	s_or_b64 exec, exec, s[6:7]
	s_and_b64 exec, exec, s[10:11]
	s_cbranch_execz .LBB19_46
; %bb.44:
	v_mov_b32_e32 v4, 0x110
	v_lshl_add_u32 v4, v3, 2, v4
	s_mov_b64 s[6:7], 0
.LBB19_45:                              ; =>This Inner Loop Header: Depth=1
	ds_read_b32 v5, v4
	v_add_u32_e32 v3, 0x80, v3
	v_cmp_le_i32_e32 vcc, s15, v3
	s_or_b64 s[6:7], vcc, s[6:7]
	s_waitcnt lgkmcnt(0)
	v_mul_f32_e32 v5, v2, v5
	ds_write_b32 v4, v5
	v_add_u32_e32 v4, 0x200, v4
	s_andn2_b64 exec, exec, s[6:7]
	s_cbranch_execnz .LBB19_45
.LBB19_46:
	s_or_b64 exec, exec, s[0:1]
	v_mov_b32_e32 v25, 0
	v_mov_b32_e32 v24, 0
	;; [unrolled: 1-line block ×4, first 2 shown]
	s_waitcnt lgkmcnt(0)
	s_barrier
	s_and_saveexec_b64 s[6:7], s[2:3]
	s_cbranch_execz .LBB19_60
; %bb.47:
	s_ashr_i32 s15, s14, 31
	s_sub_i32 s17, s12, s17
	s_lshl_b64 s[0:1], s[14:15], 2
	s_add_u32 s0, s30, s0
	s_addc_u32 s1, s31, s1
	s_abs_i32 s14, s18
	v_cvt_f32_u32_e32 v2, s14
	v_lshlrev_b32_e32 v3, 4, v0
	v_and_b32_e32 v22, 0x3f0, v3
	v_mov_b32_e32 v23, 0
	v_rcp_iflag_f32_e32 v2, v2
	v_lshl_add_u64 v[26:27], s[0:1], 0, v[22:23]
	s_sub_i32 s0, 0, s14
	s_add_i32 s18, s43, -1
	v_mul_f32_e32 v2, 0x4f7ffffe, v2
	v_cvt_u32_f32_e32 v2, v2
	v_and_b32_e32 v22, 60, v7
	v_and_b32_e32 v37, 12, v6
	s_mov_b32 s15, s13
	v_mul_lo_u32 v3, s0, v2
	v_mul_hi_u32 v3, v2, v3
	s_lshl_b64 s[0:1], s[28:29], 2
	v_add_u32_e32 v38, v2, v3
	s_add_u32 s0, s26, s0
	v_lshlrev_b32_e32 v2, 4, v32
	s_addc_u32 s1, s27, s1
	v_lshl_or_b32 v2, v1, 6, v2
	s_mov_b32 s30, s21
	v_lshl_add_u64 v[28:29], s[0:1], 0, v[22:23]
	v_add_u32_e32 v39, 0x110, v2
	s_mov_b64 s[2:3], 0
	v_mov_b32_e32 v22, v23
	v_mov_b32_e32 v24, v23
	;; [unrolled: 1-line block ×3, first 2 shown]
	s_branch .LBB19_50
.LBB19_48:                              ;   in Loop: Header=BB19_50 Depth=1
	s_or_b64 exec, exec, s[0:1]
	s_waitcnt vmcnt(1) lgkmcnt(0)
	v_mul_f32_e32 v14, v2, v14
	v_mul_f32_e32 v10, v2, v10
	;; [unrolled: 1-line block ×3, first 2 shown]
	v_fmac_f32_e32 v14, v3, v15
	v_fmac_f32_e32 v10, v3, v11
	;; [unrolled: 1-line block ×6, first 2 shown]
	s_waitcnt vmcnt(0)
	v_pk_mul_f32 v[2:3], v[2:3], v[18:19]
	v_fmac_f32_e32 v14, v5, v17
	v_fmac_f32_e32 v10, v5, v13
	;; [unrolled: 1-line block ×3, first 2 shown]
	v_pk_mul_f32 v[4:5], v[4:5], v[20:21]
	v_add_f32_e32 v2, v3, v2
	v_add_f32_e32 v2, v4, v2
	;; [unrolled: 1-line block ×7, first 2 shown]
.LBB19_49:                              ;   in Loop: Header=BB19_50 Depth=1
	s_or_b64 exec, exec, s[10:11]
	v_add_u32_e32 v1, 2, v1
	v_cmp_le_i32_e32 vcc, s43, v1
	v_lshl_add_u64 v[28:29], v[28:29], 0, 8
	v_add_u32_e32 v33, 32, v33
	s_or_b64 s[2:3], vcc, s[2:3]
	v_add_u32_e32 v39, 0x80, v39
	s_andn2_b64 exec, exec, s[2:3]
	s_cbranch_execz .LBB19_59
.LBB19_50:                              ; =>This Inner Loop Header: Depth=1
	v_mul_hi_u32 v2, v33, s33
	v_mul_lo_u32 v3, v2, s23
	v_sub_u32_e32 v3, v33, v3
	v_add_u32_e32 v4, 1, v2
	v_cmp_le_u32_e32 vcc, s23, v3
	s_nop 1
	v_cndmask_b32_e32 v2, v2, v4, vcc
	v_subrev_u32_e32 v4, s23, v3
	v_cndmask_b32_e32 v3, v3, v4, vcc
	v_add_u32_e32 v4, 1, v2
	v_cmp_le_u32_e32 vcc, s23, v3
	s_nop 1
	v_cndmask_b32_e32 v2, v2, v4, vcc
	v_xor_b32_e32 v2, s19, v2
	v_subrev_u32_e32 v2, s19, v2
	v_add_u32_e32 v3, s42, v2
	v_sub_u32_e32 v5, 0, v3
	v_ashrrev_i32_e32 v4, 31, v3
	v_max_i32_e32 v3, v3, v5
	v_mul_hi_u32 v5, v3, v38
	v_mul_lo_u32 v5, v5, s14
	v_sub_u32_e32 v3, v3, v5
	v_subrev_u32_e32 v5, s14, v3
	v_cmp_le_u32_e32 vcc, s14, v3
	v_cmp_lt_i32_e64 s[0:1], s17, v2
	s_nop 0
	v_cndmask_b32_e32 v3, v3, v5, vcc
	v_subrev_u32_e32 v5, s14, v3
	v_cmp_le_u32_e32 vcc, s14, v3
	s_nop 1
	v_cndmask_b32_e32 v3, v3, v5, vcc
	v_xor_b32_e32 v3, v3, v4
	v_sub_u32_e32 v3, v3, v4
	v_cmp_eq_u32_e32 vcc, 0, v3
	s_or_b64 s[0:1], vcc, s[0:1]
	s_and_saveexec_b64 s[10:11], s[0:1]
	s_cbranch_execz .LBB19_49
; %bb.51:                               ;   in Loop: Header=BB19_50 Depth=1
	global_load_dword v2, v[28:29], off
	v_add_u32_e32 v40, v37, v33
	v_cmp_eq_u32_e32 vcc, s18, v1
	v_add_u32_e32 v43, 1, v40
	v_or_b32_e32 v42, 3, v40
	v_or_b32_e32 v41, 2, v40
	s_waitcnt vmcnt(0)
	v_mad_i64_i32 v[2:3], s[0:1], v2, s15, 0
	v_lshl_add_u64 v[18:19], v[2:3], 2, v[26:27]
	global_load_dwordx4 v[6:9], v[18:19], off
	ds_read_b128 v[2:5], v39
	s_and_saveexec_b64 s[12:13], vcc
	s_cbranch_execnz .LBB19_55
; %bb.52:                               ;   in Loop: Header=BB19_50 Depth=1
	s_or_b64 exec, exec, s[12:13]
	global_load_dwordx4 v[10:13], v[18:19], off offset:1024
	s_and_saveexec_b64 s[12:13], vcc
	s_cbranch_execnz .LBB19_56
.LBB19_53:                              ;   in Loop: Header=BB19_50 Depth=1
	s_or_b64 exec, exec, s[12:13]
	global_load_dwordx4 v[14:17], v[18:19], off offset:2048
	s_and_saveexec_b64 s[12:13], vcc
	s_cbranch_execnz .LBB19_57
.LBB19_54:                              ;   in Loop: Header=BB19_50 Depth=1
	s_or_b64 exec, exec, s[12:13]
	global_load_dwordx4 v[18:21], v[18:19], off offset:3072
	s_and_saveexec_b64 s[0:1], vcc
	s_cbranch_execz .LBB19_48
	s_branch .LBB19_58
.LBB19_55:                              ;   in Loop: Header=BB19_50 Depth=1
	v_cmp_gt_i32_e64 s[0:1], s30, v43
	s_waitcnt vmcnt(0)
	s_nop 0
	v_cndmask_b32_e64 v7, 0, v7, s[0:1]
	v_cmp_gt_i32_e64 s[0:1], s21, v40
	s_nop 1
	v_cndmask_b32_e64 v6, 0, v6, s[0:1]
	v_cmp_gt_i32_e64 s[0:1], s30, v42
	;; [unrolled: 3-line block ×3, first 2 shown]
	s_nop 1
	v_cndmask_b32_e64 v8, 0, v8, s[0:1]
	s_or_b64 exec, exec, s[12:13]
	global_load_dwordx4 v[10:13], v[18:19], off offset:1024
	s_and_saveexec_b64 s[12:13], vcc
	s_cbranch_execz .LBB19_53
.LBB19_56:                              ;   in Loop: Header=BB19_50 Depth=1
	v_cmp_gt_i32_e64 s[0:1], s30, v43
	s_waitcnt vmcnt(0)
	s_nop 0
	v_cndmask_b32_e64 v11, 0, v11, s[0:1]
	v_cmp_gt_i32_e64 s[0:1], s21, v40
	s_nop 1
	v_cndmask_b32_e64 v10, 0, v10, s[0:1]
	v_cmp_gt_i32_e64 s[0:1], s30, v42
	s_nop 1
	v_cndmask_b32_e64 v13, 0, v13, s[0:1]
	v_cmp_gt_i32_e64 s[0:1], s21, v41
	s_nop 1
	v_cndmask_b32_e64 v12, 0, v12, s[0:1]
	s_or_b64 exec, exec, s[12:13]
	global_load_dwordx4 v[14:17], v[18:19], off offset:2048
	s_and_saveexec_b64 s[12:13], vcc
	s_cbranch_execz .LBB19_54
.LBB19_57:                              ;   in Loop: Header=BB19_50 Depth=1
	v_cmp_gt_i32_e64 s[0:1], s30, v43
	s_waitcnt vmcnt(0)
	s_nop 0
	v_cndmask_b32_e64 v15, 0, v15, s[0:1]
	v_cmp_gt_i32_e64 s[0:1], s21, v40
	s_nop 1
	v_cndmask_b32_e64 v14, 0, v14, s[0:1]
	v_cmp_gt_i32_e64 s[0:1], s30, v42
	;; [unrolled: 3-line block ×3, first 2 shown]
	s_nop 1
	v_cndmask_b32_e64 v16, 0, v16, s[0:1]
	s_or_b64 exec, exec, s[12:13]
	global_load_dwordx4 v[18:21], v[18:19], off offset:3072
	s_and_saveexec_b64 s[0:1], vcc
	s_cbranch_execz .LBB19_48
.LBB19_58:                              ;   in Loop: Header=BB19_50 Depth=1
	v_cmp_gt_i32_e32 vcc, s30, v43
	s_waitcnt vmcnt(0)
	s_nop 0
	v_cndmask_b32_e32 v19, 0, v19, vcc
	v_cmp_gt_i32_e32 vcc, s21, v40
	s_nop 1
	v_cndmask_b32_e32 v18, 0, v18, vcc
	v_cmp_gt_i32_e32 vcc, s30, v42
	;; [unrolled: 3-line block ×3, first 2 shown]
	s_nop 1
	v_cndmask_b32_e32 v20, 0, v20, vcc
	s_branch .LBB19_48
.LBB19_59:
	s_or_b64 exec, exec, s[2:3]
.LBB19_60:
	s_or_b64 exec, exec, s[6:7]
	ds_bpermute_b32 v2, v36, v22
	ds_bpermute_b32 v3, v36, v23
	;; [unrolled: 1-line block ×4, first 2 shown]
	s_waitcnt lgkmcnt(0)
	s_barrier
	v_pk_add_f32 v[2:3], v[22:23], v[2:3]
	ds_bpermute_b32 v8, v35, v2
	ds_bpermute_b32 v9, v35, v3
	v_pk_add_f32 v[4:5], v[24:25], v[4:5]
	ds_bpermute_b32 v6, v35, v4
	ds_bpermute_b32 v7, v35, v5
	s_waitcnt lgkmcnt(0)
	v_pk_add_f32 v[2:3], v[2:3], v[8:9]
	v_and_b32_e32 v8, 0x3c3, v0
	v_cmp_ne_u32_e32 vcc, 64, v8
	s_and_saveexec_b64 s[0:1], vcc
	s_xor_b64 s[0:1], exec, s[0:1]
; %bb.61:
                                        ; implicit-def: $vgpr34
; %bb.62:
	s_or_saveexec_b64 s[0:1], s[0:1]
	v_pk_add_f32 v[0:1], v[4:5], v[6:7]
	s_xor_b64 exec, exec, s[0:1]
	s_cbranch_execz .LBB19_64
; %bb.63:
	v_add_u32_e32 v4, 0x110, v34
	ds_write2_b32 v4, v2, v3 offset1:16
	ds_write2_b32 v4, v0, v1 offset0:32 offset1:48
.LBB19_64:
	s_or_b64 exec, exec, s[0:1]
	s_waitcnt lgkmcnt(0)
	s_barrier
	s_and_saveexec_b64 s[0:1], s[8:9]
	s_cbranch_execz .LBB19_71
; %bb.65:
	v_mov_b32_e32 v4, 0x110
	v_cmp_eq_u32_e32 vcc, 0, v32
	v_lshl_add_u32 v4, v31, 2, v4
	s_and_saveexec_b64 s[2:3], vcc
	s_cbranch_execnz .LBB19_74
; %bb.66:
	s_or_b64 exec, exec, s[2:3]
	s_and_saveexec_b64 s[2:3], vcc
	s_cbranch_execnz .LBB19_75
.LBB19_67:
	s_or_b64 exec, exec, s[2:3]
	s_and_saveexec_b64 s[2:3], vcc
	s_cbranch_execnz .LBB19_76
.LBB19_68:
	s_or_b64 exec, exec, s[2:3]
	s_and_saveexec_b64 s[2:3], vcc
	s_cbranch_execz .LBB19_70
.LBB19_69:
	ds_read_b32 v4, v4 offset:192
	s_waitcnt lgkmcnt(0)
	v_add_f32_e32 v1, v1, v4
.LBB19_70:
	s_or_b64 exec, exec, s[2:3]
.LBB19_71:
	s_or_b64 exec, exec, s[0:1]
	v_cmp_eq_u32_e32 vcc, 0, v8
	s_barrier
	s_and_saveexec_b64 s[0:1], vcc
	s_cbranch_execz .LBB19_73
; %bb.72:
	s_mul_i32 s0, s20, s16
	s_mul_i32 s0, s0, s5
	s_lshl_b32 s0, s0, 6
	s_ashr_i32 s1, s0, 31
	s_lshl_b64 s[0:1], s[0:1], 2
	s_add_u32 s2, s24, s0
	s_mul_i32 s0, s16, s22
	s_addc_u32 s3, s25, s1
	s_ashr_i32 s1, s0, 31
	s_lshl_b64 s[0:1], s[0:1], 2
	s_add_u32 s2, s2, s0
	s_addc_u32 s3, s3, s1
	s_lshl_b32 s0, s4, 6
	s_ashr_i32 s1, s0, 31
	s_lshl_b64 s[0:1], s[0:1], 2
	s_add_u32 s0, s2, s0
	s_addc_u32 s1, s3, s1
	global_store_dword v30, v2, s[0:1]
	global_store_dword v30, v3, s[0:1] offset:64
	global_store_dword v30, v0, s[0:1] offset:128
	;; [unrolled: 1-line block ×3, first 2 shown]
.LBB19_73:
	s_endpgm
.LBB19_74:
	ds_read_b32 v5, v4
	s_waitcnt lgkmcnt(0)
	v_add_f32_e32 v2, v2, v5
	s_or_b64 exec, exec, s[2:3]
	s_and_saveexec_b64 s[2:3], vcc
	s_cbranch_execz .LBB19_67
.LBB19_75:
	ds_read_b32 v5, v4 offset:64
	s_waitcnt lgkmcnt(0)
	v_add_f32_e32 v3, v3, v5
	s_or_b64 exec, exec, s[2:3]
	s_and_saveexec_b64 s[2:3], vcc
	s_cbranch_execz .LBB19_68
.LBB19_76:
	ds_read_b32 v5, v4 offset:128
	s_waitcnt lgkmcnt(0)
	v_add_f32_e32 v0, v0, v5
	s_or_b64 exec, exec, s[2:3]
	s_and_saveexec_b64 s[2:3], vcc
	s_cbranch_execnz .LBB19_69
	s_branch .LBB19_70
	.section	.rodata,"a",@progbits
	.p2align	6, 0x0
	.amdhsa_kernel _ZN4vllm25paged_attention_v1_kernelIffLi64ELi16ELi128ELNS_18Fp8KVCacheDataTypeE0ELb1EEEvPT_PKS2_PKT0_S8_ifPKiSA_iPKfiiiSC_SC_iiiii
		.amdhsa_group_segment_fixed_size 272
		.amdhsa_private_segment_fixed_size 0
		.amdhsa_kernarg_size 384
		.amdhsa_user_sgpr_count 2
		.amdhsa_user_sgpr_dispatch_ptr 0
		.amdhsa_user_sgpr_queue_ptr 0
		.amdhsa_user_sgpr_kernarg_segment_ptr 1
		.amdhsa_user_sgpr_dispatch_id 0
		.amdhsa_user_sgpr_kernarg_preload_length 0
		.amdhsa_user_sgpr_kernarg_preload_offset 0
		.amdhsa_user_sgpr_private_segment_size 0
		.amdhsa_uses_dynamic_stack 0
		.amdhsa_enable_private_segment 0
		.amdhsa_system_sgpr_workgroup_id_x 1
		.amdhsa_system_sgpr_workgroup_id_y 1
		.amdhsa_system_sgpr_workgroup_id_z 1
		.amdhsa_system_sgpr_workgroup_info 0
		.amdhsa_system_vgpr_workitem_id 0
		.amdhsa_next_free_vgpr 59
		.amdhsa_next_free_sgpr 46
		.amdhsa_accum_offset 60
		.amdhsa_reserve_vcc 1
		.amdhsa_float_round_mode_32 0
		.amdhsa_float_round_mode_16_64 0
		.amdhsa_float_denorm_mode_32 3
		.amdhsa_float_denorm_mode_16_64 3
		.amdhsa_dx10_clamp 1
		.amdhsa_ieee_mode 1
		.amdhsa_fp16_overflow 0
		.amdhsa_tg_split 0
		.amdhsa_exception_fp_ieee_invalid_op 0
		.amdhsa_exception_fp_denorm_src 0
		.amdhsa_exception_fp_ieee_div_zero 0
		.amdhsa_exception_fp_ieee_overflow 0
		.amdhsa_exception_fp_ieee_underflow 0
		.amdhsa_exception_fp_ieee_inexact 0
		.amdhsa_exception_int_div_zero 0
	.end_amdhsa_kernel
	.section	.text._ZN4vllm25paged_attention_v1_kernelIffLi64ELi16ELi128ELNS_18Fp8KVCacheDataTypeE0ELb1EEEvPT_PKS2_PKT0_S8_ifPKiSA_iPKfiiiSC_SC_iiiii,"axG",@progbits,_ZN4vllm25paged_attention_v1_kernelIffLi64ELi16ELi128ELNS_18Fp8KVCacheDataTypeE0ELb1EEEvPT_PKS2_PKT0_S8_ifPKiSA_iPKfiiiSC_SC_iiiii,comdat
.Lfunc_end19:
	.size	_ZN4vllm25paged_attention_v1_kernelIffLi64ELi16ELi128ELNS_18Fp8KVCacheDataTypeE0ELb1EEEvPT_PKS2_PKT0_S8_ifPKiSA_iPKfiiiSC_SC_iiiii, .Lfunc_end19-_ZN4vllm25paged_attention_v1_kernelIffLi64ELi16ELi128ELNS_18Fp8KVCacheDataTypeE0ELb1EEEvPT_PKS2_PKT0_S8_ifPKiSA_iPKfiiiSC_SC_iiiii
                                        ; -- End function
	.set _ZN4vllm25paged_attention_v1_kernelIffLi64ELi16ELi128ELNS_18Fp8KVCacheDataTypeE0ELb1EEEvPT_PKS2_PKT0_S8_ifPKiSA_iPKfiiiSC_SC_iiiii.num_vgpr, 59
	.set _ZN4vllm25paged_attention_v1_kernelIffLi64ELi16ELi128ELNS_18Fp8KVCacheDataTypeE0ELb1EEEvPT_PKS2_PKT0_S8_ifPKiSA_iPKfiiiSC_SC_iiiii.num_agpr, 0
	.set _ZN4vllm25paged_attention_v1_kernelIffLi64ELi16ELi128ELNS_18Fp8KVCacheDataTypeE0ELb1EEEvPT_PKS2_PKT0_S8_ifPKiSA_iPKfiiiSC_SC_iiiii.numbered_sgpr, 46
	.set _ZN4vllm25paged_attention_v1_kernelIffLi64ELi16ELi128ELNS_18Fp8KVCacheDataTypeE0ELb1EEEvPT_PKS2_PKT0_S8_ifPKiSA_iPKfiiiSC_SC_iiiii.num_named_barrier, 0
	.set _ZN4vllm25paged_attention_v1_kernelIffLi64ELi16ELi128ELNS_18Fp8KVCacheDataTypeE0ELb1EEEvPT_PKS2_PKT0_S8_ifPKiSA_iPKfiiiSC_SC_iiiii.private_seg_size, 0
	.set _ZN4vllm25paged_attention_v1_kernelIffLi64ELi16ELi128ELNS_18Fp8KVCacheDataTypeE0ELb1EEEvPT_PKS2_PKT0_S8_ifPKiSA_iPKfiiiSC_SC_iiiii.uses_vcc, 1
	.set _ZN4vllm25paged_attention_v1_kernelIffLi64ELi16ELi128ELNS_18Fp8KVCacheDataTypeE0ELb1EEEvPT_PKS2_PKT0_S8_ifPKiSA_iPKfiiiSC_SC_iiiii.uses_flat_scratch, 0
	.set _ZN4vllm25paged_attention_v1_kernelIffLi64ELi16ELi128ELNS_18Fp8KVCacheDataTypeE0ELb1EEEvPT_PKS2_PKT0_S8_ifPKiSA_iPKfiiiSC_SC_iiiii.has_dyn_sized_stack, 0
	.set _ZN4vllm25paged_attention_v1_kernelIffLi64ELi16ELi128ELNS_18Fp8KVCacheDataTypeE0ELb1EEEvPT_PKS2_PKT0_S8_ifPKiSA_iPKfiiiSC_SC_iiiii.has_recursion, 0
	.set _ZN4vllm25paged_attention_v1_kernelIffLi64ELi16ELi128ELNS_18Fp8KVCacheDataTypeE0ELb1EEEvPT_PKS2_PKT0_S8_ifPKiSA_iPKfiiiSC_SC_iiiii.has_indirect_call, 0
	.section	.AMDGPU.csdata,"",@progbits
; Kernel info:
; codeLenInByte = 4632
; TotalNumSgprs: 52
; NumVgprs: 59
; NumAgprs: 0
; TotalNumVgprs: 59
; ScratchSize: 0
; MemoryBound: 0
; FloatMode: 240
; IeeeMode: 1
; LDSByteSize: 272 bytes/workgroup (compile time only)
; SGPRBlocks: 6
; VGPRBlocks: 7
; NumSGPRsForWavesPerEU: 52
; NumVGPRsForWavesPerEU: 59
; AccumOffset: 60
; Occupancy: 8
; WaveLimiterHint : 1
; COMPUTE_PGM_RSRC2:SCRATCH_EN: 0
; COMPUTE_PGM_RSRC2:USER_SGPR: 2
; COMPUTE_PGM_RSRC2:TRAP_HANDLER: 0
; COMPUTE_PGM_RSRC2:TGID_X_EN: 1
; COMPUTE_PGM_RSRC2:TGID_Y_EN: 1
; COMPUTE_PGM_RSRC2:TGID_Z_EN: 1
; COMPUTE_PGM_RSRC2:TIDIG_COMP_CNT: 0
; COMPUTE_PGM_RSRC3_GFX90A:ACCUM_OFFSET: 14
; COMPUTE_PGM_RSRC3_GFX90A:TG_SPLIT: 0
	.section	.text._ZN4vllm25paged_attention_v1_kernelIffLi80ELi16ELi128ELNS_18Fp8KVCacheDataTypeE0ELb1EEEvPT_PKS2_PKT0_S8_ifPKiSA_iPKfiiiSC_SC_iiiii,"axG",@progbits,_ZN4vllm25paged_attention_v1_kernelIffLi80ELi16ELi128ELNS_18Fp8KVCacheDataTypeE0ELb1EEEvPT_PKS2_PKT0_S8_ifPKiSA_iPKfiiiSC_SC_iiiii,comdat
	.protected	_ZN4vllm25paged_attention_v1_kernelIffLi80ELi16ELi128ELNS_18Fp8KVCacheDataTypeE0ELb1EEEvPT_PKS2_PKT0_S8_ifPKiSA_iPKfiiiSC_SC_iiiii ; -- Begin function _ZN4vllm25paged_attention_v1_kernelIffLi80ELi16ELi128ELNS_18Fp8KVCacheDataTypeE0ELb1EEEvPT_PKS2_PKT0_S8_ifPKiSA_iPKfiiiSC_SC_iiiii
	.globl	_ZN4vllm25paged_attention_v1_kernelIffLi80ELi16ELi128ELNS_18Fp8KVCacheDataTypeE0ELb1EEEvPT_PKS2_PKT0_S8_ifPKiSA_iPKfiiiSC_SC_iiiii
	.p2align	8
	.type	_ZN4vllm25paged_attention_v1_kernelIffLi80ELi16ELi128ELNS_18Fp8KVCacheDataTypeE0ELb1EEEvPT_PKS2_PKT0_S8_ifPKiSA_iPKfiiiSC_SC_iiiii,@function
_ZN4vllm25paged_attention_v1_kernelIffLi80ELi16ELi128ELNS_18Fp8KVCacheDataTypeE0ELb1EEEvPT_PKS2_PKT0_S8_ifPKiSA_iPKfiiiSC_SC_iiiii: ; @_ZN4vllm25paged_attention_v1_kernelIffLi80ELi16ELi128ELNS_18Fp8KVCacheDataTypeE0ELb1EEEvPT_PKS2_PKT0_S8_ifPKiSA_iPKfiiiSC_SC_iiiii
; %bb.0:
	s_load_dword s5, s[0:1], 0x80
	s_load_dwordx2 s[6:7], s[0:1], 0x30
	s_load_dwordx2 s[30:31], s[0:1], 0x20
	s_mov_b32 s10, s3
	s_ashr_i32 s11, s3, 31
	s_lshl_b64 s[8:9], s[10:11], 2
	s_waitcnt lgkmcnt(0)
	s_add_u32 s6, s6, s8
	s_addc_u32 s7, s7, s9
	s_abs_i32 s3, s30
	v_cvt_f32_u32_e32 v1, s3
	s_sub_i32 s11, 0, s3
	s_abs_i32 s9, s5
	s_xor_b32 s8, s5, s30
	v_rcp_iflag_f32_e32 v1, v1
	s_ashr_i32 s8, s8, 31
	s_mov_b32 s42, 0
	v_mul_f32_e32 v1, 0x4f7ffffe, v1
	v_cvt_u32_f32_e32 v1, v1
	s_nop 0
	v_readfirstlane_b32 s12, v1
	s_mul_i32 s11, s11, s12
	s_mul_hi_u32 s11, s12, s11
	s_add_i32 s12, s12, s11
	s_mul_hi_u32 s11, s9, s12
	s_mul_i32 s12, s11, s3
	s_sub_i32 s9, s9, s12
	s_add_i32 s12, s11, 1
	s_sub_i32 s13, s9, s3
	s_cmp_ge_u32 s9, s3
	s_cselect_b32 s11, s12, s11
	s_cselect_b32 s9, s13, s9
	s_add_i32 s12, s11, 1
	s_cmp_ge_u32 s9, s3
	s_cselect_b32 s3, s12, s11
	s_xor_b32 s3, s3, s8
	s_sub_i32 s12, s3, s8
	s_abs_i32 s11, s12
	v_cvt_f32_u32_e32 v1, s11
	s_load_dwordx2 s[8:9], s[0:1], 0x40
	s_sub_i32 s3, 0, s11
	s_abs_i32 s22, s2
	v_rcp_iflag_f32_e32 v1, v1
	s_nop 0
	v_mul_f32_e32 v1, 0x4f7ffffe, v1
	v_cvt_u32_f32_e32 v1, v1
	s_nop 0
	v_readfirstlane_b32 s13, v1
	s_mul_i32 s3, s3, s13
	s_mul_hi_u32 s3, s13, s3
	s_add_i32 s13, s13, s3
	s_waitcnt lgkmcnt(0)
	s_cmp_eq_u64 s[8:9], 0
	s_mul_hi_u32 s23, s22, s13
	s_cbranch_scc1 .LBB20_2
; %bb.1:
	s_ashr_i32 s3, s2, 31
	s_lshl_b64 s[14:15], s[2:3], 2
	s_add_u32 s8, s8, s14
	s_addc_u32 s9, s9, s15
	s_load_dword s42, s[8:9], 0x0
.LBB20_2:
	s_load_dword s33, s[6:7], 0x0
	s_ashr_i32 s9, s12, 31
	s_load_dwordx4 s[12:15], s[0:1], 0x48
	v_lshrrev_b32_e32 v36, 2, v0
	s_movk_i32 s3, 0x50
	s_ashr_i32 s8, s2, 31
	v_and_b32_e32 v37, 3, v0
	s_mul_i32 s20, s2, 0x50
	v_cmp_gt_u32_e32 vcc, s3, v0
	v_lshlrev_b32_e32 v6, 2, v0
	v_lshlrev_b32_e32 v1, 2, v36
	s_and_saveexec_b64 s[6:7], vcc
	s_cbranch_execz .LBB20_4
; %bb.3:
	s_load_dwordx2 s[16:17], s[0:1], 0x8
	s_waitcnt lgkmcnt(0)
	s_mul_i32 s18, s12, s10
	s_ashr_i32 s19, s18, 31
	s_lshl_b64 s[18:19], s[18:19], 2
	v_mad_u32_u24 v3, v37, s3, v1
	s_add_u32 s12, s16, s18
	s_addc_u32 s15, s17, s19
	s_ashr_i32 s21, s20, 31
	s_lshl_b64 s[16:17], s[20:21], 2
	s_add_u32 s16, s12, s16
	s_addc_u32 s17, s15, s17
	global_load_dword v2, v6, s[16:17]
	s_waitcnt vmcnt(0)
	ds_write_b32 v3, v2
.LBB20_4:
	s_or_b64 exec, exec, s[6:7]
	s_mul_i32 s7, s23, s11
	s_sub_i32 s7, s22, s7
	s_xor_b32 s6, s8, s9
	s_add_i32 s8, s23, 1
	s_sub_i32 s9, s7, s11
	s_load_dwordx4 s[16:19], s[0:1], 0x68
	s_load_dword s3, s[0:1], 0x78
	s_cmp_ge_u32 s7, s11
	s_cselect_b32 s8, s8, s23
	s_cselect_b32 s7, s9, s7
	s_add_i32 s9, s8, 1
	s_cmp_ge_u32 s7, s11
	s_cselect_b32 s7, s9, s8
	s_waitcnt lgkmcnt(0)
	s_abs_i32 s21, s19
	v_cvt_f32_u32_e32 v2, s21
	s_xor_b32 s7, s7, s6
	s_sub_i32 s8, s7, s6
	s_sub_i32 s6, 0, s21
	v_rcp_iflag_f32_e32 v2, v2
	s_add_i32 s11, s33, -1
	s_abs_i32 s9, s11
	v_mul_f32_e32 v2, 0x4f7ffffe, v2
	v_cvt_u32_f32_e32 v2, v2
	s_barrier
	v_readfirstlane_b32 s40, v2
	s_mul_i32 s6, s6, s40
	s_mul_hi_u32 s6, s40, s6
	s_add_i32 s40, s40, s6
	s_cmp_lt_i32 s3, 0
	s_mul_hi_u32 s12, s9, s40
	s_cbranch_scc0 .LBB20_6
; %bb.5:
	s_mul_i32 s6, s16, s30
	s_add_i32 s6, s8, s6
	s_mul_i32 s6, s6, s3
	s_sub_i32 s41, 1, s6
	s_mov_b64 s[6:7], 0
	s_branch .LBB20_7
.LBB20_6:
	s_mov_b64 s[6:7], -1
                                        ; implicit-def: $sgpr41
.LBB20_7:
	s_load_dwordx2 s[24:25], s[0:1], 0x28
	s_ashr_i32 s15, s11, 31
	s_andn2_b64 vcc, exec, s[6:7]
	s_ashr_i32 s19, s19, 31
	s_cbranch_vccnz .LBB20_9
; %bb.8:
	s_mul_i32 s6, s5, s16
	s_add_i32 s2, s6, s2
	s_mul_i32 s2, s2, s3
	s_add_i32 s41, s2, 1
.LBB20_9:
	s_load_dword s2, s[0:1], 0x38
	s_load_dwordx2 s[22:23], s[0:1], 0x0
	s_load_dwordx2 s[28:29], s[0:1], 0x18
	s_load_dword s11, s[0:1], 0x88
	s_xor_b32 s3, s15, s19
	s_waitcnt lgkmcnt(0)
	s_mul_i32 s26, s2, s10
	s_mul_i32 s2, s12, s21
	s_sub_i32 s2, s9, s2
	s_ashr_i32 s27, s26, 31
	s_add_i32 s6, s12, 1
	s_sub_i32 s7, s2, s21
	s_cmp_ge_u32 s2, s21
	s_cselect_b32 s6, s6, s12
	s_cselect_b32 s2, s7, s2
	s_add_i32 s7, s6, 1
	s_cmp_ge_u32 s2, s21
	s_cselect_b32 s2, s7, s6
	s_xor_b32 s2, s2, s3
	s_sub_i32 s12, s2, s3
	s_add_i32 s2, s33, 15
	s_ashr_i32 s3, s2, 31
	s_lshr_b32 s3, s3, 28
	s_add_i32 s2, s2, s3
	s_ashr_i32 s16, s2, 4
	v_lshrrev_b32_e32 v38, 6, v0
	v_cmp_gt_i32_e64 s[2:3], s16, v38
	v_mov_b32_e32 v11, 0xff7fffff
	s_mul_i32 s14, s8, s14
	v_lshrrev_b32_e32 v7, 4, v0
	v_lshlrev_b32_e32 v39, 4, v38
	v_mbcnt_lo_u32_b32 v8, -1, 0
	s_and_saveexec_b64 s[34:35], s[2:3]
	s_cbranch_execz .LBB20_21
; %bb.10:
	s_load_dwordx2 s[0:1], s[0:1], 0x10
	s_ashr_i32 s15, s14, 31
	s_sub_i32 s30, s12, s17
	s_lshl_b64 s[6:7], s[14:15], 2
	v_bfe_u32 v9, v0, 2, 4
	s_waitcnt lgkmcnt(0)
	s_add_u32 s0, s0, s6
	s_addc_u32 s1, s1, s7
	s_abs_i32 s15, s18
	v_cvt_f32_u32_e32 v2, s15
	v_lshlrev_b32_e32 v4, 4, v9
	v_mov_b32_e32 v5, 0
	s_sub_i32 s6, 0, s15
	v_rcp_iflag_f32_e32 v10, v2
	v_lshl_add_u64 v[2:3], s[0:1], 0, v[4:5]
	v_lshlrev_b32_e32 v4, 2, v37
	v_lshl_add_u64 v[2:3], v[2:3], 0, v[4:5]
	v_mul_f32_e32 v4, 0x4f7ffffe, v10
	v_cvt_u32_f32_e32 v4, v4
	v_lshlrev_b32_e32 v11, 2, v9
	v_lshl_or_b32 v11, v38, 6, v11
	v_mbcnt_hi_u32_b32 v17, -1, v8
	v_mul_lo_u32 v12, s6, v4
	s_lshl_b64 s[6:7], s[26:27], 2
	v_mul_hi_u32 v12, v4, v12
	s_add_u32 s6, s24, s6
	v_add_u32_e32 v12, v4, v12
	v_and_b32_e32 v4, 60, v7
	s_addc_u32 s7, s25, s7
	v_subrev_u32_e32 v14, s33, v9
	v_add_u32_e32 v15, 0x150, v11
	v_and_b32_e32 v11, 64, v17
	v_cmp_eq_u32_e32 vcc, 0, v37
	s_mov_b32 s43, s13
	v_mul_u32_u24_e32 v10, 0x50, v37
	v_cmp_neq_f32_e64 s[0:1], s42, 0
	v_lshl_add_u64 v[4:5], s[6:7], 0, v[4:5]
	v_lshlrev_b32_e32 v13, 4, v38
	v_add_u32_e32 v14, 1, v14
	v_mov_b32_e32 v16, 0xff7fffff
	s_mov_b64 s[36:37], 0
	s_movk_i32 s44, 0x1000
	v_add_u32_e32 v18, 64, v11
	v_xor_b32_e32 v19, 2, v17
	v_xor_b32_e32 v20, 1, v17
	v_mov_b32_e32 v11, 0xff7fffff
	v_mov_b32_e32 v21, v38
	s_branch .LBB20_13
.LBB20_11:                              ;   in Loop: Header=BB20_13 Depth=1
	s_or_b64 exec, exec, s[38:39]
.LBB20_12:                              ;   in Loop: Header=BB20_13 Depth=1
	s_or_b64 exec, exec, s[8:9]
	v_add_u32_e32 v21, 2, v21
	v_cmp_le_i32_e64 s[6:7], s16, v21
	v_lshl_add_u64 v[4:5], v[4:5], 0, 8
	v_add_u32_e32 v13, 32, v13
	s_or_b64 s[36:37], s[6:7], s[36:37]
	v_add_u32_e32 v15, 0x80, v15
	s_andn2_b64 exec, exec, s[36:37]
	s_cbranch_execz .LBB20_20
.LBB20_13:                              ; =>This Inner Loop Header: Depth=1
	v_mul_hi_u32 v22, v13, s40
	s_waitcnt lgkmcnt(0)
	v_mul_lo_u32 v23, v22, s21
	v_sub_u32_e32 v23, v13, v23
	v_add_u32_e32 v24, 1, v22
	v_cmp_le_u32_e64 s[6:7], s21, v23
	s_nop 1
	v_cndmask_b32_e64 v22, v22, v24, s[6:7]
	v_subrev_u32_e32 v24, s21, v23
	v_cndmask_b32_e64 v23, v23, v24, s[6:7]
	v_add_u32_e32 v24, 1, v22
	v_cmp_le_u32_e64 s[6:7], s21, v23
	s_nop 1
	v_cndmask_b32_e64 v22, v22, v24, s[6:7]
	v_xor_b32_e32 v22, s19, v22
	v_subrev_u32_e32 v22, s19, v22
	v_add_u32_e32 v23, s41, v22
	v_sub_u32_e32 v25, 0, v23
	v_ashrrev_i32_e32 v24, 31, v23
	v_max_i32_e32 v23, v23, v25
	v_mul_hi_u32 v25, v23, v12
	v_mul_lo_u32 v25, v25, s15
	v_sub_u32_e32 v23, v23, v25
	v_subrev_u32_e32 v25, s15, v23
	v_cmp_le_u32_e64 s[6:7], s15, v23
	v_cmp_ge_i32_e64 s[8:9], s30, v22
	s_nop 0
	v_cndmask_b32_e64 v23, v23, v25, s[6:7]
	v_subrev_u32_e32 v25, s15, v23
	v_cmp_le_u32_e64 s[6:7], s15, v23
	s_nop 1
	v_cndmask_b32_e64 v23, v23, v25, s[6:7]
	v_xor_b32_e32 v23, v23, v24
	v_sub_u32_e32 v23, v23, v24
	v_cmp_ne_u32_e64 s[6:7], 0, v23
	s_and_b64 s[6:7], s[6:7], s[8:9]
	s_and_saveexec_b64 s[8:9], s[6:7]
	s_xor_b64 s[6:7], exec, s[8:9]
	s_cbranch_execz .LBB20_17
; %bb.14:                               ;   in Loop: Header=BB20_13 Depth=1
	s_and_saveexec_b64 s[8:9], vcc
; %bb.15:                               ;   in Loop: Header=BB20_13 Depth=1
	ds_write_b32 v15, v16
; %bb.16:                               ;   in Loop: Header=BB20_13 Depth=1
	s_or_b64 exec, exec, s[8:9]
.LBB20_17:                              ;   in Loop: Header=BB20_13 Depth=1
	s_andn2_saveexec_b64 s[8:9], s[6:7]
	s_cbranch_execz .LBB20_12
; %bb.18:                               ;   in Loop: Header=BB20_13 Depth=1
	global_load_dword v22, v[4:5], off
	s_waitcnt vmcnt(0)
	v_mad_i64_i32 v[22:23], s[6:7], v22, s43, 0
	v_lshl_add_u64 v[22:23], v[22:23], 2, v[2:3]
	global_load_dword v34, v[22:23], off
	global_load_dword v35, v[22:23], off offset:256
	global_load_dword v48, v[22:23], off offset:512
	;; [unrolled: 1-line block ×15, first 2 shown]
	v_add_co_u32_e64 v22, s[6:7], s44, v22
	s_nop 1
	v_addc_co_u32_e64 v23, s[6:7], 0, v23, s[6:7]
	global_load_dword v62, v[22:23], off
	global_load_dword v63, v[22:23], off offset:256
	global_load_dword v64, v[22:23], off offset:512
	;; [unrolled: 1-line block ×3, first 2 shown]
	ds_read_b128 v[22:25], v10
	ds_read_b128 v[26:29], v10 offset:16
	ds_read_b128 v[30:33], v10 offset:32
	ds_read_b128 v[40:43], v10 offset:48
	ds_read_b128 v[44:47], v10 offset:64
	v_cmp_lt_i32_e64 s[6:7], v19, v18
	s_waitcnt vmcnt(18) lgkmcnt(4)
	v_mul_f32_e32 v23, v23, v35
	v_fmac_f32_e32 v23, v22, v34
	s_waitcnt vmcnt(17)
	v_fmac_f32_e32 v23, v24, v48
	s_waitcnt vmcnt(16)
	v_fmac_f32_e32 v23, v25, v49
	s_waitcnt vmcnt(15) lgkmcnt(3)
	v_fmac_f32_e32 v23, v26, v50
	s_waitcnt vmcnt(14)
	v_fmac_f32_e32 v23, v27, v51
	s_waitcnt vmcnt(13)
	v_fmac_f32_e32 v23, v28, v52
	s_waitcnt vmcnt(12)
	v_fmac_f32_e32 v23, v29, v53
	s_waitcnt vmcnt(11) lgkmcnt(2)
	v_fmac_f32_e32 v23, v30, v54
	s_waitcnt vmcnt(10)
	;; [unrolled: 8-line block ×3, first 2 shown]
	v_fmac_f32_e32 v23, v41, v59
	s_waitcnt vmcnt(5)
	v_fmac_f32_e32 v23, v42, v60
	s_waitcnt vmcnt(4)
	v_fmac_f32_e32 v23, v43, v61
	v_cndmask_b32_e64 v66, v17, v19, s[6:7]
	s_waitcnt vmcnt(3) lgkmcnt(0)
	v_fmac_f32_e32 v23, v44, v62
	s_waitcnt vmcnt(2)
	v_fmac_f32_e32 v23, v45, v63
	s_waitcnt vmcnt(1)
	v_fmac_f32_e32 v23, v46, v64
	v_lshlrev_b32_e32 v66, 2, v66
	s_waitcnt vmcnt(0)
	v_fmac_f32_e32 v23, v47, v65
	ds_bpermute_b32 v22, v66, v23
	v_cmp_lt_i32_e64 s[6:7], v20, v18
	s_waitcnt lgkmcnt(0)
	v_add_f32_e32 v22, v23, v22
	v_cndmask_b32_e64 v24, v17, v20, s[6:7]
	v_lshlrev_b32_e32 v24, 2, v24
	ds_bpermute_b32 v23, v24, v22
	s_and_saveexec_b64 s[38:39], vcc
	s_cbranch_execz .LBB20_11
; %bb.19:                               ;   in Loop: Header=BB20_13 Depth=1
	v_add_u32_e32 v24, v14, v13
	v_cvt_f32_i32_e32 v24, v24
	s_waitcnt lgkmcnt(0)
	v_add_f32_e32 v22, v22, v23
	v_add_u32_e32 v25, v9, v13
	v_cmp_gt_i32_e64 s[6:7], s33, v25
	v_mul_f32_e32 v23, s42, v24
	v_cndmask_b32_e64 v23, 0, v23, s[0:1]
	v_fmac_f32_e32 v23, s31, v22
	v_cndmask_b32_e64 v22, 0, v23, s[6:7]
	ds_write_b32 v15, v22
	v_max_f32_e32 v22, v11, v11
	v_max_f32_e32 v22, v22, v23
	v_cndmask_b32_e64 v11, v11, v22, s[6:7]
	s_branch .LBB20_11
.LBB20_20:
	s_or_b64 exec, exec, s[36:37]
.LBB20_21:
	s_or_b64 exec, exec, s[34:35]
	v_mbcnt_hi_u32_b32 v2, -1, v8
	v_and_b32_e32 v12, 64, v2
	v_add_u32_e32 v3, 64, v12
	v_xor_b32_e32 v4, 32, v2
	v_cmp_lt_i32_e32 vcc, v4, v3
	v_xor_b32_e32 v9, 16, v2
	v_max_f32_e32 v8, v11, v11
	v_cndmask_b32_e32 v4, v2, v4, vcc
	v_lshlrev_b32_e32 v4, 2, v4
	ds_bpermute_b32 v5, v4, v11
	v_cmp_lt_i32_e32 vcc, v9, v3
	v_xor_b32_e32 v10, 8, v2
	v_xor_b32_e32 v11, 4, v2
	v_and_b32_e32 v40, 63, v0
	s_waitcnt lgkmcnt(0)
	v_max_f32_e32 v5, v5, v5
	v_max_f32_e32 v8, v8, v5
	v_cndmask_b32_e32 v5, v2, v9, vcc
	v_lshlrev_b32_e32 v5, 2, v5
	ds_bpermute_b32 v9, v5, v8
	v_cmp_lt_i32_e32 vcc, v10, v3
	s_waitcnt lgkmcnt(0)
	v_max_f32_e32 v9, v9, v9
	v_max_f32_e32 v8, v8, v9
	v_cndmask_b32_e32 v9, v2, v10, vcc
	v_lshlrev_b32_e32 v10, 2, v9
	ds_bpermute_b32 v9, v10, v8
	v_cmp_lt_i32_e32 vcc, v11, v3
	s_waitcnt lgkmcnt(0)
	v_max_f32_e32 v9, v9, v9
	v_max_f32_e32 v9, v8, v9
	v_cndmask_b32_e32 v8, v2, v11, vcc
	v_lshlrev_b32_e32 v11, 2, v8
	ds_bpermute_b32 v13, v11, v9
	v_cmp_eq_u32_e32 vcc, 0, v40
	v_lshlrev_b32_e32 v8, 2, v38
	s_and_saveexec_b64 s[0:1], vcc
	s_cbranch_execz .LBB20_23
; %bb.22:
	s_waitcnt lgkmcnt(0)
	v_max_f32_e32 v13, v13, v13
	v_max_f32_e32 v9, v9, v9
	;; [unrolled: 1-line block ×3, first 2 shown]
	ds_write_b32 v8, v9 offset:320
.LBB20_23:
	s_or_b64 exec, exec, s[0:1]
	v_cmp_gt_u32_e64 s[0:1], 2, v40
	s_waitcnt lgkmcnt(0)
	v_mov_b32_e32 v13, 0xff7fffff
	v_lshlrev_b32_e32 v9, 2, v40
	s_barrier
	s_and_saveexec_b64 s[6:7], s[0:1]
; %bb.24:
	ds_read_b32 v13, v9 offset:320
; %bb.25:
	s_or_b64 exec, exec, s[6:7]
	v_xor_b32_e32 v14, 1, v2
	v_cmp_lt_i32_e64 s[6:7], v14, v3
	v_lshlrev_b32_e32 v12, 2, v12
	s_nop 0
	v_cndmask_b32_e64 v14, v2, v14, s[6:7]
	v_lshlrev_b32_e32 v41, 2, v14
	s_waitcnt lgkmcnt(0)
	ds_bpermute_b32 v14, v41, v13
	v_max_f32_e32 v13, v13, v13
	s_lshl_b32 s6, s16, 4
	s_min_i32 s15, s6, s33
	v_cmp_gt_i32_e64 s[6:7], s15, v0
	s_waitcnt lgkmcnt(0)
	v_max_f32_e32 v14, v14, v14
	v_max_f32_e32 v13, v13, v14
	ds_bpermute_b32 v13, v12, v13
	v_mov_b32_e32 v12, 0
	s_and_saveexec_b64 s[30:31], s[6:7]
	s_cbranch_execz .LBB20_29
; %bb.26:
	v_mov_b32_e32 v12, 0x150
	v_lshl_add_u32 v14, v0, 2, v12
	v_mov_b32_e32 v12, 0
	s_mov_b64 s[34:35], 0
	v_mov_b32_e32 v15, v0
.LBB20_27:                              ; =>This Inner Loop Header: Depth=1
	ds_read_b32 v16, v14
	v_add_u32_e32 v15, 0x80, v15
	v_cmp_le_i32_e64 s[8:9], s15, v15
	s_or_b64 s[34:35], s[8:9], s[34:35]
	s_waitcnt lgkmcnt(0)
	v_sub_f32_e32 v16, v16, v13
	v_mul_f32_e32 v16, 0x3fb8aa3b, v16
	v_exp_f32_e32 v16, v16
	ds_write_b32 v14, v16
	v_add_f32_e32 v12, v12, v16
	v_add_u32_e32 v14, 0x200, v14
	s_andn2_b64 exec, exec, s[34:35]
	s_cbranch_execnz .LBB20_27
; %bb.28:
	s_or_b64 exec, exec, s[34:35]
.LBB20_29:
	s_or_b64 exec, exec, s[30:31]
	ds_bpermute_b32 v4, v4, v12
	s_waitcnt lgkmcnt(0)
	v_add_f32_e32 v4, v12, v4
	ds_bpermute_b32 v5, v5, v4
	s_waitcnt lgkmcnt(0)
	v_add_f32_e32 v4, v4, v5
	ds_bpermute_b32 v5, v10, v4
	v_xor_b32_e32 v10, 2, v2
	v_cmp_lt_i32_e64 s[8:9], v10, v3
	s_waitcnt lgkmcnt(0)
	v_add_f32_e32 v4, v4, v5
	ds_bpermute_b32 v5, v11, v4
	v_cndmask_b32_e64 v3, v2, v10, s[8:9]
	v_lshlrev_b32_e32 v42, 2, v3
	s_waitcnt lgkmcnt(0)
	v_add_f32_e32 v4, v4, v5
	ds_bpermute_b32 v3, v42, v4
	s_waitcnt lgkmcnt(0)
	v_add_f32_e32 v3, v4, v3
	ds_bpermute_b32 v4, v41, v3
	s_waitcnt lgkmcnt(0)
	v_add_f32_e32 v3, v3, v4
	s_and_saveexec_b64 s[8:9], vcc
; %bb.30:
	ds_write_b32 v8, v3 offset:328
; %bb.31:
	s_or_b64 exec, exec, s[8:9]
	s_waitcnt lgkmcnt(0)
	s_barrier
	s_and_saveexec_b64 s[8:9], s[0:1]
; %bb.32:
	ds_read_b32 v3, v9 offset:328
; %bb.33:
	s_or_b64 exec, exec, s[8:9]
	s_waitcnt lgkmcnt(0)
	ds_bpermute_b32 v4, v41, v3
	v_lshlrev_b32_e32 v2, 2, v2
	v_and_b32_e32 v2, 0x100, v2
	s_waitcnt lgkmcnt(0)
	v_add_f32_e32 v3, v3, v4
	ds_bpermute_b32 v2, v2, v3
	s_and_saveexec_b64 s[0:1], s[6:7]
	s_cbranch_execz .LBB20_46
; %bb.34:
	s_waitcnt lgkmcnt(0)
	v_add_f32_e32 v2, 0x358637bd, v2
	v_div_scale_f32 v3, s[6:7], v2, v2, 1.0
	v_rcp_f32_e32 v4, v3
	v_div_scale_f32 v5, vcc, 1.0, v2, 1.0
	s_movk_i32 s6, 0x7f
	v_fma_f32 v8, -v3, v4, 1.0
	v_fmac_f32_e32 v4, v8, v4
	v_mul_f32_e32 v8, v5, v4
	v_fma_f32 v9, -v3, v8, v5
	v_fmac_f32_e32 v8, v9, v4
	v_fma_f32 v3, -v3, v8, v5
	v_div_fmas_f32 v3, v3, v4, v8
	v_xad_u32 v4, v0, -1, s15
	v_div_fixup_f32 v2, v3, v2, 1.0
	v_cmp_lt_u32_e32 vcc, s6, v4
	s_mov_b64 s[8:9], -1
	v_mov_b32_e32 v3, v0
	s_and_saveexec_b64 s[6:7], vcc
	s_cbranch_execz .LBB20_43
; %bb.35:
	v_lshrrev_b32_e32 v4, 7, v4
	v_add_u32_e32 v8, -1, v4
	v_lshrrev_b32_e32 v5, 1, v8
	v_mov_b32_e32 v3, v2
	v_add_u32_e32 v5, 1, v5
	v_cmp_lt_u32_e32 vcc, 13, v8
	v_mov_b32_e32 v10, 0
	s_and_saveexec_b64 s[8:9], vcc
	s_cbranch_execz .LBB20_39
; %bb.36:
	v_mov_b32_e32 v9, 0x150
	v_and_b32_e32 v8, -8, v5
	v_lshl_add_u32 v9, v0, 2, v9
	s_mov_b32 s34, 0
	s_mov_b64 s[30:31], 0
.LBB20_37:                              ; =>This Inner Loop Header: Depth=1
	ds_read2st64_b32 v[10:11], v9 offset1:2
	ds_read2st64_b32 v[12:13], v9 offset0:4 offset1:6
	ds_read2st64_b32 v[14:15], v9 offset0:8 offset1:10
	;; [unrolled: 1-line block ×3, first 2 shown]
	v_add_u32_e32 v8, -8, v8
	s_waitcnt lgkmcnt(3)
	v_pk_mul_f32 v[10:11], v[2:3], v[10:11]
	s_waitcnt lgkmcnt(2)
	v_pk_mul_f32 v[12:13], v[2:3], v[12:13]
	ds_write2st64_b32 v9, v10, v11 offset1:2
	ds_write2st64_b32 v9, v12, v13 offset0:4 offset1:6
	ds_read2st64_b32 v[12:13], v9 offset0:16 offset1:18
	s_waitcnt lgkmcnt(4)
	v_pk_mul_f32 v[10:11], v[2:3], v[14:15]
	ds_write2st64_b32 v9, v10, v11 offset0:8 offset1:10
	s_waitcnt lgkmcnt(4)
	v_pk_mul_f32 v[10:11], v[2:3], v[16:17]
	ds_write2st64_b32 v9, v10, v11 offset0:12 offset1:14
	ds_read2st64_b32 v[10:11], v9 offset0:20 offset1:22
	s_waitcnt lgkmcnt(3)
	v_pk_mul_f32 v[12:13], v[2:3], v[12:13]
	ds_read2st64_b32 v[14:15], v9 offset0:24 offset1:26
	ds_write2st64_b32 v9, v12, v13 offset0:16 offset1:18
	ds_read2st64_b32 v[12:13], v9 offset0:28 offset1:30
	s_waitcnt lgkmcnt(3)
	v_pk_mul_f32 v[10:11], v[2:3], v[10:11]
	ds_write2st64_b32 v9, v10, v11 offset0:20 offset1:22
	s_waitcnt lgkmcnt(3)
	v_pk_mul_f32 v[10:11], v[2:3], v[14:15]
	ds_write2st64_b32 v9, v10, v11 offset0:24 offset1:26
	s_waitcnt lgkmcnt(2)
	v_pk_mul_f32 v[10:11], v[2:3], v[12:13]
	s_add_i32 s34, s34, 16
	v_cmp_eq_u32_e32 vcc, 0, v8
	ds_write2st64_b32 v9, v10, v11 offset0:28 offset1:30
	v_add_u32_e32 v9, 0x2000, v9
	s_or_b64 s[30:31], vcc, s[30:31]
	v_mov_b32_e32 v10, s34
	s_andn2_b64 exec, exec, s[30:31]
	s_cbranch_execnz .LBB20_37
; %bb.38:
	s_or_b64 exec, exec, s[30:31]
.LBB20_39:
	s_or_b64 exec, exec, s[8:9]
	v_and_b32_e32 v5, 7, v5
	v_cmp_ne_u32_e32 vcc, 0, v5
	s_and_saveexec_b64 s[8:9], vcc
	s_cbranch_execz .LBB20_42
; %bb.40:
	v_lshlrev_b32_e32 v8, 9, v10
	s_movk_i32 s30, 0x150
	v_add3_u32 v8, v8, v6, s30
	s_mov_b64 s[30:31], 0
.LBB20_41:                              ; =>This Inner Loop Header: Depth=1
	ds_read2st64_b32 v[10:11], v8 offset1:2
	v_add_u32_e32 v5, -1, v5
	v_cmp_eq_u32_e32 vcc, 0, v5
	s_or_b64 s[30:31], vcc, s[30:31]
	s_waitcnt lgkmcnt(0)
	v_pk_mul_f32 v[10:11], v[2:3], v[10:11]
	ds_write2st64_b32 v8, v10, v11 offset1:2
	v_add_u32_e32 v8, 0x400, v8
	s_andn2_b64 exec, exec, s[30:31]
	s_cbranch_execnz .LBB20_41
.LBB20_42:
	s_or_b64 exec, exec, s[8:9]
	v_add_u32_e32 v4, 1, v4
	v_and_b32_e32 v5, 0x3fffffe, v4
	v_cmp_ne_u32_e32 vcc, v4, v5
	v_lshl_add_u32 v3, v5, 7, v0
	s_orn2_b64 s[8:9], vcc, exec
.LBB20_43:
	s_or_b64 exec, exec, s[6:7]
	s_and_b64 exec, exec, s[8:9]
	s_cbranch_execz .LBB20_46
; %bb.44:
	v_mov_b32_e32 v4, 0x150
	v_lshl_add_u32 v4, v3, 2, v4
	s_mov_b64 s[6:7], 0
.LBB20_45:                              ; =>This Inner Loop Header: Depth=1
	ds_read_b32 v5, v4
	v_add_u32_e32 v3, 0x80, v3
	v_cmp_le_i32_e32 vcc, s15, v3
	s_or_b64 s[6:7], vcc, s[6:7]
	s_waitcnt lgkmcnt(0)
	v_mul_f32_e32 v5, v2, v5
	ds_write_b32 v4, v5
	v_add_u32_e32 v4, 0x200, v4
	s_andn2_b64 exec, exec, s[6:7]
	s_cbranch_execnz .LBB20_45
.LBB20_46:
	s_or_b64 exec, exec, s[0:1]
	v_mov_b32_e32 v29, 0
	v_mov_b32_e32 v28, 0
	;; [unrolled: 1-line block ×5, first 2 shown]
	s_waitcnt lgkmcnt(0)
	s_barrier
	s_and_saveexec_b64 s[6:7], s[2:3]
	s_cbranch_execz .LBB20_62
; %bb.47:
	s_ashr_i32 s15, s14, 31
	s_sub_i32 s17, s12, s17
	s_lshl_b64 s[0:1], s[14:15], 2
	s_add_u32 s0, s28, s0
	s_addc_u32 s1, s29, s1
	s_abs_i32 s14, s18
	v_cvt_f32_u32_e32 v2, s14
	v_lshlrev_b32_e32 v3, 4, v0
	v_and_b32_e32 v26, 0x3f0, v3
	v_mov_b32_e32 v27, 0
	v_rcp_iflag_f32_e32 v2, v2
	v_lshl_add_u64 v[32:33], s[0:1], 0, v[26:27]
	s_sub_i32 s0, 0, s14
	s_add_i32 s18, s16, -1
	v_mul_f32_e32 v2, 0x4f7ffffe, v2
	v_cvt_u32_f32_e32 v2, v2
	v_and_b32_e32 v26, 60, v7
	v_and_b32_e32 v43, 12, v6
	s_mov_b32 s15, s13
	v_mul_lo_u32 v3, s0, v2
	v_mul_hi_u32 v3, v2, v3
	s_lshl_b64 s[0:1], s[26:27], 2
	v_add_u32_e32 v44, v2, v3
	s_add_u32 s0, s24, s0
	v_lshlrev_b32_e32 v2, 4, v37
	s_addc_u32 s1, s25, s1
	v_lshl_or_b32 v2, v38, 6, v2
	s_mov_b32 s28, s33
	v_lshl_add_u64 v[34:35], s[0:1], 0, v[26:27]
	v_add_u32_e32 v26, 0x150, v2
	s_mov_b64 s[2:3], 0
	v_mov_b32_e32 v30, v27
	v_mov_b32_e32 v31, v27
	v_mov_b32_e32 v28, v27
	v_mov_b32_e32 v29, v27
	s_branch .LBB20_50
.LBB20_48:                              ;   in Loop: Header=BB20_50 Depth=1
	s_or_b64 exec, exec, s[12:13]
	s_waitcnt vmcnt(1) lgkmcnt(0)
	v_mul_f32_e32 v18, v2, v18
	v_mul_f32_e32 v14, v2, v14
	;; [unrolled: 1-line block ×4, first 2 shown]
	v_fmac_f32_e32 v18, v3, v19
	v_fmac_f32_e32 v14, v3, v15
	v_fmac_f32_e32 v10, v3, v11
	v_fmac_f32_e32 v6, v3, v7
	v_fmac_f32_e32 v18, v4, v20
	v_fmac_f32_e32 v14, v4, v16
	v_fmac_f32_e32 v10, v4, v12
	v_fmac_f32_e32 v6, v4, v8
	s_waitcnt vmcnt(0)
	v_pk_mul_f32 v[2:3], v[2:3], v[22:23]
	v_fmac_f32_e32 v18, v5, v21
	v_fmac_f32_e32 v14, v5, v17
	;; [unrolled: 1-line block ×4, first 2 shown]
	v_pk_mul_f32 v[4:5], v[4:5], v[24:25]
	v_add_f32_e32 v2, v3, v2
	v_add_f32_e32 v2, v4, v2
	;; [unrolled: 1-line block ×8, first 2 shown]
.LBB20_49:                              ;   in Loop: Header=BB20_50 Depth=1
	s_or_b64 exec, exec, s[8:9]
	v_add_u32_e32 v38, 2, v38
	v_cmp_le_i32_e32 vcc, s16, v38
	v_lshl_add_u64 v[34:35], v[34:35], 0, 8
	v_add_u32_e32 v39, 32, v39
	s_or_b64 s[2:3], vcc, s[2:3]
	v_add_u32_e32 v26, 0x80, v26
	s_andn2_b64 exec, exec, s[2:3]
	s_cbranch_execz .LBB20_61
.LBB20_50:                              ; =>This Inner Loop Header: Depth=1
	v_mul_hi_u32 v2, v39, s40
	v_mul_lo_u32 v3, v2, s21
	v_sub_u32_e32 v3, v39, v3
	v_add_u32_e32 v4, 1, v2
	v_cmp_le_u32_e32 vcc, s21, v3
	s_nop 1
	v_cndmask_b32_e32 v2, v2, v4, vcc
	v_subrev_u32_e32 v4, s21, v3
	v_cndmask_b32_e32 v3, v3, v4, vcc
	v_add_u32_e32 v4, 1, v2
	v_cmp_le_u32_e32 vcc, s21, v3
	s_nop 1
	v_cndmask_b32_e32 v2, v2, v4, vcc
	v_xor_b32_e32 v2, s19, v2
	v_subrev_u32_e32 v2, s19, v2
	v_add_u32_e32 v3, s41, v2
	v_sub_u32_e32 v5, 0, v3
	v_ashrrev_i32_e32 v4, 31, v3
	v_max_i32_e32 v3, v3, v5
	v_mul_hi_u32 v5, v3, v44
	v_mul_lo_u32 v5, v5, s14
	v_sub_u32_e32 v3, v3, v5
	v_subrev_u32_e32 v5, s14, v3
	v_cmp_le_u32_e32 vcc, s14, v3
	v_cmp_lt_i32_e64 s[0:1], s17, v2
	s_nop 0
	v_cndmask_b32_e32 v3, v3, v5, vcc
	v_subrev_u32_e32 v5, s14, v3
	v_cmp_le_u32_e32 vcc, s14, v3
	s_nop 1
	v_cndmask_b32_e32 v3, v3, v5, vcc
	v_xor_b32_e32 v3, v3, v4
	v_sub_u32_e32 v3, v3, v4
	v_cmp_eq_u32_e32 vcc, 0, v3
	s_or_b64 s[0:1], vcc, s[0:1]
	s_and_saveexec_b64 s[8:9], s[0:1]
	s_cbranch_execz .LBB20_49
; %bb.51:                               ;   in Loop: Header=BB20_50 Depth=1
	global_load_dword v2, v[34:35], off
	v_add_u32_e32 v45, v43, v39
	v_add_u32_e32 v48, 1, v45
	v_or_b32_e32 v47, 3, v45
	v_or_b32_e32 v46, 2, v45
	s_waitcnt vmcnt(0)
	v_mad_i64_i32 v[2:3], s[0:1], v2, s15, 0
	v_lshl_add_u64 v[22:23], v[2:3], 2, v[32:33]
	global_load_dwordx4 v[6:9], v[22:23], off
	ds_read_b128 v[2:5], v26
	v_cmp_eq_u32_e64 s[0:1], s18, v38
	s_and_saveexec_b64 s[12:13], s[0:1]
	s_cbranch_execnz .LBB20_58
; %bb.52:                               ;   in Loop: Header=BB20_50 Depth=1
	s_or_b64 exec, exec, s[12:13]
	global_load_dwordx4 v[10:13], v[22:23], off offset:1024
	s_and_saveexec_b64 s[12:13], s[0:1]
	s_cbranch_execnz .LBB20_59
.LBB20_53:                              ;   in Loop: Header=BB20_50 Depth=1
	s_or_b64 exec, exec, s[12:13]
	global_load_dwordx4 v[14:17], v[22:23], off offset:2048
	s_and_saveexec_b64 s[12:13], s[0:1]
	s_cbranch_execnz .LBB20_60
.LBB20_54:                              ;   in Loop: Header=BB20_50 Depth=1
	s_or_b64 exec, exec, s[12:13]
	global_load_dwordx4 v[18:21], v[22:23], off offset:3072
	s_and_saveexec_b64 s[12:13], s[0:1]
	s_cbranch_execz .LBB20_56
.LBB20_55:                              ;   in Loop: Header=BB20_50 Depth=1
	v_cmp_gt_i32_e32 vcc, s28, v48
	s_waitcnt vmcnt(0)
	s_nop 0
	v_cndmask_b32_e32 v19, 0, v19, vcc
	v_cmp_gt_i32_e32 vcc, s33, v45
	s_nop 1
	v_cndmask_b32_e32 v18, 0, v18, vcc
	v_cmp_gt_i32_e32 vcc, s28, v47
	;; [unrolled: 3-line block ×3, first 2 shown]
	s_nop 1
	v_cndmask_b32_e32 v20, 0, v20, vcc
.LBB20_56:                              ;   in Loop: Header=BB20_50 Depth=1
	s_or_b64 exec, exec, s[12:13]
	v_add_co_u32_e32 v22, vcc, 0x1000, v22
	s_nop 1
	v_addc_co_u32_e32 v23, vcc, 0, v23, vcc
	global_load_dwordx4 v[22:25], v[22:23], off
	s_and_saveexec_b64 s[12:13], s[0:1]
	s_cbranch_execz .LBB20_48
; %bb.57:                               ;   in Loop: Header=BB20_50 Depth=1
	v_cmp_gt_i32_e32 vcc, s28, v48
	s_waitcnt vmcnt(0)
	s_nop 0
	v_cndmask_b32_e32 v23, 0, v23, vcc
	v_cmp_gt_i32_e32 vcc, s33, v45
	s_nop 1
	v_cndmask_b32_e32 v22, 0, v22, vcc
	v_cmp_gt_i32_e32 vcc, s28, v47
	;; [unrolled: 3-line block ×3, first 2 shown]
	s_nop 1
	v_cndmask_b32_e32 v24, 0, v24, vcc
	s_branch .LBB20_48
.LBB20_58:                              ;   in Loop: Header=BB20_50 Depth=1
	v_cmp_gt_i32_e32 vcc, s28, v48
	s_waitcnt vmcnt(0)
	s_nop 0
	v_cndmask_b32_e32 v7, 0, v7, vcc
	v_cmp_gt_i32_e32 vcc, s33, v45
	s_nop 1
	v_cndmask_b32_e32 v6, 0, v6, vcc
	v_cmp_gt_i32_e32 vcc, s28, v47
	;; [unrolled: 3-line block ×3, first 2 shown]
	s_nop 1
	v_cndmask_b32_e32 v8, 0, v8, vcc
	s_or_b64 exec, exec, s[12:13]
	global_load_dwordx4 v[10:13], v[22:23], off offset:1024
	s_and_saveexec_b64 s[12:13], s[0:1]
	s_cbranch_execz .LBB20_53
.LBB20_59:                              ;   in Loop: Header=BB20_50 Depth=1
	v_cmp_gt_i32_e32 vcc, s28, v48
	s_waitcnt vmcnt(0)
	s_nop 0
	v_cndmask_b32_e32 v11, 0, v11, vcc
	v_cmp_gt_i32_e32 vcc, s33, v45
	s_nop 1
	v_cndmask_b32_e32 v10, 0, v10, vcc
	v_cmp_gt_i32_e32 vcc, s28, v47
	;; [unrolled: 3-line block ×3, first 2 shown]
	s_nop 1
	v_cndmask_b32_e32 v12, 0, v12, vcc
	s_or_b64 exec, exec, s[12:13]
	global_load_dwordx4 v[14:17], v[22:23], off offset:2048
	s_and_saveexec_b64 s[12:13], s[0:1]
	s_cbranch_execz .LBB20_54
.LBB20_60:                              ;   in Loop: Header=BB20_50 Depth=1
	v_cmp_gt_i32_e32 vcc, s28, v48
	s_waitcnt vmcnt(0)
	s_nop 0
	v_cndmask_b32_e32 v15, 0, v15, vcc
	v_cmp_gt_i32_e32 vcc, s33, v45
	s_nop 1
	v_cndmask_b32_e32 v14, 0, v14, vcc
	v_cmp_gt_i32_e32 vcc, s28, v47
	;; [unrolled: 3-line block ×3, first 2 shown]
	s_nop 1
	v_cndmask_b32_e32 v16, 0, v16, vcc
	s_or_b64 exec, exec, s[12:13]
	global_load_dwordx4 v[18:21], v[22:23], off offset:3072
	s_and_saveexec_b64 s[12:13], s[0:1]
	s_cbranch_execnz .LBB20_55
	s_branch .LBB20_56
.LBB20_61:
	s_or_b64 exec, exec, s[2:3]
.LBB20_62:
	s_or_b64 exec, exec, s[6:7]
	ds_bpermute_b32 v2, v42, v30
	ds_bpermute_b32 v3, v42, v31
	;; [unrolled: 1-line block ×5, first 2 shown]
	s_waitcnt lgkmcnt(0)
	v_pk_add_f32 v[2:3], v[30:31], v[2:3]
	ds_bpermute_b32 v6, v41, v2
	ds_bpermute_b32 v7, v41, v3
	v_pk_add_f32 v[8:9], v[28:29], v[4:5]
	ds_bpermute_b32 v10, v41, v8
	ds_bpermute_b32 v11, v41, v9
	s_barrier
	s_waitcnt lgkmcnt(2)
	v_pk_add_f32 v[4:5], v[2:3], v[6:7]
	v_add_f32_e32 v7, v27, v12
	v_and_b32_e32 v6, 0x3c3, v0
	s_waitcnt lgkmcnt(0)
	v_pk_add_f32 v[2:3], v[8:9], v[10:11]
	ds_bpermute_b32 v8, v41, v7
	v_cmp_ne_u32_e32 vcc, 64, v6
	s_waitcnt lgkmcnt(0)
	s_and_saveexec_b64 s[0:1], vcc
	s_xor_b64 s[0:1], exec, s[0:1]
; %bb.63:
                                        ; implicit-def: $vgpr40
; %bb.64:
	s_or_saveexec_b64 s[0:1], s[0:1]
	v_add_f32_e32 v7, v7, v8
	s_xor_b64 exec, exec, s[0:1]
	s_cbranch_execz .LBB20_66
; %bb.65:
	v_add_u32_e32 v8, 0x150, v40
	ds_write2_b32 v8, v4, v5 offset1:16
	ds_write2_b32 v8, v2, v3 offset0:32 offset1:48
	ds_write_b32 v8, v7 offset:256
.LBB20_66:
	s_or_b64 exec, exec, s[0:1]
	v_cmp_gt_u32_e32 vcc, 64, v0
	s_waitcnt lgkmcnt(0)
	s_barrier
	s_and_saveexec_b64 s[0:1], vcc
	s_cbranch_execz .LBB20_74
; %bb.67:
	v_mov_b32_e32 v0, 0x150
	v_cmp_eq_u32_e32 vcc, 0, v37
	v_lshl_add_u32 v0, v36, 2, v0
	s_and_saveexec_b64 s[2:3], vcc
	s_cbranch_execnz .LBB20_77
; %bb.68:
	s_or_b64 exec, exec, s[2:3]
	s_and_saveexec_b64 s[2:3], vcc
	s_cbranch_execnz .LBB20_78
.LBB20_69:
	s_or_b64 exec, exec, s[2:3]
	s_and_saveexec_b64 s[2:3], vcc
	s_cbranch_execnz .LBB20_79
.LBB20_70:
	s_or_b64 exec, exec, s[2:3]
	s_and_saveexec_b64 s[2:3], vcc
	s_cbranch_execnz .LBB20_80
.LBB20_71:
	s_or_b64 exec, exec, s[2:3]
	s_and_saveexec_b64 s[2:3], vcc
	s_cbranch_execz .LBB20_73
.LBB20_72:
	ds_read_b32 v0, v0 offset:256
	s_waitcnt lgkmcnt(0)
	v_add_f32_e32 v7, v7, v0
.LBB20_73:
	s_or_b64 exec, exec, s[2:3]
.LBB20_74:
	s_or_b64 exec, exec, s[0:1]
	v_cmp_eq_u32_e32 vcc, 0, v6
	s_barrier
	s_and_saveexec_b64 s[0:1], vcc
	s_cbranch_execz .LBB20_76
; %bb.75:
	s_mul_i32 s0, s10, s11
	s_mul_i32 s0, s0, s5
	s_mulk_i32 s0, 0x50
	s_ashr_i32 s1, s0, 31
	s_lshl_b64 s[0:1], s[0:1], 2
	s_add_u32 s2, s22, s0
	s_mul_i32 s0, s11, s20
	s_addc_u32 s3, s23, s1
	s_ashr_i32 s1, s0, 31
	s_lshl_b64 s[0:1], s[0:1], 2
	s_add_u32 s2, s2, s0
	s_mul_i32 s0, s4, 0x50
	s_addc_u32 s3, s3, s1
	s_ashr_i32 s1, s0, 31
	s_lshl_b64 s[0:1], s[0:1], 2
	s_add_u32 s0, s2, s0
	s_addc_u32 s1, s3, s1
	global_store_dword v1, v4, s[0:1]
	global_store_dword v1, v5, s[0:1] offset:64
	global_store_dword v1, v2, s[0:1] offset:128
	;; [unrolled: 1-line block ×4, first 2 shown]
.LBB20_76:
	s_endpgm
.LBB20_77:
	ds_read_b32 v8, v0
	s_waitcnt lgkmcnt(0)
	v_add_f32_e32 v4, v4, v8
	s_or_b64 exec, exec, s[2:3]
	s_and_saveexec_b64 s[2:3], vcc
	s_cbranch_execz .LBB20_69
.LBB20_78:
	ds_read_b32 v8, v0 offset:64
	s_waitcnt lgkmcnt(0)
	v_add_f32_e32 v5, v5, v8
	s_or_b64 exec, exec, s[2:3]
	s_and_saveexec_b64 s[2:3], vcc
	s_cbranch_execz .LBB20_70
.LBB20_79:
	ds_read_b32 v8, v0 offset:128
	s_waitcnt lgkmcnt(0)
	v_add_f32_e32 v2, v2, v8
	s_or_b64 exec, exec, s[2:3]
	s_and_saveexec_b64 s[2:3], vcc
	s_cbranch_execz .LBB20_71
.LBB20_80:
	ds_read_b32 v8, v0 offset:192
	s_waitcnt lgkmcnt(0)
	v_add_f32_e32 v3, v3, v8
	s_or_b64 exec, exec, s[2:3]
	s_and_saveexec_b64 s[2:3], vcc
	s_cbranch_execnz .LBB20_72
	s_branch .LBB20_73
	.section	.rodata,"a",@progbits
	.p2align	6, 0x0
	.amdhsa_kernel _ZN4vllm25paged_attention_v1_kernelIffLi80ELi16ELi128ELNS_18Fp8KVCacheDataTypeE0ELb1EEEvPT_PKS2_PKT0_S8_ifPKiSA_iPKfiiiSC_SC_iiiii
		.amdhsa_group_segment_fixed_size 336
		.amdhsa_private_segment_fixed_size 0
		.amdhsa_kernarg_size 384
		.amdhsa_user_sgpr_count 2
		.amdhsa_user_sgpr_dispatch_ptr 0
		.amdhsa_user_sgpr_queue_ptr 0
		.amdhsa_user_sgpr_kernarg_segment_ptr 1
		.amdhsa_user_sgpr_dispatch_id 0
		.amdhsa_user_sgpr_kernarg_preload_length 0
		.amdhsa_user_sgpr_kernarg_preload_offset 0
		.amdhsa_user_sgpr_private_segment_size 0
		.amdhsa_uses_dynamic_stack 0
		.amdhsa_enable_private_segment 0
		.amdhsa_system_sgpr_workgroup_id_x 1
		.amdhsa_system_sgpr_workgroup_id_y 1
		.amdhsa_system_sgpr_workgroup_id_z 1
		.amdhsa_system_sgpr_workgroup_info 0
		.amdhsa_system_vgpr_workitem_id 0
		.amdhsa_next_free_vgpr 67
		.amdhsa_next_free_sgpr 45
		.amdhsa_accum_offset 68
		.amdhsa_reserve_vcc 1
		.amdhsa_float_round_mode_32 0
		.amdhsa_float_round_mode_16_64 0
		.amdhsa_float_denorm_mode_32 3
		.amdhsa_float_denorm_mode_16_64 3
		.amdhsa_dx10_clamp 1
		.amdhsa_ieee_mode 1
		.amdhsa_fp16_overflow 0
		.amdhsa_tg_split 0
		.amdhsa_exception_fp_ieee_invalid_op 0
		.amdhsa_exception_fp_denorm_src 0
		.amdhsa_exception_fp_ieee_div_zero 0
		.amdhsa_exception_fp_ieee_overflow 0
		.amdhsa_exception_fp_ieee_underflow 0
		.amdhsa_exception_fp_ieee_inexact 0
		.amdhsa_exception_int_div_zero 0
	.end_amdhsa_kernel
	.section	.text._ZN4vllm25paged_attention_v1_kernelIffLi80ELi16ELi128ELNS_18Fp8KVCacheDataTypeE0ELb1EEEvPT_PKS2_PKT0_S8_ifPKiSA_iPKfiiiSC_SC_iiiii,"axG",@progbits,_ZN4vllm25paged_attention_v1_kernelIffLi80ELi16ELi128ELNS_18Fp8KVCacheDataTypeE0ELb1EEEvPT_PKS2_PKT0_S8_ifPKiSA_iPKfiiiSC_SC_iiiii,comdat
.Lfunc_end20:
	.size	_ZN4vllm25paged_attention_v1_kernelIffLi80ELi16ELi128ELNS_18Fp8KVCacheDataTypeE0ELb1EEEvPT_PKS2_PKT0_S8_ifPKiSA_iPKfiiiSC_SC_iiiii, .Lfunc_end20-_ZN4vllm25paged_attention_v1_kernelIffLi80ELi16ELi128ELNS_18Fp8KVCacheDataTypeE0ELb1EEEvPT_PKS2_PKT0_S8_ifPKiSA_iPKfiiiSC_SC_iiiii
                                        ; -- End function
	.set _ZN4vllm25paged_attention_v1_kernelIffLi80ELi16ELi128ELNS_18Fp8KVCacheDataTypeE0ELb1EEEvPT_PKS2_PKT0_S8_ifPKiSA_iPKfiiiSC_SC_iiiii.num_vgpr, 67
	.set _ZN4vllm25paged_attention_v1_kernelIffLi80ELi16ELi128ELNS_18Fp8KVCacheDataTypeE0ELb1EEEvPT_PKS2_PKT0_S8_ifPKiSA_iPKfiiiSC_SC_iiiii.num_agpr, 0
	.set _ZN4vllm25paged_attention_v1_kernelIffLi80ELi16ELi128ELNS_18Fp8KVCacheDataTypeE0ELb1EEEvPT_PKS2_PKT0_S8_ifPKiSA_iPKfiiiSC_SC_iiiii.numbered_sgpr, 45
	.set _ZN4vllm25paged_attention_v1_kernelIffLi80ELi16ELi128ELNS_18Fp8KVCacheDataTypeE0ELb1EEEvPT_PKS2_PKT0_S8_ifPKiSA_iPKfiiiSC_SC_iiiii.num_named_barrier, 0
	.set _ZN4vllm25paged_attention_v1_kernelIffLi80ELi16ELi128ELNS_18Fp8KVCacheDataTypeE0ELb1EEEvPT_PKS2_PKT0_S8_ifPKiSA_iPKfiiiSC_SC_iiiii.private_seg_size, 0
	.set _ZN4vllm25paged_attention_v1_kernelIffLi80ELi16ELi128ELNS_18Fp8KVCacheDataTypeE0ELb1EEEvPT_PKS2_PKT0_S8_ifPKiSA_iPKfiiiSC_SC_iiiii.uses_vcc, 1
	.set _ZN4vllm25paged_attention_v1_kernelIffLi80ELi16ELi128ELNS_18Fp8KVCacheDataTypeE0ELb1EEEvPT_PKS2_PKT0_S8_ifPKiSA_iPKfiiiSC_SC_iiiii.uses_flat_scratch, 0
	.set _ZN4vllm25paged_attention_v1_kernelIffLi80ELi16ELi128ELNS_18Fp8KVCacheDataTypeE0ELb1EEEvPT_PKS2_PKT0_S8_ifPKiSA_iPKfiiiSC_SC_iiiii.has_dyn_sized_stack, 0
	.set _ZN4vllm25paged_attention_v1_kernelIffLi80ELi16ELi128ELNS_18Fp8KVCacheDataTypeE0ELb1EEEvPT_PKS2_PKT0_S8_ifPKiSA_iPKfiiiSC_SC_iiiii.has_recursion, 0
	.set _ZN4vllm25paged_attention_v1_kernelIffLi80ELi16ELi128ELNS_18Fp8KVCacheDataTypeE0ELb1EEEvPT_PKS2_PKT0_S8_ifPKiSA_iPKfiiiSC_SC_iiiii.has_indirect_call, 0
	.section	.AMDGPU.csdata,"",@progbits
; Kernel info:
; codeLenInByte = 4848
; TotalNumSgprs: 51
; NumVgprs: 67
; NumAgprs: 0
; TotalNumVgprs: 67
; ScratchSize: 0
; MemoryBound: 0
; FloatMode: 240
; IeeeMode: 1
; LDSByteSize: 336 bytes/workgroup (compile time only)
; SGPRBlocks: 6
; VGPRBlocks: 8
; NumSGPRsForWavesPerEU: 51
; NumVGPRsForWavesPerEU: 67
; AccumOffset: 68
; Occupancy: 7
; WaveLimiterHint : 1
; COMPUTE_PGM_RSRC2:SCRATCH_EN: 0
; COMPUTE_PGM_RSRC2:USER_SGPR: 2
; COMPUTE_PGM_RSRC2:TRAP_HANDLER: 0
; COMPUTE_PGM_RSRC2:TGID_X_EN: 1
; COMPUTE_PGM_RSRC2:TGID_Y_EN: 1
; COMPUTE_PGM_RSRC2:TGID_Z_EN: 1
; COMPUTE_PGM_RSRC2:TIDIG_COMP_CNT: 0
; COMPUTE_PGM_RSRC3_GFX90A:ACCUM_OFFSET: 16
; COMPUTE_PGM_RSRC3_GFX90A:TG_SPLIT: 0
	.section	.text._ZN4vllm25paged_attention_v1_kernelIffLi96ELi16ELi128ELNS_18Fp8KVCacheDataTypeE0ELb1EEEvPT_PKS2_PKT0_S8_ifPKiSA_iPKfiiiSC_SC_iiiii,"axG",@progbits,_ZN4vllm25paged_attention_v1_kernelIffLi96ELi16ELi128ELNS_18Fp8KVCacheDataTypeE0ELb1EEEvPT_PKS2_PKT0_S8_ifPKiSA_iPKfiiiSC_SC_iiiii,comdat
	.protected	_ZN4vllm25paged_attention_v1_kernelIffLi96ELi16ELi128ELNS_18Fp8KVCacheDataTypeE0ELb1EEEvPT_PKS2_PKT0_S8_ifPKiSA_iPKfiiiSC_SC_iiiii ; -- Begin function _ZN4vllm25paged_attention_v1_kernelIffLi96ELi16ELi128ELNS_18Fp8KVCacheDataTypeE0ELb1EEEvPT_PKS2_PKT0_S8_ifPKiSA_iPKfiiiSC_SC_iiiii
	.globl	_ZN4vllm25paged_attention_v1_kernelIffLi96ELi16ELi128ELNS_18Fp8KVCacheDataTypeE0ELb1EEEvPT_PKS2_PKT0_S8_ifPKiSA_iPKfiiiSC_SC_iiiii
	.p2align	8
	.type	_ZN4vllm25paged_attention_v1_kernelIffLi96ELi16ELi128ELNS_18Fp8KVCacheDataTypeE0ELb1EEEvPT_PKS2_PKT0_S8_ifPKiSA_iPKfiiiSC_SC_iiiii,@function
_ZN4vllm25paged_attention_v1_kernelIffLi96ELi16ELi128ELNS_18Fp8KVCacheDataTypeE0ELb1EEEvPT_PKS2_PKT0_S8_ifPKiSA_iPKfiiiSC_SC_iiiii: ; @_ZN4vllm25paged_attention_v1_kernelIffLi96ELi16ELi128ELNS_18Fp8KVCacheDataTypeE0ELb1EEEvPT_PKS2_PKT0_S8_ifPKiSA_iPKfiiiSC_SC_iiiii
; %bb.0:
	s_load_dword s5, s[0:1], 0x80
	s_load_dwordx2 s[6:7], s[0:1], 0x30
	s_load_dwordx2 s[30:31], s[0:1], 0x20
	s_mov_b32 s10, s3
	s_ashr_i32 s11, s3, 31
	s_lshl_b64 s[8:9], s[10:11], 2
	s_waitcnt lgkmcnt(0)
	s_add_u32 s6, s6, s8
	s_addc_u32 s7, s7, s9
	s_abs_i32 s3, s30
	v_cvt_f32_u32_e32 v1, s3
	s_sub_i32 s11, 0, s3
	s_abs_i32 s9, s5
	s_xor_b32 s8, s5, s30
	v_rcp_iflag_f32_e32 v1, v1
	s_ashr_i32 s8, s8, 31
	s_mov_b32 s42, 0
	v_mul_f32_e32 v1, 0x4f7ffffe, v1
	v_cvt_u32_f32_e32 v1, v1
	s_nop 0
	v_readfirstlane_b32 s12, v1
	s_mul_i32 s11, s11, s12
	s_mul_hi_u32 s11, s12, s11
	s_add_i32 s12, s12, s11
	s_mul_hi_u32 s11, s9, s12
	s_mul_i32 s12, s11, s3
	s_sub_i32 s9, s9, s12
	s_add_i32 s12, s11, 1
	s_sub_i32 s13, s9, s3
	s_cmp_ge_u32 s9, s3
	s_cselect_b32 s11, s12, s11
	s_cselect_b32 s9, s13, s9
	s_add_i32 s12, s11, 1
	s_cmp_ge_u32 s9, s3
	s_cselect_b32 s3, s12, s11
	s_xor_b32 s3, s3, s8
	s_sub_i32 s12, s3, s8
	s_abs_i32 s11, s12
	v_cvt_f32_u32_e32 v1, s11
	s_load_dwordx2 s[8:9], s[0:1], 0x40
	s_sub_i32 s3, 0, s11
	s_abs_i32 s22, s2
	v_rcp_iflag_f32_e32 v1, v1
	s_nop 0
	v_mul_f32_e32 v1, 0x4f7ffffe, v1
	v_cvt_u32_f32_e32 v1, v1
	s_nop 0
	v_readfirstlane_b32 s13, v1
	s_mul_i32 s3, s3, s13
	s_mul_hi_u32 s3, s13, s3
	s_add_i32 s13, s13, s3
	s_waitcnt lgkmcnt(0)
	s_cmp_eq_u64 s[8:9], 0
	s_mul_hi_u32 s23, s22, s13
	s_cbranch_scc1 .LBB21_2
; %bb.1:
	s_ashr_i32 s3, s2, 31
	s_lshl_b64 s[14:15], s[2:3], 2
	s_add_u32 s8, s8, s14
	s_addc_u32 s9, s9, s15
	s_load_dword s42, s[8:9], 0x0
.LBB21_2:
	s_load_dword s33, s[6:7], 0x0
	s_ashr_i32 s9, s12, 31
	s_load_dwordx4 s[12:15], s[0:1], 0x48
	v_lshrrev_b32_e32 v40, 2, v0
	s_movk_i32 s8, 0x60
	s_ashr_i32 s3, s2, 31
	v_and_b32_e32 v41, 3, v0
	s_mul_i32 s20, s2, 0x60
	v_cmp_gt_u32_e32 vcc, s8, v0
	v_lshlrev_b32_e32 v6, 2, v0
	v_lshlrev_b32_e32 v1, 2, v40
	s_and_saveexec_b64 s[6:7], vcc
	s_cbranch_execz .LBB21_4
; %bb.3:
	s_load_dwordx2 s[16:17], s[0:1], 0x8
	s_waitcnt lgkmcnt(0)
	s_mul_i32 s18, s12, s10
	s_ashr_i32 s19, s18, 31
	s_lshl_b64 s[18:19], s[18:19], 2
	v_mad_u32_u24 v3, v41, s8, v1
	s_add_u32 s12, s16, s18
	s_addc_u32 s15, s17, s19
	s_ashr_i32 s21, s20, 31
	s_lshl_b64 s[16:17], s[20:21], 2
	s_add_u32 s16, s12, s16
	s_addc_u32 s17, s15, s17
	global_load_dword v2, v6, s[16:17]
	s_waitcnt vmcnt(0)
	ds_write_b32 v3, v2
.LBB21_4:
	s_or_b64 exec, exec, s[6:7]
	s_mul_i32 s6, s23, s11
	s_sub_i32 s6, s22, s6
	s_xor_b32 s3, s3, s9
	s_add_i32 s7, s23, 1
	s_sub_i32 s9, s6, s11
	s_load_dwordx4 s[16:19], s[0:1], 0x68
	s_load_dword s8, s[0:1], 0x78
	s_cmp_ge_u32 s6, s11
	s_cselect_b32 s7, s7, s23
	s_cselect_b32 s6, s9, s6
	s_add_i32 s9, s7, 1
	s_cmp_ge_u32 s6, s11
	s_cselect_b32 s6, s9, s7
	s_waitcnt lgkmcnt(0)
	s_abs_i32 s21, s19
	v_cvt_f32_u32_e32 v2, s21
	s_xor_b32 s6, s6, s3
	s_sub_i32 s3, s6, s3
	s_sub_i32 s6, 0, s21
	v_rcp_iflag_f32_e32 v2, v2
	s_add_i32 s11, s33, -1
	s_abs_i32 s9, s11
	v_mul_f32_e32 v2, 0x4f7ffffe, v2
	v_cvt_u32_f32_e32 v2, v2
	s_barrier
	v_readfirstlane_b32 s40, v2
	s_mul_i32 s6, s6, s40
	s_mul_hi_u32 s6, s40, s6
	s_add_i32 s40, s40, s6
	s_cmp_lt_i32 s8, 0
	s_mul_hi_u32 s12, s9, s40
	s_cbranch_scc0 .LBB21_6
; %bb.5:
	s_mul_i32 s6, s16, s30
	s_add_i32 s6, s3, s6
	s_mul_i32 s6, s6, s8
	s_sub_i32 s41, 1, s6
	s_mov_b64 s[6:7], 0
	s_branch .LBB21_7
.LBB21_6:
	s_mov_b64 s[6:7], -1
                                        ; implicit-def: $sgpr41
.LBB21_7:
	s_load_dwordx2 s[24:25], s[0:1], 0x28
	s_ashr_i32 s15, s11, 31
	s_andn2_b64 vcc, exec, s[6:7]
	s_ashr_i32 s19, s19, 31
	s_cbranch_vccnz .LBB21_9
; %bb.8:
	s_mul_i32 s6, s5, s16
	s_add_i32 s2, s6, s2
	s_mul_i32 s2, s2, s8
	s_add_i32 s41, s2, 1
.LBB21_9:
	s_load_dword s2, s[0:1], 0x38
	s_load_dwordx2 s[22:23], s[0:1], 0x0
	s_load_dwordx2 s[28:29], s[0:1], 0x18
	s_load_dword s11, s[0:1], 0x88
	s_xor_b32 s6, s15, s19
	s_waitcnt lgkmcnt(0)
	s_mul_i32 s26, s2, s10
	s_mul_i32 s2, s12, s21
	s_sub_i32 s2, s9, s2
	s_ashr_i32 s27, s26, 31
	s_add_i32 s7, s12, 1
	s_sub_i32 s8, s2, s21
	s_cmp_ge_u32 s2, s21
	s_cselect_b32 s7, s7, s12
	s_cselect_b32 s2, s8, s2
	s_add_i32 s8, s7, 1
	s_cmp_ge_u32 s2, s21
	s_cselect_b32 s2, s8, s7
	s_xor_b32 s2, s2, s6
	s_sub_i32 s12, s2, s6
	s_add_i32 s2, s33, 15
	s_ashr_i32 s6, s2, 31
	s_lshr_b32 s6, s6, 28
	s_add_i32 s2, s2, s6
	s_ashr_i32 s16, s2, 4
	v_lshrrev_b32_e32 v42, 6, v0
	v_cmp_gt_i32_e64 s[6:7], s16, v42
	v_mov_b32_e32 v11, 0xff7fffff
	s_mul_i32 s14, s3, s14
	v_lshrrev_b32_e32 v7, 4, v0
	v_lshlrev_b32_e32 v43, 4, v42
	v_mbcnt_lo_u32_b32 v8, -1, 0
	s_and_saveexec_b64 s[34:35], s[6:7]
	s_cbranch_execz .LBB21_21
; %bb.10:
	s_load_dwordx2 s[0:1], s[0:1], 0x10
	s_ashr_i32 s15, s14, 31
	s_sub_i32 s30, s12, s17
	s_lshl_b64 s[2:3], s[14:15], 2
	v_bfe_u32 v9, v0, 2, 4
	s_waitcnt lgkmcnt(0)
	s_add_u32 s0, s0, s2
	s_addc_u32 s1, s1, s3
	s_abs_i32 s15, s18
	v_cvt_f32_u32_e32 v2, s15
	v_lshlrev_b32_e32 v4, 4, v9
	v_mov_b32_e32 v5, 0
	v_lshlrev_b32_e32 v11, 2, v9
	v_rcp_iflag_f32_e32 v10, v2
	v_lshl_add_u64 v[2:3], s[0:1], 0, v[4:5]
	v_lshlrev_b32_e32 v4, 2, v41
	v_lshl_add_u64 v[2:3], v[2:3], 0, v[4:5]
	v_mul_f32_e32 v4, 0x4f7ffffe, v10
	v_cvt_u32_f32_e32 v4, v4
	s_sub_i32 s0, 0, s15
	v_lshl_or_b32 v11, v42, 6, v11
	v_mbcnt_hi_u32_b32 v17, -1, v8
	v_mul_lo_u32 v12, s0, v4
	s_lshl_b64 s[0:1], s[26:27], 2
	v_mul_hi_u32 v12, v4, v12
	s_add_u32 s0, s24, s0
	v_add_u32_e32 v12, v4, v12
	v_and_b32_e32 v4, 60, v7
	s_addc_u32 s1, s25, s1
	v_subrev_u32_e32 v14, s33, v9
	v_add_u32_e32 v15, 0x190, v11
	v_and_b32_e32 v11, 64, v17
	v_cmp_eq_u32_e32 vcc, 0, v41
	s_mov_b32 s43, s13
	v_mul_u32_u24_e32 v10, 0x60, v41
	v_cmp_neq_f32_e64 s[2:3], s42, 0
	v_lshl_add_u64 v[4:5], s[0:1], 0, v[4:5]
	v_lshlrev_b32_e32 v13, 4, v42
	v_add_u32_e32 v14, 1, v14
	v_mov_b32_e32 v16, 0xff7fffff
	s_mov_b64 s[36:37], 0
	s_movk_i32 s44, 0x1000
	v_add_u32_e32 v18, 64, v11
	v_xor_b32_e32 v19, 2, v17
	v_xor_b32_e32 v20, 1, v17
	v_mov_b32_e32 v11, 0xff7fffff
	v_mov_b32_e32 v21, v42
	s_branch .LBB21_13
.LBB21_11:                              ;   in Loop: Header=BB21_13 Depth=1
	s_or_b64 exec, exec, s[38:39]
.LBB21_12:                              ;   in Loop: Header=BB21_13 Depth=1
	s_or_b64 exec, exec, s[8:9]
	v_add_u32_e32 v21, 2, v21
	v_cmp_le_i32_e64 s[0:1], s16, v21
	v_lshl_add_u64 v[4:5], v[4:5], 0, 8
	v_add_u32_e32 v13, 32, v13
	s_or_b64 s[36:37], s[0:1], s[36:37]
	v_add_u32_e32 v15, 0x80, v15
	s_andn2_b64 exec, exec, s[36:37]
	s_cbranch_execz .LBB21_20
.LBB21_13:                              ; =>This Inner Loop Header: Depth=1
	v_mul_hi_u32 v22, v13, s40
	s_waitcnt lgkmcnt(0)
	v_mul_lo_u32 v23, v22, s21
	v_sub_u32_e32 v23, v13, v23
	v_add_u32_e32 v24, 1, v22
	v_cmp_le_u32_e64 s[0:1], s21, v23
	s_nop 1
	v_cndmask_b32_e64 v22, v22, v24, s[0:1]
	v_subrev_u32_e32 v24, s21, v23
	v_cndmask_b32_e64 v23, v23, v24, s[0:1]
	v_add_u32_e32 v24, 1, v22
	v_cmp_le_u32_e64 s[0:1], s21, v23
	s_nop 1
	v_cndmask_b32_e64 v22, v22, v24, s[0:1]
	v_xor_b32_e32 v22, s19, v22
	v_subrev_u32_e32 v22, s19, v22
	v_add_u32_e32 v23, s41, v22
	v_sub_u32_e32 v25, 0, v23
	v_ashrrev_i32_e32 v24, 31, v23
	v_max_i32_e32 v23, v23, v25
	v_mul_hi_u32 v25, v23, v12
	v_mul_lo_u32 v25, v25, s15
	v_sub_u32_e32 v23, v23, v25
	v_subrev_u32_e32 v25, s15, v23
	v_cmp_le_u32_e64 s[0:1], s15, v23
	v_cmp_ge_i32_e64 s[8:9], s30, v22
	s_nop 0
	v_cndmask_b32_e64 v23, v23, v25, s[0:1]
	v_subrev_u32_e32 v25, s15, v23
	v_cmp_le_u32_e64 s[0:1], s15, v23
	s_nop 1
	v_cndmask_b32_e64 v23, v23, v25, s[0:1]
	v_xor_b32_e32 v23, v23, v24
	v_sub_u32_e32 v23, v23, v24
	v_cmp_ne_u32_e64 s[0:1], 0, v23
	s_and_b64 s[0:1], s[0:1], s[8:9]
	s_and_saveexec_b64 s[8:9], s[0:1]
	s_xor_b64 s[0:1], exec, s[8:9]
	s_cbranch_execz .LBB21_17
; %bb.14:                               ;   in Loop: Header=BB21_13 Depth=1
	s_and_saveexec_b64 s[8:9], vcc
; %bb.15:                               ;   in Loop: Header=BB21_13 Depth=1
	ds_write_b32 v15, v16
; %bb.16:                               ;   in Loop: Header=BB21_13 Depth=1
	s_or_b64 exec, exec, s[8:9]
.LBB21_17:                              ;   in Loop: Header=BB21_13 Depth=1
	s_andn2_saveexec_b64 s[8:9], s[0:1]
	s_cbranch_execz .LBB21_12
; %bb.18:                               ;   in Loop: Header=BB21_13 Depth=1
	global_load_dword v22, v[4:5], off
	s_waitcnt vmcnt(0)
	v_mad_i64_i32 v[22:23], s[0:1], v22, s43, 0
	v_lshl_add_u64 v[22:23], v[22:23], 2, v[2:3]
	global_load_dword v38, v[22:23], off
	global_load_dword v39, v[22:23], off offset:256
	global_load_dword v52, v[22:23], off offset:512
	;; [unrolled: 1-line block ×15, first 2 shown]
	v_add_co_u32_e64 v22, s[0:1], s44, v22
	s_nop 1
	v_addc_co_u32_e64 v23, s[0:1], 0, v23, s[0:1]
	global_load_dword v66, v[22:23], off
	global_load_dword v67, v[22:23], off offset:256
	global_load_dword v68, v[22:23], off offset:512
	;; [unrolled: 1-line block ×7, first 2 shown]
	ds_read_b128 v[22:25], v10
	ds_read_b128 v[26:29], v10 offset:16
	ds_read_b128 v[30:33], v10 offset:32
	;; [unrolled: 1-line block ×5, first 2 shown]
	v_cmp_lt_i32_e64 s[0:1], v19, v18
	s_waitcnt vmcnt(22) lgkmcnt(5)
	v_mul_f32_e32 v23, v23, v39
	v_fmac_f32_e32 v23, v22, v38
	s_waitcnt vmcnt(21)
	v_fmac_f32_e32 v23, v24, v52
	s_waitcnt vmcnt(20)
	v_fmac_f32_e32 v23, v25, v53
	s_waitcnt vmcnt(19) lgkmcnt(4)
	v_fmac_f32_e32 v23, v26, v54
	s_waitcnt vmcnt(18)
	v_fmac_f32_e32 v23, v27, v55
	s_waitcnt vmcnt(17)
	v_fmac_f32_e32 v23, v28, v56
	s_waitcnt vmcnt(16)
	v_fmac_f32_e32 v23, v29, v57
	s_waitcnt vmcnt(15) lgkmcnt(3)
	v_fmac_f32_e32 v23, v30, v58
	s_waitcnt vmcnt(14)
	;; [unrolled: 8-line block ×5, first 2 shown]
	v_fmac_f32_e32 v23, v49, v71
	v_cndmask_b32_e64 v74, v17, v19, s[0:1]
	s_waitcnt vmcnt(1)
	v_fmac_f32_e32 v23, v50, v72
	v_lshlrev_b32_e32 v74, 2, v74
	s_waitcnt vmcnt(0)
	v_fmac_f32_e32 v23, v51, v73
	ds_bpermute_b32 v22, v74, v23
	v_cmp_lt_i32_e64 s[0:1], v20, v18
	s_waitcnt lgkmcnt(0)
	v_add_f32_e32 v22, v23, v22
	v_cndmask_b32_e64 v24, v17, v20, s[0:1]
	v_lshlrev_b32_e32 v24, 2, v24
	ds_bpermute_b32 v23, v24, v22
	s_and_saveexec_b64 s[38:39], vcc
	s_cbranch_execz .LBB21_11
; %bb.19:                               ;   in Loop: Header=BB21_13 Depth=1
	v_add_u32_e32 v24, v14, v13
	v_cvt_f32_i32_e32 v24, v24
	s_waitcnt lgkmcnt(0)
	v_add_f32_e32 v22, v22, v23
	v_add_u32_e32 v25, v9, v13
	v_cmp_gt_i32_e64 s[0:1], s33, v25
	v_mul_f32_e32 v23, s42, v24
	v_cndmask_b32_e64 v23, 0, v23, s[2:3]
	v_fmac_f32_e32 v23, s31, v22
	v_cndmask_b32_e64 v22, 0, v23, s[0:1]
	ds_write_b32 v15, v22
	v_max_f32_e32 v22, v11, v11
	v_max_f32_e32 v22, v22, v23
	v_cndmask_b32_e64 v11, v11, v22, s[0:1]
	s_branch .LBB21_11
.LBB21_20:
	s_or_b64 exec, exec, s[36:37]
.LBB21_21:
	s_or_b64 exec, exec, s[34:35]
	v_mbcnt_hi_u32_b32 v2, -1, v8
	v_and_b32_e32 v12, 64, v2
	v_add_u32_e32 v3, 64, v12
	v_xor_b32_e32 v4, 32, v2
	v_cmp_lt_i32_e32 vcc, v4, v3
	v_xor_b32_e32 v9, 16, v2
	v_max_f32_e32 v8, v11, v11
	v_cndmask_b32_e32 v4, v2, v4, vcc
	v_lshlrev_b32_e32 v4, 2, v4
	ds_bpermute_b32 v5, v4, v11
	v_cmp_lt_i32_e32 vcc, v9, v3
	v_xor_b32_e32 v10, 8, v2
	v_xor_b32_e32 v11, 4, v2
	v_and_b32_e32 v44, 63, v0
	s_waitcnt lgkmcnt(0)
	v_max_f32_e32 v5, v5, v5
	v_max_f32_e32 v8, v8, v5
	v_cndmask_b32_e32 v5, v2, v9, vcc
	v_lshlrev_b32_e32 v5, 2, v5
	ds_bpermute_b32 v9, v5, v8
	v_cmp_lt_i32_e32 vcc, v10, v3
	s_waitcnt lgkmcnt(0)
	v_max_f32_e32 v9, v9, v9
	v_max_f32_e32 v8, v8, v9
	v_cndmask_b32_e32 v9, v2, v10, vcc
	v_lshlrev_b32_e32 v10, 2, v9
	ds_bpermute_b32 v9, v10, v8
	v_cmp_lt_i32_e32 vcc, v11, v3
	s_waitcnt lgkmcnt(0)
	v_max_f32_e32 v9, v9, v9
	v_max_f32_e32 v9, v8, v9
	v_cndmask_b32_e32 v8, v2, v11, vcc
	v_lshlrev_b32_e32 v11, 2, v8
	ds_bpermute_b32 v13, v11, v9
	v_cmp_eq_u32_e32 vcc, 0, v44
	v_lshlrev_b32_e32 v8, 2, v42
	s_and_saveexec_b64 s[0:1], vcc
	s_cbranch_execz .LBB21_23
; %bb.22:
	s_waitcnt lgkmcnt(0)
	v_max_f32_e32 v13, v13, v13
	v_max_f32_e32 v9, v9, v9
	;; [unrolled: 1-line block ×3, first 2 shown]
	ds_write_b32 v8, v9 offset:384
.LBB21_23:
	s_or_b64 exec, exec, s[0:1]
	v_cmp_gt_u32_e64 s[0:1], 2, v44
	s_waitcnt lgkmcnt(0)
	v_mov_b32_e32 v13, 0xff7fffff
	v_lshlrev_b32_e32 v9, 2, v44
	s_barrier
	s_and_saveexec_b64 s[2:3], s[0:1]
; %bb.24:
	ds_read_b32 v13, v9 offset:384
; %bb.25:
	s_or_b64 exec, exec, s[2:3]
	v_xor_b32_e32 v14, 1, v2
	v_cmp_lt_i32_e64 s[2:3], v14, v3
	v_lshlrev_b32_e32 v12, 2, v12
	s_nop 0
	v_cndmask_b32_e64 v14, v2, v14, s[2:3]
	v_lshlrev_b32_e32 v45, 2, v14
	s_waitcnt lgkmcnt(0)
	ds_bpermute_b32 v14, v45, v13
	v_max_f32_e32 v13, v13, v13
	s_lshl_b32 s2, s16, 4
	s_min_i32 s15, s2, s33
	v_cmp_gt_i32_e64 s[2:3], s15, v0
	s_waitcnt lgkmcnt(0)
	v_max_f32_e32 v14, v14, v14
	v_max_f32_e32 v13, v13, v14
	ds_bpermute_b32 v13, v12, v13
	v_mov_b32_e32 v12, 0
	s_and_saveexec_b64 s[30:31], s[2:3]
	s_cbranch_execz .LBB21_29
; %bb.26:
	v_mov_b32_e32 v12, 0x190
	v_lshl_add_u32 v14, v0, 2, v12
	v_mov_b32_e32 v12, 0
	s_mov_b64 s[34:35], 0
	v_mov_b32_e32 v15, v0
.LBB21_27:                              ; =>This Inner Loop Header: Depth=1
	ds_read_b32 v16, v14
	v_add_u32_e32 v15, 0x80, v15
	v_cmp_le_i32_e64 s[8:9], s15, v15
	s_or_b64 s[34:35], s[8:9], s[34:35]
	s_waitcnt lgkmcnt(0)
	v_sub_f32_e32 v16, v16, v13
	v_mul_f32_e32 v16, 0x3fb8aa3b, v16
	v_exp_f32_e32 v16, v16
	ds_write_b32 v14, v16
	v_add_f32_e32 v12, v12, v16
	v_add_u32_e32 v14, 0x200, v14
	s_andn2_b64 exec, exec, s[34:35]
	s_cbranch_execnz .LBB21_27
; %bb.28:
	s_or_b64 exec, exec, s[34:35]
.LBB21_29:
	s_or_b64 exec, exec, s[30:31]
	ds_bpermute_b32 v4, v4, v12
	s_waitcnt lgkmcnt(0)
	v_add_f32_e32 v4, v12, v4
	ds_bpermute_b32 v5, v5, v4
	s_waitcnt lgkmcnt(0)
	v_add_f32_e32 v4, v4, v5
	ds_bpermute_b32 v5, v10, v4
	v_xor_b32_e32 v10, 2, v2
	v_cmp_lt_i32_e64 s[8:9], v10, v3
	s_waitcnt lgkmcnt(0)
	v_add_f32_e32 v4, v4, v5
	ds_bpermute_b32 v5, v11, v4
	v_cndmask_b32_e64 v3, v2, v10, s[8:9]
	v_lshlrev_b32_e32 v46, 2, v3
	s_waitcnt lgkmcnt(0)
	v_add_f32_e32 v4, v4, v5
	ds_bpermute_b32 v3, v46, v4
	s_waitcnt lgkmcnt(0)
	v_add_f32_e32 v3, v4, v3
	ds_bpermute_b32 v4, v45, v3
	s_waitcnt lgkmcnt(0)
	v_add_f32_e32 v3, v3, v4
	s_and_saveexec_b64 s[8:9], vcc
; %bb.30:
	ds_write_b32 v8, v3 offset:392
; %bb.31:
	s_or_b64 exec, exec, s[8:9]
	s_waitcnt lgkmcnt(0)
	s_barrier
	s_and_saveexec_b64 s[8:9], s[0:1]
; %bb.32:
	ds_read_b32 v3, v9 offset:392
; %bb.33:
	s_or_b64 exec, exec, s[8:9]
	s_waitcnt lgkmcnt(0)
	ds_bpermute_b32 v4, v45, v3
	v_lshlrev_b32_e32 v2, 2, v2
	v_and_b32_e32 v2, 0x100, v2
	s_waitcnt lgkmcnt(0)
	v_add_f32_e32 v3, v3, v4
	ds_bpermute_b32 v2, v2, v3
	s_and_saveexec_b64 s[0:1], s[2:3]
	s_cbranch_execz .LBB21_46
; %bb.34:
	s_waitcnt lgkmcnt(0)
	v_add_f32_e32 v2, 0x358637bd, v2
	v_div_scale_f32 v3, s[2:3], v2, v2, 1.0
	v_rcp_f32_e32 v4, v3
	v_div_scale_f32 v5, vcc, 1.0, v2, 1.0
	s_movk_i32 s2, 0x7f
	v_fma_f32 v8, -v3, v4, 1.0
	v_fmac_f32_e32 v4, v8, v4
	v_mul_f32_e32 v8, v5, v4
	v_fma_f32 v9, -v3, v8, v5
	v_fmac_f32_e32 v8, v9, v4
	v_fma_f32 v3, -v3, v8, v5
	v_div_fmas_f32 v3, v3, v4, v8
	v_xad_u32 v4, v0, -1, s15
	v_div_fixup_f32 v2, v3, v2, 1.0
	v_cmp_lt_u32_e32 vcc, s2, v4
	s_mov_b64 s[8:9], -1
	v_mov_b32_e32 v3, v0
	s_and_saveexec_b64 s[2:3], vcc
	s_cbranch_execz .LBB21_43
; %bb.35:
	v_lshrrev_b32_e32 v4, 7, v4
	v_add_u32_e32 v8, -1, v4
	v_lshrrev_b32_e32 v5, 1, v8
	v_mov_b32_e32 v3, v2
	v_add_u32_e32 v5, 1, v5
	v_cmp_lt_u32_e32 vcc, 13, v8
	v_mov_b32_e32 v10, 0
	s_and_saveexec_b64 s[8:9], vcc
	s_cbranch_execz .LBB21_39
; %bb.36:
	v_mov_b32_e32 v9, 0x190
	v_and_b32_e32 v8, -8, v5
	v_lshl_add_u32 v9, v0, 2, v9
	s_mov_b32 s34, 0
	s_mov_b64 s[30:31], 0
.LBB21_37:                              ; =>This Inner Loop Header: Depth=1
	ds_read2st64_b32 v[10:11], v9 offset1:2
	ds_read2st64_b32 v[12:13], v9 offset0:4 offset1:6
	ds_read2st64_b32 v[14:15], v9 offset0:8 offset1:10
	;; [unrolled: 1-line block ×3, first 2 shown]
	v_add_u32_e32 v8, -8, v8
	s_waitcnt lgkmcnt(3)
	v_pk_mul_f32 v[10:11], v[2:3], v[10:11]
	s_waitcnt lgkmcnt(2)
	v_pk_mul_f32 v[12:13], v[2:3], v[12:13]
	ds_write2st64_b32 v9, v10, v11 offset1:2
	ds_write2st64_b32 v9, v12, v13 offset0:4 offset1:6
	ds_read2st64_b32 v[12:13], v9 offset0:16 offset1:18
	s_waitcnt lgkmcnt(4)
	v_pk_mul_f32 v[10:11], v[2:3], v[14:15]
	ds_write2st64_b32 v9, v10, v11 offset0:8 offset1:10
	s_waitcnt lgkmcnt(4)
	v_pk_mul_f32 v[10:11], v[2:3], v[16:17]
	ds_write2st64_b32 v9, v10, v11 offset0:12 offset1:14
	ds_read2st64_b32 v[10:11], v9 offset0:20 offset1:22
	s_waitcnt lgkmcnt(3)
	v_pk_mul_f32 v[12:13], v[2:3], v[12:13]
	ds_read2st64_b32 v[14:15], v9 offset0:24 offset1:26
	ds_write2st64_b32 v9, v12, v13 offset0:16 offset1:18
	ds_read2st64_b32 v[12:13], v9 offset0:28 offset1:30
	s_waitcnt lgkmcnt(3)
	v_pk_mul_f32 v[10:11], v[2:3], v[10:11]
	ds_write2st64_b32 v9, v10, v11 offset0:20 offset1:22
	s_waitcnt lgkmcnt(3)
	v_pk_mul_f32 v[10:11], v[2:3], v[14:15]
	ds_write2st64_b32 v9, v10, v11 offset0:24 offset1:26
	s_waitcnt lgkmcnt(2)
	v_pk_mul_f32 v[10:11], v[2:3], v[12:13]
	s_add_i32 s34, s34, 16
	v_cmp_eq_u32_e32 vcc, 0, v8
	ds_write2st64_b32 v9, v10, v11 offset0:28 offset1:30
	v_add_u32_e32 v9, 0x2000, v9
	s_or_b64 s[30:31], vcc, s[30:31]
	v_mov_b32_e32 v10, s34
	s_andn2_b64 exec, exec, s[30:31]
	s_cbranch_execnz .LBB21_37
; %bb.38:
	s_or_b64 exec, exec, s[30:31]
.LBB21_39:
	s_or_b64 exec, exec, s[8:9]
	v_and_b32_e32 v5, 7, v5
	v_cmp_ne_u32_e32 vcc, 0, v5
	s_and_saveexec_b64 s[8:9], vcc
	s_cbranch_execz .LBB21_42
; %bb.40:
	v_lshlrev_b32_e32 v8, 9, v10
	s_movk_i32 s30, 0x190
	v_add3_u32 v8, v8, v6, s30
	s_mov_b64 s[30:31], 0
.LBB21_41:                              ; =>This Inner Loop Header: Depth=1
	ds_read2st64_b32 v[10:11], v8 offset1:2
	v_add_u32_e32 v5, -1, v5
	v_cmp_eq_u32_e32 vcc, 0, v5
	s_or_b64 s[30:31], vcc, s[30:31]
	s_waitcnt lgkmcnt(0)
	v_pk_mul_f32 v[10:11], v[2:3], v[10:11]
	ds_write2st64_b32 v8, v10, v11 offset1:2
	v_add_u32_e32 v8, 0x400, v8
	s_andn2_b64 exec, exec, s[30:31]
	s_cbranch_execnz .LBB21_41
.LBB21_42:
	s_or_b64 exec, exec, s[8:9]
	v_add_u32_e32 v4, 1, v4
	v_and_b32_e32 v5, 0x3fffffe, v4
	v_cmp_ne_u32_e32 vcc, v4, v5
	v_lshl_add_u32 v3, v5, 7, v0
	s_orn2_b64 s[8:9], vcc, exec
.LBB21_43:
	s_or_b64 exec, exec, s[2:3]
	s_and_b64 exec, exec, s[8:9]
	s_cbranch_execz .LBB21_46
; %bb.44:
	v_mov_b32_e32 v4, 0x190
	v_lshl_add_u32 v4, v3, 2, v4
	s_mov_b64 s[2:3], 0
.LBB21_45:                              ; =>This Inner Loop Header: Depth=1
	ds_read_b32 v5, v4
	v_add_u32_e32 v3, 0x80, v3
	v_cmp_le_i32_e32 vcc, s15, v3
	s_or_b64 s[2:3], vcc, s[2:3]
	s_waitcnt lgkmcnt(0)
	v_mul_f32_e32 v5, v2, v5
	ds_write_b32 v4, v5
	v_add_u32_e32 v4, 0x200, v4
	s_andn2_b64 exec, exec, s[2:3]
	s_cbranch_execnz .LBB21_45
.LBB21_46:
	s_or_b64 exec, exec, s[0:1]
	v_mov_b32_e32 v33, 0
	v_mov_b32_e32 v32, 0
	v_mov_b32_e32 v35, 0
	v_mov_b32_e32 v34, 0
	v_mov_b32_e32 v31, 0
	v_mov_b32_e32 v30, 0
	s_waitcnt lgkmcnt(0)
	s_barrier
	s_and_saveexec_b64 s[2:3], s[6:7]
	s_cbranch_execz .LBB21_64
; %bb.47:
	s_ashr_i32 s15, s14, 31
	s_sub_i32 s17, s12, s17
	s_lshl_b64 s[0:1], s[14:15], 2
	s_add_u32 s0, s28, s0
	s_addc_u32 s1, s29, s1
	s_abs_i32 s14, s18
	v_cvt_f32_u32_e32 v2, s14
	v_lshlrev_b32_e32 v3, 4, v0
	v_and_b32_e32 v30, 0x3f0, v3
	v_mov_b32_e32 v31, 0
	v_rcp_iflag_f32_e32 v2, v2
	v_lshl_add_u64 v[36:37], s[0:1], 0, v[30:31]
	s_sub_i32 s0, 0, s14
	s_add_i32 s18, s16, -1
	v_mul_f32_e32 v2, 0x4f7ffffe, v2
	v_cvt_u32_f32_e32 v2, v2
	v_and_b32_e32 v30, 60, v7
	v_and_b32_e32 v47, 12, v6
	s_mov_b32 s15, s13
	v_mul_lo_u32 v3, s0, v2
	v_mul_hi_u32 v3, v2, v3
	s_lshl_b64 s[0:1], s[26:27], 2
	v_add_u32_e32 v48, v2, v3
	s_add_u32 s0, s24, s0
	v_lshlrev_b32_e32 v2, 4, v41
	s_addc_u32 s1, s25, s1
	v_lshl_or_b32 v2, v42, 6, v2
	s_mov_b32 s28, s33
	v_lshl_add_u64 v[38:39], s[0:1], 0, v[30:31]
	v_add_u32_e32 v49, 0x190, v2
	s_mov_b64 s[6:7], 0
	v_mov_b32_e32 v30, v31
	v_mov_b32_e32 v34, v31
	;; [unrolled: 1-line block ×5, first 2 shown]
	s_branch .LBB21_50
.LBB21_48:                              ;   in Loop: Header=BB21_50 Depth=1
	s_or_b64 exec, exec, s[12:13]
	s_waitcnt vmcnt(1) lgkmcnt(0)
	v_mul_f32_e32 v22, v2, v22
	v_mul_f32_e32 v18, v2, v18
	;; [unrolled: 1-line block ×5, first 2 shown]
	v_fmac_f32_e32 v22, v3, v23
	v_fmac_f32_e32 v18, v3, v19
	;; [unrolled: 1-line block ×10, first 2 shown]
	s_waitcnt vmcnt(0)
	v_pk_mul_f32 v[2:3], v[2:3], v[26:27]
	v_fmac_f32_e32 v22, v5, v25
	v_fmac_f32_e32 v18, v5, v21
	;; [unrolled: 1-line block ×5, first 2 shown]
	v_pk_mul_f32 v[4:5], v[4:5], v[28:29]
	v_add_f32_e32 v2, v3, v2
	v_add_f32_e32 v2, v4, v2
	;; [unrolled: 1-line block ×9, first 2 shown]
.LBB21_49:                              ;   in Loop: Header=BB21_50 Depth=1
	s_or_b64 exec, exec, s[8:9]
	v_add_u32_e32 v42, 2, v42
	v_cmp_le_i32_e32 vcc, s16, v42
	v_lshl_add_u64 v[38:39], v[38:39], 0, 8
	v_add_u32_e32 v43, 32, v43
	s_or_b64 s[6:7], vcc, s[6:7]
	v_add_u32_e32 v49, 0x80, v49
	s_andn2_b64 exec, exec, s[6:7]
	s_cbranch_execz .LBB21_63
.LBB21_50:                              ; =>This Inner Loop Header: Depth=1
	v_mul_hi_u32 v2, v43, s40
	v_mul_lo_u32 v3, v2, s21
	v_sub_u32_e32 v3, v43, v3
	v_add_u32_e32 v4, 1, v2
	v_cmp_le_u32_e32 vcc, s21, v3
	s_nop 1
	v_cndmask_b32_e32 v2, v2, v4, vcc
	v_subrev_u32_e32 v4, s21, v3
	v_cndmask_b32_e32 v3, v3, v4, vcc
	v_add_u32_e32 v4, 1, v2
	v_cmp_le_u32_e32 vcc, s21, v3
	s_nop 1
	v_cndmask_b32_e32 v2, v2, v4, vcc
	v_xor_b32_e32 v2, s19, v2
	v_subrev_u32_e32 v2, s19, v2
	v_add_u32_e32 v3, s41, v2
	v_sub_u32_e32 v5, 0, v3
	v_ashrrev_i32_e32 v4, 31, v3
	v_max_i32_e32 v3, v3, v5
	v_mul_hi_u32 v5, v3, v48
	v_mul_lo_u32 v5, v5, s14
	v_sub_u32_e32 v3, v3, v5
	v_subrev_u32_e32 v5, s14, v3
	v_cmp_le_u32_e32 vcc, s14, v3
	v_cmp_lt_i32_e64 s[0:1], s17, v2
	s_nop 0
	v_cndmask_b32_e32 v3, v3, v5, vcc
	v_subrev_u32_e32 v5, s14, v3
	v_cmp_le_u32_e32 vcc, s14, v3
	s_nop 1
	v_cndmask_b32_e32 v3, v3, v5, vcc
	v_xor_b32_e32 v3, v3, v4
	v_sub_u32_e32 v3, v3, v4
	v_cmp_eq_u32_e32 vcc, 0, v3
	s_or_b64 s[0:1], vcc, s[0:1]
	s_and_saveexec_b64 s[8:9], s[0:1]
	s_cbranch_execz .LBB21_49
; %bb.51:                               ;   in Loop: Header=BB21_50 Depth=1
	global_load_dword v2, v[38:39], off
	v_add_u32_e32 v50, v47, v43
	v_add_u32_e32 v53, 1, v50
	v_or_b32_e32 v52, 3, v50
	v_or_b32_e32 v51, 2, v50
	s_waitcnt vmcnt(0)
	v_mad_i64_i32 v[2:3], s[0:1], v2, s15, 0
	v_lshl_add_u64 v[26:27], v[2:3], 2, v[36:37]
	global_load_dwordx4 v[6:9], v[26:27], off
	ds_read_b128 v[2:5], v49
	v_cmp_eq_u32_e64 s[0:1], s18, v42
	s_and_saveexec_b64 s[12:13], s[0:1]
	s_cbranch_execnz .LBB21_60
; %bb.52:                               ;   in Loop: Header=BB21_50 Depth=1
	s_or_b64 exec, exec, s[12:13]
	global_load_dwordx4 v[10:13], v[26:27], off offset:1024
	s_and_saveexec_b64 s[12:13], s[0:1]
	s_cbranch_execnz .LBB21_61
.LBB21_53:                              ;   in Loop: Header=BB21_50 Depth=1
	s_or_b64 exec, exec, s[12:13]
	global_load_dwordx4 v[14:17], v[26:27], off offset:2048
	s_and_saveexec_b64 s[12:13], s[0:1]
	s_cbranch_execnz .LBB21_62
.LBB21_54:                              ;   in Loop: Header=BB21_50 Depth=1
	s_or_b64 exec, exec, s[12:13]
	global_load_dwordx4 v[18:21], v[26:27], off offset:3072
	s_and_saveexec_b64 s[12:13], s[0:1]
	s_cbranch_execz .LBB21_56
.LBB21_55:                              ;   in Loop: Header=BB21_50 Depth=1
	v_cmp_gt_i32_e32 vcc, s28, v53
	s_waitcnt vmcnt(0)
	s_nop 0
	v_cndmask_b32_e32 v19, 0, v19, vcc
	v_cmp_gt_i32_e32 vcc, s33, v50
	s_nop 1
	v_cndmask_b32_e32 v18, 0, v18, vcc
	v_cmp_gt_i32_e32 vcc, s28, v52
	;; [unrolled: 3-line block ×3, first 2 shown]
	s_nop 1
	v_cndmask_b32_e32 v20, 0, v20, vcc
.LBB21_56:                              ;   in Loop: Header=BB21_50 Depth=1
	s_or_b64 exec, exec, s[12:13]
	v_add_co_u32_e32 v22, vcc, 0x1000, v26
	s_nop 1
	v_addc_co_u32_e32 v23, vcc, 0, v27, vcc
	global_load_dwordx4 v[22:25], v[22:23], off
	s_and_saveexec_b64 s[12:13], s[0:1]
	s_cbranch_execz .LBB21_58
; %bb.57:                               ;   in Loop: Header=BB21_50 Depth=1
	v_cmp_gt_i32_e32 vcc, s28, v53
	s_waitcnt vmcnt(0)
	s_nop 0
	v_cndmask_b32_e32 v23, 0, v23, vcc
	v_cmp_gt_i32_e32 vcc, s33, v50
	s_nop 1
	v_cndmask_b32_e32 v22, 0, v22, vcc
	v_cmp_gt_i32_e32 vcc, s28, v52
	;; [unrolled: 3-line block ×3, first 2 shown]
	s_nop 1
	v_cndmask_b32_e32 v24, 0, v24, vcc
.LBB21_58:                              ;   in Loop: Header=BB21_50 Depth=1
	s_or_b64 exec, exec, s[12:13]
	v_add_co_u32_e32 v26, vcc, 0x1000, v26
	s_nop 1
	v_addc_co_u32_e32 v27, vcc, 0, v27, vcc
	global_load_dwordx4 v[26:29], v[26:27], off offset:1024
	s_and_saveexec_b64 s[12:13], s[0:1]
	s_cbranch_execz .LBB21_48
; %bb.59:                               ;   in Loop: Header=BB21_50 Depth=1
	v_cmp_gt_i32_e32 vcc, s28, v53
	s_waitcnt vmcnt(0)
	s_nop 0
	v_cndmask_b32_e32 v27, 0, v27, vcc
	v_cmp_gt_i32_e32 vcc, s33, v50
	s_nop 1
	v_cndmask_b32_e32 v26, 0, v26, vcc
	v_cmp_gt_i32_e32 vcc, s28, v52
	;; [unrolled: 3-line block ×3, first 2 shown]
	s_nop 1
	v_cndmask_b32_e32 v28, 0, v28, vcc
	s_branch .LBB21_48
.LBB21_60:                              ;   in Loop: Header=BB21_50 Depth=1
	v_cmp_gt_i32_e32 vcc, s28, v53
	s_waitcnt vmcnt(0)
	s_nop 0
	v_cndmask_b32_e32 v7, 0, v7, vcc
	v_cmp_gt_i32_e32 vcc, s33, v50
	s_nop 1
	v_cndmask_b32_e32 v6, 0, v6, vcc
	v_cmp_gt_i32_e32 vcc, s28, v52
	;; [unrolled: 3-line block ×3, first 2 shown]
	s_nop 1
	v_cndmask_b32_e32 v8, 0, v8, vcc
	s_or_b64 exec, exec, s[12:13]
	global_load_dwordx4 v[10:13], v[26:27], off offset:1024
	s_and_saveexec_b64 s[12:13], s[0:1]
	s_cbranch_execz .LBB21_53
.LBB21_61:                              ;   in Loop: Header=BB21_50 Depth=1
	v_cmp_gt_i32_e32 vcc, s28, v53
	s_waitcnt vmcnt(0)
	s_nop 0
	v_cndmask_b32_e32 v11, 0, v11, vcc
	v_cmp_gt_i32_e32 vcc, s33, v50
	s_nop 1
	v_cndmask_b32_e32 v10, 0, v10, vcc
	v_cmp_gt_i32_e32 vcc, s28, v52
	;; [unrolled: 3-line block ×3, first 2 shown]
	s_nop 1
	v_cndmask_b32_e32 v12, 0, v12, vcc
	s_or_b64 exec, exec, s[12:13]
	global_load_dwordx4 v[14:17], v[26:27], off offset:2048
	s_and_saveexec_b64 s[12:13], s[0:1]
	s_cbranch_execz .LBB21_54
.LBB21_62:                              ;   in Loop: Header=BB21_50 Depth=1
	v_cmp_gt_i32_e32 vcc, s28, v53
	s_waitcnt vmcnt(0)
	s_nop 0
	v_cndmask_b32_e32 v15, 0, v15, vcc
	v_cmp_gt_i32_e32 vcc, s33, v50
	s_nop 1
	v_cndmask_b32_e32 v14, 0, v14, vcc
	v_cmp_gt_i32_e32 vcc, s28, v52
	;; [unrolled: 3-line block ×3, first 2 shown]
	s_nop 1
	v_cndmask_b32_e32 v16, 0, v16, vcc
	s_or_b64 exec, exec, s[12:13]
	global_load_dwordx4 v[18:21], v[26:27], off offset:3072
	s_and_saveexec_b64 s[12:13], s[0:1]
	s_cbranch_execnz .LBB21_55
	s_branch .LBB21_56
.LBB21_63:
	s_or_b64 exec, exec, s[6:7]
.LBB21_64:
	s_or_b64 exec, exec, s[2:3]
	ds_bpermute_b32 v2, v46, v30
	ds_bpermute_b32 v3, v46, v31
	;; [unrolled: 1-line block ×6, first 2 shown]
	s_waitcnt lgkmcnt(4)
	v_pk_add_f32 v[2:3], v[30:31], v[2:3]
	ds_bpermute_b32 v6, v45, v2
	ds_bpermute_b32 v7, v45, v3
	s_waitcnt lgkmcnt(4)
	v_pk_add_f32 v[8:9], v[34:35], v[4:5]
	ds_bpermute_b32 v10, v45, v8
	ds_bpermute_b32 v11, v45, v9
	s_waitcnt lgkmcnt(0)
	v_pk_add_f32 v[4:5], v[2:3], v[6:7]
	v_pk_add_f32 v[6:7], v[32:33], v[12:13]
	s_barrier
	v_pk_add_f32 v[2:3], v[8:9], v[10:11]
	ds_bpermute_b32 v8, v45, v6
	ds_bpermute_b32 v9, v45, v7
	v_and_b32_e32 v10, 0x3c3, v0
	v_cmp_ne_u32_e32 vcc, 64, v10
	s_waitcnt lgkmcnt(0)
	s_and_saveexec_b64 s[0:1], vcc
	s_xor_b64 s[0:1], exec, s[0:1]
; %bb.65:
                                        ; implicit-def: $vgpr44
; %bb.66:
	s_or_saveexec_b64 s[0:1], s[0:1]
	v_pk_add_f32 v[6:7], v[6:7], v[8:9]
	s_xor_b64 exec, exec, s[0:1]
	s_cbranch_execz .LBB21_68
; %bb.67:
	v_add_u32_e32 v8, 0x190, v44
	ds_write2_b32 v8, v4, v5 offset1:16
	ds_write2_b32 v8, v2, v3 offset0:32 offset1:48
	ds_write2_b32 v8, v6, v7 offset0:64 offset1:80
.LBB21_68:
	s_or_b64 exec, exec, s[0:1]
	v_cmp_gt_u32_e32 vcc, 64, v0
	s_waitcnt lgkmcnt(0)
	s_barrier
	s_and_saveexec_b64 s[0:1], vcc
	s_cbranch_execz .LBB21_77
; %bb.69:
	v_mov_b32_e32 v0, 0x190
	v_cmp_eq_u32_e32 vcc, 0, v41
	v_lshl_add_u32 v0, v40, 2, v0
	s_and_saveexec_b64 s[2:3], vcc
	s_cbranch_execnz .LBB21_80
; %bb.70:
	s_or_b64 exec, exec, s[2:3]
	s_and_saveexec_b64 s[2:3], vcc
	s_cbranch_execnz .LBB21_81
.LBB21_71:
	s_or_b64 exec, exec, s[2:3]
	s_and_saveexec_b64 s[2:3], vcc
	s_cbranch_execnz .LBB21_82
.LBB21_72:
	s_or_b64 exec, exec, s[2:3]
	s_and_saveexec_b64 s[2:3], vcc
	s_cbranch_execnz .LBB21_83
.LBB21_73:
	s_or_b64 exec, exec, s[2:3]
	s_and_saveexec_b64 s[2:3], vcc
	s_cbranch_execnz .LBB21_84
.LBB21_74:
	s_or_b64 exec, exec, s[2:3]
	s_and_saveexec_b64 s[2:3], vcc
	s_cbranch_execz .LBB21_76
.LBB21_75:
	ds_read_b32 v0, v0 offset:320
	s_waitcnt lgkmcnt(0)
	v_add_f32_e32 v7, v7, v0
.LBB21_76:
	s_or_b64 exec, exec, s[2:3]
.LBB21_77:
	s_or_b64 exec, exec, s[0:1]
	v_cmp_eq_u32_e32 vcc, 0, v10
	s_barrier
	s_and_saveexec_b64 s[0:1], vcc
	s_cbranch_execz .LBB21_79
; %bb.78:
	s_mul_i32 s0, s10, s11
	s_mul_i32 s0, s0, s5
	s_mulk_i32 s0, 0x60
	s_ashr_i32 s1, s0, 31
	s_lshl_b64 s[0:1], s[0:1], 2
	s_add_u32 s2, s22, s0
	s_mul_i32 s0, s11, s20
	s_addc_u32 s3, s23, s1
	s_ashr_i32 s1, s0, 31
	s_lshl_b64 s[0:1], s[0:1], 2
	s_add_u32 s2, s2, s0
	s_mul_i32 s0, s4, 0x60
	s_addc_u32 s3, s3, s1
	s_ashr_i32 s1, s0, 31
	s_lshl_b64 s[0:1], s[0:1], 2
	s_add_u32 s0, s2, s0
	s_addc_u32 s1, s3, s1
	global_store_dword v1, v4, s[0:1]
	global_store_dword v1, v5, s[0:1] offset:64
	global_store_dword v1, v2, s[0:1] offset:128
	;; [unrolled: 1-line block ×5, first 2 shown]
.LBB21_79:
	s_endpgm
.LBB21_80:
	ds_read_b32 v8, v0
	s_waitcnt lgkmcnt(0)
	v_add_f32_e32 v4, v4, v8
	s_or_b64 exec, exec, s[2:3]
	s_and_saveexec_b64 s[2:3], vcc
	s_cbranch_execz .LBB21_71
.LBB21_81:
	ds_read_b32 v8, v0 offset:64
	s_waitcnt lgkmcnt(0)
	v_add_f32_e32 v5, v5, v8
	s_or_b64 exec, exec, s[2:3]
	s_and_saveexec_b64 s[2:3], vcc
	s_cbranch_execz .LBB21_72
.LBB21_82:
	ds_read_b32 v8, v0 offset:128
	s_waitcnt lgkmcnt(0)
	v_add_f32_e32 v2, v2, v8
	s_or_b64 exec, exec, s[2:3]
	s_and_saveexec_b64 s[2:3], vcc
	s_cbranch_execz .LBB21_73
.LBB21_83:
	ds_read_b32 v8, v0 offset:192
	s_waitcnt lgkmcnt(0)
	v_add_f32_e32 v3, v3, v8
	s_or_b64 exec, exec, s[2:3]
	s_and_saveexec_b64 s[2:3], vcc
	s_cbranch_execz .LBB21_74
.LBB21_84:
	ds_read_b32 v8, v0 offset:256
	s_waitcnt lgkmcnt(0)
	v_add_f32_e32 v6, v6, v8
	s_or_b64 exec, exec, s[2:3]
	s_and_saveexec_b64 s[2:3], vcc
	s_cbranch_execnz .LBB21_75
	s_branch .LBB21_76
	.section	.rodata,"a",@progbits
	.p2align	6, 0x0
	.amdhsa_kernel _ZN4vllm25paged_attention_v1_kernelIffLi96ELi16ELi128ELNS_18Fp8KVCacheDataTypeE0ELb1EEEvPT_PKS2_PKT0_S8_ifPKiSA_iPKfiiiSC_SC_iiiii
		.amdhsa_group_segment_fixed_size 400
		.amdhsa_private_segment_fixed_size 0
		.amdhsa_kernarg_size 384
		.amdhsa_user_sgpr_count 2
		.amdhsa_user_sgpr_dispatch_ptr 0
		.amdhsa_user_sgpr_queue_ptr 0
		.amdhsa_user_sgpr_kernarg_segment_ptr 1
		.amdhsa_user_sgpr_dispatch_id 0
		.amdhsa_user_sgpr_kernarg_preload_length 0
		.amdhsa_user_sgpr_kernarg_preload_offset 0
		.amdhsa_user_sgpr_private_segment_size 0
		.amdhsa_uses_dynamic_stack 0
		.amdhsa_enable_private_segment 0
		.amdhsa_system_sgpr_workgroup_id_x 1
		.amdhsa_system_sgpr_workgroup_id_y 1
		.amdhsa_system_sgpr_workgroup_id_z 1
		.amdhsa_system_sgpr_workgroup_info 0
		.amdhsa_system_vgpr_workitem_id 0
		.amdhsa_next_free_vgpr 75
		.amdhsa_next_free_sgpr 45
		.amdhsa_accum_offset 76
		.amdhsa_reserve_vcc 1
		.amdhsa_float_round_mode_32 0
		.amdhsa_float_round_mode_16_64 0
		.amdhsa_float_denorm_mode_32 3
		.amdhsa_float_denorm_mode_16_64 3
		.amdhsa_dx10_clamp 1
		.amdhsa_ieee_mode 1
		.amdhsa_fp16_overflow 0
		.amdhsa_tg_split 0
		.amdhsa_exception_fp_ieee_invalid_op 0
		.amdhsa_exception_fp_denorm_src 0
		.amdhsa_exception_fp_ieee_div_zero 0
		.amdhsa_exception_fp_ieee_overflow 0
		.amdhsa_exception_fp_ieee_underflow 0
		.amdhsa_exception_fp_ieee_inexact 0
		.amdhsa_exception_int_div_zero 0
	.end_amdhsa_kernel
	.section	.text._ZN4vllm25paged_attention_v1_kernelIffLi96ELi16ELi128ELNS_18Fp8KVCacheDataTypeE0ELb1EEEvPT_PKS2_PKT0_S8_ifPKiSA_iPKfiiiSC_SC_iiiii,"axG",@progbits,_ZN4vllm25paged_attention_v1_kernelIffLi96ELi16ELi128ELNS_18Fp8KVCacheDataTypeE0ELb1EEEvPT_PKS2_PKT0_S8_ifPKiSA_iPKfiiiSC_SC_iiiii,comdat
.Lfunc_end21:
	.size	_ZN4vllm25paged_attention_v1_kernelIffLi96ELi16ELi128ELNS_18Fp8KVCacheDataTypeE0ELb1EEEvPT_PKS2_PKT0_S8_ifPKiSA_iPKfiiiSC_SC_iiiii, .Lfunc_end21-_ZN4vllm25paged_attention_v1_kernelIffLi96ELi16ELi128ELNS_18Fp8KVCacheDataTypeE0ELb1EEEvPT_PKS2_PKT0_S8_ifPKiSA_iPKfiiiSC_SC_iiiii
                                        ; -- End function
	.set _ZN4vllm25paged_attention_v1_kernelIffLi96ELi16ELi128ELNS_18Fp8KVCacheDataTypeE0ELb1EEEvPT_PKS2_PKT0_S8_ifPKiSA_iPKfiiiSC_SC_iiiii.num_vgpr, 75
	.set _ZN4vllm25paged_attention_v1_kernelIffLi96ELi16ELi128ELNS_18Fp8KVCacheDataTypeE0ELb1EEEvPT_PKS2_PKT0_S8_ifPKiSA_iPKfiiiSC_SC_iiiii.num_agpr, 0
	.set _ZN4vllm25paged_attention_v1_kernelIffLi96ELi16ELi128ELNS_18Fp8KVCacheDataTypeE0ELb1EEEvPT_PKS2_PKT0_S8_ifPKiSA_iPKfiiiSC_SC_iiiii.numbered_sgpr, 45
	.set _ZN4vllm25paged_attention_v1_kernelIffLi96ELi16ELi128ELNS_18Fp8KVCacheDataTypeE0ELb1EEEvPT_PKS2_PKT0_S8_ifPKiSA_iPKfiiiSC_SC_iiiii.num_named_barrier, 0
	.set _ZN4vllm25paged_attention_v1_kernelIffLi96ELi16ELi128ELNS_18Fp8KVCacheDataTypeE0ELb1EEEvPT_PKS2_PKT0_S8_ifPKiSA_iPKfiiiSC_SC_iiiii.private_seg_size, 0
	.set _ZN4vllm25paged_attention_v1_kernelIffLi96ELi16ELi128ELNS_18Fp8KVCacheDataTypeE0ELb1EEEvPT_PKS2_PKT0_S8_ifPKiSA_iPKfiiiSC_SC_iiiii.uses_vcc, 1
	.set _ZN4vllm25paged_attention_v1_kernelIffLi96ELi16ELi128ELNS_18Fp8KVCacheDataTypeE0ELb1EEEvPT_PKS2_PKT0_S8_ifPKiSA_iPKfiiiSC_SC_iiiii.uses_flat_scratch, 0
	.set _ZN4vllm25paged_attention_v1_kernelIffLi96ELi16ELi128ELNS_18Fp8KVCacheDataTypeE0ELb1EEEvPT_PKS2_PKT0_S8_ifPKiSA_iPKfiiiSC_SC_iiiii.has_dyn_sized_stack, 0
	.set _ZN4vllm25paged_attention_v1_kernelIffLi96ELi16ELi128ELNS_18Fp8KVCacheDataTypeE0ELb1EEEvPT_PKS2_PKT0_S8_ifPKiSA_iPKfiiiSC_SC_iiiii.has_recursion, 0
	.set _ZN4vllm25paged_attention_v1_kernelIffLi96ELi16ELi128ELNS_18Fp8KVCacheDataTypeE0ELb1EEEvPT_PKS2_PKT0_S8_ifPKiSA_iPKfiiiSC_SC_iiiii.has_indirect_call, 0
	.section	.AMDGPU.csdata,"",@progbits
; Kernel info:
; codeLenInByte = 5108
; TotalNumSgprs: 51
; NumVgprs: 75
; NumAgprs: 0
; TotalNumVgprs: 75
; ScratchSize: 0
; MemoryBound: 0
; FloatMode: 240
; IeeeMode: 1
; LDSByteSize: 400 bytes/workgroup (compile time only)
; SGPRBlocks: 6
; VGPRBlocks: 9
; NumSGPRsForWavesPerEU: 51
; NumVGPRsForWavesPerEU: 75
; AccumOffset: 76
; Occupancy: 6
; WaveLimiterHint : 1
; COMPUTE_PGM_RSRC2:SCRATCH_EN: 0
; COMPUTE_PGM_RSRC2:USER_SGPR: 2
; COMPUTE_PGM_RSRC2:TRAP_HANDLER: 0
; COMPUTE_PGM_RSRC2:TGID_X_EN: 1
; COMPUTE_PGM_RSRC2:TGID_Y_EN: 1
; COMPUTE_PGM_RSRC2:TGID_Z_EN: 1
; COMPUTE_PGM_RSRC2:TIDIG_COMP_CNT: 0
; COMPUTE_PGM_RSRC3_GFX90A:ACCUM_OFFSET: 18
; COMPUTE_PGM_RSRC3_GFX90A:TG_SPLIT: 0
	.section	.text._ZN4vllm25paged_attention_v1_kernelIffLi112ELi16ELi128ELNS_18Fp8KVCacheDataTypeE0ELb1EEEvPT_PKS2_PKT0_S8_ifPKiSA_iPKfiiiSC_SC_iiiii,"axG",@progbits,_ZN4vllm25paged_attention_v1_kernelIffLi112ELi16ELi128ELNS_18Fp8KVCacheDataTypeE0ELb1EEEvPT_PKS2_PKT0_S8_ifPKiSA_iPKfiiiSC_SC_iiiii,comdat
	.protected	_ZN4vllm25paged_attention_v1_kernelIffLi112ELi16ELi128ELNS_18Fp8KVCacheDataTypeE0ELb1EEEvPT_PKS2_PKT0_S8_ifPKiSA_iPKfiiiSC_SC_iiiii ; -- Begin function _ZN4vllm25paged_attention_v1_kernelIffLi112ELi16ELi128ELNS_18Fp8KVCacheDataTypeE0ELb1EEEvPT_PKS2_PKT0_S8_ifPKiSA_iPKfiiiSC_SC_iiiii
	.globl	_ZN4vllm25paged_attention_v1_kernelIffLi112ELi16ELi128ELNS_18Fp8KVCacheDataTypeE0ELb1EEEvPT_PKS2_PKT0_S8_ifPKiSA_iPKfiiiSC_SC_iiiii
	.p2align	8
	.type	_ZN4vllm25paged_attention_v1_kernelIffLi112ELi16ELi128ELNS_18Fp8KVCacheDataTypeE0ELb1EEEvPT_PKS2_PKT0_S8_ifPKiSA_iPKfiiiSC_SC_iiiii,@function
_ZN4vllm25paged_attention_v1_kernelIffLi112ELi16ELi128ELNS_18Fp8KVCacheDataTypeE0ELb1EEEvPT_PKS2_PKT0_S8_ifPKiSA_iPKfiiiSC_SC_iiiii: ; @_ZN4vllm25paged_attention_v1_kernelIffLi112ELi16ELi128ELNS_18Fp8KVCacheDataTypeE0ELb1EEEvPT_PKS2_PKT0_S8_ifPKiSA_iPKfiiiSC_SC_iiiii
; %bb.0:
	s_load_dword s5, s[0:1], 0x80
	s_load_dwordx2 s[6:7], s[0:1], 0x30
	s_load_dwordx2 s[30:31], s[0:1], 0x20
	s_mov_b32 s10, s3
	s_ashr_i32 s11, s3, 31
	s_lshl_b64 s[8:9], s[10:11], 2
	s_waitcnt lgkmcnt(0)
	s_add_u32 s6, s6, s8
	s_addc_u32 s7, s7, s9
	s_abs_i32 s3, s30
	v_cvt_f32_u32_e32 v1, s3
	s_sub_i32 s11, 0, s3
	s_abs_i32 s9, s5
	s_xor_b32 s8, s5, s30
	v_rcp_iflag_f32_e32 v1, v1
	s_ashr_i32 s8, s8, 31
	s_mov_b32 s42, 0
	v_mul_f32_e32 v1, 0x4f7ffffe, v1
	v_cvt_u32_f32_e32 v1, v1
	s_nop 0
	v_readfirstlane_b32 s12, v1
	s_mul_i32 s11, s11, s12
	s_mul_hi_u32 s11, s12, s11
	s_add_i32 s12, s12, s11
	s_mul_hi_u32 s11, s9, s12
	s_mul_i32 s12, s11, s3
	s_sub_i32 s9, s9, s12
	s_add_i32 s12, s11, 1
	s_sub_i32 s13, s9, s3
	s_cmp_ge_u32 s9, s3
	s_cselect_b32 s11, s12, s11
	s_cselect_b32 s9, s13, s9
	s_add_i32 s12, s11, 1
	s_cmp_ge_u32 s9, s3
	s_cselect_b32 s3, s12, s11
	s_xor_b32 s3, s3, s8
	s_sub_i32 s12, s3, s8
	s_abs_i32 s11, s12
	v_cvt_f32_u32_e32 v1, s11
	s_load_dwordx2 s[8:9], s[0:1], 0x40
	s_sub_i32 s3, 0, s11
	s_abs_i32 s22, s2
	v_rcp_iflag_f32_e32 v1, v1
	s_nop 0
	v_mul_f32_e32 v1, 0x4f7ffffe, v1
	v_cvt_u32_f32_e32 v1, v1
	s_nop 0
	v_readfirstlane_b32 s13, v1
	s_mul_i32 s3, s3, s13
	s_mul_hi_u32 s3, s13, s3
	s_add_i32 s13, s13, s3
	s_waitcnt lgkmcnt(0)
	s_cmp_eq_u64 s[8:9], 0
	s_mul_hi_u32 s23, s22, s13
	s_cbranch_scc1 .LBB22_2
; %bb.1:
	s_ashr_i32 s3, s2, 31
	s_lshl_b64 s[14:15], s[2:3], 2
	s_add_u32 s8, s8, s14
	s_addc_u32 s9, s9, s15
	s_load_dword s42, s[8:9], 0x0
.LBB22_2:
	s_load_dword s33, s[6:7], 0x0
	s_ashr_i32 s9, s12, 31
	s_load_dwordx4 s[12:15], s[0:1], 0x48
	v_lshrrev_b32_e32 v46, 2, v0
	s_movk_i32 s8, 0x70
	s_ashr_i32 s3, s2, 31
	v_and_b32_e32 v47, 3, v0
	s_mul_i32 s20, s2, 0x70
	v_cmp_gt_u32_e32 vcc, s8, v0
	v_lshlrev_b32_e32 v6, 2, v0
	v_lshlrev_b32_e32 v1, 2, v46
	s_and_saveexec_b64 s[6:7], vcc
	s_cbranch_execz .LBB22_4
; %bb.3:
	s_load_dwordx2 s[16:17], s[0:1], 0x8
	s_waitcnt lgkmcnt(0)
	s_mul_i32 s18, s12, s10
	s_ashr_i32 s19, s18, 31
	s_lshl_b64 s[18:19], s[18:19], 2
	v_mad_u32_u24 v3, v47, s8, v1
	s_add_u32 s12, s16, s18
	s_addc_u32 s15, s17, s19
	s_ashr_i32 s21, s20, 31
	s_lshl_b64 s[16:17], s[20:21], 2
	s_add_u32 s16, s12, s16
	s_addc_u32 s17, s15, s17
	global_load_dword v2, v6, s[16:17]
	s_waitcnt vmcnt(0)
	ds_write_b32 v3, v2
.LBB22_4:
	s_or_b64 exec, exec, s[6:7]
	s_mul_i32 s6, s23, s11
	s_sub_i32 s6, s22, s6
	s_xor_b32 s3, s3, s9
	s_add_i32 s7, s23, 1
	s_sub_i32 s9, s6, s11
	s_load_dwordx4 s[16:19], s[0:1], 0x68
	s_load_dword s8, s[0:1], 0x78
	s_cmp_ge_u32 s6, s11
	s_cselect_b32 s7, s7, s23
	s_cselect_b32 s6, s9, s6
	s_add_i32 s9, s7, 1
	s_cmp_ge_u32 s6, s11
	s_cselect_b32 s6, s9, s7
	s_waitcnt lgkmcnt(0)
	s_abs_i32 s21, s19
	v_cvt_f32_u32_e32 v2, s21
	s_xor_b32 s6, s6, s3
	s_sub_i32 s3, s6, s3
	s_sub_i32 s6, 0, s21
	v_rcp_iflag_f32_e32 v2, v2
	s_add_i32 s11, s33, -1
	s_abs_i32 s9, s11
	v_mul_f32_e32 v2, 0x4f7ffffe, v2
	v_cvt_u32_f32_e32 v2, v2
	s_barrier
	v_readfirstlane_b32 s40, v2
	s_mul_i32 s6, s6, s40
	s_mul_hi_u32 s6, s40, s6
	s_add_i32 s40, s40, s6
	s_cmp_lt_i32 s8, 0
	s_mul_hi_u32 s12, s9, s40
	s_cbranch_scc0 .LBB22_6
; %bb.5:
	s_mul_i32 s6, s16, s30
	s_add_i32 s6, s3, s6
	s_mul_i32 s6, s6, s8
	s_sub_i32 s41, 1, s6
	s_mov_b64 s[6:7], 0
	s_branch .LBB22_7
.LBB22_6:
	s_mov_b64 s[6:7], -1
                                        ; implicit-def: $sgpr41
.LBB22_7:
	s_load_dwordx2 s[24:25], s[0:1], 0x28
	s_ashr_i32 s15, s11, 31
	s_andn2_b64 vcc, exec, s[6:7]
	s_ashr_i32 s19, s19, 31
	s_cbranch_vccnz .LBB22_9
; %bb.8:
	s_mul_i32 s6, s5, s16
	s_add_i32 s2, s6, s2
	s_mul_i32 s2, s2, s8
	s_add_i32 s41, s2, 1
.LBB22_9:
	s_load_dword s2, s[0:1], 0x38
	s_load_dwordx2 s[22:23], s[0:1], 0x0
	s_load_dwordx2 s[28:29], s[0:1], 0x18
	s_load_dword s11, s[0:1], 0x88
	s_xor_b32 s6, s15, s19
	s_waitcnt lgkmcnt(0)
	s_mul_i32 s26, s2, s10
	s_mul_i32 s2, s12, s21
	s_sub_i32 s2, s9, s2
	s_ashr_i32 s27, s26, 31
	s_add_i32 s7, s12, 1
	s_sub_i32 s8, s2, s21
	s_cmp_ge_u32 s2, s21
	s_cselect_b32 s7, s7, s12
	s_cselect_b32 s2, s8, s2
	s_add_i32 s8, s7, 1
	s_cmp_ge_u32 s2, s21
	s_cselect_b32 s2, s8, s7
	s_xor_b32 s2, s2, s6
	s_sub_i32 s12, s2, s6
	s_add_i32 s2, s33, 15
	s_ashr_i32 s6, s2, 31
	s_lshr_b32 s6, s6, 28
	s_add_i32 s2, s2, s6
	s_ashr_i32 s16, s2, 4
	v_lshrrev_b32_e32 v48, 6, v0
	v_cmp_gt_i32_e64 s[6:7], s16, v48
	v_mov_b32_e32 v11, 0xff7fffff
	s_mul_i32 s14, s3, s14
	v_lshrrev_b32_e32 v7, 4, v0
	v_lshlrev_b32_e32 v49, 4, v48
	v_mbcnt_lo_u32_b32 v8, -1, 0
	s_and_saveexec_b64 s[34:35], s[6:7]
	s_cbranch_execz .LBB22_21
; %bb.10:
	s_load_dwordx2 s[0:1], s[0:1], 0x10
	s_ashr_i32 s15, s14, 31
	s_sub_i32 s30, s12, s17
	s_lshl_b64 s[2:3], s[14:15], 2
	v_bfe_u32 v9, v0, 2, 4
	s_waitcnt lgkmcnt(0)
	s_add_u32 s0, s0, s2
	s_addc_u32 s1, s1, s3
	s_abs_i32 s15, s18
	v_cvt_f32_u32_e32 v2, s15
	v_lshlrev_b32_e32 v4, 4, v9
	v_mov_b32_e32 v5, 0
	v_lshlrev_b32_e32 v11, 2, v9
	v_rcp_iflag_f32_e32 v10, v2
	v_lshl_add_u64 v[2:3], s[0:1], 0, v[4:5]
	v_lshlrev_b32_e32 v4, 2, v47
	v_lshl_add_u64 v[2:3], v[2:3], 0, v[4:5]
	v_mul_f32_e32 v4, 0x4f7ffffe, v10
	v_cvt_u32_f32_e32 v4, v4
	s_sub_i32 s0, 0, s15
	v_lshl_or_b32 v11, v48, 6, v11
	v_mbcnt_hi_u32_b32 v17, -1, v8
	v_mul_lo_u32 v12, s0, v4
	s_lshl_b64 s[0:1], s[26:27], 2
	v_mul_hi_u32 v12, v4, v12
	s_add_u32 s0, s24, s0
	v_add_u32_e32 v12, v4, v12
	v_and_b32_e32 v4, 60, v7
	s_addc_u32 s1, s25, s1
	v_subrev_u32_e32 v14, s33, v9
	v_add_u32_e32 v15, 0x1d0, v11
	v_and_b32_e32 v11, 64, v17
	v_cmp_eq_u32_e32 vcc, 0, v47
	s_mov_b32 s43, s13
	v_mul_u32_u24_e32 v10, 0x70, v47
	v_cmp_neq_f32_e64 s[2:3], s42, 0
	v_lshl_add_u64 v[4:5], s[0:1], 0, v[4:5]
	v_lshlrev_b32_e32 v13, 4, v48
	v_add_u32_e32 v14, 1, v14
	v_mov_b32_e32 v16, 0xff7fffff
	s_mov_b64 s[36:37], 0
	s_movk_i32 s44, 0x1000
	v_add_u32_e32 v18, 64, v11
	v_xor_b32_e32 v19, 2, v17
	v_xor_b32_e32 v20, 1, v17
	v_mov_b32_e32 v11, 0xff7fffff
	v_mov_b32_e32 v21, v48
	s_branch .LBB22_13
.LBB22_11:                              ;   in Loop: Header=BB22_13 Depth=1
	s_or_b64 exec, exec, s[38:39]
.LBB22_12:                              ;   in Loop: Header=BB22_13 Depth=1
	s_or_b64 exec, exec, s[8:9]
	v_add_u32_e32 v21, 2, v21
	v_cmp_le_i32_e64 s[0:1], s16, v21
	v_lshl_add_u64 v[4:5], v[4:5], 0, 8
	v_add_u32_e32 v13, 32, v13
	s_or_b64 s[36:37], s[0:1], s[36:37]
	v_add_u32_e32 v15, 0x80, v15
	s_andn2_b64 exec, exec, s[36:37]
	s_cbranch_execz .LBB22_20
.LBB22_13:                              ; =>This Inner Loop Header: Depth=1
	v_mul_hi_u32 v22, v13, s40
	s_waitcnt lgkmcnt(0)
	v_mul_lo_u32 v23, v22, s21
	v_sub_u32_e32 v23, v13, v23
	v_add_u32_e32 v24, 1, v22
	v_cmp_le_u32_e64 s[0:1], s21, v23
	s_nop 1
	v_cndmask_b32_e64 v22, v22, v24, s[0:1]
	v_subrev_u32_e32 v24, s21, v23
	v_cndmask_b32_e64 v23, v23, v24, s[0:1]
	v_add_u32_e32 v24, 1, v22
	v_cmp_le_u32_e64 s[0:1], s21, v23
	s_nop 1
	v_cndmask_b32_e64 v22, v22, v24, s[0:1]
	v_xor_b32_e32 v22, s19, v22
	v_subrev_u32_e32 v22, s19, v22
	v_add_u32_e32 v23, s41, v22
	v_sub_u32_e32 v25, 0, v23
	v_ashrrev_i32_e32 v24, 31, v23
	v_max_i32_e32 v23, v23, v25
	v_mul_hi_u32 v25, v23, v12
	v_mul_lo_u32 v25, v25, s15
	v_sub_u32_e32 v23, v23, v25
	v_subrev_u32_e32 v25, s15, v23
	v_cmp_le_u32_e64 s[0:1], s15, v23
	v_cmp_ge_i32_e64 s[8:9], s30, v22
	s_nop 0
	v_cndmask_b32_e64 v23, v23, v25, s[0:1]
	v_subrev_u32_e32 v25, s15, v23
	v_cmp_le_u32_e64 s[0:1], s15, v23
	s_nop 1
	v_cndmask_b32_e64 v23, v23, v25, s[0:1]
	v_xor_b32_e32 v23, v23, v24
	v_sub_u32_e32 v23, v23, v24
	v_cmp_ne_u32_e64 s[0:1], 0, v23
	s_and_b64 s[0:1], s[0:1], s[8:9]
	s_and_saveexec_b64 s[8:9], s[0:1]
	s_xor_b64 s[0:1], exec, s[8:9]
	s_cbranch_execz .LBB22_17
; %bb.14:                               ;   in Loop: Header=BB22_13 Depth=1
	s_and_saveexec_b64 s[8:9], vcc
; %bb.15:                               ;   in Loop: Header=BB22_13 Depth=1
	ds_write_b32 v15, v16
; %bb.16:                               ;   in Loop: Header=BB22_13 Depth=1
	s_or_b64 exec, exec, s[8:9]
.LBB22_17:                              ;   in Loop: Header=BB22_13 Depth=1
	s_andn2_saveexec_b64 s[8:9], s[0:1]
	s_cbranch_execz .LBB22_12
; %bb.18:                               ;   in Loop: Header=BB22_13 Depth=1
	global_load_dword v22, v[4:5], off
	s_waitcnt vmcnt(0)
	v_mad_i64_i32 v[22:23], s[0:1], v22, s43, 0
	v_lshl_add_u64 v[22:23], v[22:23], 2, v[2:3]
	global_load_dword v54, v[22:23], off offset:256
	global_load_dword v55, v[22:23], off offset:512
	;; [unrolled: 1-line block ×7, first 2 shown]
	global_load_dword v61, v[22:23], off
	global_load_dword v62, v[22:23], off offset:2048
	global_load_dword v63, v[22:23], off offset:2304
	;; [unrolled: 1-line block ×8, first 2 shown]
	v_add_co_u32_e64 v22, s[0:1], s44, v22
	s_nop 1
	v_addc_co_u32_e64 v23, s[0:1], 0, v23, s[0:1]
	global_load_dword v70, v[22:23], off
	global_load_dword v71, v[22:23], off offset:256
	global_load_dword v72, v[22:23], off offset:512
	;; [unrolled: 1-line block ×11, first 2 shown]
	ds_read_b128 v[22:25], v10
	ds_read_b128 v[26:29], v10 offset:16
	ds_read_b128 v[30:33], v10 offset:32
	;; [unrolled: 1-line block ×6, first 2 shown]
	v_cmp_lt_i32_e64 s[0:1], v19, v18
	s_waitcnt vmcnt(27) lgkmcnt(6)
	v_mul_f32_e32 v23, v23, v54
	v_cndmask_b32_e64 v82, v17, v19, s[0:1]
	v_cmp_lt_i32_e64 s[0:1], v20, v18
	s_waitcnt vmcnt(20)
	v_fmac_f32_e32 v23, v22, v61
	v_fmac_f32_e32 v23, v24, v55
	;; [unrolled: 1-line block ×3, first 2 shown]
	s_waitcnt lgkmcnt(5)
	v_fmac_f32_e32 v23, v26, v57
	v_fmac_f32_e32 v23, v27, v58
	;; [unrolled: 1-line block ×4, first 2 shown]
	s_waitcnt vmcnt(19) lgkmcnt(4)
	v_fmac_f32_e32 v23, v30, v62
	s_waitcnt vmcnt(18)
	v_fmac_f32_e32 v23, v31, v63
	s_waitcnt vmcnt(17)
	v_fmac_f32_e32 v23, v32, v64
	s_waitcnt vmcnt(16)
	v_fmac_f32_e32 v23, v33, v65
	s_waitcnt vmcnt(15) lgkmcnt(3)
	v_fmac_f32_e32 v23, v34, v66
	s_waitcnt vmcnt(14)
	v_fmac_f32_e32 v23, v35, v67
	s_waitcnt vmcnt(13)
	v_fmac_f32_e32 v23, v36, v68
	s_waitcnt vmcnt(12)
	v_fmac_f32_e32 v23, v37, v69
	;; [unrolled: 8-line block ×4, first 2 shown]
	s_waitcnt vmcnt(3) lgkmcnt(0)
	v_fmac_f32_e32 v23, v50, v78
	s_waitcnt vmcnt(2)
	v_fmac_f32_e32 v23, v51, v79
	s_waitcnt vmcnt(1)
	v_fmac_f32_e32 v23, v52, v80
	v_lshlrev_b32_e32 v22, 2, v82
	s_waitcnt vmcnt(0)
	v_fmac_f32_e32 v23, v53, v81
	ds_bpermute_b32 v22, v22, v23
	v_cndmask_b32_e64 v24, v17, v20, s[0:1]
	v_lshlrev_b32_e32 v24, 2, v24
	s_waitcnt lgkmcnt(0)
	v_add_f32_e32 v22, v23, v22
	ds_bpermute_b32 v23, v24, v22
	s_and_saveexec_b64 s[38:39], vcc
	s_cbranch_execz .LBB22_11
; %bb.19:                               ;   in Loop: Header=BB22_13 Depth=1
	v_add_u32_e32 v24, v14, v13
	v_cvt_f32_i32_e32 v24, v24
	s_waitcnt lgkmcnt(0)
	v_add_f32_e32 v22, v22, v23
	v_add_u32_e32 v25, v9, v13
	v_cmp_gt_i32_e64 s[0:1], s33, v25
	v_mul_f32_e32 v23, s42, v24
	v_cndmask_b32_e64 v23, 0, v23, s[2:3]
	v_fmac_f32_e32 v23, s31, v22
	v_cndmask_b32_e64 v22, 0, v23, s[0:1]
	ds_write_b32 v15, v22
	v_max_f32_e32 v22, v11, v11
	v_max_f32_e32 v22, v22, v23
	v_cndmask_b32_e64 v11, v11, v22, s[0:1]
	s_branch .LBB22_11
.LBB22_20:
	s_or_b64 exec, exec, s[36:37]
.LBB22_21:
	s_or_b64 exec, exec, s[34:35]
	v_mbcnt_hi_u32_b32 v2, -1, v8
	v_and_b32_e32 v12, 64, v2
	v_add_u32_e32 v3, 64, v12
	v_xor_b32_e32 v4, 32, v2
	v_cmp_lt_i32_e32 vcc, v4, v3
	v_xor_b32_e32 v9, 16, v2
	v_max_f32_e32 v8, v11, v11
	v_cndmask_b32_e32 v4, v2, v4, vcc
	v_lshlrev_b32_e32 v4, 2, v4
	ds_bpermute_b32 v5, v4, v11
	v_cmp_lt_i32_e32 vcc, v9, v3
	v_xor_b32_e32 v10, 8, v2
	v_xor_b32_e32 v11, 4, v2
	v_and_b32_e32 v50, 63, v0
	s_waitcnt lgkmcnt(0)
	v_max_f32_e32 v5, v5, v5
	v_max_f32_e32 v8, v8, v5
	v_cndmask_b32_e32 v5, v2, v9, vcc
	v_lshlrev_b32_e32 v5, 2, v5
	ds_bpermute_b32 v9, v5, v8
	v_cmp_lt_i32_e32 vcc, v10, v3
	s_waitcnt lgkmcnt(0)
	v_max_f32_e32 v9, v9, v9
	v_max_f32_e32 v8, v8, v9
	v_cndmask_b32_e32 v9, v2, v10, vcc
	v_lshlrev_b32_e32 v10, 2, v9
	ds_bpermute_b32 v9, v10, v8
	v_cmp_lt_i32_e32 vcc, v11, v3
	s_waitcnt lgkmcnt(0)
	v_max_f32_e32 v9, v9, v9
	v_max_f32_e32 v9, v8, v9
	v_cndmask_b32_e32 v8, v2, v11, vcc
	v_lshlrev_b32_e32 v11, 2, v8
	ds_bpermute_b32 v13, v11, v9
	v_cmp_eq_u32_e32 vcc, 0, v50
	v_lshlrev_b32_e32 v8, 2, v48
	s_and_saveexec_b64 s[0:1], vcc
	s_cbranch_execz .LBB22_23
; %bb.22:
	s_waitcnt lgkmcnt(0)
	v_max_f32_e32 v13, v13, v13
	v_max_f32_e32 v9, v9, v9
	;; [unrolled: 1-line block ×3, first 2 shown]
	ds_write_b32 v8, v9 offset:448
.LBB22_23:
	s_or_b64 exec, exec, s[0:1]
	v_cmp_gt_u32_e64 s[0:1], 2, v50
	s_waitcnt lgkmcnt(0)
	v_mov_b32_e32 v13, 0xff7fffff
	v_lshlrev_b32_e32 v9, 2, v50
	s_barrier
	s_and_saveexec_b64 s[2:3], s[0:1]
; %bb.24:
	ds_read_b32 v13, v9 offset:448
; %bb.25:
	s_or_b64 exec, exec, s[2:3]
	v_xor_b32_e32 v14, 1, v2
	v_cmp_lt_i32_e64 s[2:3], v14, v3
	v_lshlrev_b32_e32 v12, 2, v12
	s_nop 0
	v_cndmask_b32_e64 v14, v2, v14, s[2:3]
	v_lshlrev_b32_e32 v51, 2, v14
	s_waitcnt lgkmcnt(0)
	ds_bpermute_b32 v14, v51, v13
	v_max_f32_e32 v13, v13, v13
	s_lshl_b32 s2, s16, 4
	s_min_i32 s15, s2, s33
	v_cmp_gt_i32_e64 s[2:3], s15, v0
	s_waitcnt lgkmcnt(0)
	v_max_f32_e32 v14, v14, v14
	v_max_f32_e32 v13, v13, v14
	ds_bpermute_b32 v13, v12, v13
	v_mov_b32_e32 v12, 0
	s_and_saveexec_b64 s[30:31], s[2:3]
	s_cbranch_execz .LBB22_29
; %bb.26:
	v_mov_b32_e32 v12, 0x1d0
	v_lshl_add_u32 v14, v0, 2, v12
	v_mov_b32_e32 v12, 0
	s_mov_b64 s[34:35], 0
	v_mov_b32_e32 v15, v0
.LBB22_27:                              ; =>This Inner Loop Header: Depth=1
	ds_read_b32 v16, v14
	v_add_u32_e32 v15, 0x80, v15
	v_cmp_le_i32_e64 s[8:9], s15, v15
	s_or_b64 s[34:35], s[8:9], s[34:35]
	s_waitcnt lgkmcnt(0)
	v_sub_f32_e32 v16, v16, v13
	v_mul_f32_e32 v16, 0x3fb8aa3b, v16
	v_exp_f32_e32 v16, v16
	ds_write_b32 v14, v16
	v_add_f32_e32 v12, v12, v16
	v_add_u32_e32 v14, 0x200, v14
	s_andn2_b64 exec, exec, s[34:35]
	s_cbranch_execnz .LBB22_27
; %bb.28:
	s_or_b64 exec, exec, s[34:35]
.LBB22_29:
	s_or_b64 exec, exec, s[30:31]
	ds_bpermute_b32 v4, v4, v12
	s_waitcnt lgkmcnt(0)
	v_add_f32_e32 v4, v12, v4
	ds_bpermute_b32 v5, v5, v4
	s_waitcnt lgkmcnt(0)
	v_add_f32_e32 v4, v4, v5
	ds_bpermute_b32 v5, v10, v4
	v_xor_b32_e32 v10, 2, v2
	v_cmp_lt_i32_e64 s[8:9], v10, v3
	s_waitcnt lgkmcnt(0)
	v_add_f32_e32 v4, v4, v5
	ds_bpermute_b32 v5, v11, v4
	v_cndmask_b32_e64 v3, v2, v10, s[8:9]
	v_lshlrev_b32_e32 v52, 2, v3
	s_waitcnt lgkmcnt(0)
	v_add_f32_e32 v4, v4, v5
	ds_bpermute_b32 v3, v52, v4
	s_waitcnt lgkmcnt(0)
	v_add_f32_e32 v3, v4, v3
	ds_bpermute_b32 v4, v51, v3
	s_waitcnt lgkmcnt(0)
	v_add_f32_e32 v3, v3, v4
	s_and_saveexec_b64 s[8:9], vcc
; %bb.30:
	ds_write_b32 v8, v3 offset:456
; %bb.31:
	s_or_b64 exec, exec, s[8:9]
	s_waitcnt lgkmcnt(0)
	s_barrier
	s_and_saveexec_b64 s[8:9], s[0:1]
; %bb.32:
	ds_read_b32 v3, v9 offset:456
; %bb.33:
	s_or_b64 exec, exec, s[8:9]
	s_waitcnt lgkmcnt(0)
	ds_bpermute_b32 v4, v51, v3
	v_lshlrev_b32_e32 v2, 2, v2
	v_and_b32_e32 v2, 0x100, v2
	s_waitcnt lgkmcnt(0)
	v_add_f32_e32 v3, v3, v4
	ds_bpermute_b32 v2, v2, v3
	s_and_saveexec_b64 s[0:1], s[2:3]
	s_cbranch_execz .LBB22_46
; %bb.34:
	s_waitcnt lgkmcnt(0)
	v_add_f32_e32 v2, 0x358637bd, v2
	v_div_scale_f32 v3, s[2:3], v2, v2, 1.0
	v_rcp_f32_e32 v4, v3
	v_div_scale_f32 v5, vcc, 1.0, v2, 1.0
	s_movk_i32 s2, 0x7f
	v_fma_f32 v8, -v3, v4, 1.0
	v_fmac_f32_e32 v4, v8, v4
	v_mul_f32_e32 v8, v5, v4
	v_fma_f32 v9, -v3, v8, v5
	v_fmac_f32_e32 v8, v9, v4
	v_fma_f32 v3, -v3, v8, v5
	v_div_fmas_f32 v3, v3, v4, v8
	v_xad_u32 v4, v0, -1, s15
	v_div_fixup_f32 v2, v3, v2, 1.0
	v_cmp_lt_u32_e32 vcc, s2, v4
	s_mov_b64 s[8:9], -1
	v_mov_b32_e32 v3, v0
	s_and_saveexec_b64 s[2:3], vcc
	s_cbranch_execz .LBB22_43
; %bb.35:
	v_lshrrev_b32_e32 v4, 7, v4
	v_add_u32_e32 v8, -1, v4
	v_lshrrev_b32_e32 v5, 1, v8
	v_mov_b32_e32 v3, v2
	v_add_u32_e32 v5, 1, v5
	v_cmp_lt_u32_e32 vcc, 13, v8
	v_mov_b32_e32 v10, 0
	s_and_saveexec_b64 s[8:9], vcc
	s_cbranch_execz .LBB22_39
; %bb.36:
	v_mov_b32_e32 v9, 0x1d0
	v_and_b32_e32 v8, -8, v5
	v_lshl_add_u32 v9, v0, 2, v9
	s_mov_b32 s34, 0
	s_mov_b64 s[30:31], 0
.LBB22_37:                              ; =>This Inner Loop Header: Depth=1
	ds_read2st64_b32 v[10:11], v9 offset1:2
	ds_read2st64_b32 v[12:13], v9 offset0:4 offset1:6
	ds_read2st64_b32 v[14:15], v9 offset0:8 offset1:10
	;; [unrolled: 1-line block ×3, first 2 shown]
	v_add_u32_e32 v8, -8, v8
	s_waitcnt lgkmcnt(3)
	v_pk_mul_f32 v[10:11], v[2:3], v[10:11]
	s_waitcnt lgkmcnt(2)
	v_pk_mul_f32 v[12:13], v[2:3], v[12:13]
	ds_write2st64_b32 v9, v10, v11 offset1:2
	ds_write2st64_b32 v9, v12, v13 offset0:4 offset1:6
	ds_read2st64_b32 v[12:13], v9 offset0:16 offset1:18
	s_waitcnt lgkmcnt(4)
	v_pk_mul_f32 v[10:11], v[2:3], v[14:15]
	ds_write2st64_b32 v9, v10, v11 offset0:8 offset1:10
	s_waitcnt lgkmcnt(4)
	v_pk_mul_f32 v[10:11], v[2:3], v[16:17]
	ds_write2st64_b32 v9, v10, v11 offset0:12 offset1:14
	ds_read2st64_b32 v[10:11], v9 offset0:20 offset1:22
	s_waitcnt lgkmcnt(3)
	v_pk_mul_f32 v[12:13], v[2:3], v[12:13]
	ds_read2st64_b32 v[14:15], v9 offset0:24 offset1:26
	ds_write2st64_b32 v9, v12, v13 offset0:16 offset1:18
	ds_read2st64_b32 v[12:13], v9 offset0:28 offset1:30
	s_waitcnt lgkmcnt(3)
	v_pk_mul_f32 v[10:11], v[2:3], v[10:11]
	ds_write2st64_b32 v9, v10, v11 offset0:20 offset1:22
	s_waitcnt lgkmcnt(3)
	v_pk_mul_f32 v[10:11], v[2:3], v[14:15]
	ds_write2st64_b32 v9, v10, v11 offset0:24 offset1:26
	s_waitcnt lgkmcnt(2)
	v_pk_mul_f32 v[10:11], v[2:3], v[12:13]
	s_add_i32 s34, s34, 16
	v_cmp_eq_u32_e32 vcc, 0, v8
	ds_write2st64_b32 v9, v10, v11 offset0:28 offset1:30
	v_add_u32_e32 v9, 0x2000, v9
	s_or_b64 s[30:31], vcc, s[30:31]
	v_mov_b32_e32 v10, s34
	s_andn2_b64 exec, exec, s[30:31]
	s_cbranch_execnz .LBB22_37
; %bb.38:
	s_or_b64 exec, exec, s[30:31]
.LBB22_39:
	s_or_b64 exec, exec, s[8:9]
	v_and_b32_e32 v5, 7, v5
	v_cmp_ne_u32_e32 vcc, 0, v5
	s_and_saveexec_b64 s[8:9], vcc
	s_cbranch_execz .LBB22_42
; %bb.40:
	v_lshlrev_b32_e32 v8, 9, v10
	s_movk_i32 s30, 0x1d0
	v_add3_u32 v8, v8, v6, s30
	s_mov_b64 s[30:31], 0
.LBB22_41:                              ; =>This Inner Loop Header: Depth=1
	ds_read2st64_b32 v[10:11], v8 offset1:2
	v_add_u32_e32 v5, -1, v5
	v_cmp_eq_u32_e32 vcc, 0, v5
	s_or_b64 s[30:31], vcc, s[30:31]
	s_waitcnt lgkmcnt(0)
	v_pk_mul_f32 v[10:11], v[2:3], v[10:11]
	ds_write2st64_b32 v8, v10, v11 offset1:2
	v_add_u32_e32 v8, 0x400, v8
	s_andn2_b64 exec, exec, s[30:31]
	s_cbranch_execnz .LBB22_41
.LBB22_42:
	s_or_b64 exec, exec, s[8:9]
	v_add_u32_e32 v4, 1, v4
	v_and_b32_e32 v5, 0x3fffffe, v4
	v_cmp_ne_u32_e32 vcc, v4, v5
	v_lshl_add_u32 v3, v5, 7, v0
	s_orn2_b64 s[8:9], vcc, exec
.LBB22_43:
	s_or_b64 exec, exec, s[2:3]
	s_and_b64 exec, exec, s[8:9]
	s_cbranch_execz .LBB22_46
; %bb.44:
	v_mov_b32_e32 v4, 0x1d0
	v_lshl_add_u32 v4, v3, 2, v4
	s_mov_b64 s[2:3], 0
.LBB22_45:                              ; =>This Inner Loop Header: Depth=1
	ds_read_b32 v5, v4
	v_add_u32_e32 v3, 0x80, v3
	v_cmp_le_i32_e32 vcc, s15, v3
	s_or_b64 s[2:3], vcc, s[2:3]
	s_waitcnt lgkmcnt(0)
	v_mul_f32_e32 v5, v2, v5
	ds_write_b32 v4, v5
	v_add_u32_e32 v4, 0x200, v4
	s_andn2_b64 exec, exec, s[2:3]
	s_cbranch_execnz .LBB22_45
.LBB22_46:
	s_or_b64 exec, exec, s[0:1]
	v_mov_b32_e32 v37, 0
	v_mov_b32_e32 v36, 0
	;; [unrolled: 1-line block ×7, first 2 shown]
	s_waitcnt lgkmcnt(0)
	s_barrier
	s_and_saveexec_b64 s[2:3], s[6:7]
	s_cbranch_execz .LBB22_66
; %bb.47:
	s_ashr_i32 s15, s14, 31
	s_sub_i32 s17, s12, s17
	s_lshl_b64 s[0:1], s[14:15], 2
	s_add_u32 s0, s28, s0
	s_addc_u32 s1, s29, s1
	s_abs_i32 s14, s18
	v_cvt_f32_u32_e32 v2, s14
	v_lshlrev_b32_e32 v3, 4, v0
	v_and_b32_e32 v34, 0x3f0, v3
	v_mov_b32_e32 v35, 0
	v_rcp_iflag_f32_e32 v2, v2
	v_lshl_add_u64 v[42:43], s[0:1], 0, v[34:35]
	s_sub_i32 s0, 0, s14
	s_add_i32 s18, s16, -1
	v_mul_f32_e32 v2, 0x4f7ffffe, v2
	v_cvt_u32_f32_e32 v2, v2
	v_and_b32_e32 v34, 60, v7
	v_and_b32_e32 v53, 12, v6
	s_mov_b32 s15, s13
	v_mul_lo_u32 v3, s0, v2
	v_mul_hi_u32 v3, v2, v3
	s_lshl_b64 s[0:1], s[26:27], 2
	v_add_u32_e32 v54, v2, v3
	s_add_u32 s0, s24, s0
	v_lshlrev_b32_e32 v2, 4, v47
	s_addc_u32 s1, s25, s1
	v_lshl_or_b32 v2, v48, 6, v2
	s_mov_b32 s28, s33
	v_lshl_add_u64 v[44:45], s[0:1], 0, v[34:35]
	v_add_u32_e32 v34, 0x1d0, v2
	s_mov_b64 s[6:7], 0
	v_mov_b32_e32 v40, v35
	v_mov_b32_e32 v41, v35
	;; [unrolled: 1-line block ×6, first 2 shown]
	s_branch .LBB22_50
.LBB22_48:                              ;   in Loop: Header=BB22_50 Depth=1
	s_or_b64 exec, exec, s[12:13]
	s_waitcnt vmcnt(1) lgkmcnt(0)
	v_mul_f32_e32 v30, v2, v30
	v_mul_f32_e32 v22, v2, v22
	v_mul_f32_e32 v18, v2, v18
	v_mul_f32_e32 v14, v2, v14
	v_mul_f32_e32 v10, v2, v10
	v_mul_f32_e32 v6, v2, v6
	v_fmac_f32_e32 v30, v3, v31
	v_fmac_f32_e32 v22, v3, v23
	;; [unrolled: 1-line block ×12, first 2 shown]
	s_waitcnt vmcnt(0)
	v_pk_mul_f32 v[2:3], v[2:3], v[26:27]
	v_fmac_f32_e32 v30, v5, v33
	v_fmac_f32_e32 v22, v5, v25
	v_fmac_f32_e32 v18, v5, v21
	v_fmac_f32_e32 v14, v5, v17
	v_fmac_f32_e32 v10, v5, v13
	v_fmac_f32_e32 v6, v5, v9
	v_pk_mul_f32 v[4:5], v[4:5], v[28:29]
	v_add_f32_e32 v2, v3, v2
	v_add_f32_e32 v2, v4, v2
	;; [unrolled: 1-line block ×10, first 2 shown]
.LBB22_49:                              ;   in Loop: Header=BB22_50 Depth=1
	s_or_b64 exec, exec, s[8:9]
	v_add_u32_e32 v48, 2, v48
	v_cmp_le_i32_e32 vcc, s16, v48
	v_lshl_add_u64 v[44:45], v[44:45], 0, 8
	v_add_u32_e32 v49, 32, v49
	s_or_b64 s[6:7], vcc, s[6:7]
	v_add_u32_e32 v34, 0x80, v34
	s_andn2_b64 exec, exec, s[6:7]
	s_cbranch_execz .LBB22_65
.LBB22_50:                              ; =>This Inner Loop Header: Depth=1
	v_mul_hi_u32 v2, v49, s40
	v_mul_lo_u32 v3, v2, s21
	v_sub_u32_e32 v3, v49, v3
	v_add_u32_e32 v4, 1, v2
	v_cmp_le_u32_e32 vcc, s21, v3
	s_nop 1
	v_cndmask_b32_e32 v2, v2, v4, vcc
	v_subrev_u32_e32 v4, s21, v3
	v_cndmask_b32_e32 v3, v3, v4, vcc
	v_add_u32_e32 v4, 1, v2
	v_cmp_le_u32_e32 vcc, s21, v3
	s_nop 1
	v_cndmask_b32_e32 v2, v2, v4, vcc
	v_xor_b32_e32 v2, s19, v2
	v_subrev_u32_e32 v2, s19, v2
	v_add_u32_e32 v3, s41, v2
	v_sub_u32_e32 v5, 0, v3
	v_ashrrev_i32_e32 v4, 31, v3
	v_max_i32_e32 v3, v3, v5
	v_mul_hi_u32 v5, v3, v54
	v_mul_lo_u32 v5, v5, s14
	v_sub_u32_e32 v3, v3, v5
	v_subrev_u32_e32 v5, s14, v3
	v_cmp_le_u32_e32 vcc, s14, v3
	v_cmp_lt_i32_e64 s[0:1], s17, v2
	s_nop 0
	v_cndmask_b32_e32 v3, v3, v5, vcc
	v_subrev_u32_e32 v5, s14, v3
	v_cmp_le_u32_e32 vcc, s14, v3
	s_nop 1
	v_cndmask_b32_e32 v3, v3, v5, vcc
	v_xor_b32_e32 v3, v3, v4
	v_sub_u32_e32 v3, v3, v4
	v_cmp_eq_u32_e32 vcc, 0, v3
	s_or_b64 s[0:1], vcc, s[0:1]
	s_and_saveexec_b64 s[8:9], s[0:1]
	s_cbranch_execz .LBB22_49
; %bb.51:                               ;   in Loop: Header=BB22_50 Depth=1
	global_load_dword v2, v[44:45], off
	v_add_u32_e32 v55, v53, v49
	v_add_u32_e32 v58, 1, v55
	v_or_b32_e32 v57, 3, v55
	v_or_b32_e32 v56, 2, v55
	s_waitcnt vmcnt(0)
	v_mad_i64_i32 v[2:3], s[0:1], v2, s15, 0
	v_lshl_add_u64 v[26:27], v[2:3], 2, v[42:43]
	global_load_dwordx4 v[6:9], v[26:27], off
	ds_read_b128 v[2:5], v34
	v_cmp_eq_u32_e64 s[0:1], s18, v48
	s_and_saveexec_b64 s[12:13], s[0:1]
	s_cbranch_execnz .LBB22_62
; %bb.52:                               ;   in Loop: Header=BB22_50 Depth=1
	s_or_b64 exec, exec, s[12:13]
	global_load_dwordx4 v[10:13], v[26:27], off offset:1024
	s_and_saveexec_b64 s[12:13], s[0:1]
	s_cbranch_execnz .LBB22_63
.LBB22_53:                              ;   in Loop: Header=BB22_50 Depth=1
	s_or_b64 exec, exec, s[12:13]
	global_load_dwordx4 v[14:17], v[26:27], off offset:2048
	s_and_saveexec_b64 s[12:13], s[0:1]
	s_cbranch_execnz .LBB22_64
.LBB22_54:                              ;   in Loop: Header=BB22_50 Depth=1
	s_or_b64 exec, exec, s[12:13]
	global_load_dwordx4 v[18:21], v[26:27], off offset:3072
	s_and_saveexec_b64 s[12:13], s[0:1]
	s_cbranch_execz .LBB22_56
.LBB22_55:                              ;   in Loop: Header=BB22_50 Depth=1
	v_cmp_gt_i32_e32 vcc, s28, v58
	s_waitcnt vmcnt(0)
	s_nop 0
	v_cndmask_b32_e32 v19, 0, v19, vcc
	v_cmp_gt_i32_e32 vcc, s33, v55
	s_nop 1
	v_cndmask_b32_e32 v18, 0, v18, vcc
	v_cmp_gt_i32_e32 vcc, s28, v57
	;; [unrolled: 3-line block ×3, first 2 shown]
	s_nop 1
	v_cndmask_b32_e32 v20, 0, v20, vcc
.LBB22_56:                              ;   in Loop: Header=BB22_50 Depth=1
	s_or_b64 exec, exec, s[12:13]
	v_add_co_u32_e32 v22, vcc, 0x1000, v26
	s_nop 1
	v_addc_co_u32_e32 v23, vcc, 0, v27, vcc
	global_load_dwordx4 v[22:25], v[22:23], off
	s_and_saveexec_b64 s[12:13], s[0:1]
	s_cbranch_execz .LBB22_58
; %bb.57:                               ;   in Loop: Header=BB22_50 Depth=1
	v_cmp_gt_i32_e32 vcc, s28, v58
	s_waitcnt vmcnt(0)
	s_nop 0
	v_cndmask_b32_e32 v23, 0, v23, vcc
	v_cmp_gt_i32_e32 vcc, s33, v55
	s_nop 1
	v_cndmask_b32_e32 v22, 0, v22, vcc
	v_cmp_gt_i32_e32 vcc, s28, v57
	;; [unrolled: 3-line block ×3, first 2 shown]
	s_nop 1
	v_cndmask_b32_e32 v24, 0, v24, vcc
.LBB22_58:                              ;   in Loop: Header=BB22_50 Depth=1
	s_or_b64 exec, exec, s[12:13]
	v_add_co_u32_e32 v28, vcc, 0x1000, v26
	s_nop 1
	v_addc_co_u32_e32 v29, vcc, 0, v27, vcc
	global_load_dwordx4 v[30:33], v[28:29], off offset:1024
	s_and_saveexec_b64 s[12:13], s[0:1]
	s_cbranch_execz .LBB22_60
; %bb.59:                               ;   in Loop: Header=BB22_50 Depth=1
	v_cmp_gt_i32_e32 vcc, s28, v58
	s_waitcnt vmcnt(0)
	s_nop 0
	v_cndmask_b32_e32 v31, 0, v31, vcc
	v_cmp_gt_i32_e32 vcc, s33, v55
	s_nop 1
	v_cndmask_b32_e32 v30, 0, v30, vcc
	v_cmp_gt_i32_e32 vcc, s28, v57
	;; [unrolled: 3-line block ×3, first 2 shown]
	s_nop 1
	v_cndmask_b32_e32 v32, 0, v32, vcc
.LBB22_60:                              ;   in Loop: Header=BB22_50 Depth=1
	s_or_b64 exec, exec, s[12:13]
	v_add_co_u32_e32 v26, vcc, 0x1000, v26
	s_nop 1
	v_addc_co_u32_e32 v27, vcc, 0, v27, vcc
	global_load_dwordx4 v[26:29], v[26:27], off offset:2048
	s_and_saveexec_b64 s[12:13], s[0:1]
	s_cbranch_execz .LBB22_48
; %bb.61:                               ;   in Loop: Header=BB22_50 Depth=1
	v_cmp_gt_i32_e32 vcc, s28, v58
	s_waitcnt vmcnt(0)
	s_nop 0
	v_cndmask_b32_e32 v27, 0, v27, vcc
	v_cmp_gt_i32_e32 vcc, s33, v55
	s_nop 1
	v_cndmask_b32_e32 v26, 0, v26, vcc
	v_cmp_gt_i32_e32 vcc, s28, v57
	s_nop 1
	v_cndmask_b32_e32 v29, 0, v29, vcc
	v_cmp_gt_i32_e32 vcc, s33, v56
	s_nop 1
	v_cndmask_b32_e32 v28, 0, v28, vcc
	s_branch .LBB22_48
.LBB22_62:                              ;   in Loop: Header=BB22_50 Depth=1
	v_cmp_gt_i32_e32 vcc, s28, v58
	s_waitcnt vmcnt(0)
	s_nop 0
	v_cndmask_b32_e32 v7, 0, v7, vcc
	v_cmp_gt_i32_e32 vcc, s33, v55
	s_nop 1
	v_cndmask_b32_e32 v6, 0, v6, vcc
	v_cmp_gt_i32_e32 vcc, s28, v57
	s_nop 1
	v_cndmask_b32_e32 v9, 0, v9, vcc
	v_cmp_gt_i32_e32 vcc, s33, v56
	s_nop 1
	v_cndmask_b32_e32 v8, 0, v8, vcc
	s_or_b64 exec, exec, s[12:13]
	global_load_dwordx4 v[10:13], v[26:27], off offset:1024
	s_and_saveexec_b64 s[12:13], s[0:1]
	s_cbranch_execz .LBB22_53
.LBB22_63:                              ;   in Loop: Header=BB22_50 Depth=1
	v_cmp_gt_i32_e32 vcc, s28, v58
	s_waitcnt vmcnt(0)
	s_nop 0
	v_cndmask_b32_e32 v11, 0, v11, vcc
	v_cmp_gt_i32_e32 vcc, s33, v55
	s_nop 1
	v_cndmask_b32_e32 v10, 0, v10, vcc
	v_cmp_gt_i32_e32 vcc, s28, v57
	;; [unrolled: 3-line block ×3, first 2 shown]
	s_nop 1
	v_cndmask_b32_e32 v12, 0, v12, vcc
	s_or_b64 exec, exec, s[12:13]
	global_load_dwordx4 v[14:17], v[26:27], off offset:2048
	s_and_saveexec_b64 s[12:13], s[0:1]
	s_cbranch_execz .LBB22_54
.LBB22_64:                              ;   in Loop: Header=BB22_50 Depth=1
	v_cmp_gt_i32_e32 vcc, s28, v58
	s_waitcnt vmcnt(0)
	s_nop 0
	v_cndmask_b32_e32 v15, 0, v15, vcc
	v_cmp_gt_i32_e32 vcc, s33, v55
	s_nop 1
	v_cndmask_b32_e32 v14, 0, v14, vcc
	v_cmp_gt_i32_e32 vcc, s28, v57
	;; [unrolled: 3-line block ×3, first 2 shown]
	s_nop 1
	v_cndmask_b32_e32 v16, 0, v16, vcc
	s_or_b64 exec, exec, s[12:13]
	global_load_dwordx4 v[18:21], v[26:27], off offset:3072
	s_and_saveexec_b64 s[12:13], s[0:1]
	s_cbranch_execnz .LBB22_55
	s_branch .LBB22_56
.LBB22_65:
	s_or_b64 exec, exec, s[6:7]
.LBB22_66:
	s_or_b64 exec, exec, s[2:3]
	ds_bpermute_b32 v2, v52, v40
	ds_bpermute_b32 v3, v52, v41
	;; [unrolled: 1-line block ×6, first 2 shown]
	s_waitcnt lgkmcnt(4)
	v_pk_add_f32 v[2:3], v[40:41], v[2:3]
	ds_bpermute_b32 v8, v51, v2
	ds_bpermute_b32 v9, v51, v3
	s_waitcnt lgkmcnt(4)
	v_pk_add_f32 v[4:5], v[38:39], v[4:5]
	ds_bpermute_b32 v16, v52, v35
	ds_bpermute_b32 v10, v51, v4
	;; [unrolled: 1-line block ×3, first 2 shown]
	s_waitcnt lgkmcnt(5)
	v_pk_add_f32 v[12:13], v[36:37], v[6:7]
	ds_bpermute_b32 v14, v51, v12
	ds_bpermute_b32 v15, v51, v13
	s_waitcnt lgkmcnt(5)
	v_pk_add_f32 v[6:7], v[2:3], v[8:9]
	s_waitcnt lgkmcnt(4)
	v_add_f32_e32 v9, v35, v16
	s_waitcnt lgkmcnt(2)
	v_pk_add_f32 v[4:5], v[4:5], v[10:11]
	ds_bpermute_b32 v10, v51, v9
	v_and_b32_e32 v8, 0x3c3, v0
	s_waitcnt lgkmcnt(1)
	v_pk_add_f32 v[2:3], v[12:13], v[14:15]
	v_cmp_ne_u32_e32 vcc, 64, v8
	s_waitcnt lgkmcnt(0)
	s_barrier
	s_and_saveexec_b64 s[0:1], vcc
	s_xor_b64 s[0:1], exec, s[0:1]
; %bb.67:
                                        ; implicit-def: $vgpr50
; %bb.68:
	s_or_saveexec_b64 s[0:1], s[0:1]
	v_add_f32_e32 v9, v9, v10
	s_xor_b64 exec, exec, s[0:1]
	s_cbranch_execz .LBB22_70
; %bb.69:
	v_add_u32_e32 v10, 0x1d0, v50
	ds_write2_b32 v10, v6, v7 offset1:16
	ds_write2_b32 v10, v4, v5 offset0:32 offset1:48
	ds_write2_b32 v10, v2, v3 offset0:64 offset1:80
	ds_write_b32 v10, v9 offset:384
.LBB22_70:
	s_or_b64 exec, exec, s[0:1]
	v_cmp_gt_u32_e32 vcc, 64, v0
	s_waitcnt lgkmcnt(0)
	s_barrier
	s_and_saveexec_b64 s[0:1], vcc
	s_cbranch_execz .LBB22_80
; %bb.71:
	v_mov_b32_e32 v0, 0x1d0
	v_cmp_eq_u32_e32 vcc, 0, v47
	v_lshl_add_u32 v0, v46, 2, v0
	s_and_saveexec_b64 s[2:3], vcc
	s_cbranch_execnz .LBB22_83
; %bb.72:
	s_or_b64 exec, exec, s[2:3]
	s_and_saveexec_b64 s[2:3], vcc
	s_cbranch_execnz .LBB22_84
.LBB22_73:
	s_or_b64 exec, exec, s[2:3]
	s_and_saveexec_b64 s[2:3], vcc
	s_cbranch_execnz .LBB22_85
.LBB22_74:
	s_or_b64 exec, exec, s[2:3]
	s_and_saveexec_b64 s[2:3], vcc
	s_cbranch_execnz .LBB22_86
.LBB22_75:
	s_or_b64 exec, exec, s[2:3]
	s_and_saveexec_b64 s[2:3], vcc
	s_cbranch_execnz .LBB22_87
.LBB22_76:
	s_or_b64 exec, exec, s[2:3]
	s_and_saveexec_b64 s[2:3], vcc
	s_cbranch_execnz .LBB22_88
.LBB22_77:
	s_or_b64 exec, exec, s[2:3]
	s_and_saveexec_b64 s[2:3], vcc
	s_cbranch_execz .LBB22_79
.LBB22_78:
	ds_read_b32 v0, v0 offset:384
	s_waitcnt lgkmcnt(0)
	v_add_f32_e32 v9, v9, v0
.LBB22_79:
	s_or_b64 exec, exec, s[2:3]
.LBB22_80:
	s_or_b64 exec, exec, s[0:1]
	v_cmp_eq_u32_e32 vcc, 0, v8
	s_barrier
	s_and_saveexec_b64 s[0:1], vcc
	s_cbranch_execz .LBB22_82
; %bb.81:
	s_mul_i32 s0, s10, s11
	s_mul_i32 s0, s0, s5
	s_mulk_i32 s0, 0x70
	s_ashr_i32 s1, s0, 31
	s_lshl_b64 s[0:1], s[0:1], 2
	s_add_u32 s2, s22, s0
	s_mul_i32 s0, s11, s20
	s_addc_u32 s3, s23, s1
	s_ashr_i32 s1, s0, 31
	s_lshl_b64 s[0:1], s[0:1], 2
	s_add_u32 s2, s2, s0
	s_mul_i32 s0, s4, 0x70
	s_addc_u32 s3, s3, s1
	s_ashr_i32 s1, s0, 31
	s_lshl_b64 s[0:1], s[0:1], 2
	s_add_u32 s0, s2, s0
	s_addc_u32 s1, s3, s1
	global_store_dword v1, v6, s[0:1]
	global_store_dword v1, v7, s[0:1] offset:64
	global_store_dword v1, v4, s[0:1] offset:128
	;; [unrolled: 1-line block ×6, first 2 shown]
.LBB22_82:
	s_endpgm
.LBB22_83:
	ds_read_b32 v10, v0
	s_waitcnt lgkmcnt(0)
	v_add_f32_e32 v6, v6, v10
	s_or_b64 exec, exec, s[2:3]
	s_and_saveexec_b64 s[2:3], vcc
	s_cbranch_execz .LBB22_73
.LBB22_84:
	ds_read_b32 v10, v0 offset:64
	s_waitcnt lgkmcnt(0)
	v_add_f32_e32 v7, v7, v10
	s_or_b64 exec, exec, s[2:3]
	s_and_saveexec_b64 s[2:3], vcc
	s_cbranch_execz .LBB22_74
.LBB22_85:
	ds_read_b32 v10, v0 offset:128
	s_waitcnt lgkmcnt(0)
	v_add_f32_e32 v4, v4, v10
	s_or_b64 exec, exec, s[2:3]
	s_and_saveexec_b64 s[2:3], vcc
	s_cbranch_execz .LBB22_75
.LBB22_86:
	ds_read_b32 v10, v0 offset:192
	s_waitcnt lgkmcnt(0)
	v_add_f32_e32 v5, v5, v10
	s_or_b64 exec, exec, s[2:3]
	s_and_saveexec_b64 s[2:3], vcc
	s_cbranch_execz .LBB22_76
.LBB22_87:
	ds_read_b32 v10, v0 offset:256
	s_waitcnt lgkmcnt(0)
	v_add_f32_e32 v2, v2, v10
	s_or_b64 exec, exec, s[2:3]
	s_and_saveexec_b64 s[2:3], vcc
	s_cbranch_execz .LBB22_77
.LBB22_88:
	ds_read_b32 v10, v0 offset:320
	s_waitcnt lgkmcnt(0)
	v_add_f32_e32 v3, v3, v10
	s_or_b64 exec, exec, s[2:3]
	s_and_saveexec_b64 s[2:3], vcc
	s_cbranch_execnz .LBB22_78
	s_branch .LBB22_79
	.section	.rodata,"a",@progbits
	.p2align	6, 0x0
	.amdhsa_kernel _ZN4vllm25paged_attention_v1_kernelIffLi112ELi16ELi128ELNS_18Fp8KVCacheDataTypeE0ELb1EEEvPT_PKS2_PKT0_S8_ifPKiSA_iPKfiiiSC_SC_iiiii
		.amdhsa_group_segment_fixed_size 464
		.amdhsa_private_segment_fixed_size 0
		.amdhsa_kernarg_size 384
		.amdhsa_user_sgpr_count 2
		.amdhsa_user_sgpr_dispatch_ptr 0
		.amdhsa_user_sgpr_queue_ptr 0
		.amdhsa_user_sgpr_kernarg_segment_ptr 1
		.amdhsa_user_sgpr_dispatch_id 0
		.amdhsa_user_sgpr_kernarg_preload_length 0
		.amdhsa_user_sgpr_kernarg_preload_offset 0
		.amdhsa_user_sgpr_private_segment_size 0
		.amdhsa_uses_dynamic_stack 0
		.amdhsa_enable_private_segment 0
		.amdhsa_system_sgpr_workgroup_id_x 1
		.amdhsa_system_sgpr_workgroup_id_y 1
		.amdhsa_system_sgpr_workgroup_id_z 1
		.amdhsa_system_sgpr_workgroup_info 0
		.amdhsa_system_vgpr_workitem_id 0
		.amdhsa_next_free_vgpr 83
		.amdhsa_next_free_sgpr 45
		.amdhsa_accum_offset 84
		.amdhsa_reserve_vcc 1
		.amdhsa_float_round_mode_32 0
		.amdhsa_float_round_mode_16_64 0
		.amdhsa_float_denorm_mode_32 3
		.amdhsa_float_denorm_mode_16_64 3
		.amdhsa_dx10_clamp 1
		.amdhsa_ieee_mode 1
		.amdhsa_fp16_overflow 0
		.amdhsa_tg_split 0
		.amdhsa_exception_fp_ieee_invalid_op 0
		.amdhsa_exception_fp_denorm_src 0
		.amdhsa_exception_fp_ieee_div_zero 0
		.amdhsa_exception_fp_ieee_overflow 0
		.amdhsa_exception_fp_ieee_underflow 0
		.amdhsa_exception_fp_ieee_inexact 0
		.amdhsa_exception_int_div_zero 0
	.end_amdhsa_kernel
	.section	.text._ZN4vllm25paged_attention_v1_kernelIffLi112ELi16ELi128ELNS_18Fp8KVCacheDataTypeE0ELb1EEEvPT_PKS2_PKT0_S8_ifPKiSA_iPKfiiiSC_SC_iiiii,"axG",@progbits,_ZN4vllm25paged_attention_v1_kernelIffLi112ELi16ELi128ELNS_18Fp8KVCacheDataTypeE0ELb1EEEvPT_PKS2_PKT0_S8_ifPKiSA_iPKfiiiSC_SC_iiiii,comdat
.Lfunc_end22:
	.size	_ZN4vllm25paged_attention_v1_kernelIffLi112ELi16ELi128ELNS_18Fp8KVCacheDataTypeE0ELb1EEEvPT_PKS2_PKT0_S8_ifPKiSA_iPKfiiiSC_SC_iiiii, .Lfunc_end22-_ZN4vllm25paged_attention_v1_kernelIffLi112ELi16ELi128ELNS_18Fp8KVCacheDataTypeE0ELb1EEEvPT_PKS2_PKT0_S8_ifPKiSA_iPKfiiiSC_SC_iiiii
                                        ; -- End function
	.set _ZN4vllm25paged_attention_v1_kernelIffLi112ELi16ELi128ELNS_18Fp8KVCacheDataTypeE0ELb1EEEvPT_PKS2_PKT0_S8_ifPKiSA_iPKfiiiSC_SC_iiiii.num_vgpr, 83
	.set _ZN4vllm25paged_attention_v1_kernelIffLi112ELi16ELi128ELNS_18Fp8KVCacheDataTypeE0ELb1EEEvPT_PKS2_PKT0_S8_ifPKiSA_iPKfiiiSC_SC_iiiii.num_agpr, 0
	.set _ZN4vllm25paged_attention_v1_kernelIffLi112ELi16ELi128ELNS_18Fp8KVCacheDataTypeE0ELb1EEEvPT_PKS2_PKT0_S8_ifPKiSA_iPKfiiiSC_SC_iiiii.numbered_sgpr, 45
	.set _ZN4vllm25paged_attention_v1_kernelIffLi112ELi16ELi128ELNS_18Fp8KVCacheDataTypeE0ELb1EEEvPT_PKS2_PKT0_S8_ifPKiSA_iPKfiiiSC_SC_iiiii.num_named_barrier, 0
	.set _ZN4vllm25paged_attention_v1_kernelIffLi112ELi16ELi128ELNS_18Fp8KVCacheDataTypeE0ELb1EEEvPT_PKS2_PKT0_S8_ifPKiSA_iPKfiiiSC_SC_iiiii.private_seg_size, 0
	.set _ZN4vllm25paged_attention_v1_kernelIffLi112ELi16ELi128ELNS_18Fp8KVCacheDataTypeE0ELb1EEEvPT_PKS2_PKT0_S8_ifPKiSA_iPKfiiiSC_SC_iiiii.uses_vcc, 1
	.set _ZN4vllm25paged_attention_v1_kernelIffLi112ELi16ELi128ELNS_18Fp8KVCacheDataTypeE0ELb1EEEvPT_PKS2_PKT0_S8_ifPKiSA_iPKfiiiSC_SC_iiiii.uses_flat_scratch, 0
	.set _ZN4vllm25paged_attention_v1_kernelIffLi112ELi16ELi128ELNS_18Fp8KVCacheDataTypeE0ELb1EEEvPT_PKS2_PKT0_S8_ifPKiSA_iPKfiiiSC_SC_iiiii.has_dyn_sized_stack, 0
	.set _ZN4vllm25paged_attention_v1_kernelIffLi112ELi16ELi128ELNS_18Fp8KVCacheDataTypeE0ELb1EEEvPT_PKS2_PKT0_S8_ifPKiSA_iPKfiiiSC_SC_iiiii.has_recursion, 0
	.set _ZN4vllm25paged_attention_v1_kernelIffLi112ELi16ELi128ELNS_18Fp8KVCacheDataTypeE0ELb1EEEvPT_PKS2_PKT0_S8_ifPKiSA_iPKfiiiSC_SC_iiiii.has_indirect_call, 0
	.section	.AMDGPU.csdata,"",@progbits
; Kernel info:
; codeLenInByte = 5376
; TotalNumSgprs: 51
; NumVgprs: 83
; NumAgprs: 0
; TotalNumVgprs: 83
; ScratchSize: 0
; MemoryBound: 0
; FloatMode: 240
; IeeeMode: 1
; LDSByteSize: 464 bytes/workgroup (compile time only)
; SGPRBlocks: 6
; VGPRBlocks: 10
; NumSGPRsForWavesPerEU: 51
; NumVGPRsForWavesPerEU: 83
; AccumOffset: 84
; Occupancy: 5
; WaveLimiterHint : 1
; COMPUTE_PGM_RSRC2:SCRATCH_EN: 0
; COMPUTE_PGM_RSRC2:USER_SGPR: 2
; COMPUTE_PGM_RSRC2:TRAP_HANDLER: 0
; COMPUTE_PGM_RSRC2:TGID_X_EN: 1
; COMPUTE_PGM_RSRC2:TGID_Y_EN: 1
; COMPUTE_PGM_RSRC2:TGID_Z_EN: 1
; COMPUTE_PGM_RSRC2:TIDIG_COMP_CNT: 0
; COMPUTE_PGM_RSRC3_GFX90A:ACCUM_OFFSET: 20
; COMPUTE_PGM_RSRC3_GFX90A:TG_SPLIT: 0
	.section	.text._ZN4vllm25paged_attention_v1_kernelIffLi120ELi16ELi128ELNS_18Fp8KVCacheDataTypeE0ELb1EEEvPT_PKS2_PKT0_S8_ifPKiSA_iPKfiiiSC_SC_iiiii,"axG",@progbits,_ZN4vllm25paged_attention_v1_kernelIffLi120ELi16ELi128ELNS_18Fp8KVCacheDataTypeE0ELb1EEEvPT_PKS2_PKT0_S8_ifPKiSA_iPKfiiiSC_SC_iiiii,comdat
	.protected	_ZN4vllm25paged_attention_v1_kernelIffLi120ELi16ELi128ELNS_18Fp8KVCacheDataTypeE0ELb1EEEvPT_PKS2_PKT0_S8_ifPKiSA_iPKfiiiSC_SC_iiiii ; -- Begin function _ZN4vllm25paged_attention_v1_kernelIffLi120ELi16ELi128ELNS_18Fp8KVCacheDataTypeE0ELb1EEEvPT_PKS2_PKT0_S8_ifPKiSA_iPKfiiiSC_SC_iiiii
	.globl	_ZN4vllm25paged_attention_v1_kernelIffLi120ELi16ELi128ELNS_18Fp8KVCacheDataTypeE0ELb1EEEvPT_PKS2_PKT0_S8_ifPKiSA_iPKfiiiSC_SC_iiiii
	.p2align	8
	.type	_ZN4vllm25paged_attention_v1_kernelIffLi120ELi16ELi128ELNS_18Fp8KVCacheDataTypeE0ELb1EEEvPT_PKS2_PKT0_S8_ifPKiSA_iPKfiiiSC_SC_iiiii,@function
_ZN4vllm25paged_attention_v1_kernelIffLi120ELi16ELi128ELNS_18Fp8KVCacheDataTypeE0ELb1EEEvPT_PKS2_PKT0_S8_ifPKiSA_iPKfiiiSC_SC_iiiii: ; @_ZN4vllm25paged_attention_v1_kernelIffLi120ELi16ELi128ELNS_18Fp8KVCacheDataTypeE0ELb1EEEvPT_PKS2_PKT0_S8_ifPKiSA_iPKfiiiSC_SC_iiiii
; %bb.0:
	s_load_dword s5, s[0:1], 0x80
	s_load_dwordx2 s[6:7], s[0:1], 0x30
	s_load_dwordx2 s[30:31], s[0:1], 0x20
	s_mov_b32 s10, s3
	s_ashr_i32 s11, s3, 31
	s_lshl_b64 s[8:9], s[10:11], 2
	s_waitcnt lgkmcnt(0)
	s_add_u32 s6, s6, s8
	s_addc_u32 s7, s7, s9
	s_abs_i32 s3, s30
	v_cvt_f32_u32_e32 v1, s3
	s_sub_i32 s11, 0, s3
	s_abs_i32 s9, s5
	s_xor_b32 s8, s5, s30
	v_rcp_iflag_f32_e32 v1, v1
	s_ashr_i32 s8, s8, 31
	s_mov_b32 s44, 0
	v_mul_f32_e32 v1, 0x4f7ffffe, v1
	v_cvt_u32_f32_e32 v1, v1
	s_nop 0
	v_readfirstlane_b32 s12, v1
	s_mul_i32 s11, s11, s12
	s_mul_hi_u32 s11, s12, s11
	s_add_i32 s12, s12, s11
	s_mul_hi_u32 s11, s9, s12
	s_mul_i32 s12, s11, s3
	s_sub_i32 s9, s9, s12
	s_add_i32 s12, s11, 1
	s_sub_i32 s13, s9, s3
	s_cmp_ge_u32 s9, s3
	s_cselect_b32 s11, s12, s11
	s_cselect_b32 s9, s13, s9
	s_add_i32 s12, s11, 1
	s_cmp_ge_u32 s9, s3
	s_cselect_b32 s3, s12, s11
	s_xor_b32 s3, s3, s8
	s_sub_i32 s12, s3, s8
	s_abs_i32 s11, s12
	v_cvt_f32_u32_e32 v1, s11
	s_load_dwordx2 s[8:9], s[0:1], 0x40
	s_sub_i32 s3, 0, s11
	s_abs_i32 s22, s2
	v_rcp_iflag_f32_e32 v1, v1
	s_nop 0
	v_mul_f32_e32 v1, 0x4f7ffffe, v1
	v_cvt_u32_f32_e32 v1, v1
	s_nop 0
	v_readfirstlane_b32 s13, v1
	s_mul_i32 s3, s3, s13
	s_mul_hi_u32 s3, s13, s3
	s_add_i32 s13, s13, s3
	s_waitcnt lgkmcnt(0)
	s_cmp_eq_u64 s[8:9], 0
	s_mul_hi_u32 s23, s22, s13
	s_cbranch_scc1 .LBB23_2
; %bb.1:
	s_ashr_i32 s3, s2, 31
	s_lshl_b64 s[14:15], s[2:3], 2
	s_add_u32 s8, s8, s14
	s_addc_u32 s9, s9, s15
	s_load_dword s44, s[8:9], 0x0
.LBB23_2:
	s_load_dword s33, s[6:7], 0x0
	s_ashr_i32 s9, s12, 31
	s_load_dwordx4 s[12:15], s[0:1], 0x48
	v_lshrrev_b32_e32 v52, 2, v0
	s_movk_i32 s8, 0x78
	s_ashr_i32 s3, s2, 31
	v_and_b32_e32 v53, 3, v0
	s_mul_i32 s20, s2, 0x78
	v_cmp_gt_u32_e32 vcc, s8, v0
	v_lshlrev_b32_e32 v6, 2, v0
	v_lshlrev_b32_e32 v1, 2, v52
	s_and_saveexec_b64 s[6:7], vcc
	s_cbranch_execz .LBB23_4
; %bb.3:
	s_load_dwordx2 s[16:17], s[0:1], 0x8
	s_waitcnt lgkmcnt(0)
	s_mul_i32 s18, s12, s10
	s_ashr_i32 s19, s18, 31
	s_lshl_b64 s[18:19], s[18:19], 2
	v_mad_u32_u24 v3, v53, s8, v1
	s_add_u32 s12, s16, s18
	s_addc_u32 s15, s17, s19
	s_ashr_i32 s21, s20, 31
	s_lshl_b64 s[16:17], s[20:21], 2
	s_add_u32 s16, s12, s16
	s_addc_u32 s17, s15, s17
	global_load_dword v2, v6, s[16:17]
	s_waitcnt vmcnt(0)
	ds_write_b32 v3, v2
.LBB23_4:
	s_or_b64 exec, exec, s[6:7]
	s_mul_i32 s6, s23, s11
	s_sub_i32 s6, s22, s6
	s_xor_b32 s3, s3, s9
	s_add_i32 s7, s23, 1
	s_sub_i32 s9, s6, s11
	s_load_dwordx4 s[16:19], s[0:1], 0x68
	s_load_dword s8, s[0:1], 0x78
	s_cmp_ge_u32 s6, s11
	s_cselect_b32 s7, s7, s23
	s_cselect_b32 s6, s9, s6
	s_add_i32 s9, s7, 1
	s_cmp_ge_u32 s6, s11
	s_cselect_b32 s6, s9, s7
	s_waitcnt lgkmcnt(0)
	s_abs_i32 s21, s19
	v_cvt_f32_u32_e32 v2, s21
	s_xor_b32 s6, s6, s3
	s_sub_i32 s3, s6, s3
	s_sub_i32 s6, 0, s21
	v_rcp_iflag_f32_e32 v2, v2
	s_add_i32 s11, s33, -1
	s_abs_i32 s9, s11
	v_mul_f32_e32 v2, 0x4f7ffffe, v2
	v_cvt_u32_f32_e32 v2, v2
	s_barrier
	v_readfirstlane_b32 s40, v2
	s_mul_i32 s6, s6, s40
	s_mul_hi_u32 s6, s40, s6
	s_add_i32 s40, s40, s6
	s_cmp_lt_i32 s8, 0
	s_mul_hi_u32 s12, s9, s40
	s_cbranch_scc0 .LBB23_6
; %bb.5:
	s_mul_i32 s6, s16, s30
	s_add_i32 s6, s3, s6
	s_mul_i32 s6, s6, s8
	s_sub_i32 s41, 1, s6
	s_mov_b64 s[6:7], 0
	s_branch .LBB23_7
.LBB23_6:
	s_mov_b64 s[6:7], -1
                                        ; implicit-def: $sgpr41
.LBB23_7:
	s_load_dwordx2 s[24:25], s[0:1], 0x28
	s_ashr_i32 s15, s11, 31
	s_andn2_b64 vcc, exec, s[6:7]
	s_ashr_i32 s42, s19, 31
	s_cbranch_vccnz .LBB23_9
; %bb.8:
	s_mul_i32 s6, s5, s16
	s_add_i32 s2, s6, s2
	s_mul_i32 s2, s2, s8
	s_add_i32 s41, s2, 1
.LBB23_9:
	s_load_dword s2, s[0:1], 0x38
	s_load_dwordx2 s[22:23], s[0:1], 0x0
	s_load_dwordx2 s[28:29], s[0:1], 0x18
	s_load_dword s11, s[0:1], 0x88
	s_xor_b32 s6, s15, s42
	s_waitcnt lgkmcnt(0)
	s_mul_i32 s26, s2, s10
	s_mul_i32 s2, s12, s21
	s_sub_i32 s2, s9, s2
	s_ashr_i32 s27, s26, 31
	s_add_i32 s7, s12, 1
	s_sub_i32 s8, s2, s21
	s_cmp_ge_u32 s2, s21
	s_cselect_b32 s7, s7, s12
	s_cselect_b32 s2, s8, s2
	s_add_i32 s8, s7, 1
	s_cmp_ge_u32 s2, s21
	s_cselect_b32 s2, s8, s7
	s_xor_b32 s2, s2, s6
	s_sub_i32 s12, s2, s6
	s_add_i32 s2, s33, 15
	s_ashr_i32 s6, s2, 31
	s_lshr_b32 s6, s6, 28
	s_add_i32 s2, s2, s6
	s_ashr_i32 s43, s2, 4
	v_lshrrev_b32_e32 v54, 6, v0
	v_cmp_le_i32_e64 s[6:7], s43, v54
	v_cmp_gt_i32_e32 vcc, s43, v54
	v_mov_b32_e32 v11, 0xff7fffff
	s_mul_i32 s14, s3, s14
	v_lshrrev_b32_e32 v7, 4, v0
	v_lshlrev_b32_e32 v55, 4, v54
	v_mbcnt_lo_u32_b32 v8, -1, 0
	s_and_saveexec_b64 s[34:35], vcc
	s_cbranch_execz .LBB23_21
; %bb.10:
	s_load_dwordx2 s[0:1], s[0:1], 0x10
	s_ashr_i32 s15, s14, 31
	s_sub_i32 s16, s12, s17
	s_lshl_b64 s[2:3], s[14:15], 2
	v_bfe_u32 v9, v0, 2, 4
	s_waitcnt lgkmcnt(0)
	s_add_u32 s0, s0, s2
	s_addc_u32 s1, s1, s3
	s_abs_i32 s15, s18
	v_cvt_f32_u32_e32 v2, s15
	v_lshlrev_b32_e32 v4, 4, v9
	v_mov_b32_e32 v5, 0
	v_lshlrev_b32_e32 v11, 2, v9
	v_rcp_iflag_f32_e32 v10, v2
	v_lshl_add_u64 v[2:3], s[0:1], 0, v[4:5]
	v_lshlrev_b32_e32 v4, 2, v53
	v_lshl_add_u64 v[2:3], v[2:3], 0, v[4:5]
	v_mul_f32_e32 v4, 0x4f7ffffe, v10
	v_cvt_u32_f32_e32 v4, v4
	s_sub_i32 s0, 0, s15
	v_lshl_or_b32 v11, v54, 6, v11
	v_mbcnt_hi_u32_b32 v17, -1, v8
	v_mul_lo_u32 v12, s0, v4
	s_lshl_b64 s[0:1], s[26:27], 2
	v_mul_hi_u32 v12, v4, v12
	s_add_u32 s0, s24, s0
	v_add_u32_e32 v12, v4, v12
	v_and_b32_e32 v4, 60, v7
	s_addc_u32 s1, s25, s1
	v_subrev_u32_e32 v14, s33, v9
	v_add_u32_e32 v15, 0x1f0, v11
	v_and_b32_e32 v11, 64, v17
	v_cmp_eq_u32_e32 vcc, 0, v53
	s_mov_b32 s19, s13
	v_mul_u32_u24_e32 v10, 0x78, v53
	v_cmp_neq_f32_e64 s[2:3], s44, 0
	v_lshl_add_u64 v[4:5], s[0:1], 0, v[4:5]
	v_lshlrev_b32_e32 v13, 4, v54
	v_add_u32_e32 v14, 1, v14
	v_mov_b32_e32 v16, 0xff7fffff
	s_mov_b64 s[36:37], 0
	s_movk_i32 s30, 0x1000
	v_add_u32_e32 v18, 64, v11
	v_xor_b32_e32 v19, 2, v17
	v_xor_b32_e32 v20, 1, v17
	v_mov_b32_e32 v11, 0xff7fffff
	v_mov_b32_e32 v21, v54
	s_branch .LBB23_13
.LBB23_11:                              ;   in Loop: Header=BB23_13 Depth=1
	s_or_b64 exec, exec, s[38:39]
.LBB23_12:                              ;   in Loop: Header=BB23_13 Depth=1
	s_or_b64 exec, exec, s[8:9]
	v_add_u32_e32 v21, 2, v21
	v_cmp_le_i32_e64 s[0:1], s43, v21
	v_lshl_add_u64 v[4:5], v[4:5], 0, 8
	v_add_u32_e32 v13, 32, v13
	s_or_b64 s[36:37], s[0:1], s[36:37]
	v_add_u32_e32 v15, 0x80, v15
	s_andn2_b64 exec, exec, s[36:37]
	s_cbranch_execz .LBB23_20
.LBB23_13:                              ; =>This Inner Loop Header: Depth=1
	v_mul_hi_u32 v22, v13, s40
	s_waitcnt lgkmcnt(0)
	v_mul_lo_u32 v23, v22, s21
	v_sub_u32_e32 v23, v13, v23
	v_add_u32_e32 v24, 1, v22
	v_cmp_le_u32_e64 s[0:1], s21, v23
	s_nop 1
	v_cndmask_b32_e64 v22, v22, v24, s[0:1]
	v_subrev_u32_e32 v24, s21, v23
	v_cndmask_b32_e64 v23, v23, v24, s[0:1]
	v_add_u32_e32 v24, 1, v22
	v_cmp_le_u32_e64 s[0:1], s21, v23
	s_nop 1
	v_cndmask_b32_e64 v22, v22, v24, s[0:1]
	v_xor_b32_e32 v22, s42, v22
	v_subrev_u32_e32 v22, s42, v22
	v_add_u32_e32 v23, s41, v22
	v_sub_u32_e32 v25, 0, v23
	v_ashrrev_i32_e32 v24, 31, v23
	v_max_i32_e32 v23, v23, v25
	v_mul_hi_u32 v25, v23, v12
	v_mul_lo_u32 v25, v25, s15
	v_sub_u32_e32 v23, v23, v25
	v_subrev_u32_e32 v25, s15, v23
	v_cmp_le_u32_e64 s[0:1], s15, v23
	v_cmp_ge_i32_e64 s[8:9], s16, v22
	s_nop 0
	v_cndmask_b32_e64 v23, v23, v25, s[0:1]
	v_subrev_u32_e32 v25, s15, v23
	v_cmp_le_u32_e64 s[0:1], s15, v23
	s_nop 1
	v_cndmask_b32_e64 v23, v23, v25, s[0:1]
	v_xor_b32_e32 v23, v23, v24
	v_sub_u32_e32 v23, v23, v24
	v_cmp_ne_u32_e64 s[0:1], 0, v23
	s_and_b64 s[0:1], s[0:1], s[8:9]
	s_and_saveexec_b64 s[8:9], s[0:1]
	s_xor_b64 s[0:1], exec, s[8:9]
	s_cbranch_execz .LBB23_17
; %bb.14:                               ;   in Loop: Header=BB23_13 Depth=1
	s_and_saveexec_b64 s[8:9], vcc
; %bb.15:                               ;   in Loop: Header=BB23_13 Depth=1
	ds_write_b32 v15, v16
; %bb.16:                               ;   in Loop: Header=BB23_13 Depth=1
	s_or_b64 exec, exec, s[8:9]
.LBB23_17:                              ;   in Loop: Header=BB23_13 Depth=1
	s_andn2_saveexec_b64 s[8:9], s[0:1]
	s_cbranch_execz .LBB23_12
; %bb.18:                               ;   in Loop: Header=BB23_13 Depth=1
	global_load_dword v22, v[4:5], off
	s_waitcnt vmcnt(0)
	v_mad_i64_i32 v[22:23], s[0:1], v22, s19, 0
	v_lshl_add_u64 v[22:23], v[22:23], 2, v[2:3]
	global_load_dword v56, v[22:23], off offset:256
	global_load_dword v57, v[22:23], off offset:512
	;; [unrolled: 1-line block ×7, first 2 shown]
	global_load_dword v63, v[22:23], off
	global_load_dword v64, v[22:23], off offset:2048
	global_load_dword v65, v[22:23], off offset:2304
	;; [unrolled: 1-line block ×8, first 2 shown]
	v_add_co_u32_e64 v22, s[0:1], s30, v22
	s_nop 1
	v_addc_co_u32_e64 v23, s[0:1], 0, v23, s[0:1]
	global_load_dword v72, v[22:23], off
	global_load_dword v73, v[22:23], off offset:256
	global_load_dword v74, v[22:23], off offset:512
	;; [unrolled: 1-line block ×13, first 2 shown]
	ds_read2_b64 v[22:25], v10 offset1:1
	ds_read2_b64 v[26:29], v10 offset0:2 offset1:3
	ds_read2_b64 v[30:33], v10 offset0:4 offset1:5
	;; [unrolled: 1-line block ×6, first 2 shown]
	ds_read_b64 v[50:51], v10 offset:112
	v_cmp_lt_i32_e64 s[0:1], v19, v18
	s_waitcnt vmcnt(29) lgkmcnt(7)
	v_mul_f32_e32 v23, v23, v56
	v_cndmask_b32_e64 v86, v17, v19, s[0:1]
	v_cmp_lt_i32_e64 s[0:1], v20, v18
	s_waitcnt vmcnt(22)
	v_fmac_f32_e32 v23, v22, v63
	v_fmac_f32_e32 v23, v24, v57
	;; [unrolled: 1-line block ×3, first 2 shown]
	s_waitcnt lgkmcnt(6)
	v_fmac_f32_e32 v23, v26, v59
	v_fmac_f32_e32 v23, v27, v60
	;; [unrolled: 1-line block ×4, first 2 shown]
	s_waitcnt vmcnt(21) lgkmcnt(5)
	v_fmac_f32_e32 v23, v30, v64
	s_waitcnt vmcnt(20)
	v_fmac_f32_e32 v23, v31, v65
	s_waitcnt vmcnt(19)
	v_fmac_f32_e32 v23, v32, v66
	s_waitcnt vmcnt(18)
	v_fmac_f32_e32 v23, v33, v67
	s_waitcnt vmcnt(17) lgkmcnt(4)
	v_fmac_f32_e32 v23, v34, v68
	s_waitcnt vmcnt(16)
	v_fmac_f32_e32 v23, v35, v69
	s_waitcnt vmcnt(15)
	v_fmac_f32_e32 v23, v36, v70
	s_waitcnt vmcnt(14)
	v_fmac_f32_e32 v23, v37, v71
	;; [unrolled: 8-line block ×5, first 2 shown]
	s_waitcnt vmcnt(1) lgkmcnt(0)
	v_fmac_f32_e32 v23, v50, v84
	v_lshlrev_b32_e32 v22, 2, v86
	s_waitcnt vmcnt(0)
	v_fmac_f32_e32 v23, v51, v85
	ds_bpermute_b32 v22, v22, v23
	v_cndmask_b32_e64 v24, v17, v20, s[0:1]
	v_lshlrev_b32_e32 v24, 2, v24
	s_waitcnt lgkmcnt(0)
	v_add_f32_e32 v22, v23, v22
	ds_bpermute_b32 v23, v24, v22
	s_and_saveexec_b64 s[38:39], vcc
	s_cbranch_execz .LBB23_11
; %bb.19:                               ;   in Loop: Header=BB23_13 Depth=1
	v_add_u32_e32 v24, v14, v13
	v_cvt_f32_i32_e32 v24, v24
	s_waitcnt lgkmcnt(0)
	v_add_f32_e32 v22, v22, v23
	v_add_u32_e32 v25, v9, v13
	v_cmp_gt_i32_e64 s[0:1], s33, v25
	v_mul_f32_e32 v23, s44, v24
	v_cndmask_b32_e64 v23, 0, v23, s[2:3]
	v_fmac_f32_e32 v23, s31, v22
	v_cndmask_b32_e64 v22, 0, v23, s[0:1]
	ds_write_b32 v15, v22
	v_max_f32_e32 v22, v11, v11
	v_max_f32_e32 v22, v22, v23
	v_cndmask_b32_e64 v11, v11, v22, s[0:1]
	s_branch .LBB23_11
.LBB23_20:
	s_or_b64 exec, exec, s[36:37]
.LBB23_21:
	s_or_b64 exec, exec, s[34:35]
	v_mbcnt_hi_u32_b32 v2, -1, v8
	v_and_b32_e32 v13, 64, v2
	v_add_u32_e32 v3, 64, v13
	v_xor_b32_e32 v4, 32, v2
	v_cmp_lt_i32_e32 vcc, v4, v3
	v_xor_b32_e32 v9, 16, v2
	v_max_f32_e32 v8, v11, v11
	v_cndmask_b32_e32 v4, v2, v4, vcc
	v_lshlrev_b32_e32 v5, 2, v4
	ds_bpermute_b32 v4, v5, v11
	v_cmp_lt_i32_e32 vcc, v9, v3
	v_xor_b32_e32 v10, 8, v2
	v_xor_b32_e32 v12, 4, v2
	s_waitcnt lgkmcnt(0)
	v_max_f32_e32 v4, v4, v4
	v_max_f32_e32 v4, v8, v4
	v_cndmask_b32_e32 v8, v2, v9, vcc
	v_lshlrev_b32_e32 v8, 2, v8
	ds_bpermute_b32 v9, v8, v4
	v_cmp_lt_i32_e32 vcc, v10, v3
	s_waitcnt lgkmcnt(0)
	v_max_f32_e32 v9, v9, v9
	v_max_f32_e32 v4, v4, v9
	v_cndmask_b32_e32 v9, v2, v10, vcc
	v_lshlrev_b32_e32 v11, 2, v9
	ds_bpermute_b32 v9, v11, v4
	v_cmp_lt_i32_e32 vcc, v12, v3
	s_waitcnt lgkmcnt(0)
	v_max_f32_e32 v9, v9, v9
	v_max_f32_e32 v10, v4, v9
	v_cndmask_b32_e32 v4, v2, v12, vcc
	v_lshlrev_b32_e32 v12, 2, v4
	ds_bpermute_b32 v14, v12, v10
	v_and_b32_e32 v4, 63, v0
	v_cmp_eq_u32_e32 vcc, 0, v4
	v_lshlrev_b32_e32 v9, 2, v54
	s_and_saveexec_b64 s[0:1], vcc
	s_cbranch_execz .LBB23_23
; %bb.22:
	s_waitcnt lgkmcnt(0)
	v_max_f32_e32 v14, v14, v14
	v_max_f32_e32 v10, v10, v10
	;; [unrolled: 1-line block ×3, first 2 shown]
	ds_write_b32 v9, v10 offset:480
.LBB23_23:
	s_or_b64 exec, exec, s[0:1]
	v_cmp_gt_u32_e64 s[0:1], 2, v4
	s_waitcnt lgkmcnt(0)
	v_mov_b32_e32 v14, 0xff7fffff
	v_lshlrev_b32_e32 v10, 2, v4
	s_barrier
	s_and_saveexec_b64 s[2:3], s[0:1]
; %bb.24:
	ds_read_b32 v14, v10 offset:480
; %bb.25:
	s_or_b64 exec, exec, s[2:3]
	v_xor_b32_e32 v15, 1, v2
	v_cmp_lt_i32_e64 s[2:3], v15, v3
	v_lshlrev_b32_e32 v13, 2, v13
	s_nop 0
	v_cndmask_b32_e64 v15, v2, v15, s[2:3]
	v_lshlrev_b32_e32 v56, 2, v15
	s_waitcnt lgkmcnt(0)
	ds_bpermute_b32 v15, v56, v14
	v_max_f32_e32 v14, v14, v14
	s_lshl_b32 s2, s43, 4
	s_min_i32 s15, s2, s33
	v_cmp_gt_i32_e64 s[2:3], s15, v0
	s_waitcnt lgkmcnt(0)
	v_max_f32_e32 v15, v15, v15
	v_max_f32_e32 v14, v14, v15
	ds_bpermute_b32 v14, v13, v14
	v_mov_b32_e32 v13, 0
	s_and_saveexec_b64 s[30:31], s[2:3]
	s_cbranch_execz .LBB23_29
; %bb.26:
	v_mov_b32_e32 v13, 0x1f0
	v_lshl_add_u32 v15, v0, 2, v13
	v_mov_b32_e32 v13, 0
	s_mov_b64 s[34:35], 0
	v_mov_b32_e32 v16, v0
.LBB23_27:                              ; =>This Inner Loop Header: Depth=1
	ds_read_b32 v17, v15
	v_add_u32_e32 v16, 0x80, v16
	v_cmp_le_i32_e64 s[8:9], s15, v16
	s_or_b64 s[34:35], s[8:9], s[34:35]
	s_waitcnt lgkmcnt(0)
	v_sub_f32_e32 v17, v17, v14
	v_mul_f32_e32 v17, 0x3fb8aa3b, v17
	v_exp_f32_e32 v17, v17
	ds_write_b32 v15, v17
	v_add_f32_e32 v13, v13, v17
	v_add_u32_e32 v15, 0x200, v15
	s_andn2_b64 exec, exec, s[34:35]
	s_cbranch_execnz .LBB23_27
; %bb.28:
	s_or_b64 exec, exec, s[34:35]
.LBB23_29:
	s_or_b64 exec, exec, s[30:31]
	ds_bpermute_b32 v5, v5, v13
	s_waitcnt lgkmcnt(0)
	v_add_f32_e32 v5, v13, v5
	ds_bpermute_b32 v8, v8, v5
	s_waitcnt lgkmcnt(0)
	v_add_f32_e32 v5, v5, v8
	ds_bpermute_b32 v8, v11, v5
	v_xor_b32_e32 v11, 2, v2
	v_cmp_lt_i32_e64 s[8:9], v11, v3
	s_waitcnt lgkmcnt(0)
	v_add_f32_e32 v5, v5, v8
	ds_bpermute_b32 v8, v12, v5
	v_cndmask_b32_e64 v3, v2, v11, s[8:9]
	v_lshlrev_b32_e32 v57, 2, v3
	s_waitcnt lgkmcnt(0)
	v_add_f32_e32 v5, v5, v8
	ds_bpermute_b32 v3, v57, v5
	s_waitcnt lgkmcnt(0)
	v_add_f32_e32 v3, v5, v3
	ds_bpermute_b32 v5, v56, v3
	s_waitcnt lgkmcnt(0)
	v_add_f32_e32 v3, v3, v5
	s_and_saveexec_b64 s[8:9], vcc
; %bb.30:
	ds_write_b32 v9, v3 offset:488
; %bb.31:
	s_or_b64 exec, exec, s[8:9]
	s_waitcnt lgkmcnt(0)
	s_barrier
	s_and_saveexec_b64 s[8:9], s[0:1]
; %bb.32:
	ds_read_b32 v3, v10 offset:488
; %bb.33:
	s_or_b64 exec, exec, s[8:9]
	s_waitcnt lgkmcnt(0)
	ds_bpermute_b32 v5, v56, v3
	v_lshlrev_b32_e32 v2, 2, v2
	v_and_b32_e32 v2, 0x100, v2
	s_waitcnt lgkmcnt(0)
	v_add_f32_e32 v3, v3, v5
	ds_bpermute_b32 v2, v2, v3
	s_and_saveexec_b64 s[0:1], s[2:3]
	s_cbranch_execz .LBB23_46
; %bb.34:
	s_waitcnt lgkmcnt(0)
	v_add_f32_e32 v2, 0x358637bd, v2
	v_div_scale_f32 v3, s[2:3], v2, v2, 1.0
	v_rcp_f32_e32 v5, v3
	v_div_scale_f32 v8, vcc, 1.0, v2, 1.0
	s_movk_i32 s2, 0x7f
	v_fma_f32 v9, -v3, v5, 1.0
	v_fmac_f32_e32 v5, v9, v5
	v_mul_f32_e32 v9, v8, v5
	v_fma_f32 v10, -v3, v9, v8
	v_fmac_f32_e32 v9, v10, v5
	v_fma_f32 v3, -v3, v9, v8
	v_div_fmas_f32 v3, v3, v5, v9
	v_xad_u32 v5, v0, -1, s15
	v_div_fixup_f32 v2, v3, v2, 1.0
	v_cmp_lt_u32_e32 vcc, s2, v5
	s_mov_b64 s[8:9], -1
	v_mov_b32_e32 v3, v0
	s_and_saveexec_b64 s[2:3], vcc
	s_cbranch_execz .LBB23_43
; %bb.35:
	v_lshrrev_b32_e32 v5, 7, v5
	v_add_u32_e32 v9, -1, v5
	v_lshrrev_b32_e32 v8, 1, v9
	v_mov_b32_e32 v3, v2
	v_add_u32_e32 v8, 1, v8
	v_cmp_lt_u32_e32 vcc, 13, v9
	v_mov_b32_e32 v11, 0
	s_and_saveexec_b64 s[8:9], vcc
	s_cbranch_execz .LBB23_39
; %bb.36:
	v_mov_b32_e32 v10, 0x1f0
	v_and_b32_e32 v9, -8, v8
	v_lshl_add_u32 v10, v0, 2, v10
	s_mov_b32 s16, 0
	s_mov_b64 s[30:31], 0
.LBB23_37:                              ; =>This Inner Loop Header: Depth=1
	ds_read2st64_b32 v[12:13], v10 offset1:2
	ds_read2st64_b32 v[14:15], v10 offset0:4 offset1:6
	ds_read2st64_b32 v[16:17], v10 offset0:8 offset1:10
	ds_read2st64_b32 v[18:19], v10 offset0:12 offset1:14
	v_add_u32_e32 v9, -8, v9
	s_waitcnt lgkmcnt(3)
	v_pk_mul_f32 v[12:13], v[2:3], v[12:13]
	s_waitcnt lgkmcnt(2)
	v_pk_mul_f32 v[14:15], v[2:3], v[14:15]
	ds_write2st64_b32 v10, v12, v13 offset1:2
	ds_write2st64_b32 v10, v14, v15 offset0:4 offset1:6
	ds_read2st64_b32 v[14:15], v10 offset0:16 offset1:18
	s_waitcnt lgkmcnt(4)
	v_pk_mul_f32 v[12:13], v[2:3], v[16:17]
	ds_write2st64_b32 v10, v12, v13 offset0:8 offset1:10
	s_waitcnt lgkmcnt(4)
	v_pk_mul_f32 v[12:13], v[2:3], v[18:19]
	ds_write2st64_b32 v10, v12, v13 offset0:12 offset1:14
	ds_read2st64_b32 v[12:13], v10 offset0:20 offset1:22
	s_waitcnt lgkmcnt(3)
	v_pk_mul_f32 v[14:15], v[2:3], v[14:15]
	ds_read2st64_b32 v[16:17], v10 offset0:24 offset1:26
	ds_write2st64_b32 v10, v14, v15 offset0:16 offset1:18
	ds_read2st64_b32 v[14:15], v10 offset0:28 offset1:30
	s_waitcnt lgkmcnt(3)
	v_pk_mul_f32 v[12:13], v[2:3], v[12:13]
	ds_write2st64_b32 v10, v12, v13 offset0:20 offset1:22
	s_waitcnt lgkmcnt(3)
	v_pk_mul_f32 v[12:13], v[2:3], v[16:17]
	ds_write2st64_b32 v10, v12, v13 offset0:24 offset1:26
	s_waitcnt lgkmcnt(2)
	v_pk_mul_f32 v[12:13], v[2:3], v[14:15]
	s_add_i32 s16, s16, 16
	v_cmp_eq_u32_e32 vcc, 0, v9
	ds_write2st64_b32 v10, v12, v13 offset0:28 offset1:30
	v_add_u32_e32 v10, 0x2000, v10
	s_or_b64 s[30:31], vcc, s[30:31]
	v_mov_b32_e32 v11, s16
	s_andn2_b64 exec, exec, s[30:31]
	s_cbranch_execnz .LBB23_37
; %bb.38:
	s_or_b64 exec, exec, s[30:31]
.LBB23_39:
	s_or_b64 exec, exec, s[8:9]
	v_and_b32_e32 v8, 7, v8
	v_cmp_ne_u32_e32 vcc, 0, v8
	s_and_saveexec_b64 s[8:9], vcc
	s_cbranch_execz .LBB23_42
; %bb.40:
	v_lshlrev_b32_e32 v9, 9, v11
	s_movk_i32 s16, 0x1f0
	v_add3_u32 v9, v9, v6, s16
	s_mov_b64 s[30:31], 0
.LBB23_41:                              ; =>This Inner Loop Header: Depth=1
	ds_read2st64_b32 v[10:11], v9 offset1:2
	v_add_u32_e32 v8, -1, v8
	v_cmp_eq_u32_e32 vcc, 0, v8
	s_or_b64 s[30:31], vcc, s[30:31]
	s_waitcnt lgkmcnt(0)
	v_pk_mul_f32 v[10:11], v[2:3], v[10:11]
	ds_write2st64_b32 v9, v10, v11 offset1:2
	v_add_u32_e32 v9, 0x400, v9
	s_andn2_b64 exec, exec, s[30:31]
	s_cbranch_execnz .LBB23_41
.LBB23_42:
	s_or_b64 exec, exec, s[8:9]
	v_add_u32_e32 v5, 1, v5
	v_and_b32_e32 v8, 0x3fffffe, v5
	v_cmp_ne_u32_e32 vcc, v5, v8
	v_lshl_add_u32 v3, v8, 7, v0
	s_orn2_b64 s[8:9], vcc, exec
.LBB23_43:
	s_or_b64 exec, exec, s[2:3]
	s_and_b64 exec, exec, s[8:9]
	s_cbranch_execz .LBB23_46
; %bb.44:
	v_mov_b32_e32 v5, 0x1f0
	v_lshl_add_u32 v5, v3, 2, v5
	s_mov_b64 s[2:3], 0
.LBB23_45:                              ; =>This Inner Loop Header: Depth=1
	ds_read_b32 v8, v5
	v_add_u32_e32 v3, 0x80, v3
	v_cmp_le_i32_e32 vcc, s15, v3
	s_or_b64 s[2:3], vcc, s[2:3]
	s_waitcnt lgkmcnt(0)
	v_mul_f32_e32 v8, v2, v8
	ds_write_b32 v5, v8
	v_add_u32_e32 v5, 0x200, v5
	s_andn2_b64 exec, exec, s[2:3]
	s_cbranch_execnz .LBB23_45
.LBB23_46:
	s_or_b64 exec, exec, s[0:1]
	v_lshrrev_b32_e32 v58, 2, v4
	s_waitcnt lgkmcnt(0)
	s_barrier
	s_and_saveexec_b64 s[0:1], s[6:7]
	s_xor_b64 s[0:1], exec, s[0:1]
; %bb.47:
	v_lshrrev_b32_e32 v58, 2, v4
                                        ; implicit-def: $vgpr55
                                        ; implicit-def: $vgpr54
                                        ; implicit-def: $vgpr6
                                        ; implicit-def: $vgpr7
; %bb.48:
	s_or_saveexec_b64 s[6:7], s[0:1]
	v_mov_b32_e32 v39, 0
	v_mov_b32_e32 v38, 0
	;; [unrolled: 1-line block ×8, first 2 shown]
	s_xor_b64 exec, exec, s[6:7]
	s_cbranch_execz .LBB23_72
; %bb.49:
	s_ashr_i32 s15, s14, 31
	s_sub_i32 s30, s12, s17
	s_lshl_b64 s[0:1], s[14:15], 2
	s_add_u32 s8, s28, s0
	s_addc_u32 s9, s29, s1
	s_abs_i32 s28, s18
	v_cvt_f32_u32_e32 v3, s28
	s_sub_i32 s2, 0, s28
	s_add_i32 s29, s43, -1
	v_and_b32_e32 v59, 12, v6
	v_rcp_iflag_f32_e32 v3, v3
	v_or_b32_e32 v4, 0x70, v58
	s_movk_i32 s0, 0x78
	v_lshl_or_b32 v2, v58, 4, v59
	v_mul_f32_e32 v3, 0x4f7ffffe, v3
	v_cvt_u32_f32_e32 v3, v3
	v_mov_b32_e32 v47, 0
	v_cmp_gt_u32_e64 s[0:1], s0, v4
	v_lshl_or_b32 v4, v4, 4, v59
	v_mul_lo_u32 v5, s2, v3
	v_mul_hi_u32 v5, v3, v5
	s_lshl_b64 s[2:3], s[26:27], 2
	v_add_u32_e32 v60, v3, v5
	s_add_u32 s2, s24, s2
	v_lshlrev_b32_e32 v3, 4, v53
	v_and_b32_e32 v46, 60, v7
	s_addc_u32 s3, s25, s3
	v_lshl_or_b32 v3, v54, 6, v3
	s_mov_b32 s31, s13
	s_mov_b32 s34, s33
	v_lshl_add_u64 v[48:49], s[2:3], 0, v[46:47]
	v_add_u32_e32 v61, 0x1f0, v3
	s_mov_b64 s[12:13], 0
	v_lshlrev_b32_e32 v46, 2, v2
	v_lshlrev_b32_e32 v50, 2, v4
	v_mov_b32_e32 v44, v47
	v_mov_b32_e32 v45, v47
	;; [unrolled: 1-line block ×8, first 2 shown]
	s_branch .LBB23_53
.LBB23_50:                              ;   in Loop: Header=BB23_53 Depth=1
	s_or_b64 exec, exec, s[18:19]
	s_waitcnt vmcnt(0) lgkmcnt(0)
	v_pk_mul_f32 v[34:35], v[6:7], v[34:35]
	v_pk_mul_f32 v[36:37], v[8:9], v[36:37]
	v_add_f32_e32 v34, v35, v34
	v_add_f32_e32 v34, v36, v34
	;; [unrolled: 1-line block ×4, first 2 shown]
.LBB23_51:                              ;   in Loop: Header=BB23_53 Depth=1
	s_or_b64 exec, exec, s[16:17]
	s_waitcnt vmcnt(0) lgkmcnt(0)
	v_mul_f32_e32 v30, v6, v30
	v_mul_f32_e32 v26, v6, v26
	;; [unrolled: 1-line block ×7, first 2 shown]
	v_fmac_f32_e32 v30, v7, v31
	v_fmac_f32_e32 v26, v7, v27
	;; [unrolled: 1-line block ×21, first 2 shown]
	v_add_f32_e32 v38, v38, v30
	v_add_f32_e32 v41, v41, v26
	;; [unrolled: 1-line block ×7, first 2 shown]
.LBB23_52:                              ;   in Loop: Header=BB23_53 Depth=1
	s_or_b64 exec, exec, s[14:15]
	v_add_u32_e32 v54, 2, v54
	v_cmp_le_i32_e32 vcc, s43, v54
	v_lshl_add_u64 v[48:49], v[48:49], 0, 8
	v_add_u32_e32 v55, 32, v55
	s_or_b64 s[12:13], vcc, s[12:13]
	v_add_u32_e32 v61, 0x80, v61
	s_andn2_b64 exec, exec, s[12:13]
	s_cbranch_execz .LBB23_71
.LBB23_53:                              ; =>This Inner Loop Header: Depth=1
	v_mul_hi_u32 v2, v55, s40
	v_mul_lo_u32 v3, v2, s21
	v_sub_u32_e32 v3, v55, v3
	v_add_u32_e32 v4, 1, v2
	v_cmp_le_u32_e32 vcc, s21, v3
	s_nop 1
	v_cndmask_b32_e32 v2, v2, v4, vcc
	v_subrev_u32_e32 v4, s21, v3
	v_cndmask_b32_e32 v3, v3, v4, vcc
	v_add_u32_e32 v4, 1, v2
	v_cmp_le_u32_e32 vcc, s21, v3
	s_nop 1
	v_cndmask_b32_e32 v2, v2, v4, vcc
	v_xor_b32_e32 v2, s42, v2
	v_subrev_u32_e32 v2, s42, v2
	v_add_u32_e32 v3, s41, v2
	v_sub_u32_e32 v5, 0, v3
	v_ashrrev_i32_e32 v4, 31, v3
	v_max_i32_e32 v3, v3, v5
	v_mul_hi_u32 v5, v3, v60
	v_mul_lo_u32 v5, v5, s28
	v_sub_u32_e32 v3, v3, v5
	v_subrev_u32_e32 v5, s28, v3
	v_cmp_le_u32_e32 vcc, s28, v3
	v_cmp_lt_i32_e64 s[2:3], s30, v2
	s_nop 0
	v_cndmask_b32_e32 v3, v3, v5, vcc
	v_subrev_u32_e32 v5, s28, v3
	v_cmp_le_u32_e32 vcc, s28, v3
	s_nop 1
	v_cndmask_b32_e32 v3, v3, v5, vcc
	v_xor_b32_e32 v3, v3, v4
	v_sub_u32_e32 v3, v3, v4
	v_cmp_eq_u32_e32 vcc, 0, v3
	s_or_b64 s[2:3], vcc, s[2:3]
	s_and_saveexec_b64 s[14:15], s[2:3]
	s_cbranch_execz .LBB23_52
; %bb.54:                               ;   in Loop: Header=BB23_53 Depth=1
	global_load_dword v2, v[48:49], off
	ds_read_b128 v[6:9], v61
	v_add_u32_e32 v62, v59, v55
	s_waitcnt vmcnt(0)
	v_mad_i64_i32 v[2:3], s[2:3], v2, s31, 0
	v_lshl_add_u64 v[34:35], v[2:3], 2, s[8:9]
	v_lshl_add_u64 v[30:31], v[34:35], 0, v[46:47]
	global_load_dwordx4 v[2:5], v[30:31], off
	v_cmp_eq_u32_e64 s[2:3], s29, v54
	s_and_saveexec_b64 s[16:17], s[2:3]
	s_cbranch_execnz .LBB23_68
; %bb.55:                               ;   in Loop: Header=BB23_53 Depth=1
	s_or_b64 exec, exec, s[16:17]
	global_load_dwordx4 v[10:13], v[30:31], off offset:1024
	s_and_saveexec_b64 s[16:17], s[2:3]
	s_cbranch_execnz .LBB23_69
.LBB23_56:                              ;   in Loop: Header=BB23_53 Depth=1
	s_or_b64 exec, exec, s[16:17]
	global_load_dwordx4 v[14:17], v[30:31], off offset:2048
	s_and_saveexec_b64 s[16:17], s[2:3]
	s_cbranch_execnz .LBB23_70
.LBB23_57:                              ;   in Loop: Header=BB23_53 Depth=1
	s_or_b64 exec, exec, s[16:17]
	global_load_dwordx4 v[18:21], v[30:31], off offset:3072
	s_and_saveexec_b64 s[16:17], s[2:3]
	s_cbranch_execz .LBB23_59
.LBB23_58:                              ;   in Loop: Header=BB23_53 Depth=1
	v_add_u32_e32 v22, 1, v62
	v_cmp_gt_i32_e32 vcc, s34, v22
	v_or_b32_e32 v22, 3, v62
	v_or_b32_e32 v23, 2, v62
	s_waitcnt vmcnt(0)
	v_cndmask_b32_e32 v19, 0, v19, vcc
	v_cmp_gt_i32_e32 vcc, s33, v62
	s_nop 1
	v_cndmask_b32_e32 v18, 0, v18, vcc
	v_cmp_gt_i32_e32 vcc, s34, v22
	s_nop 1
	;; [unrolled: 3-line block ×3, first 2 shown]
	v_cndmask_b32_e32 v20, 0, v20, vcc
.LBB23_59:                              ;   in Loop: Header=BB23_53 Depth=1
	s_or_b64 exec, exec, s[16:17]
	v_add_co_u32_e32 v22, vcc, 0x1000, v30
	s_nop 1
	v_addc_co_u32_e32 v23, vcc, 0, v31, vcc
	global_load_dwordx4 v[22:25], v[22:23], off
	s_and_saveexec_b64 s[16:17], s[2:3]
	s_cbranch_execz .LBB23_61
; %bb.60:                               ;   in Loop: Header=BB23_53 Depth=1
	v_add_u32_e32 v26, 1, v62
	v_cmp_gt_i32_e32 vcc, s34, v26
	v_or_b32_e32 v26, 3, v62
	v_or_b32_e32 v27, 2, v62
	s_waitcnt vmcnt(0)
	v_cndmask_b32_e32 v23, 0, v23, vcc
	v_cmp_gt_i32_e32 vcc, s33, v62
	s_nop 1
	v_cndmask_b32_e32 v22, 0, v22, vcc
	v_cmp_gt_i32_e32 vcc, s34, v26
	s_nop 1
	;; [unrolled: 3-line block ×3, first 2 shown]
	v_cndmask_b32_e32 v24, 0, v24, vcc
.LBB23_61:                              ;   in Loop: Header=BB23_53 Depth=1
	s_or_b64 exec, exec, s[16:17]
	v_add_co_u32_e32 v26, vcc, 0x1000, v30
	s_nop 1
	v_addc_co_u32_e32 v27, vcc, 0, v31, vcc
	global_load_dwordx4 v[26:29], v[26:27], off offset:1024
	s_and_saveexec_b64 s[16:17], s[2:3]
	s_cbranch_execz .LBB23_63
; %bb.62:                               ;   in Loop: Header=BB23_53 Depth=1
	v_add_u32_e32 v32, 1, v62
	v_cmp_gt_i32_e32 vcc, s34, v32
	v_or_b32_e32 v32, 3, v62
	v_or_b32_e32 v33, 2, v62
	s_waitcnt vmcnt(0)
	v_cndmask_b32_e32 v27, 0, v27, vcc
	v_cmp_gt_i32_e32 vcc, s33, v62
	s_nop 1
	v_cndmask_b32_e32 v26, 0, v26, vcc
	v_cmp_gt_i32_e32 vcc, s34, v32
	s_nop 1
	;; [unrolled: 3-line block ×3, first 2 shown]
	v_cndmask_b32_e32 v28, 0, v28, vcc
.LBB23_63:                              ;   in Loop: Header=BB23_53 Depth=1
	s_or_b64 exec, exec, s[16:17]
	v_add_co_u32_e32 v30, vcc, 0x1000, v30
	s_nop 1
	v_addc_co_u32_e32 v31, vcc, 0, v31, vcc
	global_load_dwordx4 v[30:33], v[30:31], off offset:2048
	s_and_saveexec_b64 s[16:17], s[2:3]
	s_cbranch_execz .LBB23_65
; %bb.64:                               ;   in Loop: Header=BB23_53 Depth=1
	v_add_u32_e32 v36, 1, v62
	v_cmp_gt_i32_e32 vcc, s34, v36
	v_or_b32_e32 v36, 3, v62
	v_or_b32_e32 v37, 2, v62
	s_waitcnt vmcnt(0)
	v_cndmask_b32_e32 v31, 0, v31, vcc
	v_cmp_gt_i32_e32 vcc, s33, v62
	s_nop 1
	v_cndmask_b32_e32 v30, 0, v30, vcc
	v_cmp_gt_i32_e32 vcc, s34, v36
	s_nop 1
	;; [unrolled: 3-line block ×3, first 2 shown]
	v_cndmask_b32_e32 v32, 0, v32, vcc
.LBB23_65:                              ;   in Loop: Header=BB23_53 Depth=1
	s_or_b64 exec, exec, s[16:17]
	s_and_saveexec_b64 s[16:17], s[0:1]
	s_cbranch_execz .LBB23_51
; %bb.66:                               ;   in Loop: Header=BB23_53 Depth=1
	v_mov_b32_e32 v51, v47
	v_lshl_add_u64 v[34:35], v[34:35], 0, v[50:51]
	global_load_dwordx4 v[34:37], v[34:35], off
	s_and_saveexec_b64 s[18:19], s[2:3]
	s_cbranch_execz .LBB23_50
; %bb.67:                               ;   in Loop: Header=BB23_53 Depth=1
	v_add_u32_e32 v51, 1, v62
	v_cmp_gt_i32_e32 vcc, s34, v51
	v_or_b32_e32 v51, 3, v62
	s_waitcnt vmcnt(0)
	v_cndmask_b32_e32 v35, 0, v35, vcc
	v_cmp_gt_i32_e32 vcc, s33, v62
	v_or_b32_e32 v62, 2, v62
	s_nop 0
	v_cndmask_b32_e32 v34, 0, v34, vcc
	v_cmp_gt_i32_e32 vcc, s34, v51
	s_nop 1
	v_cndmask_b32_e32 v37, 0, v37, vcc
	v_cmp_gt_i32_e32 vcc, s33, v62
	s_nop 1
	v_cndmask_b32_e32 v36, 0, v36, vcc
	s_branch .LBB23_50
.LBB23_68:                              ;   in Loop: Header=BB23_53 Depth=1
	v_add_u32_e32 v10, 1, v62
	v_cmp_gt_i32_e32 vcc, s34, v10
	v_or_b32_e32 v10, 3, v62
	v_or_b32_e32 v11, 2, v62
	s_waitcnt vmcnt(0)
	v_cndmask_b32_e32 v3, 0, v3, vcc
	v_cmp_gt_i32_e32 vcc, s33, v62
	s_nop 1
	v_cndmask_b32_e32 v2, 0, v2, vcc
	v_cmp_gt_i32_e32 vcc, s34, v10
	s_nop 1
	;; [unrolled: 3-line block ×3, first 2 shown]
	v_cndmask_b32_e32 v4, 0, v4, vcc
	s_or_b64 exec, exec, s[16:17]
	global_load_dwordx4 v[10:13], v[30:31], off offset:1024
	s_and_saveexec_b64 s[16:17], s[2:3]
	s_cbranch_execz .LBB23_56
.LBB23_69:                              ;   in Loop: Header=BB23_53 Depth=1
	v_add_u32_e32 v14, 1, v62
	v_cmp_gt_i32_e32 vcc, s34, v14
	v_or_b32_e32 v14, 3, v62
	v_or_b32_e32 v15, 2, v62
	s_waitcnt vmcnt(0)
	v_cndmask_b32_e32 v11, 0, v11, vcc
	v_cmp_gt_i32_e32 vcc, s33, v62
	s_nop 1
	v_cndmask_b32_e32 v10, 0, v10, vcc
	v_cmp_gt_i32_e32 vcc, s34, v14
	s_nop 1
	;; [unrolled: 3-line block ×3, first 2 shown]
	v_cndmask_b32_e32 v12, 0, v12, vcc
	s_or_b64 exec, exec, s[16:17]
	global_load_dwordx4 v[14:17], v[30:31], off offset:2048
	s_and_saveexec_b64 s[16:17], s[2:3]
	s_cbranch_execz .LBB23_57
.LBB23_70:                              ;   in Loop: Header=BB23_53 Depth=1
	v_add_u32_e32 v18, 1, v62
	v_cmp_gt_i32_e32 vcc, s34, v18
	v_or_b32_e32 v18, 3, v62
	v_or_b32_e32 v19, 2, v62
	s_waitcnt vmcnt(0)
	v_cndmask_b32_e32 v15, 0, v15, vcc
	v_cmp_gt_i32_e32 vcc, s33, v62
	s_nop 1
	v_cndmask_b32_e32 v14, 0, v14, vcc
	v_cmp_gt_i32_e32 vcc, s34, v18
	s_nop 1
	;; [unrolled: 3-line block ×3, first 2 shown]
	v_cndmask_b32_e32 v16, 0, v16, vcc
	s_or_b64 exec, exec, s[16:17]
	global_load_dwordx4 v[18:21], v[30:31], off offset:3072
	s_and_saveexec_b64 s[16:17], s[2:3]
	s_cbranch_execnz .LBB23_58
	s_branch .LBB23_59
.LBB23_71:
	s_or_b64 exec, exec, s[12:13]
.LBB23_72:
	s_or_b64 exec, exec, s[6:7]
	ds_bpermute_b32 v2, v57, v44
	ds_bpermute_b32 v3, v57, v45
	;; [unrolled: 1-line block ×8, first 2 shown]
	s_waitcnt lgkmcnt(6)
	v_pk_add_f32 v[2:3], v[44:45], v[2:3]
	s_waitcnt lgkmcnt(4)
	v_pk_add_f32 v[4:5], v[42:43], v[4:5]
	ds_bpermute_b32 v6, v56, v2
	ds_bpermute_b32 v7, v56, v3
	;; [unrolled: 1-line block ×4, first 2 shown]
	s_waitcnt lgkmcnt(6)
	v_pk_add_f32 v[14:15], v[40:41], v[8:9]
	s_waitcnt lgkmcnt(4)
	v_pk_add_f32 v[12:13], v[38:39], v[12:13]
	ds_bpermute_b32 v16, v56, v14
	ds_bpermute_b32 v17, v56, v15
	;; [unrolled: 1-line block ×4, first 2 shown]
	s_waitcnt lgkmcnt(6)
	v_pk_add_f32 v[8:9], v[2:3], v[6:7]
	s_waitcnt lgkmcnt(4)
	v_pk_add_f32 v[6:7], v[4:5], v[10:11]
	v_and_b32_e32 v10, 0x3c0, v0
	s_waitcnt lgkmcnt(2)
	v_pk_add_f32 v[4:5], v[14:15], v[16:17]
	s_waitcnt lgkmcnt(0)
	v_pk_add_f32 v[2:3], v[12:13], v[18:19]
	v_cmp_eq_u32_e64 s[0:1], 64, v10
	v_cmp_eq_u32_e32 vcc, 0, v53
	s_barrier
	s_and_saveexec_b64 s[2:3], s[0:1]
	s_cbranch_execz .LBB23_77
; %bb.73:
	s_and_saveexec_b64 s[0:1], vcc
	s_cbranch_execz .LBB23_75
; %bb.74:
	v_mov_b32_e32 v10, 0x1f0
	v_lshl_add_u32 v10, v58, 2, v10
	ds_write2_b32 v10, v8, v9 offset1:16
	ds_write2_b32 v10, v6, v7 offset0:32 offset1:48
	ds_write2_b32 v10, v4, v5 offset0:64 offset1:80
	ds_write_b32 v10, v2 offset:384
.LBB23_75:
	s_or_b64 exec, exec, s[0:1]
	v_or_b32_e32 v10, 0x70, v58
	s_movk_i32 s0, 0x78
	v_cmp_gt_u32_e64 s[0:1], s0, v10
	s_and_b64 s[0:1], vcc, s[0:1]
	s_and_b64 exec, exec, s[0:1]
; %bb.76:
	v_mov_b32_e32 v10, 0x1f0
	v_lshl_add_u32 v10, v58, 2, v10
	ds_write_b32 v10, v3 offset:448
.LBB23_77:
	s_or_b64 exec, exec, s[2:3]
	v_cmp_gt_u32_e64 s[0:1], 64, v0
	s_waitcnt lgkmcnt(0)
	s_barrier
	s_and_saveexec_b64 s[6:7], s[0:1]
	s_cbranch_execz .LBB23_95
; %bb.78:
	s_and_saveexec_b64 s[2:3], vcc
	s_cbranch_execz .LBB23_80
; %bb.79:
	v_mov_b32_e32 v0, 0x1f0
	v_lshl_add_u32 v0, v52, 2, v0
	ds_read_b32 v0, v0
	s_waitcnt lgkmcnt(0)
	v_add_f32_e32 v8, v8, v0
.LBB23_80:
	s_or_b64 exec, exec, s[2:3]
	v_or_b32_e32 v0, 16, v52
	s_movk_i32 s8, 0x78
	v_cmp_gt_u32_e64 s[2:3], s8, v0
	s_and_b64 s[12:13], vcc, s[2:3]
	s_and_saveexec_b64 s[2:3], s[12:13]
	s_cbranch_execz .LBB23_82
; %bb.81:
	v_mov_b32_e32 v0, 0x1f0
	v_lshl_add_u32 v0, v52, 2, v0
	ds_read_b32 v0, v0 offset:64
	s_waitcnt lgkmcnt(0)
	v_add_f32_e32 v9, v9, v0
.LBB23_82:
	s_or_b64 exec, exec, s[2:3]
	v_or_b32_e32 v0, 32, v52
	v_cmp_gt_u32_e64 s[2:3], s8, v0
	s_and_b64 s[8:9], vcc, s[2:3]
	s_and_saveexec_b64 s[2:3], s[8:9]
	s_cbranch_execz .LBB23_84
; %bb.83:
	v_mov_b32_e32 v0, 0x1f0
	v_lshl_add_u32 v0, v52, 2, v0
	ds_read_b32 v0, v0 offset:128
	s_waitcnt lgkmcnt(0)
	v_add_f32_e32 v6, v6, v0
.LBB23_84:
	s_or_b64 exec, exec, s[2:3]
	v_or_b32_e32 v0, 48, v52
	s_movk_i32 s8, 0x78
	v_cmp_gt_u32_e64 s[2:3], s8, v0
	s_and_b64 s[12:13], vcc, s[2:3]
	s_and_saveexec_b64 s[2:3], s[12:13]
	s_cbranch_execz .LBB23_86
; %bb.85:
	v_mov_b32_e32 v0, 0x1f0
	v_lshl_add_u32 v0, v52, 2, v0
	ds_read_b32 v0, v0 offset:192
	s_waitcnt lgkmcnt(0)
	v_add_f32_e32 v7, v7, v0
.LBB23_86:
	s_or_b64 exec, exec, s[2:3]
	v_or_b32_e32 v0, 64, v52
	v_cmp_gt_u32_e64 s[2:3], s8, v0
	s_and_b64 s[8:9], vcc, s[2:3]
	s_and_saveexec_b64 s[2:3], s[8:9]
	s_cbranch_execz .LBB23_88
; %bb.87:
	v_mov_b32_e32 v0, 0x1f0
	v_lshl_add_u32 v0, v52, 2, v0
	ds_read_b32 v0, v0 offset:256
	s_waitcnt lgkmcnt(0)
	v_add_f32_e32 v4, v4, v0
.LBB23_88:
	;; [unrolled: 27-line block ×3, first 2 shown]
	s_or_b64 exec, exec, s[2:3]
	v_or_b32_e32 v0, 0x70, v52
	s_movk_i32 s2, 0x78
	v_cmp_gt_u32_e64 s[2:3], s2, v0
	s_and_b64 s[8:9], vcc, s[2:3]
	s_and_saveexec_b64 s[2:3], s[8:9]
	s_cbranch_execz .LBB23_94
; %bb.93:
	v_mov_b32_e32 v0, 0x1f0
	v_lshl_add_u32 v0, v52, 2, v0
	ds_read_b32 v0, v0 offset:448
	s_waitcnt lgkmcnt(0)
	v_add_f32_e32 v3, v3, v0
.LBB23_94:
	s_or_b64 exec, exec, s[2:3]
.LBB23_95:
	s_or_b64 exec, exec, s[6:7]
	s_barrier
	s_and_saveexec_b64 s[2:3], s[0:1]
	s_cbranch_execz .LBB23_112
; %bb.96:
	s_mul_i32 s0, s10, s11
	s_mul_i32 s0, s0, s5
	s_mulk_i32 s0, 0x78
	s_ashr_i32 s1, s0, 31
	s_lshl_b64 s[0:1], s[0:1], 2
	s_add_u32 s2, s22, s0
	s_mul_i32 s0, s11, s20
	s_addc_u32 s3, s23, s1
	s_ashr_i32 s1, s0, 31
	s_lshl_b64 s[0:1], s[0:1], 2
	s_add_u32 s2, s2, s0
	s_mul_i32 s0, s4, 0x78
	s_addc_u32 s3, s3, s1
	s_ashr_i32 s1, s0, 31
	s_lshl_b64 s[0:1], s[0:1], 2
	s_add_u32 s2, s2, s0
	s_movk_i32 s5, 0x78
	s_addc_u32 s3, s3, s1
	s_and_saveexec_b64 s[0:1], vcc
	s_cbranch_execz .LBB23_98
; %bb.97:
	global_store_dword v1, v8, s[2:3]
.LBB23_98:
	s_or_b64 exec, exec, s[0:1]
	v_or_b32_e32 v0, 16, v52
	v_cmp_gt_u32_e64 s[0:1], s5, v0
	s_and_b64 s[4:5], vcc, s[0:1]
	s_and_saveexec_b64 s[0:1], s[4:5]
	s_cbranch_execz .LBB23_100
; %bb.99:
	global_store_dword v1, v9, s[2:3] offset:64
.LBB23_100:
	s_or_b64 exec, exec, s[0:1]
	v_or_b32_e32 v0, 32, v52
	s_movk_i32 s4, 0x78
	v_cmp_gt_u32_e64 s[0:1], s4, v0
	s_and_b64 s[6:7], vcc, s[0:1]
	s_and_saveexec_b64 s[0:1], s[6:7]
	s_cbranch_execz .LBB23_102
; %bb.101:
	global_store_dword v1, v6, s[2:3] offset:128
.LBB23_102:
	s_or_b64 exec, exec, s[0:1]
	v_or_b32_e32 v0, 48, v52
	v_cmp_gt_u32_e64 s[0:1], s4, v0
	s_and_b64 s[4:5], vcc, s[0:1]
	s_and_saveexec_b64 s[0:1], s[4:5]
	s_cbranch_execz .LBB23_104
; %bb.103:
	global_store_dword v1, v7, s[2:3] offset:192
.LBB23_104:
	s_or_b64 exec, exec, s[0:1]
	v_or_b32_e32 v0, 64, v52
	s_movk_i32 s4, 0x78
	v_cmp_gt_u32_e64 s[0:1], s4, v0
	s_and_b64 s[6:7], vcc, s[0:1]
	s_and_saveexec_b64 s[0:1], s[6:7]
	s_cbranch_execz .LBB23_106
; %bb.105:
	global_store_dword v1, v4, s[2:3] offset:256
.LBB23_106:
	;; [unrolled: 19-line block ×3, first 2 shown]
	s_or_b64 exec, exec, s[0:1]
	v_or_b32_e32 v0, 0x70, v52
	v_cmp_gt_u32_e64 s[0:1], s4, v0
	s_and_b64 s[0:1], vcc, s[0:1]
	s_and_b64 exec, exec, s[0:1]
	s_cbranch_execz .LBB23_112
; %bb.111:
	global_store_dword v1, v3, s[2:3] offset:448
.LBB23_112:
	s_endpgm
	.section	.rodata,"a",@progbits
	.p2align	6, 0x0
	.amdhsa_kernel _ZN4vllm25paged_attention_v1_kernelIffLi120ELi16ELi128ELNS_18Fp8KVCacheDataTypeE0ELb1EEEvPT_PKS2_PKT0_S8_ifPKiSA_iPKfiiiSC_SC_iiiii
		.amdhsa_group_segment_fixed_size 496
		.amdhsa_private_segment_fixed_size 0
		.amdhsa_kernarg_size 384
		.amdhsa_user_sgpr_count 2
		.amdhsa_user_sgpr_dispatch_ptr 0
		.amdhsa_user_sgpr_queue_ptr 0
		.amdhsa_user_sgpr_kernarg_segment_ptr 1
		.amdhsa_user_sgpr_dispatch_id 0
		.amdhsa_user_sgpr_kernarg_preload_length 0
		.amdhsa_user_sgpr_kernarg_preload_offset 0
		.amdhsa_user_sgpr_private_segment_size 0
		.amdhsa_uses_dynamic_stack 0
		.amdhsa_enable_private_segment 0
		.amdhsa_system_sgpr_workgroup_id_x 1
		.amdhsa_system_sgpr_workgroup_id_y 1
		.amdhsa_system_sgpr_workgroup_id_z 1
		.amdhsa_system_sgpr_workgroup_info 0
		.amdhsa_system_vgpr_workitem_id 0
		.amdhsa_next_free_vgpr 87
		.amdhsa_next_free_sgpr 45
		.amdhsa_accum_offset 88
		.amdhsa_reserve_vcc 1
		.amdhsa_float_round_mode_32 0
		.amdhsa_float_round_mode_16_64 0
		.amdhsa_float_denorm_mode_32 3
		.amdhsa_float_denorm_mode_16_64 3
		.amdhsa_dx10_clamp 1
		.amdhsa_ieee_mode 1
		.amdhsa_fp16_overflow 0
		.amdhsa_tg_split 0
		.amdhsa_exception_fp_ieee_invalid_op 0
		.amdhsa_exception_fp_denorm_src 0
		.amdhsa_exception_fp_ieee_div_zero 0
		.amdhsa_exception_fp_ieee_overflow 0
		.amdhsa_exception_fp_ieee_underflow 0
		.amdhsa_exception_fp_ieee_inexact 0
		.amdhsa_exception_int_div_zero 0
	.end_amdhsa_kernel
	.section	.text._ZN4vllm25paged_attention_v1_kernelIffLi120ELi16ELi128ELNS_18Fp8KVCacheDataTypeE0ELb1EEEvPT_PKS2_PKT0_S8_ifPKiSA_iPKfiiiSC_SC_iiiii,"axG",@progbits,_ZN4vllm25paged_attention_v1_kernelIffLi120ELi16ELi128ELNS_18Fp8KVCacheDataTypeE0ELb1EEEvPT_PKS2_PKT0_S8_ifPKiSA_iPKfiiiSC_SC_iiiii,comdat
.Lfunc_end23:
	.size	_ZN4vllm25paged_attention_v1_kernelIffLi120ELi16ELi128ELNS_18Fp8KVCacheDataTypeE0ELb1EEEvPT_PKS2_PKT0_S8_ifPKiSA_iPKfiiiSC_SC_iiiii, .Lfunc_end23-_ZN4vllm25paged_attention_v1_kernelIffLi120ELi16ELi128ELNS_18Fp8KVCacheDataTypeE0ELb1EEEvPT_PKS2_PKT0_S8_ifPKiSA_iPKfiiiSC_SC_iiiii
                                        ; -- End function
	.set _ZN4vllm25paged_attention_v1_kernelIffLi120ELi16ELi128ELNS_18Fp8KVCacheDataTypeE0ELb1EEEvPT_PKS2_PKT0_S8_ifPKiSA_iPKfiiiSC_SC_iiiii.num_vgpr, 87
	.set _ZN4vllm25paged_attention_v1_kernelIffLi120ELi16ELi128ELNS_18Fp8KVCacheDataTypeE0ELb1EEEvPT_PKS2_PKT0_S8_ifPKiSA_iPKfiiiSC_SC_iiiii.num_agpr, 0
	.set _ZN4vllm25paged_attention_v1_kernelIffLi120ELi16ELi128ELNS_18Fp8KVCacheDataTypeE0ELb1EEEvPT_PKS2_PKT0_S8_ifPKiSA_iPKfiiiSC_SC_iiiii.numbered_sgpr, 45
	.set _ZN4vllm25paged_attention_v1_kernelIffLi120ELi16ELi128ELNS_18Fp8KVCacheDataTypeE0ELb1EEEvPT_PKS2_PKT0_S8_ifPKiSA_iPKfiiiSC_SC_iiiii.num_named_barrier, 0
	.set _ZN4vllm25paged_attention_v1_kernelIffLi120ELi16ELi128ELNS_18Fp8KVCacheDataTypeE0ELb1EEEvPT_PKS2_PKT0_S8_ifPKiSA_iPKfiiiSC_SC_iiiii.private_seg_size, 0
	.set _ZN4vllm25paged_attention_v1_kernelIffLi120ELi16ELi128ELNS_18Fp8KVCacheDataTypeE0ELb1EEEvPT_PKS2_PKT0_S8_ifPKiSA_iPKfiiiSC_SC_iiiii.uses_vcc, 1
	.set _ZN4vllm25paged_attention_v1_kernelIffLi120ELi16ELi128ELNS_18Fp8KVCacheDataTypeE0ELb1EEEvPT_PKS2_PKT0_S8_ifPKiSA_iPKfiiiSC_SC_iiiii.uses_flat_scratch, 0
	.set _ZN4vllm25paged_attention_v1_kernelIffLi120ELi16ELi128ELNS_18Fp8KVCacheDataTypeE0ELb1EEEvPT_PKS2_PKT0_S8_ifPKiSA_iPKfiiiSC_SC_iiiii.has_dyn_sized_stack, 0
	.set _ZN4vllm25paged_attention_v1_kernelIffLi120ELi16ELi128ELNS_18Fp8KVCacheDataTypeE0ELb1EEEvPT_PKS2_PKT0_S8_ifPKiSA_iPKfiiiSC_SC_iiiii.has_recursion, 0
	.set _ZN4vllm25paged_attention_v1_kernelIffLi120ELi16ELi128ELNS_18Fp8KVCacheDataTypeE0ELb1EEEvPT_PKS2_PKT0_S8_ifPKiSA_iPKfiiiSC_SC_iiiii.has_indirect_call, 0
	.section	.AMDGPU.csdata,"",@progbits
; Kernel info:
; codeLenInByte = 6184
; TotalNumSgprs: 51
; NumVgprs: 87
; NumAgprs: 0
; TotalNumVgprs: 87
; ScratchSize: 0
; MemoryBound: 0
; FloatMode: 240
; IeeeMode: 1
; LDSByteSize: 496 bytes/workgroup (compile time only)
; SGPRBlocks: 6
; VGPRBlocks: 10
; NumSGPRsForWavesPerEU: 51
; NumVGPRsForWavesPerEU: 87
; AccumOffset: 88
; Occupancy: 5
; WaveLimiterHint : 1
; COMPUTE_PGM_RSRC2:SCRATCH_EN: 0
; COMPUTE_PGM_RSRC2:USER_SGPR: 2
; COMPUTE_PGM_RSRC2:TRAP_HANDLER: 0
; COMPUTE_PGM_RSRC2:TGID_X_EN: 1
; COMPUTE_PGM_RSRC2:TGID_Y_EN: 1
; COMPUTE_PGM_RSRC2:TGID_Z_EN: 1
; COMPUTE_PGM_RSRC2:TIDIG_COMP_CNT: 0
; COMPUTE_PGM_RSRC3_GFX90A:ACCUM_OFFSET: 21
; COMPUTE_PGM_RSRC3_GFX90A:TG_SPLIT: 0
	.section	.text._ZN4vllm25paged_attention_v1_kernelIffLi128ELi16ELi128ELNS_18Fp8KVCacheDataTypeE0ELb1EEEvPT_PKS2_PKT0_S8_ifPKiSA_iPKfiiiSC_SC_iiiii,"axG",@progbits,_ZN4vllm25paged_attention_v1_kernelIffLi128ELi16ELi128ELNS_18Fp8KVCacheDataTypeE0ELb1EEEvPT_PKS2_PKT0_S8_ifPKiSA_iPKfiiiSC_SC_iiiii,comdat
	.protected	_ZN4vllm25paged_attention_v1_kernelIffLi128ELi16ELi128ELNS_18Fp8KVCacheDataTypeE0ELb1EEEvPT_PKS2_PKT0_S8_ifPKiSA_iPKfiiiSC_SC_iiiii ; -- Begin function _ZN4vllm25paged_attention_v1_kernelIffLi128ELi16ELi128ELNS_18Fp8KVCacheDataTypeE0ELb1EEEvPT_PKS2_PKT0_S8_ifPKiSA_iPKfiiiSC_SC_iiiii
	.globl	_ZN4vllm25paged_attention_v1_kernelIffLi128ELi16ELi128ELNS_18Fp8KVCacheDataTypeE0ELb1EEEvPT_PKS2_PKT0_S8_ifPKiSA_iPKfiiiSC_SC_iiiii
	.p2align	8
	.type	_ZN4vllm25paged_attention_v1_kernelIffLi128ELi16ELi128ELNS_18Fp8KVCacheDataTypeE0ELb1EEEvPT_PKS2_PKT0_S8_ifPKiSA_iPKfiiiSC_SC_iiiii,@function
_ZN4vllm25paged_attention_v1_kernelIffLi128ELi16ELi128ELNS_18Fp8KVCacheDataTypeE0ELb1EEEvPT_PKS2_PKT0_S8_ifPKiSA_iPKfiiiSC_SC_iiiii: ; @_ZN4vllm25paged_attention_v1_kernelIffLi128ELi16ELi128ELNS_18Fp8KVCacheDataTypeE0ELb1EEEvPT_PKS2_PKT0_S8_ifPKiSA_iPKfiiiSC_SC_iiiii
; %bb.0:
	s_load_dword s5, s[0:1], 0x80
	s_load_dwordx2 s[6:7], s[0:1], 0x30
	s_load_dwordx2 s[30:31], s[0:1], 0x20
	s_mov_b32 s10, s3
	s_ashr_i32 s11, s3, 31
	s_lshl_b64 s[8:9], s[10:11], 2
	s_waitcnt lgkmcnt(0)
	s_add_u32 s6, s6, s8
	s_addc_u32 s7, s7, s9
	s_abs_i32 s3, s30
	v_cvt_f32_u32_e32 v1, s3
	s_sub_i32 s11, 0, s3
	s_abs_i32 s9, s5
	s_xor_b32 s8, s5, s30
	v_rcp_iflag_f32_e32 v1, v1
	s_ashr_i32 s8, s8, 31
	s_mov_b32 s42, 0
	v_mul_f32_e32 v1, 0x4f7ffffe, v1
	v_cvt_u32_f32_e32 v1, v1
	s_nop 0
	v_readfirstlane_b32 s12, v1
	s_mul_i32 s11, s11, s12
	s_mul_hi_u32 s11, s12, s11
	s_add_i32 s12, s12, s11
	s_mul_hi_u32 s11, s9, s12
	s_mul_i32 s12, s11, s3
	s_sub_i32 s9, s9, s12
	s_add_i32 s12, s11, 1
	s_sub_i32 s13, s9, s3
	s_cmp_ge_u32 s9, s3
	s_cselect_b32 s11, s12, s11
	s_cselect_b32 s9, s13, s9
	s_add_i32 s12, s11, 1
	s_cmp_ge_u32 s9, s3
	s_cselect_b32 s3, s12, s11
	s_xor_b32 s3, s3, s8
	s_sub_i32 s12, s3, s8
	s_abs_i32 s11, s12
	v_cvt_f32_u32_e32 v1, s11
	s_load_dwordx2 s[8:9], s[0:1], 0x40
	s_sub_i32 s3, 0, s11
	s_abs_i32 s22, s2
	v_rcp_iflag_f32_e32 v1, v1
	s_nop 0
	v_mul_f32_e32 v1, 0x4f7ffffe, v1
	v_cvt_u32_f32_e32 v1, v1
	s_nop 0
	v_readfirstlane_b32 s13, v1
	s_mul_i32 s3, s3, s13
	s_mul_hi_u32 s3, s13, s3
	s_add_i32 s13, s13, s3
	s_waitcnt lgkmcnt(0)
	s_cmp_eq_u64 s[8:9], 0
	s_mul_hi_u32 s23, s22, s13
	s_cbranch_scc1 .LBB24_2
; %bb.1:
	s_ashr_i32 s3, s2, 31
	s_lshl_b64 s[14:15], s[2:3], 2
	s_add_u32 s8, s8, s14
	s_addc_u32 s9, s9, s15
	s_load_dword s42, s[8:9], 0x0
.LBB24_2:
	s_load_dword s33, s[6:7], 0x0
	s_ashr_i32 s9, s12, 31
	s_load_dwordx4 s[12:15], s[0:1], 0x48
	v_lshrrev_b32_e32 v50, 2, v0
	s_movk_i32 s6, 0x80
	s_ashr_i32 s3, s2, 31
	v_and_b32_e32 v51, 3, v0
	s_lshl_b32 s20, s2, 7
	v_cmp_gt_u32_e32 vcc, s6, v0
	v_lshlrev_b32_e32 v6, 2, v0
	v_lshlrev_b32_e32 v1, 2, v50
	s_and_saveexec_b64 s[6:7], vcc
	s_cbranch_execz .LBB24_4
; %bb.3:
	s_load_dwordx2 s[16:17], s[0:1], 0x8
	s_waitcnt lgkmcnt(0)
	s_mul_i32 s18, s12, s10
	s_ashr_i32 s19, s18, 31
	s_lshl_b64 s[18:19], s[18:19], 2
	v_lshl_add_u32 v3, v51, 7, v1
	s_add_u32 s8, s16, s18
	s_addc_u32 s12, s17, s19
	s_ashr_i32 s21, s20, 31
	s_lshl_b64 s[16:17], s[20:21], 2
	s_add_u32 s16, s8, s16
	s_addc_u32 s17, s12, s17
	global_load_dword v2, v6, s[16:17]
	s_waitcnt vmcnt(0)
	ds_write_b32 v3, v2
.LBB24_4:
	s_or_b64 exec, exec, s[6:7]
	s_mul_i32 s6, s23, s11
	s_sub_i32 s6, s22, s6
	s_xor_b32 s3, s3, s9
	s_add_i32 s7, s23, 1
	s_sub_i32 s9, s6, s11
	s_load_dwordx4 s[16:19], s[0:1], 0x68
	s_load_dword s8, s[0:1], 0x78
	s_cmp_ge_u32 s6, s11
	s_cselect_b32 s7, s7, s23
	s_cselect_b32 s6, s9, s6
	s_add_i32 s9, s7, 1
	s_cmp_ge_u32 s6, s11
	s_cselect_b32 s6, s9, s7
	s_waitcnt lgkmcnt(0)
	s_abs_i32 s21, s19
	v_cvt_f32_u32_e32 v2, s21
	s_xor_b32 s6, s6, s3
	s_sub_i32 s3, s6, s3
	s_sub_i32 s6, 0, s21
	v_rcp_iflag_f32_e32 v2, v2
	s_add_i32 s11, s33, -1
	s_abs_i32 s9, s11
	v_mul_f32_e32 v2, 0x4f7ffffe, v2
	v_cvt_u32_f32_e32 v2, v2
	s_barrier
	v_readfirstlane_b32 s40, v2
	s_mul_i32 s6, s6, s40
	s_mul_hi_u32 s6, s40, s6
	s_add_i32 s40, s40, s6
	s_cmp_lt_i32 s8, 0
	s_mul_hi_u32 s12, s9, s40
	s_cbranch_scc0 .LBB24_6
; %bb.5:
	s_mul_i32 s6, s16, s30
	s_add_i32 s6, s3, s6
	s_mul_i32 s6, s6, s8
	s_sub_i32 s41, 1, s6
	s_mov_b64 s[6:7], 0
	s_branch .LBB24_7
.LBB24_6:
	s_mov_b64 s[6:7], -1
                                        ; implicit-def: $sgpr41
.LBB24_7:
	s_load_dwordx2 s[24:25], s[0:1], 0x28
	s_ashr_i32 s15, s11, 31
	s_andn2_b64 vcc, exec, s[6:7]
	s_ashr_i32 s19, s19, 31
	s_cbranch_vccnz .LBB24_9
; %bb.8:
	s_mul_i32 s6, s5, s16
	s_add_i32 s2, s6, s2
	s_mul_i32 s2, s2, s8
	s_add_i32 s41, s2, 1
.LBB24_9:
	s_load_dword s2, s[0:1], 0x38
	s_load_dwordx2 s[22:23], s[0:1], 0x0
	s_load_dwordx2 s[28:29], s[0:1], 0x18
	s_load_dword s11, s[0:1], 0x88
	s_xor_b32 s6, s15, s19
	s_waitcnt lgkmcnt(0)
	s_mul_i32 s26, s2, s10
	s_mul_i32 s2, s12, s21
	s_sub_i32 s2, s9, s2
	s_ashr_i32 s27, s26, 31
	s_add_i32 s7, s12, 1
	s_sub_i32 s8, s2, s21
	s_cmp_ge_u32 s2, s21
	s_cselect_b32 s7, s7, s12
	s_cselect_b32 s2, s8, s2
	s_add_i32 s8, s7, 1
	s_cmp_ge_u32 s2, s21
	s_cselect_b32 s2, s8, s7
	s_xor_b32 s2, s2, s6
	s_sub_i32 s12, s2, s6
	s_add_i32 s2, s33, 15
	s_ashr_i32 s6, s2, 31
	s_lshr_b32 s6, s6, 28
	s_add_i32 s2, s2, s6
	s_ashr_i32 s16, s2, 4
	v_lshrrev_b32_e32 v52, 6, v0
	v_cmp_gt_i32_e64 s[6:7], s16, v52
	v_mov_b32_e32 v11, 0xff7fffff
	s_mul_i32 s14, s3, s14
	v_lshrrev_b32_e32 v7, 4, v0
	v_lshlrev_b32_e32 v53, 4, v52
	v_mbcnt_lo_u32_b32 v8, -1, 0
	s_and_saveexec_b64 s[34:35], s[6:7]
	s_cbranch_execz .LBB24_21
; %bb.10:
	s_load_dwordx2 s[0:1], s[0:1], 0x10
	s_ashr_i32 s15, s14, 31
	s_sub_i32 s30, s12, s17
	s_lshl_b64 s[2:3], s[14:15], 2
	v_bfe_u32 v9, v0, 2, 4
	s_waitcnt lgkmcnt(0)
	s_add_u32 s0, s0, s2
	s_addc_u32 s1, s1, s3
	s_abs_i32 s15, s18
	v_cvt_f32_u32_e32 v2, s15
	v_lshlrev_b32_e32 v4, 4, v9
	v_mov_b32_e32 v5, 0
	v_lshlrev_b32_e32 v11, 2, v9
	v_rcp_iflag_f32_e32 v10, v2
	v_lshl_add_u64 v[2:3], s[0:1], 0, v[4:5]
	v_lshlrev_b32_e32 v4, 2, v51
	v_lshl_add_u64 v[2:3], v[2:3], 0, v[4:5]
	v_mul_f32_e32 v4, 0x4f7ffffe, v10
	v_cvt_u32_f32_e32 v4, v4
	s_sub_i32 s0, 0, s15
	v_lshl_or_b32 v11, v52, 6, v11
	v_mbcnt_hi_u32_b32 v17, -1, v8
	v_mul_lo_u32 v12, s0, v4
	s_lshl_b64 s[0:1], s[26:27], 2
	v_mul_hi_u32 v12, v4, v12
	s_add_u32 s0, s24, s0
	v_add_u32_e32 v12, v4, v12
	v_and_b32_e32 v4, 60, v7
	s_addc_u32 s1, s25, s1
	v_subrev_u32_e32 v14, s33, v9
	v_add_u32_e32 v15, 0x210, v11
	v_and_b32_e32 v11, 64, v17
	v_cmp_eq_u32_e32 vcc, 0, v51
	s_mov_b32 s43, s13
	v_lshlrev_b32_e32 v10, 7, v51
	v_cmp_neq_f32_e64 s[2:3], s42, 0
	v_lshl_add_u64 v[4:5], s[0:1], 0, v[4:5]
	v_lshlrev_b32_e32 v13, 4, v52
	v_add_u32_e32 v14, 1, v14
	v_mov_b32_e32 v16, 0xff7fffff
	s_mov_b64 s[36:37], 0
	s_movk_i32 s44, 0x1000
	v_add_u32_e32 v18, 64, v11
	v_xor_b32_e32 v19, 2, v17
	v_xor_b32_e32 v20, 1, v17
	v_mov_b32_e32 v11, 0xff7fffff
	v_mov_b32_e32 v21, v52
	s_branch .LBB24_13
.LBB24_11:                              ;   in Loop: Header=BB24_13 Depth=1
	s_or_b64 exec, exec, s[38:39]
.LBB24_12:                              ;   in Loop: Header=BB24_13 Depth=1
	s_or_b64 exec, exec, s[8:9]
	v_add_u32_e32 v21, 2, v21
	v_cmp_le_i32_e64 s[0:1], s16, v21
	v_lshl_add_u64 v[4:5], v[4:5], 0, 8
	v_add_u32_e32 v13, 32, v13
	s_or_b64 s[36:37], s[0:1], s[36:37]
	v_add_u32_e32 v15, 0x80, v15
	s_andn2_b64 exec, exec, s[36:37]
	s_cbranch_execz .LBB24_20
.LBB24_13:                              ; =>This Inner Loop Header: Depth=1
	v_mul_hi_u32 v22, v13, s40
	s_waitcnt lgkmcnt(0)
	v_mul_lo_u32 v23, v22, s21
	v_sub_u32_e32 v23, v13, v23
	v_add_u32_e32 v24, 1, v22
	v_cmp_le_u32_e64 s[0:1], s21, v23
	s_nop 1
	v_cndmask_b32_e64 v22, v22, v24, s[0:1]
	v_subrev_u32_e32 v24, s21, v23
	v_cndmask_b32_e64 v23, v23, v24, s[0:1]
	v_add_u32_e32 v24, 1, v22
	v_cmp_le_u32_e64 s[0:1], s21, v23
	s_nop 1
	v_cndmask_b32_e64 v22, v22, v24, s[0:1]
	v_xor_b32_e32 v22, s19, v22
	v_subrev_u32_e32 v22, s19, v22
	v_add_u32_e32 v23, s41, v22
	v_sub_u32_e32 v25, 0, v23
	v_ashrrev_i32_e32 v24, 31, v23
	v_max_i32_e32 v23, v23, v25
	v_mul_hi_u32 v25, v23, v12
	v_mul_lo_u32 v25, v25, s15
	v_sub_u32_e32 v23, v23, v25
	v_subrev_u32_e32 v25, s15, v23
	v_cmp_le_u32_e64 s[0:1], s15, v23
	v_cmp_ge_i32_e64 s[8:9], s30, v22
	s_nop 0
	v_cndmask_b32_e64 v23, v23, v25, s[0:1]
	v_subrev_u32_e32 v25, s15, v23
	v_cmp_le_u32_e64 s[0:1], s15, v23
	s_nop 1
	v_cndmask_b32_e64 v23, v23, v25, s[0:1]
	v_xor_b32_e32 v23, v23, v24
	v_sub_u32_e32 v23, v23, v24
	v_cmp_ne_u32_e64 s[0:1], 0, v23
	s_and_b64 s[0:1], s[0:1], s[8:9]
	s_and_saveexec_b64 s[8:9], s[0:1]
	s_xor_b64 s[0:1], exec, s[8:9]
	s_cbranch_execz .LBB24_17
; %bb.14:                               ;   in Loop: Header=BB24_13 Depth=1
	s_and_saveexec_b64 s[8:9], vcc
; %bb.15:                               ;   in Loop: Header=BB24_13 Depth=1
	ds_write_b32 v15, v16
; %bb.16:                               ;   in Loop: Header=BB24_13 Depth=1
	s_or_b64 exec, exec, s[8:9]
.LBB24_17:                              ;   in Loop: Header=BB24_13 Depth=1
	s_andn2_saveexec_b64 s[8:9], s[0:1]
	s_cbranch_execz .LBB24_12
; %bb.18:                               ;   in Loop: Header=BB24_13 Depth=1
	global_load_dword v22, v[4:5], off
	s_waitcnt vmcnt(0)
	v_mad_i64_i32 v[22:23], s[0:1], v22, s43, 0
	v_lshl_add_u64 v[22:23], v[22:23], 2, v[2:3]
	global_load_dword v58, v[22:23], off offset:256
	global_load_dword v59, v[22:23], off offset:512
	;; [unrolled: 1-line block ×7, first 2 shown]
	global_load_dword v65, v[22:23], off
	global_load_dword v66, v[22:23], off offset:2048
	global_load_dword v67, v[22:23], off offset:2304
	;; [unrolled: 1-line block ×8, first 2 shown]
	v_add_co_u32_e64 v22, s[0:1], s44, v22
	s_nop 1
	v_addc_co_u32_e64 v23, s[0:1], 0, v23, s[0:1]
	global_load_dword v74, v[22:23], off
	global_load_dword v75, v[22:23], off offset:256
	global_load_dword v76, v[22:23], off offset:512
	;; [unrolled: 1-line block ×15, first 2 shown]
	ds_read_b128 v[22:25], v10
	ds_read_b128 v[26:29], v10 offset:16
	ds_read_b128 v[30:33], v10 offset:32
	;; [unrolled: 1-line block ×7, first 2 shown]
	v_cmp_lt_i32_e64 s[0:1], v19, v18
	s_waitcnt vmcnt(31) lgkmcnt(7)
	v_mul_f32_e32 v23, v23, v58
	v_cndmask_b32_e64 v90, v17, v19, s[0:1]
	v_cmp_lt_i32_e64 s[0:1], v20, v18
	s_waitcnt vmcnt(24)
	v_fmac_f32_e32 v23, v22, v65
	v_fmac_f32_e32 v23, v24, v59
	;; [unrolled: 1-line block ×3, first 2 shown]
	s_waitcnt lgkmcnt(6)
	v_fmac_f32_e32 v23, v26, v61
	v_fmac_f32_e32 v23, v27, v62
	;; [unrolled: 1-line block ×4, first 2 shown]
	s_waitcnt vmcnt(23) lgkmcnt(5)
	v_fmac_f32_e32 v23, v30, v66
	s_waitcnt vmcnt(22)
	v_fmac_f32_e32 v23, v31, v67
	s_waitcnt vmcnt(21)
	v_fmac_f32_e32 v23, v32, v68
	s_waitcnt vmcnt(20)
	v_fmac_f32_e32 v23, v33, v69
	s_waitcnt vmcnt(19) lgkmcnt(4)
	v_fmac_f32_e32 v23, v34, v70
	s_waitcnt vmcnt(18)
	v_fmac_f32_e32 v23, v35, v71
	s_waitcnt vmcnt(17)
	v_fmac_f32_e32 v23, v36, v72
	s_waitcnt vmcnt(16)
	v_fmac_f32_e32 v23, v37, v73
	;; [unrolled: 8-line block ×5, first 2 shown]
	s_waitcnt vmcnt(3) lgkmcnt(0)
	v_fmac_f32_e32 v23, v54, v86
	s_waitcnt vmcnt(2)
	v_fmac_f32_e32 v23, v55, v87
	s_waitcnt vmcnt(1)
	v_fmac_f32_e32 v23, v56, v88
	v_lshlrev_b32_e32 v22, 2, v90
	s_waitcnt vmcnt(0)
	v_fmac_f32_e32 v23, v57, v89
	ds_bpermute_b32 v22, v22, v23
	v_cndmask_b32_e64 v24, v17, v20, s[0:1]
	v_lshlrev_b32_e32 v24, 2, v24
	s_waitcnt lgkmcnt(0)
	v_add_f32_e32 v22, v23, v22
	ds_bpermute_b32 v23, v24, v22
	s_and_saveexec_b64 s[38:39], vcc
	s_cbranch_execz .LBB24_11
; %bb.19:                               ;   in Loop: Header=BB24_13 Depth=1
	v_add_u32_e32 v24, v14, v13
	v_cvt_f32_i32_e32 v24, v24
	s_waitcnt lgkmcnt(0)
	v_add_f32_e32 v22, v22, v23
	v_add_u32_e32 v25, v9, v13
	v_cmp_gt_i32_e64 s[0:1], s33, v25
	v_mul_f32_e32 v23, s42, v24
	v_cndmask_b32_e64 v23, 0, v23, s[2:3]
	v_fmac_f32_e32 v23, s31, v22
	v_cndmask_b32_e64 v22, 0, v23, s[0:1]
	ds_write_b32 v15, v22
	v_max_f32_e32 v22, v11, v11
	v_max_f32_e32 v22, v22, v23
	v_cndmask_b32_e64 v11, v11, v22, s[0:1]
	s_branch .LBB24_11
.LBB24_20:
	s_or_b64 exec, exec, s[36:37]
.LBB24_21:
	s_or_b64 exec, exec, s[34:35]
	v_mbcnt_hi_u32_b32 v2, -1, v8
	v_and_b32_e32 v12, 64, v2
	v_add_u32_e32 v3, 64, v12
	v_xor_b32_e32 v4, 32, v2
	v_cmp_lt_i32_e32 vcc, v4, v3
	v_xor_b32_e32 v9, 16, v2
	v_max_f32_e32 v8, v11, v11
	v_cndmask_b32_e32 v4, v2, v4, vcc
	v_lshlrev_b32_e32 v4, 2, v4
	ds_bpermute_b32 v5, v4, v11
	v_cmp_lt_i32_e32 vcc, v9, v3
	v_xor_b32_e32 v10, 8, v2
	v_xor_b32_e32 v11, 4, v2
	v_and_b32_e32 v54, 63, v0
	s_waitcnt lgkmcnt(0)
	v_max_f32_e32 v5, v5, v5
	v_max_f32_e32 v8, v8, v5
	v_cndmask_b32_e32 v5, v2, v9, vcc
	v_lshlrev_b32_e32 v5, 2, v5
	ds_bpermute_b32 v9, v5, v8
	v_cmp_lt_i32_e32 vcc, v10, v3
	s_waitcnt lgkmcnt(0)
	v_max_f32_e32 v9, v9, v9
	v_max_f32_e32 v8, v8, v9
	v_cndmask_b32_e32 v9, v2, v10, vcc
	v_lshlrev_b32_e32 v10, 2, v9
	ds_bpermute_b32 v9, v10, v8
	v_cmp_lt_i32_e32 vcc, v11, v3
	s_waitcnt lgkmcnt(0)
	v_max_f32_e32 v9, v9, v9
	v_max_f32_e32 v9, v8, v9
	v_cndmask_b32_e32 v8, v2, v11, vcc
	v_lshlrev_b32_e32 v11, 2, v8
	ds_bpermute_b32 v13, v11, v9
	v_cmp_eq_u32_e32 vcc, 0, v54
	v_lshlrev_b32_e32 v8, 2, v52
	s_and_saveexec_b64 s[0:1], vcc
	s_cbranch_execz .LBB24_23
; %bb.22:
	s_waitcnt lgkmcnt(0)
	v_max_f32_e32 v13, v13, v13
	v_max_f32_e32 v9, v9, v9
	;; [unrolled: 1-line block ×3, first 2 shown]
	ds_write_b32 v8, v9 offset:512
.LBB24_23:
	s_or_b64 exec, exec, s[0:1]
	v_cmp_gt_u32_e64 s[0:1], 2, v54
	s_waitcnt lgkmcnt(0)
	v_mov_b32_e32 v13, 0xff7fffff
	v_lshlrev_b32_e32 v9, 2, v54
	s_barrier
	s_and_saveexec_b64 s[2:3], s[0:1]
; %bb.24:
	ds_read_b32 v13, v9 offset:512
; %bb.25:
	s_or_b64 exec, exec, s[2:3]
	v_xor_b32_e32 v14, 1, v2
	v_cmp_lt_i32_e64 s[2:3], v14, v3
	v_lshlrev_b32_e32 v12, 2, v12
	s_nop 0
	v_cndmask_b32_e64 v14, v2, v14, s[2:3]
	v_lshlrev_b32_e32 v55, 2, v14
	s_waitcnt lgkmcnt(0)
	ds_bpermute_b32 v14, v55, v13
	v_max_f32_e32 v13, v13, v13
	s_lshl_b32 s2, s16, 4
	s_min_i32 s15, s2, s33
	v_cmp_gt_i32_e64 s[2:3], s15, v0
	s_waitcnt lgkmcnt(0)
	v_max_f32_e32 v14, v14, v14
	v_max_f32_e32 v13, v13, v14
	ds_bpermute_b32 v13, v12, v13
	v_mov_b32_e32 v12, 0
	s_and_saveexec_b64 s[30:31], s[2:3]
	s_cbranch_execz .LBB24_29
; %bb.26:
	v_mov_b32_e32 v12, 0x210
	v_lshl_add_u32 v14, v0, 2, v12
	v_mov_b32_e32 v12, 0
	s_mov_b64 s[34:35], 0
	v_mov_b32_e32 v15, v0
.LBB24_27:                              ; =>This Inner Loop Header: Depth=1
	ds_read_b32 v16, v14
	v_add_u32_e32 v15, 0x80, v15
	v_cmp_le_i32_e64 s[8:9], s15, v15
	s_or_b64 s[34:35], s[8:9], s[34:35]
	s_waitcnt lgkmcnt(0)
	v_sub_f32_e32 v16, v16, v13
	v_mul_f32_e32 v16, 0x3fb8aa3b, v16
	v_exp_f32_e32 v16, v16
	ds_write_b32 v14, v16
	v_add_f32_e32 v12, v12, v16
	v_add_u32_e32 v14, 0x200, v14
	s_andn2_b64 exec, exec, s[34:35]
	s_cbranch_execnz .LBB24_27
; %bb.28:
	s_or_b64 exec, exec, s[34:35]
.LBB24_29:
	s_or_b64 exec, exec, s[30:31]
	ds_bpermute_b32 v4, v4, v12
	s_waitcnt lgkmcnt(0)
	v_add_f32_e32 v4, v12, v4
	ds_bpermute_b32 v5, v5, v4
	s_waitcnt lgkmcnt(0)
	v_add_f32_e32 v4, v4, v5
	ds_bpermute_b32 v5, v10, v4
	v_xor_b32_e32 v10, 2, v2
	v_cmp_lt_i32_e64 s[8:9], v10, v3
	s_waitcnt lgkmcnt(0)
	v_add_f32_e32 v4, v4, v5
	ds_bpermute_b32 v5, v11, v4
	v_cndmask_b32_e64 v3, v2, v10, s[8:9]
	v_lshlrev_b32_e32 v56, 2, v3
	s_waitcnt lgkmcnt(0)
	v_add_f32_e32 v4, v4, v5
	ds_bpermute_b32 v3, v56, v4
	s_waitcnt lgkmcnt(0)
	v_add_f32_e32 v3, v4, v3
	ds_bpermute_b32 v4, v55, v3
	s_waitcnt lgkmcnt(0)
	v_add_f32_e32 v3, v3, v4
	s_and_saveexec_b64 s[8:9], vcc
; %bb.30:
	ds_write_b32 v8, v3 offset:520
; %bb.31:
	s_or_b64 exec, exec, s[8:9]
	s_waitcnt lgkmcnt(0)
	s_barrier
	s_and_saveexec_b64 s[8:9], s[0:1]
; %bb.32:
	ds_read_b32 v3, v9 offset:520
; %bb.33:
	s_or_b64 exec, exec, s[8:9]
	s_waitcnt lgkmcnt(0)
	ds_bpermute_b32 v4, v55, v3
	v_lshlrev_b32_e32 v2, 2, v2
	v_and_b32_e32 v2, 0x100, v2
	s_waitcnt lgkmcnt(0)
	v_add_f32_e32 v3, v3, v4
	ds_bpermute_b32 v2, v2, v3
	s_and_saveexec_b64 s[0:1], s[2:3]
	s_cbranch_execz .LBB24_46
; %bb.34:
	s_waitcnt lgkmcnt(0)
	v_add_f32_e32 v2, 0x358637bd, v2
	v_div_scale_f32 v3, s[2:3], v2, v2, 1.0
	v_rcp_f32_e32 v4, v3
	v_div_scale_f32 v5, vcc, 1.0, v2, 1.0
	s_movk_i32 s2, 0x7f
	v_fma_f32 v8, -v3, v4, 1.0
	v_fmac_f32_e32 v4, v8, v4
	v_mul_f32_e32 v8, v5, v4
	v_fma_f32 v9, -v3, v8, v5
	v_fmac_f32_e32 v8, v9, v4
	v_fma_f32 v3, -v3, v8, v5
	v_div_fmas_f32 v3, v3, v4, v8
	v_xad_u32 v4, v0, -1, s15
	v_div_fixup_f32 v2, v3, v2, 1.0
	v_cmp_lt_u32_e32 vcc, s2, v4
	s_mov_b64 s[8:9], -1
	v_mov_b32_e32 v3, v0
	s_and_saveexec_b64 s[2:3], vcc
	s_cbranch_execz .LBB24_43
; %bb.35:
	v_lshrrev_b32_e32 v4, 7, v4
	v_add_u32_e32 v8, -1, v4
	v_lshrrev_b32_e32 v5, 1, v8
	v_mov_b32_e32 v3, v2
	v_add_u32_e32 v5, 1, v5
	v_cmp_lt_u32_e32 vcc, 13, v8
	v_mov_b32_e32 v10, 0
	s_and_saveexec_b64 s[8:9], vcc
	s_cbranch_execz .LBB24_39
; %bb.36:
	v_mov_b32_e32 v9, 0x210
	v_and_b32_e32 v8, -8, v5
	v_lshl_add_u32 v9, v0, 2, v9
	s_mov_b32 s34, 0
	s_mov_b64 s[30:31], 0
.LBB24_37:                              ; =>This Inner Loop Header: Depth=1
	ds_read2st64_b32 v[10:11], v9 offset1:2
	ds_read2st64_b32 v[12:13], v9 offset0:4 offset1:6
	ds_read2st64_b32 v[14:15], v9 offset0:8 offset1:10
	;; [unrolled: 1-line block ×3, first 2 shown]
	v_add_u32_e32 v8, -8, v8
	s_waitcnt lgkmcnt(3)
	v_pk_mul_f32 v[10:11], v[2:3], v[10:11]
	s_waitcnt lgkmcnt(2)
	v_pk_mul_f32 v[12:13], v[2:3], v[12:13]
	ds_write2st64_b32 v9, v10, v11 offset1:2
	ds_write2st64_b32 v9, v12, v13 offset0:4 offset1:6
	ds_read2st64_b32 v[12:13], v9 offset0:16 offset1:18
	s_waitcnt lgkmcnt(4)
	v_pk_mul_f32 v[10:11], v[2:3], v[14:15]
	ds_write2st64_b32 v9, v10, v11 offset0:8 offset1:10
	s_waitcnt lgkmcnt(4)
	v_pk_mul_f32 v[10:11], v[2:3], v[16:17]
	ds_write2st64_b32 v9, v10, v11 offset0:12 offset1:14
	ds_read2st64_b32 v[10:11], v9 offset0:20 offset1:22
	s_waitcnt lgkmcnt(3)
	v_pk_mul_f32 v[12:13], v[2:3], v[12:13]
	ds_read2st64_b32 v[14:15], v9 offset0:24 offset1:26
	ds_write2st64_b32 v9, v12, v13 offset0:16 offset1:18
	ds_read2st64_b32 v[12:13], v9 offset0:28 offset1:30
	s_waitcnt lgkmcnt(3)
	v_pk_mul_f32 v[10:11], v[2:3], v[10:11]
	ds_write2st64_b32 v9, v10, v11 offset0:20 offset1:22
	s_waitcnt lgkmcnt(3)
	v_pk_mul_f32 v[10:11], v[2:3], v[14:15]
	ds_write2st64_b32 v9, v10, v11 offset0:24 offset1:26
	s_waitcnt lgkmcnt(2)
	v_pk_mul_f32 v[10:11], v[2:3], v[12:13]
	s_add_i32 s34, s34, 16
	v_cmp_eq_u32_e32 vcc, 0, v8
	ds_write2st64_b32 v9, v10, v11 offset0:28 offset1:30
	v_add_u32_e32 v9, 0x2000, v9
	s_or_b64 s[30:31], vcc, s[30:31]
	v_mov_b32_e32 v10, s34
	s_andn2_b64 exec, exec, s[30:31]
	s_cbranch_execnz .LBB24_37
; %bb.38:
	s_or_b64 exec, exec, s[30:31]
.LBB24_39:
	s_or_b64 exec, exec, s[8:9]
	v_and_b32_e32 v5, 7, v5
	v_cmp_ne_u32_e32 vcc, 0, v5
	s_and_saveexec_b64 s[8:9], vcc
	s_cbranch_execz .LBB24_42
; %bb.40:
	v_lshlrev_b32_e32 v8, 9, v10
	s_movk_i32 s30, 0x210
	v_add3_u32 v8, v8, v6, s30
	s_mov_b64 s[30:31], 0
.LBB24_41:                              ; =>This Inner Loop Header: Depth=1
	ds_read2st64_b32 v[10:11], v8 offset1:2
	v_add_u32_e32 v5, -1, v5
	v_cmp_eq_u32_e32 vcc, 0, v5
	s_or_b64 s[30:31], vcc, s[30:31]
	s_waitcnt lgkmcnt(0)
	v_pk_mul_f32 v[10:11], v[2:3], v[10:11]
	ds_write2st64_b32 v8, v10, v11 offset1:2
	v_add_u32_e32 v8, 0x400, v8
	s_andn2_b64 exec, exec, s[30:31]
	s_cbranch_execnz .LBB24_41
.LBB24_42:
	s_or_b64 exec, exec, s[8:9]
	v_add_u32_e32 v4, 1, v4
	v_and_b32_e32 v5, 0x3fffffe, v4
	v_cmp_ne_u32_e32 vcc, v4, v5
	v_lshl_add_u32 v3, v5, 7, v0
	s_orn2_b64 s[8:9], vcc, exec
.LBB24_43:
	s_or_b64 exec, exec, s[2:3]
	s_and_b64 exec, exec, s[8:9]
	s_cbranch_execz .LBB24_46
; %bb.44:
	v_mov_b32_e32 v4, 0x210
	v_lshl_add_u32 v4, v3, 2, v4
	s_mov_b64 s[2:3], 0
.LBB24_45:                              ; =>This Inner Loop Header: Depth=1
	ds_read_b32 v5, v4
	v_add_u32_e32 v3, 0x80, v3
	v_cmp_le_i32_e32 vcc, s15, v3
	s_or_b64 s[2:3], vcc, s[2:3]
	s_waitcnt lgkmcnt(0)
	v_mul_f32_e32 v5, v2, v5
	ds_write_b32 v4, v5
	v_add_u32_e32 v4, 0x200, v4
	s_andn2_b64 exec, exec, s[2:3]
	s_cbranch_execnz .LBB24_45
.LBB24_46:
	s_or_b64 exec, exec, s[0:1]
	v_mov_b32_e32 v41, 0
	v_mov_b32_e32 v40, 0
	;; [unrolled: 1-line block ×8, first 2 shown]
	s_waitcnt lgkmcnt(0)
	s_barrier
	s_and_saveexec_b64 s[2:3], s[6:7]
	s_cbranch_execz .LBB24_68
; %bb.47:
	s_ashr_i32 s15, s14, 31
	s_sub_i32 s17, s12, s17
	s_lshl_b64 s[0:1], s[14:15], 2
	s_add_u32 s0, s28, s0
	s_addc_u32 s1, s29, s1
	s_abs_i32 s14, s18
	v_cvt_f32_u32_e32 v2, s14
	v_lshlrev_b32_e32 v3, 4, v0
	v_and_b32_e32 v38, 0x3f0, v3
	v_mov_b32_e32 v39, 0
	v_rcp_iflag_f32_e32 v2, v2
	v_lshl_add_u64 v[46:47], s[0:1], 0, v[38:39]
	s_sub_i32 s0, 0, s14
	s_add_i32 s18, s16, -1
	v_mul_f32_e32 v2, 0x4f7ffffe, v2
	v_cvt_u32_f32_e32 v2, v2
	v_and_b32_e32 v38, 60, v7
	v_and_b32_e32 v57, 12, v6
	s_mov_b32 s15, s13
	v_mul_lo_u32 v3, s0, v2
	v_mul_hi_u32 v3, v2, v3
	s_lshl_b64 s[0:1], s[26:27], 2
	v_add_u32_e32 v58, v2, v3
	s_add_u32 s0, s24, s0
	v_lshlrev_b32_e32 v2, 4, v51
	s_addc_u32 s1, s25, s1
	v_lshl_or_b32 v2, v52, 6, v2
	s_mov_b32 s28, s33
	v_lshl_add_u64 v[48:49], s[0:1], 0, v[38:39]
	v_add_u32_e32 v59, 0x210, v2
	s_mov_b64 s[6:7], 0
	v_mov_b32_e32 v38, v39
	v_mov_b32_e32 v44, v39
	;; [unrolled: 1-line block ×7, first 2 shown]
	s_branch .LBB24_50
.LBB24_48:                              ;   in Loop: Header=BB24_50 Depth=1
	s_or_b64 exec, exec, s[12:13]
	s_waitcnt vmcnt(1) lgkmcnt(0)
	v_mul_f32_e32 v34, v2, v34
	v_mul_f32_e32 v26, v2, v26
	;; [unrolled: 1-line block ×7, first 2 shown]
	v_fmac_f32_e32 v34, v3, v35
	v_fmac_f32_e32 v26, v3, v27
	;; [unrolled: 1-line block ×14, first 2 shown]
	s_waitcnt vmcnt(0)
	v_pk_mul_f32 v[2:3], v[2:3], v[30:31]
	v_fmac_f32_e32 v34, v5, v37
	v_fmac_f32_e32 v26, v5, v29
	;; [unrolled: 1-line block ×7, first 2 shown]
	v_pk_mul_f32 v[4:5], v[4:5], v[32:33]
	v_add_f32_e32 v2, v3, v2
	v_add_f32_e32 v2, v4, v2
	;; [unrolled: 1-line block ×11, first 2 shown]
.LBB24_49:                              ;   in Loop: Header=BB24_50 Depth=1
	s_or_b64 exec, exec, s[8:9]
	v_add_u32_e32 v52, 2, v52
	v_cmp_le_i32_e32 vcc, s16, v52
	v_lshl_add_u64 v[48:49], v[48:49], 0, 8
	v_add_u32_e32 v53, 32, v53
	s_or_b64 s[6:7], vcc, s[6:7]
	v_add_u32_e32 v59, 0x80, v59
	s_andn2_b64 exec, exec, s[6:7]
	s_cbranch_execz .LBB24_67
.LBB24_50:                              ; =>This Inner Loop Header: Depth=1
	v_mul_hi_u32 v2, v53, s40
	v_mul_lo_u32 v3, v2, s21
	v_sub_u32_e32 v3, v53, v3
	v_add_u32_e32 v4, 1, v2
	v_cmp_le_u32_e32 vcc, s21, v3
	s_nop 1
	v_cndmask_b32_e32 v2, v2, v4, vcc
	v_subrev_u32_e32 v4, s21, v3
	v_cndmask_b32_e32 v3, v3, v4, vcc
	v_add_u32_e32 v4, 1, v2
	v_cmp_le_u32_e32 vcc, s21, v3
	s_nop 1
	v_cndmask_b32_e32 v2, v2, v4, vcc
	v_xor_b32_e32 v2, s19, v2
	v_subrev_u32_e32 v2, s19, v2
	v_add_u32_e32 v3, s41, v2
	v_sub_u32_e32 v5, 0, v3
	v_ashrrev_i32_e32 v4, 31, v3
	v_max_i32_e32 v3, v3, v5
	v_mul_hi_u32 v5, v3, v58
	v_mul_lo_u32 v5, v5, s14
	v_sub_u32_e32 v3, v3, v5
	v_subrev_u32_e32 v5, s14, v3
	v_cmp_le_u32_e32 vcc, s14, v3
	v_cmp_lt_i32_e64 s[0:1], s17, v2
	s_nop 0
	v_cndmask_b32_e32 v3, v3, v5, vcc
	v_subrev_u32_e32 v5, s14, v3
	v_cmp_le_u32_e32 vcc, s14, v3
	s_nop 1
	v_cndmask_b32_e32 v3, v3, v5, vcc
	v_xor_b32_e32 v3, v3, v4
	v_sub_u32_e32 v3, v3, v4
	v_cmp_eq_u32_e32 vcc, 0, v3
	s_or_b64 s[0:1], vcc, s[0:1]
	s_and_saveexec_b64 s[8:9], s[0:1]
	s_cbranch_execz .LBB24_49
; %bb.51:                               ;   in Loop: Header=BB24_50 Depth=1
	global_load_dword v2, v[48:49], off
	v_add_u32_e32 v60, v57, v53
	v_add_u32_e32 v63, 1, v60
	v_or_b32_e32 v62, 3, v60
	v_or_b32_e32 v61, 2, v60
	s_waitcnt vmcnt(0)
	v_mad_i64_i32 v[2:3], s[0:1], v2, s15, 0
	v_lshl_add_u64 v[30:31], v[2:3], 2, v[46:47]
	global_load_dwordx4 v[6:9], v[30:31], off
	ds_read_b128 v[2:5], v59
	v_cmp_eq_u32_e64 s[0:1], s18, v52
	s_and_saveexec_b64 s[12:13], s[0:1]
	s_cbranch_execnz .LBB24_64
; %bb.52:                               ;   in Loop: Header=BB24_50 Depth=1
	s_or_b64 exec, exec, s[12:13]
	global_load_dwordx4 v[10:13], v[30:31], off offset:1024
	s_and_saveexec_b64 s[12:13], s[0:1]
	s_cbranch_execnz .LBB24_65
.LBB24_53:                              ;   in Loop: Header=BB24_50 Depth=1
	s_or_b64 exec, exec, s[12:13]
	global_load_dwordx4 v[14:17], v[30:31], off offset:2048
	s_and_saveexec_b64 s[12:13], s[0:1]
	s_cbranch_execnz .LBB24_66
.LBB24_54:                              ;   in Loop: Header=BB24_50 Depth=1
	s_or_b64 exec, exec, s[12:13]
	global_load_dwordx4 v[18:21], v[30:31], off offset:3072
	s_and_saveexec_b64 s[12:13], s[0:1]
	s_cbranch_execz .LBB24_56
.LBB24_55:                              ;   in Loop: Header=BB24_50 Depth=1
	v_cmp_gt_i32_e32 vcc, s28, v63
	s_waitcnt vmcnt(0)
	s_nop 0
	v_cndmask_b32_e32 v19, 0, v19, vcc
	v_cmp_gt_i32_e32 vcc, s33, v60
	s_nop 1
	v_cndmask_b32_e32 v18, 0, v18, vcc
	v_cmp_gt_i32_e32 vcc, s28, v62
	;; [unrolled: 3-line block ×3, first 2 shown]
	s_nop 1
	v_cndmask_b32_e32 v20, 0, v20, vcc
.LBB24_56:                              ;   in Loop: Header=BB24_50 Depth=1
	s_or_b64 exec, exec, s[12:13]
	v_add_co_u32_e32 v22, vcc, 0x1000, v30
	s_nop 1
	v_addc_co_u32_e32 v23, vcc, 0, v31, vcc
	global_load_dwordx4 v[22:25], v[22:23], off
	s_and_saveexec_b64 s[12:13], s[0:1]
	s_cbranch_execz .LBB24_58
; %bb.57:                               ;   in Loop: Header=BB24_50 Depth=1
	v_cmp_gt_i32_e32 vcc, s28, v63
	s_waitcnt vmcnt(0)
	s_nop 0
	v_cndmask_b32_e32 v23, 0, v23, vcc
	v_cmp_gt_i32_e32 vcc, s33, v60
	s_nop 1
	v_cndmask_b32_e32 v22, 0, v22, vcc
	v_cmp_gt_i32_e32 vcc, s28, v62
	s_nop 1
	v_cndmask_b32_e32 v25, 0, v25, vcc
	v_cmp_gt_i32_e32 vcc, s33, v61
	s_nop 1
	v_cndmask_b32_e32 v24, 0, v24, vcc
.LBB24_58:                              ;   in Loop: Header=BB24_50 Depth=1
	s_or_b64 exec, exec, s[12:13]
	v_add_co_u32_e32 v26, vcc, 0x1000, v30
	s_nop 1
	v_addc_co_u32_e32 v27, vcc, 0, v31, vcc
	global_load_dwordx4 v[26:29], v[26:27], off offset:1024
	s_and_saveexec_b64 s[12:13], s[0:1]
	s_cbranch_execz .LBB24_60
; %bb.59:                               ;   in Loop: Header=BB24_50 Depth=1
	v_cmp_gt_i32_e32 vcc, s28, v63
	s_waitcnt vmcnt(0)
	s_nop 0
	v_cndmask_b32_e32 v27, 0, v27, vcc
	v_cmp_gt_i32_e32 vcc, s33, v60
	s_nop 1
	v_cndmask_b32_e32 v26, 0, v26, vcc
	v_cmp_gt_i32_e32 vcc, s28, v62
	s_nop 1
	v_cndmask_b32_e32 v29, 0, v29, vcc
	v_cmp_gt_i32_e32 vcc, s33, v61
	s_nop 1
	v_cndmask_b32_e32 v28, 0, v28, vcc
.LBB24_60:                              ;   in Loop: Header=BB24_50 Depth=1
	s_or_b64 exec, exec, s[12:13]
	v_add_co_u32_e32 v32, vcc, 0x1000, v30
	s_nop 1
	v_addc_co_u32_e32 v33, vcc, 0, v31, vcc
	global_load_dwordx4 v[34:37], v[32:33], off offset:2048
	;; [unrolled: 22-line block ×3, first 2 shown]
	s_and_saveexec_b64 s[12:13], s[0:1]
	s_cbranch_execz .LBB24_48
; %bb.63:                               ;   in Loop: Header=BB24_50 Depth=1
	v_cmp_gt_i32_e32 vcc, s28, v63
	s_waitcnt vmcnt(0)
	s_nop 0
	v_cndmask_b32_e32 v31, 0, v31, vcc
	v_cmp_gt_i32_e32 vcc, s33, v60
	s_nop 1
	v_cndmask_b32_e32 v30, 0, v30, vcc
	v_cmp_gt_i32_e32 vcc, s28, v62
	s_nop 1
	v_cndmask_b32_e32 v33, 0, v33, vcc
	v_cmp_gt_i32_e32 vcc, s33, v61
	s_nop 1
	v_cndmask_b32_e32 v32, 0, v32, vcc
	s_branch .LBB24_48
.LBB24_64:                              ;   in Loop: Header=BB24_50 Depth=1
	v_cmp_gt_i32_e32 vcc, s28, v63
	s_waitcnt vmcnt(0)
	s_nop 0
	v_cndmask_b32_e32 v7, 0, v7, vcc
	v_cmp_gt_i32_e32 vcc, s33, v60
	s_nop 1
	v_cndmask_b32_e32 v6, 0, v6, vcc
	v_cmp_gt_i32_e32 vcc, s28, v62
	;; [unrolled: 3-line block ×3, first 2 shown]
	s_nop 1
	v_cndmask_b32_e32 v8, 0, v8, vcc
	s_or_b64 exec, exec, s[12:13]
	global_load_dwordx4 v[10:13], v[30:31], off offset:1024
	s_and_saveexec_b64 s[12:13], s[0:1]
	s_cbranch_execz .LBB24_53
.LBB24_65:                              ;   in Loop: Header=BB24_50 Depth=1
	v_cmp_gt_i32_e32 vcc, s28, v63
	s_waitcnt vmcnt(0)
	s_nop 0
	v_cndmask_b32_e32 v11, 0, v11, vcc
	v_cmp_gt_i32_e32 vcc, s33, v60
	s_nop 1
	v_cndmask_b32_e32 v10, 0, v10, vcc
	v_cmp_gt_i32_e32 vcc, s28, v62
	;; [unrolled: 3-line block ×3, first 2 shown]
	s_nop 1
	v_cndmask_b32_e32 v12, 0, v12, vcc
	s_or_b64 exec, exec, s[12:13]
	global_load_dwordx4 v[14:17], v[30:31], off offset:2048
	s_and_saveexec_b64 s[12:13], s[0:1]
	s_cbranch_execz .LBB24_54
.LBB24_66:                              ;   in Loop: Header=BB24_50 Depth=1
	v_cmp_gt_i32_e32 vcc, s28, v63
	s_waitcnt vmcnt(0)
	s_nop 0
	v_cndmask_b32_e32 v15, 0, v15, vcc
	v_cmp_gt_i32_e32 vcc, s33, v60
	s_nop 1
	v_cndmask_b32_e32 v14, 0, v14, vcc
	v_cmp_gt_i32_e32 vcc, s28, v62
	;; [unrolled: 3-line block ×3, first 2 shown]
	s_nop 1
	v_cndmask_b32_e32 v16, 0, v16, vcc
	s_or_b64 exec, exec, s[12:13]
	global_load_dwordx4 v[18:21], v[30:31], off offset:3072
	s_and_saveexec_b64 s[12:13], s[0:1]
	s_cbranch_execnz .LBB24_55
	s_branch .LBB24_56
.LBB24_67:
	s_or_b64 exec, exec, s[6:7]
.LBB24_68:
	s_or_b64 exec, exec, s[2:3]
	ds_bpermute_b32 v2, v56, v38
	ds_bpermute_b32 v3, v56, v39
	;; [unrolled: 1-line block ×6, first 2 shown]
	s_waitcnt lgkmcnt(4)
	v_pk_add_f32 v[2:3], v[38:39], v[2:3]
	ds_bpermute_b32 v8, v55, v2
	ds_bpermute_b32 v9, v55, v3
	s_waitcnt lgkmcnt(4)
	v_pk_add_f32 v[4:5], v[44:45], v[4:5]
	ds_bpermute_b32 v16, v56, v40
	ds_bpermute_b32 v17, v56, v41
	;; [unrolled: 1-line block ×4, first 2 shown]
	s_waitcnt lgkmcnt(6)
	v_pk_add_f32 v[12:13], v[42:43], v[6:7]
	ds_bpermute_b32 v14, v55, v12
	ds_bpermute_b32 v15, v55, v13
	s_waitcnt lgkmcnt(6)
	v_pk_add_f32 v[6:7], v[2:3], v[8:9]
	s_waitcnt lgkmcnt(4)
	v_pk_add_f32 v[8:9], v[40:41], v[16:17]
	;; [unrolled: 2-line block ×3, first 2 shown]
	ds_bpermute_b32 v10, v55, v8
	ds_bpermute_b32 v11, v55, v9
	s_waitcnt lgkmcnt(2)
	v_pk_add_f32 v[2:3], v[12:13], v[14:15]
	v_and_b32_e32 v12, 0x3c3, v0
	v_cmp_ne_u32_e32 vcc, 64, v12
	s_waitcnt lgkmcnt(0)
	s_barrier
	s_and_saveexec_b64 s[0:1], vcc
	s_xor_b64 s[0:1], exec, s[0:1]
; %bb.69:
                                        ; implicit-def: $vgpr54
; %bb.70:
	s_or_saveexec_b64 s[0:1], s[0:1]
	v_pk_add_f32 v[8:9], v[8:9], v[10:11]
	s_xor_b64 exec, exec, s[0:1]
	s_cbranch_execz .LBB24_72
; %bb.71:
	v_add_u32_e32 v10, 0x210, v54
	ds_write2_b32 v10, v6, v7 offset1:16
	ds_write2_b32 v10, v4, v5 offset0:32 offset1:48
	ds_write2_b32 v10, v2, v3 offset0:64 offset1:80
	;; [unrolled: 1-line block ×3, first 2 shown]
.LBB24_72:
	s_or_b64 exec, exec, s[0:1]
	v_cmp_gt_u32_e32 vcc, 64, v0
	s_waitcnt lgkmcnt(0)
	s_barrier
	s_and_saveexec_b64 s[0:1], vcc
	s_cbranch_execz .LBB24_83
; %bb.73:
	v_mov_b32_e32 v0, 0x210
	v_cmp_eq_u32_e32 vcc, 0, v51
	v_lshl_add_u32 v0, v50, 2, v0
	s_and_saveexec_b64 s[2:3], vcc
	s_cbranch_execnz .LBB24_86
; %bb.74:
	s_or_b64 exec, exec, s[2:3]
	s_and_saveexec_b64 s[2:3], vcc
	s_cbranch_execnz .LBB24_87
.LBB24_75:
	s_or_b64 exec, exec, s[2:3]
	s_and_saveexec_b64 s[2:3], vcc
	s_cbranch_execnz .LBB24_88
.LBB24_76:
	s_or_b64 exec, exec, s[2:3]
	s_and_saveexec_b64 s[2:3], vcc
	s_cbranch_execnz .LBB24_89
.LBB24_77:
	s_or_b64 exec, exec, s[2:3]
	s_and_saveexec_b64 s[2:3], vcc
	s_cbranch_execnz .LBB24_90
.LBB24_78:
	s_or_b64 exec, exec, s[2:3]
	s_and_saveexec_b64 s[2:3], vcc
	s_cbranch_execnz .LBB24_91
.LBB24_79:
	s_or_b64 exec, exec, s[2:3]
	s_and_saveexec_b64 s[2:3], vcc
	s_cbranch_execnz .LBB24_92
.LBB24_80:
	s_or_b64 exec, exec, s[2:3]
	s_and_saveexec_b64 s[2:3], vcc
	s_cbranch_execz .LBB24_82
.LBB24_81:
	ds_read_b32 v0, v0 offset:448
	s_waitcnt lgkmcnt(0)
	v_add_f32_e32 v9, v9, v0
.LBB24_82:
	s_or_b64 exec, exec, s[2:3]
.LBB24_83:
	s_or_b64 exec, exec, s[0:1]
	v_cmp_eq_u32_e32 vcc, 0, v12
	s_barrier
	s_and_saveexec_b64 s[0:1], vcc
	s_cbranch_execz .LBB24_85
; %bb.84:
	s_mul_i32 s0, s10, s11
	s_mul_i32 s0, s0, s5
	s_lshl_b32 s0, s0, 7
	s_ashr_i32 s1, s0, 31
	s_lshl_b64 s[0:1], s[0:1], 2
	s_add_u32 s2, s22, s0
	s_mul_i32 s0, s11, s20
	s_addc_u32 s3, s23, s1
	s_ashr_i32 s1, s0, 31
	s_lshl_b64 s[0:1], s[0:1], 2
	s_add_u32 s2, s2, s0
	s_addc_u32 s3, s3, s1
	s_lshl_b32 s0, s4, 7
	s_ashr_i32 s1, s0, 31
	s_lshl_b64 s[0:1], s[0:1], 2
	s_add_u32 s0, s2, s0
	s_addc_u32 s1, s3, s1
	global_store_dword v1, v6, s[0:1]
	global_store_dword v1, v7, s[0:1] offset:64
	global_store_dword v1, v4, s[0:1] offset:128
	;; [unrolled: 1-line block ×7, first 2 shown]
.LBB24_85:
	s_endpgm
.LBB24_86:
	ds_read_b32 v10, v0
	s_waitcnt lgkmcnt(0)
	v_add_f32_e32 v6, v6, v10
	s_or_b64 exec, exec, s[2:3]
	s_and_saveexec_b64 s[2:3], vcc
	s_cbranch_execz .LBB24_75
.LBB24_87:
	ds_read_b32 v10, v0 offset:64
	s_waitcnt lgkmcnt(0)
	v_add_f32_e32 v7, v7, v10
	s_or_b64 exec, exec, s[2:3]
	s_and_saveexec_b64 s[2:3], vcc
	s_cbranch_execz .LBB24_76
.LBB24_88:
	ds_read_b32 v10, v0 offset:128
	s_waitcnt lgkmcnt(0)
	v_add_f32_e32 v4, v4, v10
	s_or_b64 exec, exec, s[2:3]
	s_and_saveexec_b64 s[2:3], vcc
	s_cbranch_execz .LBB24_77
.LBB24_89:
	ds_read_b32 v10, v0 offset:192
	s_waitcnt lgkmcnt(0)
	v_add_f32_e32 v5, v5, v10
	s_or_b64 exec, exec, s[2:3]
	s_and_saveexec_b64 s[2:3], vcc
	s_cbranch_execz .LBB24_78
.LBB24_90:
	ds_read_b32 v10, v0 offset:256
	s_waitcnt lgkmcnt(0)
	v_add_f32_e32 v2, v2, v10
	s_or_b64 exec, exec, s[2:3]
	s_and_saveexec_b64 s[2:3], vcc
	s_cbranch_execz .LBB24_79
.LBB24_91:
	ds_read_b32 v10, v0 offset:320
	s_waitcnt lgkmcnt(0)
	v_add_f32_e32 v3, v3, v10
	s_or_b64 exec, exec, s[2:3]
	s_and_saveexec_b64 s[2:3], vcc
	s_cbranch_execz .LBB24_80
.LBB24_92:
	ds_read_b32 v10, v0 offset:384
	s_waitcnt lgkmcnt(0)
	v_add_f32_e32 v8, v8, v10
	s_or_b64 exec, exec, s[2:3]
	s_and_saveexec_b64 s[2:3], vcc
	s_cbranch_execnz .LBB24_81
	s_branch .LBB24_82
	.section	.rodata,"a",@progbits
	.p2align	6, 0x0
	.amdhsa_kernel _ZN4vllm25paged_attention_v1_kernelIffLi128ELi16ELi128ELNS_18Fp8KVCacheDataTypeE0ELb1EEEvPT_PKS2_PKT0_S8_ifPKiSA_iPKfiiiSC_SC_iiiii
		.amdhsa_group_segment_fixed_size 528
		.amdhsa_private_segment_fixed_size 0
		.amdhsa_kernarg_size 384
		.amdhsa_user_sgpr_count 2
		.amdhsa_user_sgpr_dispatch_ptr 0
		.amdhsa_user_sgpr_queue_ptr 0
		.amdhsa_user_sgpr_kernarg_segment_ptr 1
		.amdhsa_user_sgpr_dispatch_id 0
		.amdhsa_user_sgpr_kernarg_preload_length 0
		.amdhsa_user_sgpr_kernarg_preload_offset 0
		.amdhsa_user_sgpr_private_segment_size 0
		.amdhsa_uses_dynamic_stack 0
		.amdhsa_enable_private_segment 0
		.amdhsa_system_sgpr_workgroup_id_x 1
		.amdhsa_system_sgpr_workgroup_id_y 1
		.amdhsa_system_sgpr_workgroup_id_z 1
		.amdhsa_system_sgpr_workgroup_info 0
		.amdhsa_system_vgpr_workitem_id 0
		.amdhsa_next_free_vgpr 91
		.amdhsa_next_free_sgpr 45
		.amdhsa_accum_offset 92
		.amdhsa_reserve_vcc 1
		.amdhsa_float_round_mode_32 0
		.amdhsa_float_round_mode_16_64 0
		.amdhsa_float_denorm_mode_32 3
		.amdhsa_float_denorm_mode_16_64 3
		.amdhsa_dx10_clamp 1
		.amdhsa_ieee_mode 1
		.amdhsa_fp16_overflow 0
		.amdhsa_tg_split 0
		.amdhsa_exception_fp_ieee_invalid_op 0
		.amdhsa_exception_fp_denorm_src 0
		.amdhsa_exception_fp_ieee_div_zero 0
		.amdhsa_exception_fp_ieee_overflow 0
		.amdhsa_exception_fp_ieee_underflow 0
		.amdhsa_exception_fp_ieee_inexact 0
		.amdhsa_exception_int_div_zero 0
	.end_amdhsa_kernel
	.section	.text._ZN4vllm25paged_attention_v1_kernelIffLi128ELi16ELi128ELNS_18Fp8KVCacheDataTypeE0ELb1EEEvPT_PKS2_PKT0_S8_ifPKiSA_iPKfiiiSC_SC_iiiii,"axG",@progbits,_ZN4vllm25paged_attention_v1_kernelIffLi128ELi16ELi128ELNS_18Fp8KVCacheDataTypeE0ELb1EEEvPT_PKS2_PKT0_S8_ifPKiSA_iPKfiiiSC_SC_iiiii,comdat
.Lfunc_end24:
	.size	_ZN4vllm25paged_attention_v1_kernelIffLi128ELi16ELi128ELNS_18Fp8KVCacheDataTypeE0ELb1EEEvPT_PKS2_PKT0_S8_ifPKiSA_iPKfiiiSC_SC_iiiii, .Lfunc_end24-_ZN4vllm25paged_attention_v1_kernelIffLi128ELi16ELi128ELNS_18Fp8KVCacheDataTypeE0ELb1EEEvPT_PKS2_PKT0_S8_ifPKiSA_iPKfiiiSC_SC_iiiii
                                        ; -- End function
	.set _ZN4vllm25paged_attention_v1_kernelIffLi128ELi16ELi128ELNS_18Fp8KVCacheDataTypeE0ELb1EEEvPT_PKS2_PKT0_S8_ifPKiSA_iPKfiiiSC_SC_iiiii.num_vgpr, 91
	.set _ZN4vllm25paged_attention_v1_kernelIffLi128ELi16ELi128ELNS_18Fp8KVCacheDataTypeE0ELb1EEEvPT_PKS2_PKT0_S8_ifPKiSA_iPKfiiiSC_SC_iiiii.num_agpr, 0
	.set _ZN4vllm25paged_attention_v1_kernelIffLi128ELi16ELi128ELNS_18Fp8KVCacheDataTypeE0ELb1EEEvPT_PKS2_PKT0_S8_ifPKiSA_iPKfiiiSC_SC_iiiii.numbered_sgpr, 45
	.set _ZN4vllm25paged_attention_v1_kernelIffLi128ELi16ELi128ELNS_18Fp8KVCacheDataTypeE0ELb1EEEvPT_PKS2_PKT0_S8_ifPKiSA_iPKfiiiSC_SC_iiiii.num_named_barrier, 0
	.set _ZN4vllm25paged_attention_v1_kernelIffLi128ELi16ELi128ELNS_18Fp8KVCacheDataTypeE0ELb1EEEvPT_PKS2_PKT0_S8_ifPKiSA_iPKfiiiSC_SC_iiiii.private_seg_size, 0
	.set _ZN4vllm25paged_attention_v1_kernelIffLi128ELi16ELi128ELNS_18Fp8KVCacheDataTypeE0ELb1EEEvPT_PKS2_PKT0_S8_ifPKiSA_iPKfiiiSC_SC_iiiii.uses_vcc, 1
	.set _ZN4vllm25paged_attention_v1_kernelIffLi128ELi16ELi128ELNS_18Fp8KVCacheDataTypeE0ELb1EEEvPT_PKS2_PKT0_S8_ifPKiSA_iPKfiiiSC_SC_iiiii.uses_flat_scratch, 0
	.set _ZN4vllm25paged_attention_v1_kernelIffLi128ELi16ELi128ELNS_18Fp8KVCacheDataTypeE0ELb1EEEvPT_PKS2_PKT0_S8_ifPKiSA_iPKfiiiSC_SC_iiiii.has_dyn_sized_stack, 0
	.set _ZN4vllm25paged_attention_v1_kernelIffLi128ELi16ELi128ELNS_18Fp8KVCacheDataTypeE0ELb1EEEvPT_PKS2_PKT0_S8_ifPKiSA_iPKfiiiSC_SC_iiiii.has_recursion, 0
	.set _ZN4vllm25paged_attention_v1_kernelIffLi128ELi16ELi128ELNS_18Fp8KVCacheDataTypeE0ELb1EEEvPT_PKS2_PKT0_S8_ifPKiSA_iPKfiiiSC_SC_iiiii.has_indirect_call, 0
	.section	.AMDGPU.csdata,"",@progbits
; Kernel info:
; codeLenInByte = 5624
; TotalNumSgprs: 51
; NumVgprs: 91
; NumAgprs: 0
; TotalNumVgprs: 91
; ScratchSize: 0
; MemoryBound: 0
; FloatMode: 240
; IeeeMode: 1
; LDSByteSize: 528 bytes/workgroup (compile time only)
; SGPRBlocks: 6
; VGPRBlocks: 11
; NumSGPRsForWavesPerEU: 51
; NumVGPRsForWavesPerEU: 91
; AccumOffset: 92
; Occupancy: 5
; WaveLimiterHint : 1
; COMPUTE_PGM_RSRC2:SCRATCH_EN: 0
; COMPUTE_PGM_RSRC2:USER_SGPR: 2
; COMPUTE_PGM_RSRC2:TRAP_HANDLER: 0
; COMPUTE_PGM_RSRC2:TGID_X_EN: 1
; COMPUTE_PGM_RSRC2:TGID_Y_EN: 1
; COMPUTE_PGM_RSRC2:TGID_Z_EN: 1
; COMPUTE_PGM_RSRC2:TIDIG_COMP_CNT: 0
; COMPUTE_PGM_RSRC3_GFX90A:ACCUM_OFFSET: 22
; COMPUTE_PGM_RSRC3_GFX90A:TG_SPLIT: 0
	.section	.text._ZN4vllm25paged_attention_v1_kernelIffLi192ELi16ELi128ELNS_18Fp8KVCacheDataTypeE0ELb1EEEvPT_PKS2_PKT0_S8_ifPKiSA_iPKfiiiSC_SC_iiiii,"axG",@progbits,_ZN4vllm25paged_attention_v1_kernelIffLi192ELi16ELi128ELNS_18Fp8KVCacheDataTypeE0ELb1EEEvPT_PKS2_PKT0_S8_ifPKiSA_iPKfiiiSC_SC_iiiii,comdat
	.protected	_ZN4vllm25paged_attention_v1_kernelIffLi192ELi16ELi128ELNS_18Fp8KVCacheDataTypeE0ELb1EEEvPT_PKS2_PKT0_S8_ifPKiSA_iPKfiiiSC_SC_iiiii ; -- Begin function _ZN4vllm25paged_attention_v1_kernelIffLi192ELi16ELi128ELNS_18Fp8KVCacheDataTypeE0ELb1EEEvPT_PKS2_PKT0_S8_ifPKiSA_iPKfiiiSC_SC_iiiii
	.globl	_ZN4vllm25paged_attention_v1_kernelIffLi192ELi16ELi128ELNS_18Fp8KVCacheDataTypeE0ELb1EEEvPT_PKS2_PKT0_S8_ifPKiSA_iPKfiiiSC_SC_iiiii
	.p2align	8
	.type	_ZN4vllm25paged_attention_v1_kernelIffLi192ELi16ELi128ELNS_18Fp8KVCacheDataTypeE0ELb1EEEvPT_PKS2_PKT0_S8_ifPKiSA_iPKfiiiSC_SC_iiiii,@function
_ZN4vllm25paged_attention_v1_kernelIffLi192ELi16ELi128ELNS_18Fp8KVCacheDataTypeE0ELb1EEEvPT_PKS2_PKT0_S8_ifPKiSA_iPKfiiiSC_SC_iiiii: ; @_ZN4vllm25paged_attention_v1_kernelIffLi192ELi16ELi128ELNS_18Fp8KVCacheDataTypeE0ELb1EEEvPT_PKS2_PKT0_S8_ifPKiSA_iPKfiiiSC_SC_iiiii
; %bb.0:
	s_load_dword s5, s[0:1], 0x80
	s_load_dwordx2 s[6:7], s[0:1], 0x30
	s_load_dwordx2 s[30:31], s[0:1], 0x20
	s_mov_b32 s10, s3
	s_ashr_i32 s11, s3, 31
	s_lshl_b64 s[8:9], s[10:11], 2
	s_waitcnt lgkmcnt(0)
	s_add_u32 s6, s6, s8
	s_addc_u32 s7, s7, s9
	s_abs_i32 s3, s30
	v_cvt_f32_u32_e32 v1, s3
	s_sub_i32 s11, 0, s3
	s_abs_i32 s9, s5
	s_xor_b32 s8, s5, s30
	v_rcp_iflag_f32_e32 v1, v1
	s_ashr_i32 s8, s8, 31
	s_mov_b32 s42, 0
	v_mul_f32_e32 v1, 0x4f7ffffe, v1
	v_cvt_u32_f32_e32 v1, v1
	s_nop 0
	v_readfirstlane_b32 s12, v1
	s_mul_i32 s11, s11, s12
	s_mul_hi_u32 s11, s12, s11
	s_add_i32 s12, s12, s11
	s_mul_hi_u32 s11, s9, s12
	s_mul_i32 s12, s11, s3
	s_sub_i32 s9, s9, s12
	s_add_i32 s12, s11, 1
	s_sub_i32 s13, s9, s3
	s_cmp_ge_u32 s9, s3
	s_cselect_b32 s11, s12, s11
	s_cselect_b32 s9, s13, s9
	s_add_i32 s12, s11, 1
	s_cmp_ge_u32 s9, s3
	s_cselect_b32 s3, s12, s11
	s_xor_b32 s3, s3, s8
	s_sub_i32 s11, s3, s8
	s_abs_i32 s22, s11
	v_cvt_f32_u32_e32 v1, s22
	s_load_dwordx2 s[8:9], s[0:1], 0x40
	s_sub_i32 s3, 0, s22
	s_abs_i32 s23, s2
	v_rcp_iflag_f32_e32 v1, v1
	s_nop 0
	v_mul_f32_e32 v1, 0x4f7ffffe, v1
	v_cvt_u32_f32_e32 v1, v1
	s_nop 0
	v_readfirstlane_b32 s12, v1
	s_mul_i32 s3, s3, s12
	s_mul_hi_u32 s3, s12, s3
	s_add_i32 s12, s12, s3
	s_waitcnt lgkmcnt(0)
	s_cmp_eq_u64 s[8:9], 0
	s_mul_hi_u32 s24, s23, s12
	s_cbranch_scc1 .LBB25_2
; %bb.1:
	s_ashr_i32 s3, s2, 31
	s_lshl_b64 s[12:13], s[2:3], 2
	s_add_u32 s8, s8, s12
	s_addc_u32 s9, s9, s13
	s_load_dword s42, s[8:9], 0x0
.LBB25_2:
	s_load_dword s33, s[6:7], 0x0
	s_ashr_i32 s25, s11, 31
	s_load_dword s11, s[0:1], 0x88
	s_load_dwordx4 s[12:15], s[0:1], 0x48
	v_lshrrev_b32_e32 v70, 2, v0
	s_waitcnt lgkmcnt(0)
	s_movk_i32 s15, 0xc0
	s_ashr_i32 s3, s2, 31
	v_and_b32_e32 v71, 3, v0
	s_mul_i32 s20, s2, 0xc0
	v_cmp_gt_u32_e32 vcc, s15, v0
	v_lshlrev_b32_e32 v6, 2, v0
	v_lshlrev_b32_e32 v1, 2, v70
	s_and_saveexec_b64 s[6:7], vcc
	s_cbranch_execz .LBB25_5
; %bb.3:
	s_load_dwordx2 s[8:9], s[0:1], 0x8
	s_mul_i32 s16, s12, s10
	s_ashr_i32 s17, s16, 31
	s_lshl_b64 s[16:17], s[16:17], 2
	v_mad_u32_u24 v2, v71, s15, v1
	s_waitcnt lgkmcnt(0)
	s_add_u32 s12, s8, s16
	s_addc_u32 s16, s9, s17
	s_ashr_i32 s21, s20, 31
	s_lshl_b64 s[8:9], s[20:21], 2
	s_add_u32 s8, s12, s8
	s_addc_u32 s9, s16, s9
	global_load_dword v3, v6, s[8:9]
	v_cmp_gt_u32_e32 vcc, 64, v0
	s_waitcnt vmcnt(0)
	ds_write_b32 v2, v3
	s_and_b64 exec, exec, vcc
	s_cbranch_execz .LBB25_5
; %bb.4:
	v_lshlrev_b32_e32 v3, 4, v70
	v_lshlrev_b32_e32 v4, 2, v71
	s_movk_i32 s12, 0x200
	v_or3_b32 v3, v3, v4, s12
	global_load_dword v3, v3, s[8:9]
	s_waitcnt vmcnt(0)
	ds_write_b32 v2, v3 offset:128
.LBB25_5:
	s_or_b64 exec, exec, s[6:7]
	s_mul_i32 s6, s24, s22
	s_sub_i32 s6, s23, s6
	s_xor_b32 s3, s3, s25
	s_add_i32 s7, s24, 1
	s_sub_i32 s9, s6, s22
	s_load_dwordx4 s[16:19], s[0:1], 0x68
	s_load_dword s8, s[0:1], 0x78
	s_cmp_ge_u32 s6, s22
	s_cselect_b32 s7, s7, s24
	s_cselect_b32 s6, s9, s6
	s_add_i32 s9, s7, 1
	s_cmp_ge_u32 s6, s22
	s_cselect_b32 s6, s9, s7
	s_waitcnt lgkmcnt(0)
	s_abs_i32 s21, s19
	v_cvt_f32_u32_e32 v2, s21
	s_xor_b32 s6, s6, s3
	s_sub_i32 s3, s6, s3
	s_sub_i32 s6, 0, s21
	v_rcp_iflag_f32_e32 v2, v2
	s_add_i32 s15, s33, -1
	s_abs_i32 s9, s15
	v_mul_f32_e32 v2, 0x4f7ffffe, v2
	v_cvt_u32_f32_e32 v2, v2
	s_barrier
	v_readfirstlane_b32 s40, v2
	s_mul_i32 s6, s6, s40
	s_mul_hi_u32 s6, s40, s6
	s_add_i32 s40, s40, s6
	s_cmp_lt_i32 s8, 0
	s_mul_hi_u32 s12, s9, s40
	s_cbranch_scc0 .LBB25_7
; %bb.6:
	s_mul_i32 s6, s16, s30
	s_add_i32 s6, s3, s6
	s_mul_i32 s6, s6, s8
	s_sub_i32 s41, 1, s6
	s_mov_b64 s[6:7], 0
	s_branch .LBB25_8
.LBB25_7:
	s_mov_b64 s[6:7], -1
                                        ; implicit-def: $sgpr41
.LBB25_8:
	s_load_dwordx2 s[24:25], s[0:1], 0x28
	s_ashr_i32 s15, s15, 31
	s_andn2_b64 vcc, exec, s[6:7]
	s_ashr_i32 s19, s19, 31
	s_cbranch_vccnz .LBB25_10
; %bb.9:
	s_mul_i32 s6, s5, s16
	s_add_i32 s2, s6, s2
	s_mul_i32 s2, s2, s8
	s_add_i32 s41, s2, 1
.LBB25_10:
	s_load_dword s2, s[0:1], 0x38
	s_load_dwordx2 s[22:23], s[0:1], 0x0
	s_load_dwordx2 s[28:29], s[0:1], 0x18
	s_mul_i32 s7, s12, s21
	s_xor_b32 s6, s15, s19
	s_waitcnt lgkmcnt(0)
	s_mul_i32 s26, s2, s10
	s_sub_i32 s2, s9, s7
	s_ashr_i32 s27, s26, 31
	s_add_i32 s7, s12, 1
	s_sub_i32 s8, s2, s21
	s_cmp_ge_u32 s2, s21
	s_cselect_b32 s7, s7, s12
	s_cselect_b32 s2, s8, s2
	s_add_i32 s8, s7, 1
	s_cmp_ge_u32 s2, s21
	s_cselect_b32 s2, s8, s7
	s_xor_b32 s2, s2, s6
	s_sub_i32 s12, s2, s6
	s_add_i32 s2, s33, 15
	s_ashr_i32 s6, s2, 31
	s_lshr_b32 s6, s6, 28
	s_add_i32 s2, s2, s6
	s_ashr_i32 s16, s2, 4
	v_lshrrev_b32_e32 v72, 6, v0
	v_cmp_gt_i32_e64 s[6:7], s16, v72
	v_mov_b32_e32 v11, 0xff7fffff
	s_mul_i32 s14, s3, s14
	v_lshrrev_b32_e32 v7, 4, v0
	v_lshlrev_b32_e32 v73, 4, v72
	v_mbcnt_lo_u32_b32 v8, -1, 0
	s_and_saveexec_b64 s[34:35], s[6:7]
	s_cbranch_execz .LBB25_22
; %bb.11:
	s_load_dwordx2 s[0:1], s[0:1], 0x10
	s_ashr_i32 s15, s14, 31
	s_sub_i32 s30, s12, s17
	s_lshl_b64 s[2:3], s[14:15], 2
	v_bfe_u32 v9, v0, 2, 4
	s_waitcnt lgkmcnt(0)
	s_add_u32 s0, s0, s2
	s_addc_u32 s1, s1, s3
	s_abs_i32 s15, s18
	v_cvt_f32_u32_e32 v2, s15
	v_lshlrev_b32_e32 v4, 4, v9
	v_mov_b32_e32 v5, 0
	v_lshlrev_b32_e32 v11, 2, v9
	v_rcp_iflag_f32_e32 v10, v2
	v_lshl_add_u64 v[2:3], s[0:1], 0, v[4:5]
	v_lshlrev_b32_e32 v4, 2, v71
	v_lshl_add_u64 v[2:3], v[2:3], 0, v[4:5]
	v_mul_f32_e32 v4, 0x4f7ffffe, v10
	v_cvt_u32_f32_e32 v4, v4
	s_sub_i32 s0, 0, s15
	v_lshl_or_b32 v11, v72, 6, v11
	v_mbcnt_hi_u32_b32 v17, -1, v8
	v_mul_lo_u32 v12, s0, v4
	s_lshl_b64 s[0:1], s[26:27], 2
	v_mul_hi_u32 v12, v4, v12
	s_add_u32 s0, s24, s0
	v_add_u32_e32 v12, v4, v12
	v_and_b32_e32 v4, 60, v7
	s_addc_u32 s1, s25, s1
	v_subrev_u32_e32 v14, s33, v9
	v_add_u32_e32 v15, 0x310, v11
	v_and_b32_e32 v11, 64, v17
	v_cmp_eq_u32_e32 vcc, 0, v71
	s_mov_b32 s43, s13
	v_mul_u32_u24_e32 v10, 0xc0, v71
	v_cmp_neq_f32_e64 s[2:3], s42, 0
	v_lshl_add_u64 v[4:5], s[0:1], 0, v[4:5]
	v_lshlrev_b32_e32 v13, 4, v72
	v_add_u32_e32 v14, 1, v14
	v_mov_b32_e32 v16, 0xff7fffff
	s_mov_b64 s[36:37], 0
	s_movk_i32 s44, 0x1000
	s_movk_i32 s45, 0x2000
	v_add_u32_e32 v18, 64, v11
	v_xor_b32_e32 v19, 2, v17
	v_xor_b32_e32 v20, 1, v17
	v_mov_b32_e32 v11, 0xff7fffff
	v_mov_b32_e32 v21, v72
	s_branch .LBB25_14
.LBB25_12:                              ;   in Loop: Header=BB25_14 Depth=1
	s_or_b64 exec, exec, s[38:39]
.LBB25_13:                              ;   in Loop: Header=BB25_14 Depth=1
	s_or_b64 exec, exec, s[8:9]
	v_add_u32_e32 v21, 2, v21
	v_cmp_le_i32_e64 s[0:1], s16, v21
	v_lshl_add_u64 v[4:5], v[4:5], 0, 8
	v_add_u32_e32 v13, 32, v13
	s_or_b64 s[36:37], s[0:1], s[36:37]
	v_add_u32_e32 v15, 0x80, v15
	s_andn2_b64 exec, exec, s[36:37]
	s_cbranch_execz .LBB25_21
.LBB25_14:                              ; =>This Inner Loop Header: Depth=1
	v_mul_hi_u32 v22, v13, s40
	s_waitcnt lgkmcnt(0)
	v_mul_lo_u32 v23, v22, s21
	v_sub_u32_e32 v23, v13, v23
	v_add_u32_e32 v24, 1, v22
	v_cmp_le_u32_e64 s[0:1], s21, v23
	s_nop 1
	v_cndmask_b32_e64 v22, v22, v24, s[0:1]
	v_subrev_u32_e32 v24, s21, v23
	v_cndmask_b32_e64 v23, v23, v24, s[0:1]
	v_add_u32_e32 v24, 1, v22
	v_cmp_le_u32_e64 s[0:1], s21, v23
	s_nop 1
	v_cndmask_b32_e64 v22, v22, v24, s[0:1]
	v_xor_b32_e32 v22, s19, v22
	v_subrev_u32_e32 v22, s19, v22
	v_add_u32_e32 v23, s41, v22
	v_sub_u32_e32 v25, 0, v23
	v_ashrrev_i32_e32 v24, 31, v23
	v_max_i32_e32 v23, v23, v25
	v_mul_hi_u32 v25, v23, v12
	v_mul_lo_u32 v25, v25, s15
	v_sub_u32_e32 v23, v23, v25
	v_subrev_u32_e32 v25, s15, v23
	v_cmp_le_u32_e64 s[0:1], s15, v23
	v_cmp_ge_i32_e64 s[8:9], s30, v22
	s_nop 0
	v_cndmask_b32_e64 v23, v23, v25, s[0:1]
	v_subrev_u32_e32 v25, s15, v23
	v_cmp_le_u32_e64 s[0:1], s15, v23
	s_nop 1
	v_cndmask_b32_e64 v23, v23, v25, s[0:1]
	v_xor_b32_e32 v23, v23, v24
	v_sub_u32_e32 v23, v23, v24
	v_cmp_ne_u32_e64 s[0:1], 0, v23
	s_and_b64 s[0:1], s[0:1], s[8:9]
	s_and_saveexec_b64 s[8:9], s[0:1]
	s_xor_b64 s[0:1], exec, s[8:9]
	s_cbranch_execz .LBB25_18
; %bb.15:                               ;   in Loop: Header=BB25_14 Depth=1
	s_and_saveexec_b64 s[8:9], vcc
; %bb.16:                               ;   in Loop: Header=BB25_14 Depth=1
	ds_write_b32 v15, v16
; %bb.17:                               ;   in Loop: Header=BB25_14 Depth=1
	s_or_b64 exec, exec, s[8:9]
.LBB25_18:                              ;   in Loop: Header=BB25_14 Depth=1
	s_andn2_saveexec_b64 s[8:9], s[0:1]
	s_cbranch_execz .LBB25_13
; %bb.19:                               ;   in Loop: Header=BB25_14 Depth=1
	global_load_dword v22, v[4:5], off
	s_waitcnt vmcnt(0)
	v_mad_i64_i32 v[22:23], s[0:1], v22, s43, 0
	v_lshl_add_u64 v[22:23], v[22:23], 2, v[2:3]
	global_load_dword v54, v[22:23], off offset:256
	global_load_dword v55, v[22:23], off offset:512
	;; [unrolled: 1-line block ×7, first 2 shown]
	global_load_dword v57, v[22:23], off
	global_load_dword v62, v[22:23], off offset:2048
	global_load_dword v63, v[22:23], off offset:2304
	;; [unrolled: 1-line block ×8, first 2 shown]
	v_add_co_u32_e64 v24, s[0:1], s44, v22
	s_nop 1
	v_addc_co_u32_e64 v25, s[0:1], 0, v23, s[0:1]
	v_add_co_u32_e64 v22, s[0:1], s45, v22
	s_nop 1
	v_addc_co_u32_e64 v23, s[0:1], 0, v23, s[0:1]
	global_load_dword v74, v[22:23], off offset:-4096
	global_load_dword v75, v[24:25], off offset:256
	global_load_dword v76, v[24:25], off offset:512
	;; [unrolled: 1-line block ×15, first 2 shown]
	global_load_dword v90, v[22:23], off
	global_load_dword v91, v[22:23], off offset:256
                                        ; kill: killed $vgpr24 killed $vgpr25
	global_load_dword v92, v[22:23], off offset:512
	global_load_dword v93, v[22:23], off offset:768
	;; [unrolled: 1-line block ×14, first 2 shown]
	ds_read_b128 v[22:25], v10
	ds_read_b128 v[26:29], v10 offset:16
	ds_read_b128 v[30:33], v10 offset:32
	;; [unrolled: 1-line block ×7, first 2 shown]
	v_cmp_lt_i32_e64 s[0:1], v19, v18
	s_waitcnt vmcnt(47) lgkmcnt(7)
	v_mul_f32_e32 v106, v23, v54
	v_cndmask_b32_e64 v107, v17, v19, s[0:1]
	v_cmp_lt_i32_e64 s[0:1], v20, v18
	s_waitcnt vmcnt(40)
	v_fmac_f32_e32 v106, v22, v57
	v_fmac_f32_e32 v106, v24, v55
	;; [unrolled: 1-line block ×3, first 2 shown]
	s_waitcnt lgkmcnt(6)
	v_fmac_f32_e32 v106, v26, v58
	v_fmac_f32_e32 v106, v27, v59
	;; [unrolled: 1-line block ×4, first 2 shown]
	s_waitcnt vmcnt(39) lgkmcnt(5)
	v_fmac_f32_e32 v106, v30, v62
	s_waitcnt vmcnt(38)
	v_fmac_f32_e32 v106, v31, v63
	s_waitcnt vmcnt(37)
	v_fmac_f32_e32 v106, v32, v64
	s_waitcnt vmcnt(36)
	v_fmac_f32_e32 v106, v33, v65
	s_waitcnt vmcnt(35) lgkmcnt(4)
	v_fmac_f32_e32 v106, v34, v66
	s_waitcnt vmcnt(34)
	v_fmac_f32_e32 v106, v35, v67
	s_waitcnt vmcnt(33)
	v_fmac_f32_e32 v106, v36, v68
	s_waitcnt vmcnt(32)
	v_fmac_f32_e32 v106, v37, v69
	;; [unrolled: 8-line block ×5, first 2 shown]
	ds_read_b128 v[22:25], v10 offset:128
	ds_read_b128 v[54:57], v10 offset:144
	s_waitcnt vmcnt(19) lgkmcnt(2)
	v_fmac_f32_e32 v106, v50, v86
	s_waitcnt vmcnt(18)
	v_fmac_f32_e32 v106, v51, v87
	s_waitcnt vmcnt(17)
	;; [unrolled: 2-line block ×3, first 2 shown]
	v_fmac_f32_e32 v106, v53, v89
	s_waitcnt vmcnt(15) lgkmcnt(1)
	v_fmac_f32_e32 v106, v22, v90
	s_waitcnt vmcnt(14)
	v_fmac_f32_e32 v106, v23, v91
	s_waitcnt vmcnt(13)
	;; [unrolled: 2-line block ×3, first 2 shown]
	v_fmac_f32_e32 v106, v25, v93
	ds_read_b128 v[26:29], v10 offset:160
	ds_read_b128 v[58:61], v10 offset:176
	s_waitcnt vmcnt(11) lgkmcnt(2)
	v_fmac_f32_e32 v106, v54, v94
	s_waitcnt vmcnt(10)
	v_fmac_f32_e32 v106, v55, v95
	s_waitcnt vmcnt(9)
	;; [unrolled: 2-line block ×3, first 2 shown]
	v_fmac_f32_e32 v106, v57, v97
	s_waitcnt vmcnt(7) lgkmcnt(1)
	v_fmac_f32_e32 v106, v26, v98
	s_waitcnt vmcnt(6)
	v_fmac_f32_e32 v106, v27, v99
	s_waitcnt vmcnt(5)
	;; [unrolled: 2-line block ×3, first 2 shown]
	v_fmac_f32_e32 v106, v29, v101
	s_waitcnt vmcnt(3) lgkmcnt(0)
	v_fmac_f32_e32 v106, v58, v102
	s_waitcnt vmcnt(2)
	v_fmac_f32_e32 v106, v59, v103
	s_waitcnt vmcnt(1)
	v_fmac_f32_e32 v106, v60, v104
	v_lshlrev_b32_e32 v30, 2, v107
	s_waitcnt vmcnt(0)
	v_fmac_f32_e32 v106, v61, v105
	ds_bpermute_b32 v22, v30, v106
	v_cndmask_b32_e64 v23, v17, v20, s[0:1]
	v_lshlrev_b32_e32 v23, 2, v23
	s_waitcnt lgkmcnt(0)
	v_add_f32_e32 v22, v106, v22
	ds_bpermute_b32 v23, v23, v22
	s_and_saveexec_b64 s[38:39], vcc
	s_cbranch_execz .LBB25_12
; %bb.20:                               ;   in Loop: Header=BB25_14 Depth=1
	v_add_u32_e32 v24, v14, v13
	v_cvt_f32_i32_e32 v24, v24
	s_waitcnt lgkmcnt(0)
	v_add_f32_e32 v22, v22, v23
	v_add_u32_e32 v25, v9, v13
	v_cmp_gt_i32_e64 s[0:1], s33, v25
	v_mul_f32_e32 v23, s42, v24
	v_cndmask_b32_e64 v23, 0, v23, s[2:3]
	v_fmac_f32_e32 v23, s31, v22
	v_cndmask_b32_e64 v22, 0, v23, s[0:1]
	ds_write_b32 v15, v22
	v_max_f32_e32 v22, v11, v11
	v_max_f32_e32 v22, v22, v23
	v_cndmask_b32_e64 v11, v11, v22, s[0:1]
	s_branch .LBB25_12
.LBB25_21:
	s_or_b64 exec, exec, s[36:37]
.LBB25_22:
	s_or_b64 exec, exec, s[34:35]
	v_mbcnt_hi_u32_b32 v2, -1, v8
	v_and_b32_e32 v12, 64, v2
	v_add_u32_e32 v3, 64, v12
	v_xor_b32_e32 v4, 32, v2
	v_cmp_lt_i32_e32 vcc, v4, v3
	v_xor_b32_e32 v9, 16, v2
	v_max_f32_e32 v8, v11, v11
	v_cndmask_b32_e32 v4, v2, v4, vcc
	v_lshlrev_b32_e32 v4, 2, v4
	ds_bpermute_b32 v5, v4, v11
	v_cmp_lt_i32_e32 vcc, v9, v3
	v_xor_b32_e32 v10, 8, v2
	v_xor_b32_e32 v11, 4, v2
	v_and_b32_e32 v74, 63, v0
	s_waitcnt lgkmcnt(0)
	v_max_f32_e32 v5, v5, v5
	v_max_f32_e32 v8, v8, v5
	v_cndmask_b32_e32 v5, v2, v9, vcc
	v_lshlrev_b32_e32 v5, 2, v5
	ds_bpermute_b32 v9, v5, v8
	v_cmp_lt_i32_e32 vcc, v10, v3
	s_waitcnt lgkmcnt(0)
	v_max_f32_e32 v9, v9, v9
	v_max_f32_e32 v8, v8, v9
	v_cndmask_b32_e32 v9, v2, v10, vcc
	v_lshlrev_b32_e32 v10, 2, v9
	ds_bpermute_b32 v9, v10, v8
	v_cmp_lt_i32_e32 vcc, v11, v3
	s_waitcnt lgkmcnt(0)
	v_max_f32_e32 v9, v9, v9
	v_max_f32_e32 v9, v8, v9
	v_cndmask_b32_e32 v8, v2, v11, vcc
	v_lshlrev_b32_e32 v11, 2, v8
	ds_bpermute_b32 v13, v11, v9
	v_cmp_eq_u32_e32 vcc, 0, v74
	v_lshlrev_b32_e32 v8, 2, v72
	s_and_saveexec_b64 s[0:1], vcc
	s_cbranch_execz .LBB25_24
; %bb.23:
	s_waitcnt lgkmcnt(0)
	v_max_f32_e32 v13, v13, v13
	v_max_f32_e32 v9, v9, v9
	;; [unrolled: 1-line block ×3, first 2 shown]
	ds_write_b32 v8, v9 offset:768
.LBB25_24:
	s_or_b64 exec, exec, s[0:1]
	v_cmp_gt_u32_e64 s[0:1], 2, v74
	s_waitcnt lgkmcnt(0)
	v_mov_b32_e32 v13, 0xff7fffff
	v_lshlrev_b32_e32 v9, 2, v74
	s_barrier
	s_and_saveexec_b64 s[2:3], s[0:1]
; %bb.25:
	ds_read_b32 v13, v9 offset:768
; %bb.26:
	s_or_b64 exec, exec, s[2:3]
	v_xor_b32_e32 v14, 1, v2
	v_cmp_lt_i32_e64 s[2:3], v14, v3
	v_lshlrev_b32_e32 v12, 2, v12
	s_nop 0
	v_cndmask_b32_e64 v14, v2, v14, s[2:3]
	v_lshlrev_b32_e32 v75, 2, v14
	s_waitcnt lgkmcnt(0)
	ds_bpermute_b32 v14, v75, v13
	v_max_f32_e32 v13, v13, v13
	s_lshl_b32 s2, s16, 4
	s_min_i32 s15, s2, s33
	v_cmp_gt_i32_e64 s[2:3], s15, v0
	s_waitcnt lgkmcnt(0)
	v_max_f32_e32 v14, v14, v14
	v_max_f32_e32 v13, v13, v14
	ds_bpermute_b32 v13, v12, v13
	v_mov_b32_e32 v12, 0
	s_and_saveexec_b64 s[30:31], s[2:3]
	s_cbranch_execz .LBB25_30
; %bb.27:
	v_mov_b32_e32 v12, 0x310
	v_lshl_add_u32 v14, v0, 2, v12
	v_mov_b32_e32 v12, 0
	s_mov_b64 s[34:35], 0
	v_mov_b32_e32 v15, v0
.LBB25_28:                              ; =>This Inner Loop Header: Depth=1
	ds_read_b32 v16, v14
	v_add_u32_e32 v15, 0x80, v15
	v_cmp_le_i32_e64 s[8:9], s15, v15
	s_or_b64 s[34:35], s[8:9], s[34:35]
	s_waitcnt lgkmcnt(0)
	v_sub_f32_e32 v16, v16, v13
	v_mul_f32_e32 v16, 0x3fb8aa3b, v16
	v_exp_f32_e32 v16, v16
	ds_write_b32 v14, v16
	v_add_f32_e32 v12, v12, v16
	v_add_u32_e32 v14, 0x200, v14
	s_andn2_b64 exec, exec, s[34:35]
	s_cbranch_execnz .LBB25_28
; %bb.29:
	s_or_b64 exec, exec, s[34:35]
.LBB25_30:
	s_or_b64 exec, exec, s[30:31]
	ds_bpermute_b32 v4, v4, v12
	s_waitcnt lgkmcnt(0)
	v_add_f32_e32 v4, v12, v4
	ds_bpermute_b32 v5, v5, v4
	s_waitcnt lgkmcnt(0)
	v_add_f32_e32 v4, v4, v5
	ds_bpermute_b32 v5, v10, v4
	v_xor_b32_e32 v10, 2, v2
	v_cmp_lt_i32_e64 s[8:9], v10, v3
	s_waitcnt lgkmcnt(0)
	v_add_f32_e32 v4, v4, v5
	ds_bpermute_b32 v5, v11, v4
	v_cndmask_b32_e64 v3, v2, v10, s[8:9]
	v_lshlrev_b32_e32 v76, 2, v3
	s_waitcnt lgkmcnt(0)
	v_add_f32_e32 v4, v4, v5
	ds_bpermute_b32 v3, v76, v4
	s_waitcnt lgkmcnt(0)
	v_add_f32_e32 v3, v4, v3
	ds_bpermute_b32 v4, v75, v3
	s_waitcnt lgkmcnt(0)
	v_add_f32_e32 v3, v3, v4
	s_and_saveexec_b64 s[8:9], vcc
; %bb.31:
	ds_write_b32 v8, v3 offset:776
; %bb.32:
	s_or_b64 exec, exec, s[8:9]
	s_waitcnt lgkmcnt(0)
	s_barrier
	s_and_saveexec_b64 s[8:9], s[0:1]
; %bb.33:
	ds_read_b32 v3, v9 offset:776
; %bb.34:
	s_or_b64 exec, exec, s[8:9]
	s_waitcnt lgkmcnt(0)
	ds_bpermute_b32 v4, v75, v3
	v_lshlrev_b32_e32 v2, 2, v2
	v_and_b32_e32 v2, 0x100, v2
	s_waitcnt lgkmcnt(0)
	v_add_f32_e32 v3, v3, v4
	ds_bpermute_b32 v2, v2, v3
	s_and_saveexec_b64 s[0:1], s[2:3]
	s_cbranch_execz .LBB25_47
; %bb.35:
	s_waitcnt lgkmcnt(0)
	v_add_f32_e32 v2, 0x358637bd, v2
	v_div_scale_f32 v3, s[2:3], v2, v2, 1.0
	v_rcp_f32_e32 v4, v3
	v_div_scale_f32 v5, vcc, 1.0, v2, 1.0
	s_movk_i32 s2, 0x7f
	v_fma_f32 v8, -v3, v4, 1.0
	v_fmac_f32_e32 v4, v8, v4
	v_mul_f32_e32 v8, v5, v4
	v_fma_f32 v9, -v3, v8, v5
	v_fmac_f32_e32 v8, v9, v4
	v_fma_f32 v3, -v3, v8, v5
	v_div_fmas_f32 v3, v3, v4, v8
	v_xad_u32 v4, v0, -1, s15
	v_div_fixup_f32 v2, v3, v2, 1.0
	v_cmp_lt_u32_e32 vcc, s2, v4
	s_mov_b64 s[8:9], -1
	v_mov_b32_e32 v3, v0
	s_and_saveexec_b64 s[2:3], vcc
	s_cbranch_execz .LBB25_44
; %bb.36:
	v_lshrrev_b32_e32 v4, 7, v4
	v_add_u32_e32 v8, -1, v4
	v_lshrrev_b32_e32 v5, 1, v8
	v_mov_b32_e32 v3, v2
	v_add_u32_e32 v5, 1, v5
	v_cmp_lt_u32_e32 vcc, 13, v8
	v_mov_b32_e32 v10, 0
	s_and_saveexec_b64 s[8:9], vcc
	s_cbranch_execz .LBB25_40
; %bb.37:
	v_mov_b32_e32 v9, 0x310
	v_and_b32_e32 v8, -8, v5
	v_lshl_add_u32 v9, v0, 2, v9
	s_mov_b32 s34, 0
	s_mov_b64 s[30:31], 0
.LBB25_38:                              ; =>This Inner Loop Header: Depth=1
	ds_read2st64_b32 v[10:11], v9 offset1:2
	ds_read2st64_b32 v[12:13], v9 offset0:4 offset1:6
	ds_read2st64_b32 v[14:15], v9 offset0:8 offset1:10
	;; [unrolled: 1-line block ×3, first 2 shown]
	v_add_u32_e32 v8, -8, v8
	s_waitcnt lgkmcnt(3)
	v_pk_mul_f32 v[10:11], v[2:3], v[10:11]
	s_waitcnt lgkmcnt(2)
	v_pk_mul_f32 v[12:13], v[2:3], v[12:13]
	ds_write2st64_b32 v9, v10, v11 offset1:2
	ds_write2st64_b32 v9, v12, v13 offset0:4 offset1:6
	ds_read2st64_b32 v[12:13], v9 offset0:16 offset1:18
	s_waitcnt lgkmcnt(4)
	v_pk_mul_f32 v[10:11], v[2:3], v[14:15]
	ds_write2st64_b32 v9, v10, v11 offset0:8 offset1:10
	s_waitcnt lgkmcnt(4)
	v_pk_mul_f32 v[10:11], v[2:3], v[16:17]
	ds_write2st64_b32 v9, v10, v11 offset0:12 offset1:14
	ds_read2st64_b32 v[10:11], v9 offset0:20 offset1:22
	s_waitcnt lgkmcnt(3)
	v_pk_mul_f32 v[12:13], v[2:3], v[12:13]
	ds_read2st64_b32 v[14:15], v9 offset0:24 offset1:26
	ds_write2st64_b32 v9, v12, v13 offset0:16 offset1:18
	ds_read2st64_b32 v[12:13], v9 offset0:28 offset1:30
	s_waitcnt lgkmcnt(3)
	v_pk_mul_f32 v[10:11], v[2:3], v[10:11]
	ds_write2st64_b32 v9, v10, v11 offset0:20 offset1:22
	s_waitcnt lgkmcnt(3)
	v_pk_mul_f32 v[10:11], v[2:3], v[14:15]
	ds_write2st64_b32 v9, v10, v11 offset0:24 offset1:26
	s_waitcnt lgkmcnt(2)
	v_pk_mul_f32 v[10:11], v[2:3], v[12:13]
	s_add_i32 s34, s34, 16
	v_cmp_eq_u32_e32 vcc, 0, v8
	ds_write2st64_b32 v9, v10, v11 offset0:28 offset1:30
	v_add_u32_e32 v9, 0x2000, v9
	s_or_b64 s[30:31], vcc, s[30:31]
	v_mov_b32_e32 v10, s34
	s_andn2_b64 exec, exec, s[30:31]
	s_cbranch_execnz .LBB25_38
; %bb.39:
	s_or_b64 exec, exec, s[30:31]
.LBB25_40:
	s_or_b64 exec, exec, s[8:9]
	v_and_b32_e32 v5, 7, v5
	v_cmp_ne_u32_e32 vcc, 0, v5
	s_and_saveexec_b64 s[8:9], vcc
	s_cbranch_execz .LBB25_43
; %bb.41:
	v_lshlrev_b32_e32 v8, 9, v10
	s_movk_i32 s30, 0x310
	v_add3_u32 v8, v8, v6, s30
	s_mov_b64 s[30:31], 0
.LBB25_42:                              ; =>This Inner Loop Header: Depth=1
	ds_read2st64_b32 v[10:11], v8 offset1:2
	v_add_u32_e32 v5, -1, v5
	v_cmp_eq_u32_e32 vcc, 0, v5
	s_or_b64 s[30:31], vcc, s[30:31]
	s_waitcnt lgkmcnt(0)
	v_pk_mul_f32 v[10:11], v[2:3], v[10:11]
	ds_write2st64_b32 v8, v10, v11 offset1:2
	v_add_u32_e32 v8, 0x400, v8
	s_andn2_b64 exec, exec, s[30:31]
	s_cbranch_execnz .LBB25_42
.LBB25_43:
	s_or_b64 exec, exec, s[8:9]
	v_add_u32_e32 v4, 1, v4
	v_and_b32_e32 v5, 0x3fffffe, v4
	v_cmp_ne_u32_e32 vcc, v4, v5
	v_lshl_add_u32 v3, v5, 7, v0
	s_orn2_b64 s[8:9], vcc, exec
.LBB25_44:
	s_or_b64 exec, exec, s[2:3]
	s_and_b64 exec, exec, s[8:9]
	s_cbranch_execz .LBB25_47
; %bb.45:
	v_mov_b32_e32 v4, 0x310
	v_lshl_add_u32 v4, v3, 2, v4
	s_mov_b64 s[2:3], 0
.LBB25_46:                              ; =>This Inner Loop Header: Depth=1
	ds_read_b32 v5, v4
	v_add_u32_e32 v3, 0x80, v3
	v_cmp_le_i32_e32 vcc, s15, v3
	s_or_b64 s[2:3], vcc, s[2:3]
	s_waitcnt lgkmcnt(0)
	v_mul_f32_e32 v5, v2, v5
	ds_write_b32 v4, v5
	v_add_u32_e32 v4, 0x200, v4
	s_andn2_b64 exec, exec, s[2:3]
	s_cbranch_execnz .LBB25_46
.LBB25_47:
	s_or_b64 exec, exec, s[0:1]
	v_mov_b32_e32 v55, 0
	v_mov_b32_e32 v54, 0
	;; [unrolled: 1-line block ×12, first 2 shown]
	s_waitcnt lgkmcnt(0)
	s_barrier
	s_and_saveexec_b64 s[2:3], s[6:7]
	s_cbranch_execz .LBB25_77
; %bb.48:
	s_ashr_i32 s15, s14, 31
	s_sub_i32 s17, s12, s17
	s_lshl_b64 s[0:1], s[14:15], 2
	s_add_u32 s0, s28, s0
	s_addc_u32 s1, s29, s1
	s_abs_i32 s14, s18
	v_cvt_f32_u32_e32 v2, s14
	v_lshlrev_b32_e32 v3, 4, v0
	v_and_b32_e32 v60, 0x3f0, v3
	v_mov_b32_e32 v61, 0
	v_rcp_iflag_f32_e32 v2, v2
	v_lshl_add_u64 v[66:67], s[0:1], 0, v[60:61]
	s_sub_i32 s0, 0, s14
	s_add_i32 s18, s16, -1
	v_mul_f32_e32 v2, 0x4f7ffffe, v2
	v_cvt_u32_f32_e32 v2, v2
	v_and_b32_e32 v60, 60, v7
	v_and_b32_e32 v77, 12, v6
	s_mov_b32 s15, s13
	v_mul_lo_u32 v3, s0, v2
	v_mul_hi_u32 v3, v2, v3
	s_lshl_b64 s[0:1], s[26:27], 2
	v_add_u32_e32 v78, v2, v3
	s_add_u32 s0, s24, s0
	v_lshlrev_b32_e32 v2, 4, v71
	s_addc_u32 s1, s25, s1
	v_lshl_or_b32 v2, v72, 6, v2
	s_mov_b32 s28, s33
	v_lshl_add_u64 v[68:69], s[0:1], 0, v[60:61]
	v_add_u32_e32 v79, 0x310, v2
	s_mov_b64 s[6:7], 0
	v_mov_b32_e32 v60, v61
	v_mov_b32_e32 v64, v61
	;; [unrolled: 1-line block ×11, first 2 shown]
	s_branch .LBB25_51
.LBB25_49:                              ;   in Loop: Header=BB25_51 Depth=1
	s_or_b64 exec, exec, s[12:13]
	s_waitcnt vmcnt(1) lgkmcnt(0)
	v_mul_f32_e32 v50, v2, v50
	v_mul_f32_e32 v42, v2, v42
	;; [unrolled: 1-line block ×11, first 2 shown]
	v_fmac_f32_e32 v50, v3, v51
	v_fmac_f32_e32 v42, v3, v43
	;; [unrolled: 1-line block ×22, first 2 shown]
	s_waitcnt vmcnt(0)
	v_pk_mul_f32 v[2:3], v[2:3], v[46:47]
	v_fmac_f32_e32 v50, v5, v53
	v_fmac_f32_e32 v42, v5, v45
	;; [unrolled: 1-line block ×11, first 2 shown]
	v_pk_mul_f32 v[4:5], v[4:5], v[48:49]
	v_add_f32_e32 v2, v3, v2
	v_add_f32_e32 v2, v4, v2
	v_add_f32_e32 v2, v5, v2
	v_add_f32_e32 v54, v54, v50
	v_add_f32_e32 v57, v57, v42
	v_add_f32_e32 v56, v56, v38
	v_add_f32_e32 v59, v59, v34
	v_add_f32_e32 v58, v58, v30
	v_add_f32_e32 v63, v63, v26
	v_add_f32_e32 v62, v62, v22
	v_add_f32_e32 v65, v65, v18
	v_add_f32_e32 v64, v64, v14
	v_add_f32_e32 v61, v61, v10
	v_add_f32_e32 v60, v60, v6
	v_add_f32_e32 v55, v55, v2
.LBB25_50:                              ;   in Loop: Header=BB25_51 Depth=1
	s_or_b64 exec, exec, s[8:9]
	v_add_u32_e32 v72, 2, v72
	v_cmp_le_i32_e32 vcc, s16, v72
	v_lshl_add_u64 v[68:69], v[68:69], 0, 8
	v_add_u32_e32 v73, 32, v73
	s_or_b64 s[6:7], vcc, s[6:7]
	v_add_u32_e32 v79, 0x80, v79
	s_andn2_b64 exec, exec, s[6:7]
	s_cbranch_execz .LBB25_76
.LBB25_51:                              ; =>This Inner Loop Header: Depth=1
	v_mul_hi_u32 v2, v73, s40
	v_mul_lo_u32 v3, v2, s21
	v_sub_u32_e32 v3, v73, v3
	v_add_u32_e32 v4, 1, v2
	v_cmp_le_u32_e32 vcc, s21, v3
	s_nop 1
	v_cndmask_b32_e32 v2, v2, v4, vcc
	v_subrev_u32_e32 v4, s21, v3
	v_cndmask_b32_e32 v3, v3, v4, vcc
	v_add_u32_e32 v4, 1, v2
	v_cmp_le_u32_e32 vcc, s21, v3
	s_nop 1
	v_cndmask_b32_e32 v2, v2, v4, vcc
	v_xor_b32_e32 v2, s19, v2
	v_subrev_u32_e32 v2, s19, v2
	v_add_u32_e32 v3, s41, v2
	v_sub_u32_e32 v5, 0, v3
	v_ashrrev_i32_e32 v4, 31, v3
	v_max_i32_e32 v3, v3, v5
	v_mul_hi_u32 v5, v3, v78
	v_mul_lo_u32 v5, v5, s14
	v_sub_u32_e32 v3, v3, v5
	v_subrev_u32_e32 v5, s14, v3
	v_cmp_le_u32_e32 vcc, s14, v3
	v_cmp_lt_i32_e64 s[0:1], s17, v2
	s_nop 0
	v_cndmask_b32_e32 v3, v3, v5, vcc
	v_subrev_u32_e32 v5, s14, v3
	v_cmp_le_u32_e32 vcc, s14, v3
	s_nop 1
	v_cndmask_b32_e32 v3, v3, v5, vcc
	v_xor_b32_e32 v3, v3, v4
	v_sub_u32_e32 v3, v3, v4
	v_cmp_eq_u32_e32 vcc, 0, v3
	s_or_b64 s[0:1], vcc, s[0:1]
	s_and_saveexec_b64 s[8:9], s[0:1]
	s_cbranch_execz .LBB25_50
; %bb.52:                               ;   in Loop: Header=BB25_51 Depth=1
	global_load_dword v2, v[68:69], off
	v_add_u32_e32 v80, v77, v73
	v_add_u32_e32 v83, 1, v80
	v_or_b32_e32 v82, 3, v80
	v_or_b32_e32 v81, 2, v80
	s_waitcnt vmcnt(0)
	v_mad_i64_i32 v[2:3], s[0:1], v2, s15, 0
	v_lshl_add_u64 v[46:47], v[2:3], 2, v[66:67]
	global_load_dwordx4 v[6:9], v[46:47], off
	ds_read_b128 v[2:5], v79
	v_cmp_eq_u32_e64 s[0:1], s18, v72
	s_and_saveexec_b64 s[12:13], s[0:1]
	s_cbranch_execnz .LBB25_73
; %bb.53:                               ;   in Loop: Header=BB25_51 Depth=1
	s_or_b64 exec, exec, s[12:13]
	global_load_dwordx4 v[10:13], v[46:47], off offset:1024
	s_and_saveexec_b64 s[12:13], s[0:1]
	s_cbranch_execnz .LBB25_74
.LBB25_54:                              ;   in Loop: Header=BB25_51 Depth=1
	s_or_b64 exec, exec, s[12:13]
	global_load_dwordx4 v[14:17], v[46:47], off offset:2048
	s_and_saveexec_b64 s[12:13], s[0:1]
	s_cbranch_execnz .LBB25_75
.LBB25_55:                              ;   in Loop: Header=BB25_51 Depth=1
	s_or_b64 exec, exec, s[12:13]
	global_load_dwordx4 v[18:21], v[46:47], off offset:3072
	s_and_saveexec_b64 s[12:13], s[0:1]
	s_cbranch_execz .LBB25_57
.LBB25_56:                              ;   in Loop: Header=BB25_51 Depth=1
	v_cmp_gt_i32_e32 vcc, s28, v83
	s_waitcnt vmcnt(0)
	s_nop 0
	v_cndmask_b32_e32 v19, 0, v19, vcc
	v_cmp_gt_i32_e32 vcc, s33, v80
	s_nop 1
	v_cndmask_b32_e32 v18, 0, v18, vcc
	v_cmp_gt_i32_e32 vcc, s28, v82
	;; [unrolled: 3-line block ×3, first 2 shown]
	s_nop 1
	v_cndmask_b32_e32 v20, 0, v20, vcc
.LBB25_57:                              ;   in Loop: Header=BB25_51 Depth=1
	s_or_b64 exec, exec, s[12:13]
	v_add_co_u32_e32 v22, vcc, 0x1000, v46
	s_nop 1
	v_addc_co_u32_e32 v23, vcc, 0, v47, vcc
	global_load_dwordx4 v[22:25], v[22:23], off
	s_and_saveexec_b64 s[12:13], s[0:1]
	s_cbranch_execz .LBB25_59
; %bb.58:                               ;   in Loop: Header=BB25_51 Depth=1
	v_cmp_gt_i32_e32 vcc, s28, v83
	s_waitcnt vmcnt(0)
	s_nop 0
	v_cndmask_b32_e32 v23, 0, v23, vcc
	v_cmp_gt_i32_e32 vcc, s33, v80
	s_nop 1
	v_cndmask_b32_e32 v22, 0, v22, vcc
	v_cmp_gt_i32_e32 vcc, s28, v82
	s_nop 1
	v_cndmask_b32_e32 v25, 0, v25, vcc
	v_cmp_gt_i32_e32 vcc, s33, v81
	s_nop 1
	v_cndmask_b32_e32 v24, 0, v24, vcc
.LBB25_59:                              ;   in Loop: Header=BB25_51 Depth=1
	s_or_b64 exec, exec, s[12:13]
	v_add_co_u32_e32 v26, vcc, 0x1000, v46
	s_nop 1
	v_addc_co_u32_e32 v27, vcc, 0, v47, vcc
	global_load_dwordx4 v[26:29], v[26:27], off offset:1024
	s_and_saveexec_b64 s[12:13], s[0:1]
	s_cbranch_execz .LBB25_61
; %bb.60:                               ;   in Loop: Header=BB25_51 Depth=1
	v_cmp_gt_i32_e32 vcc, s28, v83
	s_waitcnt vmcnt(0)
	s_nop 0
	v_cndmask_b32_e32 v27, 0, v27, vcc
	v_cmp_gt_i32_e32 vcc, s33, v80
	s_nop 1
	v_cndmask_b32_e32 v26, 0, v26, vcc
	v_cmp_gt_i32_e32 vcc, s28, v82
	s_nop 1
	v_cndmask_b32_e32 v29, 0, v29, vcc
	v_cmp_gt_i32_e32 vcc, s33, v81
	s_nop 1
	v_cndmask_b32_e32 v28, 0, v28, vcc
.LBB25_61:                              ;   in Loop: Header=BB25_51 Depth=1
	s_or_b64 exec, exec, s[12:13]
	v_add_co_u32_e32 v30, vcc, 0x1000, v46
	s_nop 1
	v_addc_co_u32_e32 v31, vcc, 0, v47, vcc
	global_load_dwordx4 v[30:33], v[30:31], off offset:2048
	;; [unrolled: 22-line block ×3, first 2 shown]
	s_and_saveexec_b64 s[12:13], s[0:1]
	s_cbranch_execz .LBB25_65
; %bb.64:                               ;   in Loop: Header=BB25_51 Depth=1
	v_cmp_gt_i32_e32 vcc, s28, v83
	s_waitcnt vmcnt(0)
	s_nop 0
	v_cndmask_b32_e32 v35, 0, v35, vcc
	v_cmp_gt_i32_e32 vcc, s33, v80
	s_nop 1
	v_cndmask_b32_e32 v34, 0, v34, vcc
	v_cmp_gt_i32_e32 vcc, s28, v82
	;; [unrolled: 3-line block ×3, first 2 shown]
	s_nop 1
	v_cndmask_b32_e32 v36, 0, v36, vcc
.LBB25_65:                              ;   in Loop: Header=BB25_51 Depth=1
	s_or_b64 exec, exec, s[12:13]
	v_add_co_u32_e32 v38, vcc, 0x2000, v46
	s_nop 1
	v_addc_co_u32_e32 v39, vcc, 0, v47, vcc
	global_load_dwordx4 v[38:41], v[38:39], off
	s_and_saveexec_b64 s[12:13], s[0:1]
	s_cbranch_execz .LBB25_67
; %bb.66:                               ;   in Loop: Header=BB25_51 Depth=1
	v_cmp_gt_i32_e32 vcc, s28, v83
	s_waitcnt vmcnt(0)
	s_nop 0
	v_cndmask_b32_e32 v39, 0, v39, vcc
	v_cmp_gt_i32_e32 vcc, s33, v80
	s_nop 1
	v_cndmask_b32_e32 v38, 0, v38, vcc
	v_cmp_gt_i32_e32 vcc, s28, v82
	s_nop 1
	v_cndmask_b32_e32 v41, 0, v41, vcc
	v_cmp_gt_i32_e32 vcc, s33, v81
	s_nop 1
	v_cndmask_b32_e32 v40, 0, v40, vcc
.LBB25_67:                              ;   in Loop: Header=BB25_51 Depth=1
	s_or_b64 exec, exec, s[12:13]
	v_add_co_u32_e32 v42, vcc, 0x2000, v46
	s_nop 1
	v_addc_co_u32_e32 v43, vcc, 0, v47, vcc
	global_load_dwordx4 v[42:45], v[42:43], off offset:1024
	s_and_saveexec_b64 s[12:13], s[0:1]
	s_cbranch_execz .LBB25_69
; %bb.68:                               ;   in Loop: Header=BB25_51 Depth=1
	v_cmp_gt_i32_e32 vcc, s28, v83
	s_waitcnt vmcnt(0)
	s_nop 0
	v_cndmask_b32_e32 v43, 0, v43, vcc
	v_cmp_gt_i32_e32 vcc, s33, v80
	s_nop 1
	v_cndmask_b32_e32 v42, 0, v42, vcc
	v_cmp_gt_i32_e32 vcc, s28, v82
	s_nop 1
	v_cndmask_b32_e32 v45, 0, v45, vcc
	v_cmp_gt_i32_e32 vcc, s33, v81
	s_nop 1
	v_cndmask_b32_e32 v44, 0, v44, vcc
.LBB25_69:                              ;   in Loop: Header=BB25_51 Depth=1
	s_or_b64 exec, exec, s[12:13]
	v_add_co_u32_e32 v48, vcc, 0x2000, v46
	s_nop 1
	v_addc_co_u32_e32 v49, vcc, 0, v47, vcc
	global_load_dwordx4 v[50:53], v[48:49], off offset:2048
	;; [unrolled: 22-line block ×3, first 2 shown]
	s_and_saveexec_b64 s[12:13], s[0:1]
	s_cbranch_execz .LBB25_49
; %bb.72:                               ;   in Loop: Header=BB25_51 Depth=1
	v_cmp_gt_i32_e32 vcc, s28, v83
	s_waitcnt vmcnt(0)
	s_nop 0
	v_cndmask_b32_e32 v47, 0, v47, vcc
	v_cmp_gt_i32_e32 vcc, s33, v80
	s_nop 1
	v_cndmask_b32_e32 v46, 0, v46, vcc
	v_cmp_gt_i32_e32 vcc, s28, v82
	;; [unrolled: 3-line block ×3, first 2 shown]
	s_nop 1
	v_cndmask_b32_e32 v48, 0, v48, vcc
	s_branch .LBB25_49
.LBB25_73:                              ;   in Loop: Header=BB25_51 Depth=1
	v_cmp_gt_i32_e32 vcc, s28, v83
	s_waitcnt vmcnt(0)
	s_nop 0
	v_cndmask_b32_e32 v7, 0, v7, vcc
	v_cmp_gt_i32_e32 vcc, s33, v80
	s_nop 1
	v_cndmask_b32_e32 v6, 0, v6, vcc
	v_cmp_gt_i32_e32 vcc, s28, v82
	;; [unrolled: 3-line block ×3, first 2 shown]
	s_nop 1
	v_cndmask_b32_e32 v8, 0, v8, vcc
	s_or_b64 exec, exec, s[12:13]
	global_load_dwordx4 v[10:13], v[46:47], off offset:1024
	s_and_saveexec_b64 s[12:13], s[0:1]
	s_cbranch_execz .LBB25_54
.LBB25_74:                              ;   in Loop: Header=BB25_51 Depth=1
	v_cmp_gt_i32_e32 vcc, s28, v83
	s_waitcnt vmcnt(0)
	s_nop 0
	v_cndmask_b32_e32 v11, 0, v11, vcc
	v_cmp_gt_i32_e32 vcc, s33, v80
	s_nop 1
	v_cndmask_b32_e32 v10, 0, v10, vcc
	v_cmp_gt_i32_e32 vcc, s28, v82
	;; [unrolled: 3-line block ×3, first 2 shown]
	s_nop 1
	v_cndmask_b32_e32 v12, 0, v12, vcc
	s_or_b64 exec, exec, s[12:13]
	global_load_dwordx4 v[14:17], v[46:47], off offset:2048
	s_and_saveexec_b64 s[12:13], s[0:1]
	s_cbranch_execz .LBB25_55
.LBB25_75:                              ;   in Loop: Header=BB25_51 Depth=1
	v_cmp_gt_i32_e32 vcc, s28, v83
	s_waitcnt vmcnt(0)
	s_nop 0
	v_cndmask_b32_e32 v15, 0, v15, vcc
	v_cmp_gt_i32_e32 vcc, s33, v80
	s_nop 1
	v_cndmask_b32_e32 v14, 0, v14, vcc
	v_cmp_gt_i32_e32 vcc, s28, v82
	;; [unrolled: 3-line block ×3, first 2 shown]
	s_nop 1
	v_cndmask_b32_e32 v16, 0, v16, vcc
	s_or_b64 exec, exec, s[12:13]
	global_load_dwordx4 v[18:21], v[46:47], off offset:3072
	s_and_saveexec_b64 s[12:13], s[0:1]
	s_cbranch_execnz .LBB25_56
	s_branch .LBB25_57
.LBB25_76:
	s_or_b64 exec, exec, s[6:7]
.LBB25_77:
	s_or_b64 exec, exec, s[2:3]
	ds_bpermute_b32 v2, v76, v60
	ds_bpermute_b32 v3, v76, v61
	;; [unrolled: 1-line block ×6, first 2 shown]
	s_waitcnt lgkmcnt(4)
	v_pk_add_f32 v[2:3], v[60:61], v[2:3]
	ds_bpermute_b32 v6, v75, v2
	ds_bpermute_b32 v7, v75, v3
	;; [unrolled: 1-line block ×4, first 2 shown]
	s_waitcnt lgkmcnt(4)
	v_pk_add_f32 v[4:5], v[64:65], v[4:5]
	ds_bpermute_b32 v22, v76, v54
	s_waitcnt lgkmcnt(3)
	v_pk_add_f32 v[2:3], v[2:3], v[6:7]
	v_pk_add_f32 v[6:7], v[62:63], v[8:9]
	ds_bpermute_b32 v8, v76, v58
	ds_bpermute_b32 v9, v76, v59
	;; [unrolled: 1-line block ×4, first 2 shown]
	s_waitcnt lgkmcnt(5)
	v_pk_add_f32 v[14:15], v[56:57], v[14:15]
	ds_bpermute_b32 v23, v76, v55
	ds_bpermute_b32 v10, v75, v4
	;; [unrolled: 1-line block ×5, first 2 shown]
	s_waitcnt lgkmcnt(7)
	v_pk_add_f32 v[16:17], v[58:59], v[8:9]
	ds_bpermute_b32 v18, v75, v16
	ds_bpermute_b32 v19, v75, v17
	s_waitcnt lgkmcnt(7)
	v_pk_add_f32 v[8:9], v[6:7], v[12:13]
	s_waitcnt lgkmcnt(6)
	v_pk_add_f32 v[12:13], v[54:55], v[22:23]
	;; [unrolled: 2-line block ×4, first 2 shown]
	ds_bpermute_b32 v14, v75, v12
	ds_bpermute_b32 v15, v75, v13
	s_waitcnt lgkmcnt(2)
	v_pk_add_f32 v[6:7], v[16:17], v[18:19]
	v_and_b32_e32 v16, 0x3c3, v0
	v_cmp_ne_u32_e32 vcc, 64, v16
	s_waitcnt lgkmcnt(0)
	s_barrier
	s_and_saveexec_b64 s[0:1], vcc
	s_xor_b64 s[0:1], exec, s[0:1]
; %bb.78:
                                        ; implicit-def: $vgpr74
; %bb.79:
	s_or_saveexec_b64 s[0:1], s[0:1]
	v_pk_add_f32 v[12:13], v[12:13], v[14:15]
	s_xor_b64 exec, exec, s[0:1]
	s_cbranch_execz .LBB25_81
; %bb.80:
	v_add_u32_e32 v14, 0x310, v74
	ds_write2_b32 v14, v2, v3 offset1:16
	ds_write2_b32 v14, v10, v11 offset0:32 offset1:48
	ds_write2_b32 v14, v8, v9 offset0:64 offset1:80
	ds_write2_b32 v14, v6, v7 offset0:96 offset1:112
	ds_write2_b32 v14, v4, v5 offset0:128 offset1:144
	ds_write2_b32 v14, v12, v13 offset0:160 offset1:176
.LBB25_81:
	s_or_b64 exec, exec, s[0:1]
	v_cmp_gt_u32_e32 vcc, 64, v0
	s_waitcnt lgkmcnt(0)
	s_barrier
	s_and_saveexec_b64 s[0:1], vcc
	s_cbranch_execz .LBB25_96
; %bb.82:
	v_mov_b32_e32 v0, 0x310
	v_cmp_eq_u32_e32 vcc, 0, v71
	v_lshl_add_u32 v0, v70, 2, v0
	s_and_saveexec_b64 s[2:3], vcc
	s_cbranch_execnz .LBB25_99
; %bb.83:
	s_or_b64 exec, exec, s[2:3]
	s_and_saveexec_b64 s[2:3], vcc
	s_cbranch_execnz .LBB25_100
.LBB25_84:
	s_or_b64 exec, exec, s[2:3]
	s_and_saveexec_b64 s[2:3], vcc
	s_cbranch_execnz .LBB25_101
.LBB25_85:
	s_or_b64 exec, exec, s[2:3]
	s_and_saveexec_b64 s[2:3], vcc
	s_cbranch_execnz .LBB25_102
.LBB25_86:
	s_or_b64 exec, exec, s[2:3]
	s_and_saveexec_b64 s[2:3], vcc
	s_cbranch_execnz .LBB25_103
.LBB25_87:
	s_or_b64 exec, exec, s[2:3]
	s_and_saveexec_b64 s[2:3], vcc
	s_cbranch_execnz .LBB25_104
.LBB25_88:
	s_or_b64 exec, exec, s[2:3]
	s_and_saveexec_b64 s[2:3], vcc
	s_cbranch_execnz .LBB25_105
.LBB25_89:
	s_or_b64 exec, exec, s[2:3]
	s_and_saveexec_b64 s[2:3], vcc
	s_cbranch_execnz .LBB25_106
.LBB25_90:
	s_or_b64 exec, exec, s[2:3]
	s_and_saveexec_b64 s[2:3], vcc
	s_cbranch_execnz .LBB25_107
.LBB25_91:
	s_or_b64 exec, exec, s[2:3]
	s_and_saveexec_b64 s[2:3], vcc
	s_cbranch_execnz .LBB25_108
.LBB25_92:
	s_or_b64 exec, exec, s[2:3]
	s_and_saveexec_b64 s[2:3], vcc
	s_cbranch_execnz .LBB25_109
.LBB25_93:
	s_or_b64 exec, exec, s[2:3]
	s_and_saveexec_b64 s[2:3], vcc
	s_cbranch_execz .LBB25_95
.LBB25_94:
	ds_read_b32 v0, v0 offset:704
	s_waitcnt lgkmcnt(0)
	v_add_f32_e32 v13, v13, v0
.LBB25_95:
	s_or_b64 exec, exec, s[2:3]
.LBB25_96:
	s_or_b64 exec, exec, s[0:1]
	v_cmp_eq_u32_e32 vcc, 0, v16
	s_barrier
	s_and_saveexec_b64 s[0:1], vcc
	s_cbranch_execz .LBB25_98
; %bb.97:
	s_mul_i32 s0, s10, s11
	s_mul_i32 s0, s0, s5
	s_mulk_i32 s0, 0xc0
	s_ashr_i32 s1, s0, 31
	s_lshl_b64 s[0:1], s[0:1], 2
	s_add_u32 s2, s22, s0
	s_mul_i32 s0, s11, s20
	s_addc_u32 s3, s23, s1
	s_ashr_i32 s1, s0, 31
	s_lshl_b64 s[0:1], s[0:1], 2
	s_add_u32 s2, s2, s0
	s_mul_i32 s0, s4, 0xc0
	s_addc_u32 s3, s3, s1
	s_ashr_i32 s1, s0, 31
	s_lshl_b64 s[0:1], s[0:1], 2
	s_add_u32 s0, s2, s0
	s_addc_u32 s1, s3, s1
	global_store_dword v1, v2, s[0:1]
	global_store_dword v1, v3, s[0:1] offset:64
	global_store_dword v1, v10, s[0:1] offset:128
	;; [unrolled: 1-line block ×11, first 2 shown]
.LBB25_98:
	s_endpgm
.LBB25_99:
	ds_read_b32 v14, v0
	s_waitcnt lgkmcnt(0)
	v_add_f32_e32 v2, v2, v14
	s_or_b64 exec, exec, s[2:3]
	s_and_saveexec_b64 s[2:3], vcc
	s_cbranch_execz .LBB25_84
.LBB25_100:
	ds_read_b32 v14, v0 offset:64
	s_waitcnt lgkmcnt(0)
	v_add_f32_e32 v3, v3, v14
	s_or_b64 exec, exec, s[2:3]
	s_and_saveexec_b64 s[2:3], vcc
	s_cbranch_execz .LBB25_85
.LBB25_101:
	ds_read_b32 v14, v0 offset:128
	s_waitcnt lgkmcnt(0)
	v_add_f32_e32 v10, v10, v14
	s_or_b64 exec, exec, s[2:3]
	s_and_saveexec_b64 s[2:3], vcc
	s_cbranch_execz .LBB25_86
.LBB25_102:
	ds_read_b32 v14, v0 offset:192
	s_waitcnt lgkmcnt(0)
	v_add_f32_e32 v11, v11, v14
	s_or_b64 exec, exec, s[2:3]
	s_and_saveexec_b64 s[2:3], vcc
	s_cbranch_execz .LBB25_87
.LBB25_103:
	ds_read_b32 v14, v0 offset:256
	s_waitcnt lgkmcnt(0)
	v_add_f32_e32 v8, v8, v14
	s_or_b64 exec, exec, s[2:3]
	s_and_saveexec_b64 s[2:3], vcc
	s_cbranch_execz .LBB25_88
.LBB25_104:
	ds_read_b32 v14, v0 offset:320
	s_waitcnt lgkmcnt(0)
	v_add_f32_e32 v9, v9, v14
	s_or_b64 exec, exec, s[2:3]
	s_and_saveexec_b64 s[2:3], vcc
	s_cbranch_execz .LBB25_89
.LBB25_105:
	ds_read_b32 v14, v0 offset:384
	s_waitcnt lgkmcnt(0)
	v_add_f32_e32 v6, v6, v14
	s_or_b64 exec, exec, s[2:3]
	s_and_saveexec_b64 s[2:3], vcc
	s_cbranch_execz .LBB25_90
.LBB25_106:
	ds_read_b32 v14, v0 offset:448
	s_waitcnt lgkmcnt(0)
	v_add_f32_e32 v7, v7, v14
	s_or_b64 exec, exec, s[2:3]
	s_and_saveexec_b64 s[2:3], vcc
	s_cbranch_execz .LBB25_91
.LBB25_107:
	ds_read_b32 v14, v0 offset:512
	s_waitcnt lgkmcnt(0)
	v_add_f32_e32 v4, v4, v14
	s_or_b64 exec, exec, s[2:3]
	s_and_saveexec_b64 s[2:3], vcc
	s_cbranch_execz .LBB25_92
.LBB25_108:
	ds_read_b32 v14, v0 offset:576
	s_waitcnt lgkmcnt(0)
	v_add_f32_e32 v5, v5, v14
	s_or_b64 exec, exec, s[2:3]
	s_and_saveexec_b64 s[2:3], vcc
	s_cbranch_execz .LBB25_93
.LBB25_109:
	ds_read_b32 v14, v0 offset:640
	s_waitcnt lgkmcnt(0)
	v_add_f32_e32 v12, v12, v14
	s_or_b64 exec, exec, s[2:3]
	s_and_saveexec_b64 s[2:3], vcc
	s_cbranch_execnz .LBB25_94
	s_branch .LBB25_95
	.section	.rodata,"a",@progbits
	.p2align	6, 0x0
	.amdhsa_kernel _ZN4vllm25paged_attention_v1_kernelIffLi192ELi16ELi128ELNS_18Fp8KVCacheDataTypeE0ELb1EEEvPT_PKS2_PKT0_S8_ifPKiSA_iPKfiiiSC_SC_iiiii
		.amdhsa_group_segment_fixed_size 784
		.amdhsa_private_segment_fixed_size 0
		.amdhsa_kernarg_size 384
		.amdhsa_user_sgpr_count 2
		.amdhsa_user_sgpr_dispatch_ptr 0
		.amdhsa_user_sgpr_queue_ptr 0
		.amdhsa_user_sgpr_kernarg_segment_ptr 1
		.amdhsa_user_sgpr_dispatch_id 0
		.amdhsa_user_sgpr_kernarg_preload_length 0
		.amdhsa_user_sgpr_kernarg_preload_offset 0
		.amdhsa_user_sgpr_private_segment_size 0
		.amdhsa_uses_dynamic_stack 0
		.amdhsa_enable_private_segment 0
		.amdhsa_system_sgpr_workgroup_id_x 1
		.amdhsa_system_sgpr_workgroup_id_y 1
		.amdhsa_system_sgpr_workgroup_id_z 1
		.amdhsa_system_sgpr_workgroup_info 0
		.amdhsa_system_vgpr_workitem_id 0
		.amdhsa_next_free_vgpr 108
		.amdhsa_next_free_sgpr 46
		.amdhsa_accum_offset 108
		.amdhsa_reserve_vcc 1
		.amdhsa_float_round_mode_32 0
		.amdhsa_float_round_mode_16_64 0
		.amdhsa_float_denorm_mode_32 3
		.amdhsa_float_denorm_mode_16_64 3
		.amdhsa_dx10_clamp 1
		.amdhsa_ieee_mode 1
		.amdhsa_fp16_overflow 0
		.amdhsa_tg_split 0
		.amdhsa_exception_fp_ieee_invalid_op 0
		.amdhsa_exception_fp_denorm_src 0
		.amdhsa_exception_fp_ieee_div_zero 0
		.amdhsa_exception_fp_ieee_overflow 0
		.amdhsa_exception_fp_ieee_underflow 0
		.amdhsa_exception_fp_ieee_inexact 0
		.amdhsa_exception_int_div_zero 0
	.end_amdhsa_kernel
	.section	.text._ZN4vllm25paged_attention_v1_kernelIffLi192ELi16ELi128ELNS_18Fp8KVCacheDataTypeE0ELb1EEEvPT_PKS2_PKT0_S8_ifPKiSA_iPKfiiiSC_SC_iiiii,"axG",@progbits,_ZN4vllm25paged_attention_v1_kernelIffLi192ELi16ELi128ELNS_18Fp8KVCacheDataTypeE0ELb1EEEvPT_PKS2_PKT0_S8_ifPKiSA_iPKfiiiSC_SC_iiiii,comdat
.Lfunc_end25:
	.size	_ZN4vllm25paged_attention_v1_kernelIffLi192ELi16ELi128ELNS_18Fp8KVCacheDataTypeE0ELb1EEEvPT_PKS2_PKT0_S8_ifPKiSA_iPKfiiiSC_SC_iiiii, .Lfunc_end25-_ZN4vllm25paged_attention_v1_kernelIffLi192ELi16ELi128ELNS_18Fp8KVCacheDataTypeE0ELb1EEEvPT_PKS2_PKT0_S8_ifPKiSA_iPKfiiiSC_SC_iiiii
                                        ; -- End function
	.set _ZN4vllm25paged_attention_v1_kernelIffLi192ELi16ELi128ELNS_18Fp8KVCacheDataTypeE0ELb1EEEvPT_PKS2_PKT0_S8_ifPKiSA_iPKfiiiSC_SC_iiiii.num_vgpr, 108
	.set _ZN4vllm25paged_attention_v1_kernelIffLi192ELi16ELi128ELNS_18Fp8KVCacheDataTypeE0ELb1EEEvPT_PKS2_PKT0_S8_ifPKiSA_iPKfiiiSC_SC_iiiii.num_agpr, 0
	.set _ZN4vllm25paged_attention_v1_kernelIffLi192ELi16ELi128ELNS_18Fp8KVCacheDataTypeE0ELb1EEEvPT_PKS2_PKT0_S8_ifPKiSA_iPKfiiiSC_SC_iiiii.numbered_sgpr, 46
	.set _ZN4vllm25paged_attention_v1_kernelIffLi192ELi16ELi128ELNS_18Fp8KVCacheDataTypeE0ELb1EEEvPT_PKS2_PKT0_S8_ifPKiSA_iPKfiiiSC_SC_iiiii.num_named_barrier, 0
	.set _ZN4vllm25paged_attention_v1_kernelIffLi192ELi16ELi128ELNS_18Fp8KVCacheDataTypeE0ELb1EEEvPT_PKS2_PKT0_S8_ifPKiSA_iPKfiiiSC_SC_iiiii.private_seg_size, 0
	.set _ZN4vllm25paged_attention_v1_kernelIffLi192ELi16ELi128ELNS_18Fp8KVCacheDataTypeE0ELb1EEEvPT_PKS2_PKT0_S8_ifPKiSA_iPKfiiiSC_SC_iiiii.uses_vcc, 1
	.set _ZN4vllm25paged_attention_v1_kernelIffLi192ELi16ELi128ELNS_18Fp8KVCacheDataTypeE0ELb1EEEvPT_PKS2_PKT0_S8_ifPKiSA_iPKfiiiSC_SC_iiiii.uses_flat_scratch, 0
	.set _ZN4vllm25paged_attention_v1_kernelIffLi192ELi16ELi128ELNS_18Fp8KVCacheDataTypeE0ELb1EEEvPT_PKS2_PKT0_S8_ifPKiSA_iPKfiiiSC_SC_iiiii.has_dyn_sized_stack, 0
	.set _ZN4vllm25paged_attention_v1_kernelIffLi192ELi16ELi128ELNS_18Fp8KVCacheDataTypeE0ELb1EEEvPT_PKS2_PKT0_S8_ifPKiSA_iPKfiiiSC_SC_iiiii.has_recursion, 0
	.set _ZN4vllm25paged_attention_v1_kernelIffLi192ELi16ELi128ELNS_18Fp8KVCacheDataTypeE0ELb1EEEvPT_PKS2_PKT0_S8_ifPKiSA_iPKfiiiSC_SC_iiiii.has_indirect_call, 0
	.section	.AMDGPU.csdata,"",@progbits
; Kernel info:
; codeLenInByte = 6784
; TotalNumSgprs: 52
; NumVgprs: 108
; NumAgprs: 0
; TotalNumVgprs: 108
; ScratchSize: 0
; MemoryBound: 0
; FloatMode: 240
; IeeeMode: 1
; LDSByteSize: 784 bytes/workgroup (compile time only)
; SGPRBlocks: 6
; VGPRBlocks: 13
; NumSGPRsForWavesPerEU: 52
; NumVGPRsForWavesPerEU: 108
; AccumOffset: 108
; Occupancy: 4
; WaveLimiterHint : 1
; COMPUTE_PGM_RSRC2:SCRATCH_EN: 0
; COMPUTE_PGM_RSRC2:USER_SGPR: 2
; COMPUTE_PGM_RSRC2:TRAP_HANDLER: 0
; COMPUTE_PGM_RSRC2:TGID_X_EN: 1
; COMPUTE_PGM_RSRC2:TGID_Y_EN: 1
; COMPUTE_PGM_RSRC2:TGID_Z_EN: 1
; COMPUTE_PGM_RSRC2:TIDIG_COMP_CNT: 0
; COMPUTE_PGM_RSRC3_GFX90A:ACCUM_OFFSET: 26
; COMPUTE_PGM_RSRC3_GFX90A:TG_SPLIT: 0
	.section	.text._ZN4vllm25paged_attention_v1_kernelIffLi256ELi16ELi128ELNS_18Fp8KVCacheDataTypeE0ELb1EEEvPT_PKS2_PKT0_S8_ifPKiSA_iPKfiiiSC_SC_iiiii,"axG",@progbits,_ZN4vllm25paged_attention_v1_kernelIffLi256ELi16ELi128ELNS_18Fp8KVCacheDataTypeE0ELb1EEEvPT_PKS2_PKT0_S8_ifPKiSA_iPKfiiiSC_SC_iiiii,comdat
	.protected	_ZN4vllm25paged_attention_v1_kernelIffLi256ELi16ELi128ELNS_18Fp8KVCacheDataTypeE0ELb1EEEvPT_PKS2_PKT0_S8_ifPKiSA_iPKfiiiSC_SC_iiiii ; -- Begin function _ZN4vllm25paged_attention_v1_kernelIffLi256ELi16ELi128ELNS_18Fp8KVCacheDataTypeE0ELb1EEEvPT_PKS2_PKT0_S8_ifPKiSA_iPKfiiiSC_SC_iiiii
	.globl	_ZN4vllm25paged_attention_v1_kernelIffLi256ELi16ELi128ELNS_18Fp8KVCacheDataTypeE0ELb1EEEvPT_PKS2_PKT0_S8_ifPKiSA_iPKfiiiSC_SC_iiiii
	.p2align	8
	.type	_ZN4vllm25paged_attention_v1_kernelIffLi256ELi16ELi128ELNS_18Fp8KVCacheDataTypeE0ELb1EEEvPT_PKS2_PKT0_S8_ifPKiSA_iPKfiiiSC_SC_iiiii,@function
_ZN4vllm25paged_attention_v1_kernelIffLi256ELi16ELi128ELNS_18Fp8KVCacheDataTypeE0ELb1EEEvPT_PKS2_PKT0_S8_ifPKiSA_iPKfiiiSC_SC_iiiii: ; @_ZN4vllm25paged_attention_v1_kernelIffLi256ELi16ELi128ELNS_18Fp8KVCacheDataTypeE0ELb1EEEvPT_PKS2_PKT0_S8_ifPKiSA_iPKfiiiSC_SC_iiiii
; %bb.0:
	s_load_dword s5, s[0:1], 0x80
	s_load_dwordx2 s[6:7], s[0:1], 0x30
	s_load_dwordx2 s[30:31], s[0:1], 0x20
	s_mov_b32 s10, s3
	s_ashr_i32 s11, s3, 31
	s_lshl_b64 s[8:9], s[10:11], 2
	s_waitcnt lgkmcnt(0)
	s_add_u32 s6, s6, s8
	s_addc_u32 s7, s7, s9
	s_abs_i32 s3, s30
	v_cvt_f32_u32_e32 v1, s3
	s_sub_i32 s11, 0, s3
	s_abs_i32 s9, s5
	s_xor_b32 s8, s5, s30
	v_rcp_iflag_f32_e32 v1, v1
	s_ashr_i32 s8, s8, 31
	s_mov_b32 s42, 0
	v_mul_f32_e32 v1, 0x4f7ffffe, v1
	v_cvt_u32_f32_e32 v1, v1
	s_nop 0
	v_readfirstlane_b32 s12, v1
	s_mul_i32 s11, s11, s12
	s_mul_hi_u32 s11, s12, s11
	s_add_i32 s12, s12, s11
	s_mul_hi_u32 s11, s9, s12
	s_mul_i32 s12, s11, s3
	s_sub_i32 s9, s9, s12
	s_add_i32 s12, s11, 1
	s_sub_i32 s13, s9, s3
	s_cmp_ge_u32 s9, s3
	s_cselect_b32 s11, s12, s11
	s_cselect_b32 s9, s13, s9
	s_add_i32 s12, s11, 1
	s_cmp_ge_u32 s9, s3
	s_cselect_b32 s3, s12, s11
	s_xor_b32 s3, s3, s8
	s_sub_i32 s11, s3, s8
	s_abs_i32 s22, s11
	v_cvt_f32_u32_e32 v1, s22
	s_load_dwordx2 s[8:9], s[0:1], 0x40
	s_sub_i32 s3, 0, s22
	s_abs_i32 s23, s2
	v_rcp_iflag_f32_e32 v1, v1
	s_nop 0
	v_mul_f32_e32 v1, 0x4f7ffffe, v1
	v_cvt_u32_f32_e32 v1, v1
	s_nop 0
	v_readfirstlane_b32 s12, v1
	s_mul_i32 s3, s3, s12
	s_mul_hi_u32 s3, s12, s3
	s_add_i32 s12, s12, s3
	s_waitcnt lgkmcnt(0)
	s_cmp_eq_u64 s[8:9], 0
	s_mul_hi_u32 s24, s23, s12
	s_cbranch_scc1 .LBB26_2
; %bb.1:
	s_ashr_i32 s3, s2, 31
	s_lshl_b64 s[12:13], s[2:3], 2
	s_add_u32 s8, s8, s12
	s_addc_u32 s9, s9, s13
	s_load_dword s42, s[8:9], 0x0
.LBB26_2:
	s_load_dword s33, s[6:7], 0x0
	s_ashr_i32 s25, s11, 31
	s_load_dword s11, s[0:1], 0x88
	s_load_dwordx4 s[12:15], s[0:1], 0x48
	v_lshrrev_b32_e32 v92, 2, v0
	s_movk_i32 s6, 0x100
	s_ashr_i32 s3, s2, 31
	v_and_b32_e32 v93, 3, v0
	s_lshl_b32 s20, s2, 8
	v_cmp_gt_u32_e32 vcc, s6, v0
	v_lshlrev_b32_e32 v16, 2, v0
	v_lshlrev_b32_e32 v1, 2, v92
	s_and_saveexec_b64 s[6:7], vcc
	s_cbranch_execz .LBB26_5
; %bb.3:
	s_load_dwordx2 s[8:9], s[0:1], 0x8
	s_waitcnt lgkmcnt(0)
	s_mul_i32 s16, s12, s10
	s_ashr_i32 s17, s16, 31
	s_lshl_b64 s[16:17], s[16:17], 2
	v_lshl_add_u32 v2, v93, 8, v1
	s_add_u32 s12, s8, s16
	s_addc_u32 s15, s9, s17
	s_ashr_i32 s21, s20, 31
	s_lshl_b64 s[8:9], s[20:21], 2
	s_add_u32 s8, s12, s8
	s_addc_u32 s9, s15, s9
	global_load_dword v3, v16, s[8:9]
	s_movk_i32 s12, 0x80
	v_cmp_gt_u32_e32 vcc, s12, v0
	s_waitcnt vmcnt(0)
	ds_write_b32 v2, v3
	s_and_b64 exec, exec, vcc
	s_cbranch_execz .LBB26_5
; %bb.4:
	v_lshlrev_b32_e32 v3, 4, v92
	v_lshlrev_b32_e32 v4, 2, v93
	s_movk_i32 s12, 0x200
	v_or3_b32 v3, v3, v4, s12
	global_load_dword v3, v3, s[8:9]
	s_waitcnt vmcnt(0)
	ds_write_b32 v2, v3 offset:128
.LBB26_5:
	s_or_b64 exec, exec, s[6:7]
	s_mul_i32 s6, s24, s22
	s_sub_i32 s6, s23, s6
	s_xor_b32 s3, s3, s25
	s_add_i32 s7, s24, 1
	s_sub_i32 s9, s6, s22
	s_load_dwordx4 s[16:19], s[0:1], 0x68
	s_load_dword s8, s[0:1], 0x78
	s_cmp_ge_u32 s6, s22
	s_cselect_b32 s7, s7, s24
	s_cselect_b32 s6, s9, s6
	s_add_i32 s9, s7, 1
	s_cmp_ge_u32 s6, s22
	s_cselect_b32 s6, s9, s7
	s_waitcnt lgkmcnt(0)
	s_abs_i32 s21, s19
	v_cvt_f32_u32_e32 v2, s21
	s_xor_b32 s6, s6, s3
	s_sub_i32 s3, s6, s3
	s_sub_i32 s6, 0, s21
	v_rcp_iflag_f32_e32 v2, v2
	s_add_i32 s15, s33, -1
	s_abs_i32 s9, s15
	v_mul_f32_e32 v2, 0x4f7ffffe, v2
	v_cvt_u32_f32_e32 v2, v2
	s_barrier
	v_readfirstlane_b32 s40, v2
	s_mul_i32 s6, s6, s40
	s_mul_hi_u32 s6, s40, s6
	s_add_i32 s40, s40, s6
	s_cmp_lt_i32 s8, 0
	s_mul_hi_u32 s12, s9, s40
	s_cbranch_scc0 .LBB26_7
; %bb.6:
	s_mul_i32 s6, s16, s30
	s_add_i32 s6, s3, s6
	s_mul_i32 s6, s6, s8
	s_sub_i32 s41, 1, s6
	s_mov_b64 s[6:7], 0
	s_branch .LBB26_8
.LBB26_7:
	s_mov_b64 s[6:7], -1
                                        ; implicit-def: $sgpr41
.LBB26_8:
	s_load_dwordx2 s[24:25], s[0:1], 0x28
	s_ashr_i32 s15, s15, 31
	s_andn2_b64 vcc, exec, s[6:7]
	s_ashr_i32 s19, s19, 31
	s_cbranch_vccnz .LBB26_10
; %bb.9:
	s_mul_i32 s6, s5, s16
	s_add_i32 s2, s6, s2
	s_mul_i32 s2, s2, s8
	s_add_i32 s41, s2, 1
.LBB26_10:
	s_load_dword s2, s[0:1], 0x38
	s_load_dwordx2 s[22:23], s[0:1], 0x0
	s_load_dwordx2 s[28:29], s[0:1], 0x18
	s_mul_i32 s7, s12, s21
	s_xor_b32 s6, s15, s19
	s_waitcnt lgkmcnt(0)
	s_mul_i32 s26, s2, s10
	s_sub_i32 s2, s9, s7
	s_ashr_i32 s27, s26, 31
	s_add_i32 s7, s12, 1
	s_sub_i32 s8, s2, s21
	s_cmp_ge_u32 s2, s21
	s_cselect_b32 s7, s7, s12
	s_cselect_b32 s2, s8, s2
	s_add_i32 s8, s7, 1
	s_cmp_ge_u32 s2, s21
	s_cselect_b32 s2, s8, s7
	s_xor_b32 s2, s2, s6
	s_sub_i32 s12, s2, s6
	s_add_i32 s2, s33, 15
	s_ashr_i32 s6, s2, 31
	s_lshr_b32 s6, s6, 28
	s_add_i32 s2, s2, s6
	s_ashr_i32 s16, s2, 4
	v_lshrrev_b32_e32 v94, 6, v0
	v_cmp_gt_i32_e64 s[6:7], s16, v94
	v_mov_b32_e32 v21, 0xff7fffff
	s_mul_i32 s14, s3, s14
	v_lshrrev_b32_e32 v17, 4, v0
	v_lshlrev_b32_e32 v95, 4, v94
	v_mbcnt_lo_u32_b32 v18, -1, 0
	s_and_saveexec_b64 s[34:35], s[6:7]
	s_cbranch_execz .LBB26_22
; %bb.11:
	s_load_dwordx2 s[0:1], s[0:1], 0x10
	s_ashr_i32 s15, s14, 31
	s_sub_i32 s30, s12, s17
	s_lshl_b64 s[2:3], s[14:15], 2
	v_bfe_u32 v19, v0, 2, 4
	s_waitcnt lgkmcnt(0)
	s_add_u32 s0, s0, s2
	s_addc_u32 s1, s1, s3
	s_abs_i32 s15, s18
	v_cvt_f32_u32_e32 v4, s15
	v_lshlrev_b32_e32 v2, 4, v19
	v_mov_b32_e32 v3, 0
	v_lshlrev_b32_e32 v10, 2, v19
	v_rcp_iflag_f32_e32 v8, v4
	v_lshl_add_u64 v[4:5], s[0:1], 0, v[2:3]
	v_lshlrev_b32_e32 v2, 2, v93
	v_lshl_add_u64 v[6:7], v[4:5], 0, v[2:3]
	v_mul_f32_e32 v2, 0x4f7ffffe, v8
	v_cvt_u32_f32_e32 v2, v2
	s_sub_i32 s0, 0, s15
	v_mbcnt_hi_u32_b32 v27, -1, v18
	v_cmp_eq_u32_e32 vcc, 0, v93
	v_mul_lo_u32 v4, s0, v2
	s_lshl_b64 s[0:1], s[26:27], 2
	v_mul_hi_u32 v4, v2, v4
	s_add_u32 s0, s24, s0
	v_add_u32_e32 v22, v2, v4
	v_and_b32_e32 v2, 60, v17
	s_addc_u32 s1, s25, s1
	v_lshl_add_u64 v[8:9], s[0:1], 0, v[2:3]
	v_subrev_u32_e32 v2, s33, v19
	v_add_u32_e32 v24, 1, v2
	v_lshl_or_b32 v2, v94, 6, v10
	v_add_u32_e32 v25, 0x410, v2
	v_and_b32_e32 v2, 64, v27
	s_mov_b32 s43, s13
	v_lshlrev_b32_e32 v20, 8, v93
	v_cmp_neq_f32_e64 s[2:3], s42, 0
	v_lshlrev_b32_e32 v23, 4, v94
	v_mov_b32_e32 v26, 0xff7fffff
	s_mov_b64 s[36:37], 0
	s_movk_i32 s44, 0x1000
	s_movk_i32 s45, 0x2000
	;; [unrolled: 1-line block ×3, first 2 shown]
	v_add_u32_e32 v28, 64, v2
	v_xor_b32_e32 v29, 2, v27
	v_xor_b32_e32 v30, 1, v27
	v_mov_b32_e32 v21, 0xff7fffff
	v_mov_b32_e32 v31, v94
	s_branch .LBB26_14
.LBB26_12:                              ;   in Loop: Header=BB26_14 Depth=1
	s_or_b64 exec, exec, s[38:39]
.LBB26_13:                              ;   in Loop: Header=BB26_14 Depth=1
	s_or_b64 exec, exec, s[8:9]
	v_add_u32_e32 v31, 2, v31
	v_cmp_le_i32_e64 s[0:1], s16, v31
	v_lshl_add_u64 v[8:9], v[8:9], 0, 8
	v_add_u32_e32 v23, 32, v23
	s_or_b64 s[36:37], s[0:1], s[36:37]
	v_add_u32_e32 v25, 0x80, v25
	s_andn2_b64 exec, exec, s[36:37]
	s_cbranch_execz .LBB26_21
.LBB26_14:                              ; =>This Inner Loop Header: Depth=1
	v_mul_hi_u32 v2, v23, s40
	s_waitcnt lgkmcnt(0)
	v_mul_lo_u32 v3, v2, s21
	v_sub_u32_e32 v3, v23, v3
	v_add_u32_e32 v4, 1, v2
	v_cmp_le_u32_e64 s[0:1], s21, v3
	s_nop 1
	v_cndmask_b32_e64 v2, v2, v4, s[0:1]
	v_subrev_u32_e32 v4, s21, v3
	v_cndmask_b32_e64 v3, v3, v4, s[0:1]
	v_add_u32_e32 v4, 1, v2
	v_cmp_le_u32_e64 s[0:1], s21, v3
	s_nop 1
	v_cndmask_b32_e64 v2, v2, v4, s[0:1]
	v_xor_b32_e32 v2, s19, v2
	v_subrev_u32_e32 v2, s19, v2
	v_add_u32_e32 v3, s41, v2
	v_sub_u32_e32 v5, 0, v3
	v_ashrrev_i32_e32 v4, 31, v3
	v_max_i32_e32 v3, v3, v5
	v_mul_hi_u32 v5, v3, v22
	v_mul_lo_u32 v5, v5, s15
	v_sub_u32_e32 v3, v3, v5
	v_subrev_u32_e32 v5, s15, v3
	v_cmp_le_u32_e64 s[0:1], s15, v3
	v_cmp_ge_i32_e64 s[8:9], s30, v2
	s_nop 0
	v_cndmask_b32_e64 v3, v3, v5, s[0:1]
	v_subrev_u32_e32 v5, s15, v3
	v_cmp_le_u32_e64 s[0:1], s15, v3
	s_nop 1
	v_cndmask_b32_e64 v3, v3, v5, s[0:1]
	v_xor_b32_e32 v3, v3, v4
	v_sub_u32_e32 v3, v3, v4
	v_cmp_ne_u32_e64 s[0:1], 0, v3
	s_and_b64 s[0:1], s[0:1], s[8:9]
	s_and_saveexec_b64 s[8:9], s[0:1]
	s_xor_b64 s[0:1], exec, s[8:9]
	s_cbranch_execz .LBB26_18
; %bb.15:                               ;   in Loop: Header=BB26_14 Depth=1
	s_and_saveexec_b64 s[8:9], vcc
; %bb.16:                               ;   in Loop: Header=BB26_14 Depth=1
	ds_write_b32 v25, v26
; %bb.17:                               ;   in Loop: Header=BB26_14 Depth=1
	s_or_b64 exec, exec, s[8:9]
.LBB26_18:                              ;   in Loop: Header=BB26_14 Depth=1
	s_andn2_saveexec_b64 s[8:9], s[0:1]
	s_cbranch_execz .LBB26_13
; %bb.19:                               ;   in Loop: Header=BB26_14 Depth=1
	global_load_dword v2, v[8:9], off
	s_waitcnt vmcnt(0)
	v_mad_i64_i32 v[2:3], s[0:1], v2, s43, 0
	v_lshl_add_u64 v[12:13], v[2:3], 2, v[6:7]
	global_load_dword v40, v[12:13], off offset:256
	global_load_dword v41, v[12:13], off
	global_load_dword v42, v[12:13], off offset:512
	global_load_dword v43, v[12:13], off offset:768
	global_load_dword v44, v[12:13], off offset:1024
	global_load_dword v45, v[12:13], off offset:1280
	global_load_dword v46, v[12:13], off offset:1536
	global_load_dword v47, v[12:13], off offset:1792
	global_load_dword v48, v[12:13], off offset:2048
	global_load_dword v49, v[12:13], off offset:2304
	global_load_dword v50, v[12:13], off offset:2560
	global_load_dword v51, v[12:13], off offset:2816
	global_load_dword v52, v[12:13], off offset:3072
	global_load_dword v53, v[12:13], off offset:3328
	global_load_dword v54, v[12:13], off offset:3584
	global_load_dword v55, v[12:13], off offset:3840
	v_add_co_u32_e64 v14, s[0:1], s44, v12
	s_nop 1
	v_addc_co_u32_e64 v15, s[0:1], 0, v13, s[0:1]
	v_add_co_u32_e64 v10, s[0:1], s45, v12
	s_nop 1
	v_addc_co_u32_e64 v11, s[0:1], 0, v13, s[0:1]
	global_load_dword v56, v[10:11], off offset:-4096
	global_load_dword v57, v[14:15], off offset:256
	global_load_dword v58, v[14:15], off offset:512
	;; [unrolled: 1-line block ×3, first 2 shown]
	ds_read_b128 v[32:35], v20
	ds_read_b128 v[36:39], v20 offset:16
	ds_read_b128 v[2:5], v20 offset:32
	global_load_dword v60, v[14:15], off offset:1024
	global_load_dword v61, v[14:15], off offset:1280
	;; [unrolled: 1-line block ×11, first 2 shown]
	s_nop 0
	global_load_dword v15, v[14:15], off offset:3840
	v_add_co_u32_e64 v12, s[0:1], s46, v12
	s_waitcnt vmcnt(31) lgkmcnt(2)
	v_mul_f32_e32 v14, v33, v40
	s_waitcnt vmcnt(30)
	v_fmac_f32_e32 v14, v32, v41
	s_waitcnt vmcnt(29)
	v_fmac_f32_e32 v14, v34, v42
	s_waitcnt vmcnt(28)
	v_fmac_f32_e32 v14, v35, v43
	global_load_dword v40, v[10:11], off
	global_load_dword v41, v[10:11], off offset:256
	global_load_dword v42, v[10:11], off offset:512
	global_load_dword v43, v[10:11], off offset:768
	global_load_dword v71, v[10:11], off offset:1024
	global_load_dword v72, v[10:11], off offset:1280
	global_load_dword v73, v[10:11], off offset:1536
	global_load_dword v74, v[10:11], off offset:1792
	s_waitcnt vmcnt(35) lgkmcnt(1)
	v_fmac_f32_e32 v14, v36, v44
	s_waitcnt vmcnt(34)
	v_fmac_f32_e32 v14, v37, v45
	s_waitcnt vmcnt(33)
	;; [unrolled: 2-line block ×3, first 2 shown]
	v_fmac_f32_e32 v14, v39, v47
	s_waitcnt vmcnt(31) lgkmcnt(0)
	v_fmac_f32_e32 v14, v2, v48
	global_load_dword v75, v[10:11], off offset:2048
	global_load_dword v76, v[10:11], off offset:2304
	;; [unrolled: 1-line block ×8, first 2 shown]
	ds_read_b128 v[32:35], v20 offset:48
	s_waitcnt vmcnt(38)
	v_fmac_f32_e32 v14, v3, v49
	v_addc_co_u32_e64 v13, s[0:1], 0, v13, s[0:1]
	s_waitcnt vmcnt(37)
	v_fmac_f32_e32 v14, v4, v50
	s_waitcnt vmcnt(36)
	v_fmac_f32_e32 v14, v5, v51
	ds_read_b128 v[2:5], v20 offset:64
	ds_read_b128 v[36:39], v20 offset:80
	global_load_dword v48, v[12:13], off
	global_load_dword v49, v[12:13], off offset:3840
	s_waitcnt vmcnt(37) lgkmcnt(2)
	v_fmac_f32_e32 v14, v32, v52
	s_waitcnt vmcnt(36)
	v_fmac_f32_e32 v14, v33, v53
	s_waitcnt vmcnt(35)
	v_fmac_f32_e32 v14, v34, v54
	s_waitcnt vmcnt(34)
	v_fmac_f32_e32 v14, v35, v55
	s_waitcnt vmcnt(33) lgkmcnt(1)
	v_fmac_f32_e32 v14, v2, v56
	s_waitcnt vmcnt(32)
	v_fmac_f32_e32 v14, v3, v57
	global_load_dword v50, v[12:13], off offset:256
	global_load_dword v51, v[12:13], off offset:512
	;; [unrolled: 1-line block ×8, first 2 shown]
	s_waitcnt vmcnt(39)
	v_fmac_f32_e32 v14, v4, v58
	s_waitcnt vmcnt(38)
	v_fmac_f32_e32 v14, v5, v59
	global_load_dword v58, v[12:13], off offset:2304
	global_load_dword v59, v[12:13], off offset:2560
	;; [unrolled: 1-line block ×6, first 2 shown]
	ds_read_b128 v[2:5], v20 offset:96
	ds_read_b128 v[10:13], v20 offset:112
	s_waitcnt vmcnt(43) lgkmcnt(2)
	v_fmac_f32_e32 v14, v36, v60
	s_waitcnt vmcnt(42)
	v_fmac_f32_e32 v14, v37, v61
	s_waitcnt vmcnt(41)
	;; [unrolled: 2-line block ×3, first 2 shown]
	v_fmac_f32_e32 v14, v39, v63
	s_waitcnt vmcnt(39) lgkmcnt(1)
	v_fmac_f32_e32 v14, v2, v64
	s_waitcnt vmcnt(38)
	v_fmac_f32_e32 v14, v3, v65
	s_waitcnt vmcnt(37)
	;; [unrolled: 2-line block ×3, first 2 shown]
	v_fmac_f32_e32 v14, v5, v67
	ds_read_b128 v[2:5], v20 offset:128
	ds_read_b128 v[32:35], v20 offset:144
	s_waitcnt vmcnt(35) lgkmcnt(2)
	v_fmac_f32_e32 v14, v10, v68
	s_waitcnt vmcnt(34)
	v_fmac_f32_e32 v14, v11, v69
	s_waitcnt vmcnt(33)
	;; [unrolled: 2-line block ×3, first 2 shown]
	v_fmac_f32_e32 v14, v13, v15
	ds_read_b128 v[10:13], v20 offset:160
	ds_read_b128 v[36:39], v20 offset:176
	v_cmp_lt_i32_e64 s[0:1], v29, v28
	s_waitcnt vmcnt(31) lgkmcnt(3)
	v_fmac_f32_e32 v14, v2, v40
	s_waitcnt vmcnt(30)
	v_fmac_f32_e32 v14, v3, v41
	s_waitcnt vmcnt(29)
	v_fmac_f32_e32 v14, v4, v42
	s_waitcnt vmcnt(28)
	v_fmac_f32_e32 v14, v5, v43
	s_waitcnt vmcnt(27) lgkmcnt(2)
	v_fmac_f32_e32 v14, v32, v71
	s_waitcnt vmcnt(26)
	v_fmac_f32_e32 v14, v33, v72
	s_waitcnt vmcnt(25)
	v_fmac_f32_e32 v14, v34, v73
	s_waitcnt vmcnt(24)
	v_fmac_f32_e32 v14, v35, v74
	;; [unrolled: 8-line block ×3, first 2 shown]
	ds_read_b128 v[2:5], v20 offset:192
	ds_read_b128 v[40:43], v20 offset:208
	s_waitcnt vmcnt(19) lgkmcnt(2)
	v_fmac_f32_e32 v14, v36, v79
	s_waitcnt vmcnt(18)
	v_fmac_f32_e32 v14, v37, v80
	s_waitcnt vmcnt(17)
	;; [unrolled: 2-line block ×3, first 2 shown]
	v_fmac_f32_e32 v14, v39, v82
	ds_read_b128 v[44:47], v20 offset:224
	v_cndmask_b32_e64 v15, v27, v29, s[0:1]
	v_lshlrev_b32_e32 v15, 2, v15
	v_cmp_lt_i32_e64 s[0:1], v30, v28
	s_waitcnt vmcnt(15) lgkmcnt(2)
	v_fmac_f32_e32 v14, v2, v48
	s_waitcnt vmcnt(13)
	v_fmac_f32_e32 v14, v3, v50
	s_waitcnt vmcnt(12)
	;; [unrolled: 2-line block ×3, first 2 shown]
	v_fmac_f32_e32 v14, v52, v5
	s_waitcnt vmcnt(10) lgkmcnt(1)
	v_fmac_f32_e32 v14, v53, v40
	s_waitcnt vmcnt(9)
	v_fmac_f32_e32 v14, v54, v41
	s_waitcnt vmcnt(8)
	;; [unrolled: 2-line block ×3, first 2 shown]
	v_fmac_f32_e32 v14, v56, v43
	ds_read_b128 v[2:5], v20 offset:240
	s_waitcnt vmcnt(6) lgkmcnt(1)
	v_fmac_f32_e32 v14, v57, v44
	s_waitcnt vmcnt(5)
	v_fmac_f32_e32 v14, v58, v45
	s_waitcnt vmcnt(4)
	;; [unrolled: 2-line block ×3, first 2 shown]
	v_fmac_f32_e32 v14, v83, v47
	s_waitcnt vmcnt(2) lgkmcnt(0)
	v_fmac_f32_e32 v14, v84, v2
	s_waitcnt vmcnt(1)
	v_fmac_f32_e32 v14, v85, v3
	s_waitcnt vmcnt(0)
	v_fmac_f32_e32 v14, v86, v4
	v_fmac_f32_e32 v14, v49, v5
	ds_bpermute_b32 v2, v15, v14
	v_cndmask_b32_e64 v3, v27, v30, s[0:1]
	v_lshlrev_b32_e32 v3, 2, v3
	s_waitcnt lgkmcnt(0)
	v_add_f32_e32 v2, v14, v2
	ds_bpermute_b32 v3, v3, v2
	s_and_saveexec_b64 s[38:39], vcc
	s_cbranch_execz .LBB26_12
; %bb.20:                               ;   in Loop: Header=BB26_14 Depth=1
	v_add_u32_e32 v4, v24, v23
	v_cvt_f32_i32_e32 v4, v4
	s_waitcnt lgkmcnt(0)
	v_add_f32_e32 v2, v2, v3
	v_add_u32_e32 v5, v19, v23
	v_cmp_gt_i32_e64 s[0:1], s33, v5
	v_mul_f32_e32 v3, s42, v4
	v_cndmask_b32_e64 v3, 0, v3, s[2:3]
	v_fmac_f32_e32 v3, s31, v2
	v_cndmask_b32_e64 v2, 0, v3, s[0:1]
	ds_write_b32 v25, v2
	v_max_f32_e32 v2, v21, v21
	v_max_f32_e32 v2, v2, v3
	v_cndmask_b32_e64 v21, v21, v2, s[0:1]
	s_branch .LBB26_12
.LBB26_21:
	s_or_b64 exec, exec, s[36:37]
.LBB26_22:
	s_or_b64 exec, exec, s[34:35]
	v_mbcnt_hi_u32_b32 v2, -1, v18
	v_and_b32_e32 v10, 64, v2
	s_waitcnt lgkmcnt(0)
	v_add_u32_e32 v3, 64, v10
	v_xor_b32_e32 v4, 32, v2
	v_cmp_lt_i32_e32 vcc, v4, v3
	v_xor_b32_e32 v7, 16, v2
	v_max_f32_e32 v6, v21, v21
	v_cndmask_b32_e32 v4, v2, v4, vcc
	v_lshlrev_b32_e32 v4, 2, v4
	ds_bpermute_b32 v5, v4, v21
	v_cmp_lt_i32_e32 vcc, v7, v3
	v_xor_b32_e32 v8, 8, v2
	v_xor_b32_e32 v9, 4, v2
	v_and_b32_e32 v96, 63, v0
	s_waitcnt lgkmcnt(0)
	v_max_f32_e32 v5, v5, v5
	v_max_f32_e32 v6, v6, v5
	v_cndmask_b32_e32 v5, v2, v7, vcc
	v_lshlrev_b32_e32 v5, 2, v5
	ds_bpermute_b32 v7, v5, v6
	v_cmp_lt_i32_e32 vcc, v8, v3
	s_waitcnt lgkmcnt(0)
	v_max_f32_e32 v7, v7, v7
	v_max_f32_e32 v6, v6, v7
	v_cndmask_b32_e32 v7, v2, v8, vcc
	v_lshlrev_b32_e32 v8, 2, v7
	ds_bpermute_b32 v7, v8, v6
	v_cmp_lt_i32_e32 vcc, v9, v3
	s_waitcnt lgkmcnt(0)
	v_max_f32_e32 v7, v7, v7
	v_max_f32_e32 v7, v6, v7
	v_cndmask_b32_e32 v6, v2, v9, vcc
	v_lshlrev_b32_e32 v9, 2, v6
	ds_bpermute_b32 v11, v9, v7
	v_cmp_eq_u32_e32 vcc, 0, v96
	v_lshlrev_b32_e32 v6, 2, v94
	s_and_saveexec_b64 s[0:1], vcc
	s_cbranch_execz .LBB26_24
; %bb.23:
	s_waitcnt lgkmcnt(0)
	v_max_f32_e32 v11, v11, v11
	v_max_f32_e32 v7, v7, v7
	;; [unrolled: 1-line block ×3, first 2 shown]
	ds_write_b32 v6, v7 offset:1024
.LBB26_24:
	s_or_b64 exec, exec, s[0:1]
	v_cmp_gt_u32_e64 s[0:1], 2, v96
	s_waitcnt lgkmcnt(0)
	v_mov_b32_e32 v11, 0xff7fffff
	v_lshlrev_b32_e32 v7, 2, v96
	s_barrier
	s_and_saveexec_b64 s[2:3], s[0:1]
; %bb.25:
	ds_read_b32 v11, v7 offset:1024
; %bb.26:
	s_or_b64 exec, exec, s[2:3]
	v_xor_b32_e32 v12, 1, v2
	v_cmp_lt_i32_e64 s[2:3], v12, v3
	v_lshlrev_b32_e32 v10, 2, v10
	s_nop 0
	v_cndmask_b32_e64 v12, v2, v12, s[2:3]
	v_lshlrev_b32_e32 v97, 2, v12
	s_waitcnt lgkmcnt(0)
	ds_bpermute_b32 v12, v97, v11
	v_max_f32_e32 v11, v11, v11
	s_lshl_b32 s2, s16, 4
	s_min_i32 s15, s2, s33
	v_cmp_gt_i32_e64 s[2:3], s15, v0
	s_waitcnt lgkmcnt(0)
	v_max_f32_e32 v12, v12, v12
	v_max_f32_e32 v11, v11, v12
	ds_bpermute_b32 v11, v10, v11
	v_mov_b32_e32 v10, 0
	s_and_saveexec_b64 s[30:31], s[2:3]
	s_cbranch_execz .LBB26_30
; %bb.27:
	v_mov_b32_e32 v10, 0x410
	v_lshl_add_u32 v12, v0, 2, v10
	v_mov_b32_e32 v10, 0
	s_mov_b64 s[34:35], 0
	v_mov_b32_e32 v13, v0
.LBB26_28:                              ; =>This Inner Loop Header: Depth=1
	ds_read_b32 v14, v12
	v_add_u32_e32 v13, 0x80, v13
	v_cmp_le_i32_e64 s[8:9], s15, v13
	s_or_b64 s[34:35], s[8:9], s[34:35]
	s_waitcnt lgkmcnt(0)
	v_sub_f32_e32 v14, v14, v11
	v_mul_f32_e32 v14, 0x3fb8aa3b, v14
	v_exp_f32_e32 v14, v14
	ds_write_b32 v12, v14
	v_add_f32_e32 v10, v10, v14
	v_add_u32_e32 v12, 0x200, v12
	s_andn2_b64 exec, exec, s[34:35]
	s_cbranch_execnz .LBB26_28
; %bb.29:
	s_or_b64 exec, exec, s[34:35]
.LBB26_30:
	s_or_b64 exec, exec, s[30:31]
	ds_bpermute_b32 v4, v4, v10
	s_waitcnt lgkmcnt(0)
	v_add_f32_e32 v4, v10, v4
	ds_bpermute_b32 v5, v5, v4
	s_waitcnt lgkmcnt(0)
	v_add_f32_e32 v4, v4, v5
	ds_bpermute_b32 v5, v8, v4
	v_xor_b32_e32 v8, 2, v2
	v_cmp_lt_i32_e64 s[8:9], v8, v3
	s_waitcnt lgkmcnt(0)
	v_add_f32_e32 v4, v4, v5
	ds_bpermute_b32 v5, v9, v4
	v_cndmask_b32_e64 v3, v2, v8, s[8:9]
	v_lshlrev_b32_e32 v98, 2, v3
	s_waitcnt lgkmcnt(0)
	v_add_f32_e32 v4, v4, v5
	ds_bpermute_b32 v3, v98, v4
	s_waitcnt lgkmcnt(0)
	v_add_f32_e32 v3, v4, v3
	ds_bpermute_b32 v4, v97, v3
	s_waitcnt lgkmcnt(0)
	v_add_f32_e32 v3, v3, v4
	s_and_saveexec_b64 s[8:9], vcc
; %bb.31:
	ds_write_b32 v6, v3 offset:1032
; %bb.32:
	s_or_b64 exec, exec, s[8:9]
	s_waitcnt lgkmcnt(0)
	s_barrier
	s_and_saveexec_b64 s[8:9], s[0:1]
; %bb.33:
	ds_read_b32 v3, v7 offset:1032
; %bb.34:
	s_or_b64 exec, exec, s[8:9]
	s_waitcnt lgkmcnt(0)
	ds_bpermute_b32 v4, v97, v3
	v_lshlrev_b32_e32 v2, 2, v2
	v_and_b32_e32 v2, 0x100, v2
	s_waitcnt lgkmcnt(0)
	v_add_f32_e32 v3, v3, v4
	ds_bpermute_b32 v2, v2, v3
	s_and_saveexec_b64 s[0:1], s[2:3]
	s_cbranch_execz .LBB26_47
; %bb.35:
	s_waitcnt lgkmcnt(0)
	v_add_f32_e32 v2, 0x358637bd, v2
	v_div_scale_f32 v3, s[2:3], v2, v2, 1.0
	v_rcp_f32_e32 v4, v3
	v_div_scale_f32 v5, vcc, 1.0, v2, 1.0
	s_movk_i32 s2, 0x7f
	v_fma_f32 v6, -v3, v4, 1.0
	v_fmac_f32_e32 v4, v6, v4
	v_mul_f32_e32 v6, v5, v4
	v_fma_f32 v7, -v3, v6, v5
	v_fmac_f32_e32 v6, v7, v4
	v_fma_f32 v3, -v3, v6, v5
	v_div_fmas_f32 v3, v3, v4, v6
	v_xad_u32 v4, v0, -1, s15
	v_div_fixup_f32 v2, v3, v2, 1.0
	v_cmp_lt_u32_e32 vcc, s2, v4
	s_mov_b64 s[8:9], -1
	v_mov_b32_e32 v3, v0
	s_and_saveexec_b64 s[2:3], vcc
	s_cbranch_execz .LBB26_44
; %bb.36:
	v_lshrrev_b32_e32 v4, 7, v4
	v_add_u32_e32 v6, -1, v4
	v_lshrrev_b32_e32 v5, 1, v6
	v_mov_b32_e32 v3, v2
	v_add_u32_e32 v5, 1, v5
	v_cmp_lt_u32_e32 vcc, 13, v6
	v_mov_b32_e32 v8, 0
	s_and_saveexec_b64 s[8:9], vcc
	s_cbranch_execz .LBB26_40
; %bb.37:
	v_mov_b32_e32 v7, 0x410
	v_and_b32_e32 v6, -8, v5
	v_lshl_add_u32 v7, v0, 2, v7
	s_mov_b32 s34, 0
	s_mov_b64 s[30:31], 0
.LBB26_38:                              ; =>This Inner Loop Header: Depth=1
	ds_read2st64_b32 v[8:9], v7 offset1:2
	ds_read2st64_b32 v[10:11], v7 offset0:4 offset1:6
	ds_read2st64_b32 v[12:13], v7 offset0:8 offset1:10
	;; [unrolled: 1-line block ×3, first 2 shown]
	v_add_u32_e32 v6, -8, v6
	s_waitcnt lgkmcnt(3)
	v_pk_mul_f32 v[8:9], v[2:3], v[8:9]
	s_waitcnt lgkmcnt(2)
	v_pk_mul_f32 v[10:11], v[2:3], v[10:11]
	ds_write2st64_b32 v7, v8, v9 offset1:2
	ds_write2st64_b32 v7, v10, v11 offset0:4 offset1:6
	ds_read2st64_b32 v[10:11], v7 offset0:16 offset1:18
	s_waitcnt lgkmcnt(4)
	v_pk_mul_f32 v[8:9], v[2:3], v[12:13]
	ds_write2st64_b32 v7, v8, v9 offset0:8 offset1:10
	s_waitcnt lgkmcnt(4)
	v_pk_mul_f32 v[8:9], v[2:3], v[14:15]
	ds_write2st64_b32 v7, v8, v9 offset0:12 offset1:14
	ds_read2st64_b32 v[8:9], v7 offset0:20 offset1:22
	s_waitcnt lgkmcnt(3)
	v_pk_mul_f32 v[10:11], v[2:3], v[10:11]
	ds_read2st64_b32 v[12:13], v7 offset0:24 offset1:26
	ds_write2st64_b32 v7, v10, v11 offset0:16 offset1:18
	ds_read2st64_b32 v[10:11], v7 offset0:28 offset1:30
	s_waitcnt lgkmcnt(3)
	v_pk_mul_f32 v[8:9], v[2:3], v[8:9]
	ds_write2st64_b32 v7, v8, v9 offset0:20 offset1:22
	s_waitcnt lgkmcnt(3)
	v_pk_mul_f32 v[8:9], v[2:3], v[12:13]
	ds_write2st64_b32 v7, v8, v9 offset0:24 offset1:26
	s_waitcnt lgkmcnt(2)
	v_pk_mul_f32 v[8:9], v[2:3], v[10:11]
	s_add_i32 s34, s34, 16
	v_cmp_eq_u32_e32 vcc, 0, v6
	ds_write2st64_b32 v7, v8, v9 offset0:28 offset1:30
	v_add_u32_e32 v7, 0x2000, v7
	s_or_b64 s[30:31], vcc, s[30:31]
	v_mov_b32_e32 v8, s34
	s_andn2_b64 exec, exec, s[30:31]
	s_cbranch_execnz .LBB26_38
; %bb.39:
	s_or_b64 exec, exec, s[30:31]
.LBB26_40:
	s_or_b64 exec, exec, s[8:9]
	v_and_b32_e32 v5, 7, v5
	v_cmp_ne_u32_e32 vcc, 0, v5
	s_and_saveexec_b64 s[8:9], vcc
	s_cbranch_execz .LBB26_43
; %bb.41:
	v_lshlrev_b32_e32 v6, 9, v8
	s_movk_i32 s30, 0x410
	v_add3_u32 v6, v6, v16, s30
	s_mov_b64 s[30:31], 0
.LBB26_42:                              ; =>This Inner Loop Header: Depth=1
	ds_read2st64_b32 v[8:9], v6 offset1:2
	v_add_u32_e32 v5, -1, v5
	v_cmp_eq_u32_e32 vcc, 0, v5
	s_or_b64 s[30:31], vcc, s[30:31]
	s_waitcnt lgkmcnt(0)
	v_pk_mul_f32 v[8:9], v[2:3], v[8:9]
	ds_write2st64_b32 v6, v8, v9 offset1:2
	v_add_u32_e32 v6, 0x400, v6
	s_andn2_b64 exec, exec, s[30:31]
	s_cbranch_execnz .LBB26_42
.LBB26_43:
	s_or_b64 exec, exec, s[8:9]
	v_add_u32_e32 v4, 1, v4
	v_and_b32_e32 v5, 0x3fffffe, v4
	v_cmp_ne_u32_e32 vcc, v4, v5
	v_lshl_add_u32 v3, v5, 7, v0
	s_orn2_b64 s[8:9], vcc, exec
.LBB26_44:
	s_or_b64 exec, exec, s[2:3]
	s_and_b64 exec, exec, s[8:9]
	s_cbranch_execz .LBB26_47
; %bb.45:
	v_mov_b32_e32 v4, 0x410
	v_lshl_add_u32 v4, v3, 2, v4
	s_mov_b64 s[2:3], 0
.LBB26_46:                              ; =>This Inner Loop Header: Depth=1
	ds_read_b32 v5, v4
	v_add_u32_e32 v3, 0x80, v3
	v_cmp_le_i32_e32 vcc, s15, v3
	s_or_b64 s[2:3], vcc, s[2:3]
	s_waitcnt lgkmcnt(0)
	v_mul_f32_e32 v5, v2, v5
	ds_write_b32 v4, v5
	v_add_u32_e32 v4, 0x200, v4
	s_andn2_b64 exec, exec, s[2:3]
	s_cbranch_execnz .LBB26_46
.LBB26_47:
	s_or_b64 exec, exec, s[0:1]
	v_mov_b32_e32 v71, 0
	v_mov_b32_e32 v70, 0
	;; [unrolled: 1-line block ×16, first 2 shown]
	s_waitcnt lgkmcnt(0)
	s_barrier
	s_and_saveexec_b64 s[2:3], s[6:7]
	s_cbranch_execz .LBB26_85
; %bb.48:
	s_ashr_i32 s15, s14, 31
	s_sub_i32 s17, s12, s17
	s_lshl_b64 s[0:1], s[14:15], 2
	s_add_u32 s6, s28, s0
	s_addc_u32 s7, s29, s1
	s_abs_i32 s18, s18
	v_cvt_f32_u32_e32 v2, s18
	s_sub_i32 s0, 0, s18
	s_add_i32 s29, s16, -1
	v_mov_b32_e32 v87, 0
	v_rcp_iflag_f32_e32 v3, v2
	v_and_b32_e32 v2, 0xfc, v16
	v_or_b32_e32 v4, 0xf00, v16
	v_and_b32_e32 v86, 60, v17
	v_mul_f32_e32 v3, 0x4f7ffffe, v3
	v_cvt_u32_f32_e32 v3, v3
	v_and_b32_e32 v99, 12, v16
	s_mov_b32 s28, s13
	s_mov_b32 s30, s33
	v_mul_lo_u32 v5, s0, v3
	v_mul_hi_u32 v5, v3, v5
	s_lshl_b64 s[0:1], s[26:27], 2
	v_add_u32_e32 v100, v3, v5
	s_add_u32 s0, s24, s0
	v_lshlrev_b32_e32 v3, 4, v93
	s_addc_u32 s1, s25, s1
	v_lshl_or_b32 v3, v94, 6, v3
	v_lshl_add_u64 v[88:89], s[0:1], 0, v[86:87]
	v_add_u32_e32 v101, 0x410, v3
	s_mov_b64 s[8:9], 0
	v_lshlrev_b32_e32 v90, 2, v2
	v_lshlrev_b32_e32 v86, 2, v4
	v_mov_b32_e32 v84, v87
	v_mov_b32_e32 v85, v87
	v_mov_b32_e32 v82, v87
	v_mov_b32_e32 v83, v87
	v_mov_b32_e32 v80, v87
	v_mov_b32_e32 v81, v87
	v_mov_b32_e32 v78, v87
	v_mov_b32_e32 v79, v87
	v_mov_b32_e32 v76, v87
	v_mov_b32_e32 v77, v87
	v_mov_b32_e32 v74, v87
	v_mov_b32_e32 v75, v87
	v_mov_b32_e32 v72, v87
	v_mov_b32_e32 v73, v87
	v_mov_b32_e32 v70, v87
	v_mov_b32_e32 v71, v87
	s_branch .LBB26_51
.LBB26_49:                              ;   in Loop: Header=BB26_51 Depth=1
	s_or_b64 exec, exec, s[14:15]
	s_waitcnt vmcnt(1) lgkmcnt(0)
	v_mul_f32_e32 v66, v2, v66
	v_mul_f32_e32 v62, v2, v62
	;; [unrolled: 1-line block ×15, first 2 shown]
	v_fmac_f32_e32 v66, v3, v67
	v_fmac_f32_e32 v62, v3, v63
	;; [unrolled: 1-line block ×30, first 2 shown]
	s_waitcnt vmcnt(0)
	v_pk_mul_f32 v[2:3], v[2:3], v[58:59]
	v_fmac_f32_e32 v66, v5, v69
	v_fmac_f32_e32 v62, v5, v65
	;; [unrolled: 1-line block ×15, first 2 shown]
	v_pk_mul_f32 v[4:5], v[4:5], v[60:61]
	v_add_f32_e32 v2, v3, v2
	v_add_f32_e32 v2, v4, v2
	;; [unrolled: 1-line block ×19, first 2 shown]
.LBB26_50:                              ;   in Loop: Header=BB26_51 Depth=1
	s_or_b64 exec, exec, s[12:13]
	v_add_u32_e32 v94, 2, v94
	v_cmp_le_i32_e32 vcc, s16, v94
	v_lshl_add_u64 v[88:89], v[88:89], 0, 8
	v_add_u32_e32 v95, 32, v95
	s_or_b64 s[8:9], vcc, s[8:9]
	v_add_u32_e32 v101, 0x80, v101
	s_andn2_b64 exec, exec, s[8:9]
	s_cbranch_execz .LBB26_84
.LBB26_51:                              ; =>This Inner Loop Header: Depth=1
	v_mul_hi_u32 v2, v95, s40
	v_mul_lo_u32 v3, v2, s21
	v_sub_u32_e32 v3, v95, v3
	v_add_u32_e32 v4, 1, v2
	v_cmp_le_u32_e32 vcc, s21, v3
	s_nop 1
	v_cndmask_b32_e32 v2, v2, v4, vcc
	v_subrev_u32_e32 v4, s21, v3
	v_cndmask_b32_e32 v3, v3, v4, vcc
	v_add_u32_e32 v4, 1, v2
	v_cmp_le_u32_e32 vcc, s21, v3
	s_nop 1
	v_cndmask_b32_e32 v2, v2, v4, vcc
	v_xor_b32_e32 v2, s19, v2
	v_subrev_u32_e32 v2, s19, v2
	v_add_u32_e32 v3, s41, v2
	v_sub_u32_e32 v5, 0, v3
	v_ashrrev_i32_e32 v4, 31, v3
	v_max_i32_e32 v3, v3, v5
	v_mul_hi_u32 v5, v3, v100
	v_mul_lo_u32 v5, v5, s18
	v_sub_u32_e32 v3, v3, v5
	v_subrev_u32_e32 v5, s18, v3
	v_cmp_le_u32_e32 vcc, s18, v3
	v_cmp_lt_i32_e64 s[0:1], s17, v2
	s_nop 0
	v_cndmask_b32_e32 v3, v3, v5, vcc
	v_subrev_u32_e32 v5, s18, v3
	v_cmp_le_u32_e32 vcc, s18, v3
	s_nop 1
	v_cndmask_b32_e32 v3, v3, v5, vcc
	v_xor_b32_e32 v3, v3, v4
	v_sub_u32_e32 v3, v3, v4
	v_cmp_eq_u32_e32 vcc, 0, v3
	s_or_b64 s[0:1], vcc, s[0:1]
	s_and_saveexec_b64 s[12:13], s[0:1]
	s_cbranch_execz .LBB26_50
; %bb.52:                               ;   in Loop: Header=BB26_51 Depth=1
	global_load_dword v2, v[88:89], off
	v_mov_b32_e32 v91, v87
	s_waitcnt vmcnt(0)
	v_mad_i64_i32 v[2:3], s[0:1], v2, s28, 0
	v_lshl_add_u64 v[58:59], v[2:3], 2, s[6:7]
	v_lshl_add_u64 v[60:61], v[58:59], 0, v[90:91]
	global_load_dwordx4 v[6:9], v[60:61], off
	ds_read_b128 v[2:5], v101
	v_add_u32_e32 v91, v99, v95
	v_cmp_eq_u32_e64 s[0:1], s29, v94
	v_add_u32_e32 v104, 1, v91
	v_or_b32_e32 v103, 3, v91
	v_or_b32_e32 v102, 2, v91
	s_and_saveexec_b64 s[14:15], s[0:1]
	s_cbranch_execnz .LBB26_81
; %bb.53:                               ;   in Loop: Header=BB26_51 Depth=1
	s_or_b64 exec, exec, s[14:15]
	global_load_dwordx4 v[10:13], v[60:61], off offset:1024
	s_and_saveexec_b64 s[14:15], s[0:1]
	s_cbranch_execnz .LBB26_82
.LBB26_54:                              ;   in Loop: Header=BB26_51 Depth=1
	s_or_b64 exec, exec, s[14:15]
	global_load_dwordx4 v[14:17], v[60:61], off offset:2048
	s_and_saveexec_b64 s[14:15], s[0:1]
	s_cbranch_execnz .LBB26_83
.LBB26_55:                              ;   in Loop: Header=BB26_51 Depth=1
	s_or_b64 exec, exec, s[14:15]
	global_load_dwordx4 v[18:21], v[60:61], off offset:3072
	s_and_saveexec_b64 s[14:15], s[0:1]
	s_cbranch_execz .LBB26_57
.LBB26_56:                              ;   in Loop: Header=BB26_51 Depth=1
	v_cmp_gt_i32_e32 vcc, s30, v104
	s_waitcnt vmcnt(0)
	s_nop 0
	v_cndmask_b32_e32 v19, 0, v19, vcc
	v_cmp_gt_i32_e32 vcc, s33, v91
	s_nop 1
	v_cndmask_b32_e32 v18, 0, v18, vcc
	v_cmp_gt_i32_e32 vcc, s30, v103
	;; [unrolled: 3-line block ×3, first 2 shown]
	s_nop 1
	v_cndmask_b32_e32 v20, 0, v20, vcc
.LBB26_57:                              ;   in Loop: Header=BB26_51 Depth=1
	s_or_b64 exec, exec, s[14:15]
	v_add_co_u32_e32 v22, vcc, 0x1000, v60
	s_nop 1
	v_addc_co_u32_e32 v23, vcc, 0, v61, vcc
	global_load_dwordx4 v[22:25], v[22:23], off
	s_and_saveexec_b64 s[14:15], s[0:1]
	s_cbranch_execz .LBB26_59
; %bb.58:                               ;   in Loop: Header=BB26_51 Depth=1
	v_cmp_gt_i32_e32 vcc, s30, v104
	s_waitcnt vmcnt(0)
	s_nop 0
	v_cndmask_b32_e32 v23, 0, v23, vcc
	v_cmp_gt_i32_e32 vcc, s33, v91
	s_nop 1
	v_cndmask_b32_e32 v22, 0, v22, vcc
	v_cmp_gt_i32_e32 vcc, s30, v103
	s_nop 1
	v_cndmask_b32_e32 v25, 0, v25, vcc
	v_cmp_gt_i32_e32 vcc, s33, v102
	s_nop 1
	v_cndmask_b32_e32 v24, 0, v24, vcc
.LBB26_59:                              ;   in Loop: Header=BB26_51 Depth=1
	s_or_b64 exec, exec, s[14:15]
	v_add_co_u32_e32 v26, vcc, 0x1000, v60
	s_nop 1
	v_addc_co_u32_e32 v27, vcc, 0, v61, vcc
	global_load_dwordx4 v[26:29], v[26:27], off offset:1024
	s_and_saveexec_b64 s[14:15], s[0:1]
	s_cbranch_execz .LBB26_61
; %bb.60:                               ;   in Loop: Header=BB26_51 Depth=1
	v_cmp_gt_i32_e32 vcc, s30, v104
	s_waitcnt vmcnt(0)
	s_nop 0
	v_cndmask_b32_e32 v27, 0, v27, vcc
	v_cmp_gt_i32_e32 vcc, s33, v91
	s_nop 1
	v_cndmask_b32_e32 v26, 0, v26, vcc
	v_cmp_gt_i32_e32 vcc, s30, v103
	s_nop 1
	v_cndmask_b32_e32 v29, 0, v29, vcc
	v_cmp_gt_i32_e32 vcc, s33, v102
	s_nop 1
	v_cndmask_b32_e32 v28, 0, v28, vcc
.LBB26_61:                              ;   in Loop: Header=BB26_51 Depth=1
	s_or_b64 exec, exec, s[14:15]
	v_add_co_u32_e32 v30, vcc, 0x1000, v60
	s_nop 1
	v_addc_co_u32_e32 v31, vcc, 0, v61, vcc
	global_load_dwordx4 v[30:33], v[30:31], off offset:2048
	;; [unrolled: 22-line block ×3, first 2 shown]
	s_and_saveexec_b64 s[14:15], s[0:1]
	s_cbranch_execz .LBB26_65
; %bb.64:                               ;   in Loop: Header=BB26_51 Depth=1
	v_cmp_gt_i32_e32 vcc, s30, v104
	s_waitcnt vmcnt(0)
	s_nop 0
	v_cndmask_b32_e32 v35, 0, v35, vcc
	v_cmp_gt_i32_e32 vcc, s33, v91
	s_nop 1
	v_cndmask_b32_e32 v34, 0, v34, vcc
	v_cmp_gt_i32_e32 vcc, s30, v103
	;; [unrolled: 3-line block ×3, first 2 shown]
	s_nop 1
	v_cndmask_b32_e32 v36, 0, v36, vcc
.LBB26_65:                              ;   in Loop: Header=BB26_51 Depth=1
	s_or_b64 exec, exec, s[14:15]
	v_add_co_u32_e32 v38, vcc, 0x2000, v60
	s_nop 1
	v_addc_co_u32_e32 v39, vcc, 0, v61, vcc
	global_load_dwordx4 v[38:41], v[38:39], off
	s_and_saveexec_b64 s[14:15], s[0:1]
	s_cbranch_execz .LBB26_67
; %bb.66:                               ;   in Loop: Header=BB26_51 Depth=1
	v_cmp_gt_i32_e32 vcc, s30, v104
	s_waitcnt vmcnt(0)
	s_nop 0
	v_cndmask_b32_e32 v39, 0, v39, vcc
	v_cmp_gt_i32_e32 vcc, s33, v91
	s_nop 1
	v_cndmask_b32_e32 v38, 0, v38, vcc
	v_cmp_gt_i32_e32 vcc, s30, v103
	s_nop 1
	v_cndmask_b32_e32 v41, 0, v41, vcc
	v_cmp_gt_i32_e32 vcc, s33, v102
	s_nop 1
	v_cndmask_b32_e32 v40, 0, v40, vcc
.LBB26_67:                              ;   in Loop: Header=BB26_51 Depth=1
	s_or_b64 exec, exec, s[14:15]
	v_add_co_u32_e32 v42, vcc, 0x2000, v60
	s_nop 1
	v_addc_co_u32_e32 v43, vcc, 0, v61, vcc
	global_load_dwordx4 v[42:45], v[42:43], off offset:1024
	s_and_saveexec_b64 s[14:15], s[0:1]
	s_cbranch_execz .LBB26_69
; %bb.68:                               ;   in Loop: Header=BB26_51 Depth=1
	v_cmp_gt_i32_e32 vcc, s30, v104
	s_waitcnt vmcnt(0)
	s_nop 0
	v_cndmask_b32_e32 v43, 0, v43, vcc
	v_cmp_gt_i32_e32 vcc, s33, v91
	s_nop 1
	v_cndmask_b32_e32 v42, 0, v42, vcc
	v_cmp_gt_i32_e32 vcc, s30, v103
	s_nop 1
	v_cndmask_b32_e32 v45, 0, v45, vcc
	v_cmp_gt_i32_e32 vcc, s33, v102
	s_nop 1
	v_cndmask_b32_e32 v44, 0, v44, vcc
.LBB26_69:                              ;   in Loop: Header=BB26_51 Depth=1
	s_or_b64 exec, exec, s[14:15]
	v_add_co_u32_e32 v46, vcc, 0x2000, v60
	s_nop 1
	v_addc_co_u32_e32 v47, vcc, 0, v61, vcc
	global_load_dwordx4 v[46:49], v[46:47], off offset:2048
	;; [unrolled: 22-line block ×3, first 2 shown]
	s_and_saveexec_b64 s[14:15], s[0:1]
	s_cbranch_execz .LBB26_73
; %bb.72:                               ;   in Loop: Header=BB26_51 Depth=1
	v_cmp_gt_i32_e32 vcc, s30, v104
	s_waitcnt vmcnt(0)
	s_nop 0
	v_cndmask_b32_e32 v51, 0, v51, vcc
	v_cmp_gt_i32_e32 vcc, s33, v91
	s_nop 1
	v_cndmask_b32_e32 v50, 0, v50, vcc
	v_cmp_gt_i32_e32 vcc, s30, v103
	;; [unrolled: 3-line block ×3, first 2 shown]
	s_nop 1
	v_cndmask_b32_e32 v52, 0, v52, vcc
.LBB26_73:                              ;   in Loop: Header=BB26_51 Depth=1
	s_or_b64 exec, exec, s[14:15]
	v_add_co_u32_e32 v54, vcc, 0x3000, v60
	s_nop 1
	v_addc_co_u32_e32 v55, vcc, 0, v61, vcc
	global_load_dwordx4 v[54:57], v[54:55], off
	s_and_saveexec_b64 s[14:15], s[0:1]
	s_cbranch_execz .LBB26_75
; %bb.74:                               ;   in Loop: Header=BB26_51 Depth=1
	v_cmp_gt_i32_e32 vcc, s30, v104
	s_waitcnt vmcnt(0)
	s_nop 0
	v_cndmask_b32_e32 v55, 0, v55, vcc
	v_cmp_gt_i32_e32 vcc, s33, v91
	s_nop 1
	v_cndmask_b32_e32 v54, 0, v54, vcc
	v_cmp_gt_i32_e32 vcc, s30, v103
	;; [unrolled: 3-line block ×3, first 2 shown]
	s_nop 1
	v_cndmask_b32_e32 v56, 0, v56, vcc
.LBB26_75:                              ;   in Loop: Header=BB26_51 Depth=1
	s_or_b64 exec, exec, s[14:15]
	v_add_co_u32_e32 v62, vcc, 0x3000, v60
	s_nop 1
	v_addc_co_u32_e32 v63, vcc, 0, v61, vcc
	global_load_dwordx4 v[62:65], v[62:63], off offset:1024
	s_and_saveexec_b64 s[14:15], s[0:1]
	s_cbranch_execz .LBB26_77
; %bb.76:                               ;   in Loop: Header=BB26_51 Depth=1
	v_cmp_gt_i32_e32 vcc, s30, v104
	s_waitcnt vmcnt(0)
	s_nop 0
	v_cndmask_b32_e32 v63, 0, v63, vcc
	v_cmp_gt_i32_e32 vcc, s33, v91
	s_nop 1
	v_cndmask_b32_e32 v62, 0, v62, vcc
	v_cmp_gt_i32_e32 vcc, s30, v103
	;; [unrolled: 3-line block ×3, first 2 shown]
	s_nop 1
	v_cndmask_b32_e32 v64, 0, v64, vcc
.LBB26_77:                              ;   in Loop: Header=BB26_51 Depth=1
	s_or_b64 exec, exec, s[14:15]
	v_add_co_u32_e32 v60, vcc, 0x3000, v60
	s_nop 1
	v_addc_co_u32_e32 v61, vcc, 0, v61, vcc
	global_load_dwordx4 v[66:69], v[60:61], off offset:2048
	s_and_saveexec_b64 s[14:15], s[0:1]
	s_cbranch_execz .LBB26_79
; %bb.78:                               ;   in Loop: Header=BB26_51 Depth=1
	v_cmp_gt_i32_e32 vcc, s30, v104
	s_waitcnt vmcnt(0)
	s_nop 0
	v_cndmask_b32_e32 v67, 0, v67, vcc
	v_cmp_gt_i32_e32 vcc, s33, v91
	s_nop 1
	v_cndmask_b32_e32 v66, 0, v66, vcc
	v_cmp_gt_i32_e32 vcc, s30, v103
	;; [unrolled: 3-line block ×3, first 2 shown]
	s_nop 1
	v_cndmask_b32_e32 v68, 0, v68, vcc
.LBB26_79:                              ;   in Loop: Header=BB26_51 Depth=1
	s_or_b64 exec, exec, s[14:15]
	v_lshl_add_u64 v[58:59], v[58:59], 0, v[86:87]
	global_load_dwordx4 v[58:61], v[58:59], off
	s_and_saveexec_b64 s[14:15], s[0:1]
	s_cbranch_execz .LBB26_49
; %bb.80:                               ;   in Loop: Header=BB26_51 Depth=1
	v_cmp_gt_i32_e32 vcc, s30, v104
	s_waitcnt vmcnt(0)
	s_nop 0
	v_cndmask_b32_e32 v59, 0, v59, vcc
	v_cmp_gt_i32_e32 vcc, s33, v91
	s_nop 1
	v_cndmask_b32_e32 v58, 0, v58, vcc
	v_cmp_gt_i32_e32 vcc, s30, v103
	;; [unrolled: 3-line block ×3, first 2 shown]
	s_nop 1
	v_cndmask_b32_e32 v60, 0, v60, vcc
	s_branch .LBB26_49
.LBB26_81:                              ;   in Loop: Header=BB26_51 Depth=1
	v_cmp_gt_i32_e32 vcc, s30, v104
	s_waitcnt vmcnt(0)
	s_nop 0
	v_cndmask_b32_e32 v7, 0, v7, vcc
	v_cmp_gt_i32_e32 vcc, s33, v91
	s_nop 1
	v_cndmask_b32_e32 v6, 0, v6, vcc
	v_cmp_gt_i32_e32 vcc, s30, v103
	;; [unrolled: 3-line block ×3, first 2 shown]
	s_nop 1
	v_cndmask_b32_e32 v8, 0, v8, vcc
	s_or_b64 exec, exec, s[14:15]
	global_load_dwordx4 v[10:13], v[60:61], off offset:1024
	s_and_saveexec_b64 s[14:15], s[0:1]
	s_cbranch_execz .LBB26_54
.LBB26_82:                              ;   in Loop: Header=BB26_51 Depth=1
	v_cmp_gt_i32_e32 vcc, s30, v104
	s_waitcnt vmcnt(0)
	s_nop 0
	v_cndmask_b32_e32 v11, 0, v11, vcc
	v_cmp_gt_i32_e32 vcc, s33, v91
	s_nop 1
	v_cndmask_b32_e32 v10, 0, v10, vcc
	v_cmp_gt_i32_e32 vcc, s30, v103
	;; [unrolled: 3-line block ×3, first 2 shown]
	s_nop 1
	v_cndmask_b32_e32 v12, 0, v12, vcc
	s_or_b64 exec, exec, s[14:15]
	global_load_dwordx4 v[14:17], v[60:61], off offset:2048
	s_and_saveexec_b64 s[14:15], s[0:1]
	s_cbranch_execz .LBB26_55
.LBB26_83:                              ;   in Loop: Header=BB26_51 Depth=1
	v_cmp_gt_i32_e32 vcc, s30, v104
	s_waitcnt vmcnt(0)
	s_nop 0
	v_cndmask_b32_e32 v15, 0, v15, vcc
	v_cmp_gt_i32_e32 vcc, s33, v91
	s_nop 1
	v_cndmask_b32_e32 v14, 0, v14, vcc
	v_cmp_gt_i32_e32 vcc, s30, v103
	;; [unrolled: 3-line block ×3, first 2 shown]
	s_nop 1
	v_cndmask_b32_e32 v16, 0, v16, vcc
	s_or_b64 exec, exec, s[14:15]
	global_load_dwordx4 v[18:21], v[60:61], off offset:3072
	s_and_saveexec_b64 s[14:15], s[0:1]
	s_cbranch_execnz .LBB26_56
	s_branch .LBB26_57
.LBB26_84:
	s_or_b64 exec, exec, s[8:9]
.LBB26_85:
	s_or_b64 exec, exec, s[2:3]
	ds_bpermute_b32 v2, v98, v84
	ds_bpermute_b32 v3, v98, v85
	;; [unrolled: 1-line block ×6, first 2 shown]
	s_waitcnt lgkmcnt(4)
	v_pk_add_f32 v[2:3], v[84:85], v[2:3]
	ds_bpermute_b32 v6, v97, v2
	ds_bpermute_b32 v7, v97, v3
	s_waitcnt lgkmcnt(4)
	v_pk_add_f32 v[4:5], v[82:83], v[4:5]
	ds_bpermute_b32 v10, v97, v4
	ds_bpermute_b32 v11, v97, v5
	;; [unrolled: 1-line block ×3, first 2 shown]
	s_waitcnt lgkmcnt(3)
	v_pk_add_f32 v[2:3], v[2:3], v[6:7]
	v_pk_add_f32 v[6:7], v[80:81], v[8:9]
	ds_bpermute_b32 v8, v97, v6
	ds_bpermute_b32 v9, v97, v7
	;; [unrolled: 1-line block ×3, first 2 shown]
	s_waitcnt lgkmcnt(4)
	v_pk_add_f32 v[4:5], v[4:5], v[10:11]
	ds_bpermute_b32 v10, v98, v76
	ds_bpermute_b32 v11, v98, v77
	;; [unrolled: 1-line block ×6, first 2 shown]
	s_waitcnt lgkmcnt(7)
	v_pk_add_f32 v[6:7], v[6:7], v[8:9]
	s_waitcnt lgkmcnt(6)
	v_pk_add_f32 v[8:9], v[78:79], v[12:13]
	;; [unrolled: 2-line block ×3, first 2 shown]
	ds_bpermute_b32 v12, v97, v8
	ds_bpermute_b32 v13, v97, v9
	;; [unrolled: 1-line block ×4, first 2 shown]
	s_waitcnt lgkmcnt(6)
	v_pk_add_f32 v[18:19], v[72:73], v[18:19]
	ds_bpermute_b32 v26, v98, v70
	ds_bpermute_b32 v27, v98, v71
	ds_bpermute_b32 v24, v97, v18
	ds_bpermute_b32 v25, v97, v19
	s_waitcnt lgkmcnt(8)
	v_pk_add_f32 v[20:21], v[74:75], v[14:15]
	ds_bpermute_b32 v22, v97, v20
	ds_bpermute_b32 v23, v97, v21
	s_waitcnt lgkmcnt(8)
	v_pk_add_f32 v[14:15], v[8:9], v[12:13]
	s_waitcnt lgkmcnt(6)
	v_pk_add_f32 v[12:13], v[10:11], v[16:17]
	;; [unrolled: 2-line block ×4, first 2 shown]
	ds_bpermute_b32 v18, v97, v16
	ds_bpermute_b32 v19, v97, v17
	s_waitcnt lgkmcnt(2)
	v_pk_add_f32 v[10:11], v[20:21], v[22:23]
	v_and_b32_e32 v20, 0x3c3, v0
	v_cmp_ne_u32_e32 vcc, 64, v20
	s_waitcnt lgkmcnt(0)
	s_barrier
	s_and_saveexec_b64 s[0:1], vcc
	s_xor_b64 s[0:1], exec, s[0:1]
; %bb.86:
                                        ; implicit-def: $vgpr96
; %bb.87:
	s_or_saveexec_b64 s[0:1], s[0:1]
	v_pk_add_f32 v[16:17], v[16:17], v[18:19]
	s_xor_b64 exec, exec, s[0:1]
	s_cbranch_execz .LBB26_89
; %bb.88:
	v_add_u32_e32 v18, 0x410, v96
	ds_write2_b32 v18, v2, v3 offset1:16
	ds_write2_b32 v18, v4, v5 offset0:32 offset1:48
	ds_write2_b32 v18, v6, v7 offset0:64 offset1:80
	ds_write2_b32 v18, v14, v15 offset0:96 offset1:112
	ds_write2_b32 v18, v12, v13 offset0:128 offset1:144
	ds_write2_b32 v18, v10, v11 offset0:160 offset1:176
	ds_write2_b32 v18, v8, v9 offset0:192 offset1:208
	ds_write2_b32 v18, v16, v17 offset0:224 offset1:240
.LBB26_89:
	s_or_b64 exec, exec, s[0:1]
	v_cmp_gt_u32_e32 vcc, 64, v0
	s_waitcnt lgkmcnt(0)
	s_barrier
	s_and_saveexec_b64 s[0:1], vcc
	s_cbranch_execz .LBB26_108
; %bb.90:
	v_mov_b32_e32 v0, 0x410
	v_cmp_eq_u32_e32 vcc, 0, v93
	v_lshl_add_u32 v0, v92, 2, v0
	s_and_saveexec_b64 s[2:3], vcc
	s_cbranch_execnz .LBB26_111
; %bb.91:
	s_or_b64 exec, exec, s[2:3]
	s_and_saveexec_b64 s[2:3], vcc
	s_cbranch_execnz .LBB26_112
.LBB26_92:
	s_or_b64 exec, exec, s[2:3]
	s_and_saveexec_b64 s[2:3], vcc
	s_cbranch_execnz .LBB26_113
.LBB26_93:
	s_or_b64 exec, exec, s[2:3]
	s_and_saveexec_b64 s[2:3], vcc
	s_cbranch_execnz .LBB26_114
.LBB26_94:
	s_or_b64 exec, exec, s[2:3]
	s_and_saveexec_b64 s[2:3], vcc
	s_cbranch_execnz .LBB26_115
.LBB26_95:
	s_or_b64 exec, exec, s[2:3]
	s_and_saveexec_b64 s[2:3], vcc
	s_cbranch_execnz .LBB26_116
.LBB26_96:
	s_or_b64 exec, exec, s[2:3]
	s_and_saveexec_b64 s[2:3], vcc
	s_cbranch_execnz .LBB26_117
.LBB26_97:
	s_or_b64 exec, exec, s[2:3]
	s_and_saveexec_b64 s[2:3], vcc
	s_cbranch_execnz .LBB26_118
.LBB26_98:
	s_or_b64 exec, exec, s[2:3]
	s_and_saveexec_b64 s[2:3], vcc
	s_cbranch_execnz .LBB26_119
.LBB26_99:
	s_or_b64 exec, exec, s[2:3]
	s_and_saveexec_b64 s[2:3], vcc
	s_cbranch_execnz .LBB26_120
.LBB26_100:
	s_or_b64 exec, exec, s[2:3]
	s_and_saveexec_b64 s[2:3], vcc
	s_cbranch_execnz .LBB26_121
.LBB26_101:
	s_or_b64 exec, exec, s[2:3]
	s_and_saveexec_b64 s[2:3], vcc
	s_cbranch_execnz .LBB26_122
.LBB26_102:
	s_or_b64 exec, exec, s[2:3]
	s_and_saveexec_b64 s[2:3], vcc
	s_cbranch_execnz .LBB26_123
.LBB26_103:
	s_or_b64 exec, exec, s[2:3]
	s_and_saveexec_b64 s[2:3], vcc
	s_cbranch_execnz .LBB26_124
.LBB26_104:
	s_or_b64 exec, exec, s[2:3]
	s_and_saveexec_b64 s[2:3], vcc
	s_cbranch_execnz .LBB26_125
.LBB26_105:
	s_or_b64 exec, exec, s[2:3]
	s_and_saveexec_b64 s[2:3], vcc
	s_cbranch_execz .LBB26_107
.LBB26_106:
	ds_read_b32 v0, v0 offset:960
	s_waitcnt lgkmcnt(0)
	v_add_f32_e32 v17, v17, v0
.LBB26_107:
	s_or_b64 exec, exec, s[2:3]
.LBB26_108:
	s_or_b64 exec, exec, s[0:1]
	v_cmp_eq_u32_e32 vcc, 0, v20
	s_barrier
	s_and_saveexec_b64 s[0:1], vcc
	s_cbranch_execz .LBB26_110
; %bb.109:
	s_mul_i32 s0, s10, s11
	s_mul_i32 s0, s0, s5
	s_lshl_b32 s0, s0, 8
	s_ashr_i32 s1, s0, 31
	s_lshl_b64 s[0:1], s[0:1], 2
	s_add_u32 s2, s22, s0
	s_mul_i32 s0, s11, s20
	s_addc_u32 s3, s23, s1
	s_ashr_i32 s1, s0, 31
	s_lshl_b64 s[0:1], s[0:1], 2
	s_add_u32 s2, s2, s0
	s_addc_u32 s3, s3, s1
	s_lshl_b32 s0, s4, 8
	s_ashr_i32 s1, s0, 31
	s_lshl_b64 s[0:1], s[0:1], 2
	s_add_u32 s0, s2, s0
	s_addc_u32 s1, s3, s1
	global_store_dword v1, v2, s[0:1]
	global_store_dword v1, v3, s[0:1] offset:64
	global_store_dword v1, v4, s[0:1] offset:128
	;; [unrolled: 1-line block ×15, first 2 shown]
.LBB26_110:
	s_endpgm
.LBB26_111:
	ds_read_b32 v18, v0
	s_waitcnt lgkmcnt(0)
	v_add_f32_e32 v2, v2, v18
	s_or_b64 exec, exec, s[2:3]
	s_and_saveexec_b64 s[2:3], vcc
	s_cbranch_execz .LBB26_92
.LBB26_112:
	ds_read_b32 v18, v0 offset:64
	s_waitcnt lgkmcnt(0)
	v_add_f32_e32 v3, v3, v18
	s_or_b64 exec, exec, s[2:3]
	s_and_saveexec_b64 s[2:3], vcc
	s_cbranch_execz .LBB26_93
.LBB26_113:
	ds_read_b32 v18, v0 offset:128
	s_waitcnt lgkmcnt(0)
	v_add_f32_e32 v4, v4, v18
	s_or_b64 exec, exec, s[2:3]
	s_and_saveexec_b64 s[2:3], vcc
	s_cbranch_execz .LBB26_94
.LBB26_114:
	ds_read_b32 v18, v0 offset:192
	s_waitcnt lgkmcnt(0)
	v_add_f32_e32 v5, v5, v18
	s_or_b64 exec, exec, s[2:3]
	s_and_saveexec_b64 s[2:3], vcc
	s_cbranch_execz .LBB26_95
.LBB26_115:
	ds_read_b32 v18, v0 offset:256
	s_waitcnt lgkmcnt(0)
	v_add_f32_e32 v6, v6, v18
	s_or_b64 exec, exec, s[2:3]
	s_and_saveexec_b64 s[2:3], vcc
	s_cbranch_execz .LBB26_96
.LBB26_116:
	ds_read_b32 v18, v0 offset:320
	s_waitcnt lgkmcnt(0)
	v_add_f32_e32 v7, v7, v18
	s_or_b64 exec, exec, s[2:3]
	s_and_saveexec_b64 s[2:3], vcc
	s_cbranch_execz .LBB26_97
.LBB26_117:
	ds_read_b32 v18, v0 offset:384
	s_waitcnt lgkmcnt(0)
	v_add_f32_e32 v14, v14, v18
	s_or_b64 exec, exec, s[2:3]
	s_and_saveexec_b64 s[2:3], vcc
	s_cbranch_execz .LBB26_98
.LBB26_118:
	ds_read_b32 v18, v0 offset:448
	s_waitcnt lgkmcnt(0)
	v_add_f32_e32 v15, v15, v18
	s_or_b64 exec, exec, s[2:3]
	s_and_saveexec_b64 s[2:3], vcc
	s_cbranch_execz .LBB26_99
.LBB26_119:
	ds_read_b32 v18, v0 offset:512
	s_waitcnt lgkmcnt(0)
	v_add_f32_e32 v12, v12, v18
	s_or_b64 exec, exec, s[2:3]
	s_and_saveexec_b64 s[2:3], vcc
	s_cbranch_execz .LBB26_100
.LBB26_120:
	ds_read_b32 v18, v0 offset:576
	s_waitcnt lgkmcnt(0)
	v_add_f32_e32 v13, v13, v18
	s_or_b64 exec, exec, s[2:3]
	s_and_saveexec_b64 s[2:3], vcc
	s_cbranch_execz .LBB26_101
.LBB26_121:
	ds_read_b32 v18, v0 offset:640
	s_waitcnt lgkmcnt(0)
	v_add_f32_e32 v10, v10, v18
	s_or_b64 exec, exec, s[2:3]
	s_and_saveexec_b64 s[2:3], vcc
	s_cbranch_execz .LBB26_102
.LBB26_122:
	ds_read_b32 v18, v0 offset:704
	s_waitcnt lgkmcnt(0)
	v_add_f32_e32 v11, v11, v18
	s_or_b64 exec, exec, s[2:3]
	s_and_saveexec_b64 s[2:3], vcc
	s_cbranch_execz .LBB26_103
.LBB26_123:
	ds_read_b32 v18, v0 offset:768
	s_waitcnt lgkmcnt(0)
	v_add_f32_e32 v8, v8, v18
	s_or_b64 exec, exec, s[2:3]
	s_and_saveexec_b64 s[2:3], vcc
	s_cbranch_execz .LBB26_104
.LBB26_124:
	ds_read_b32 v18, v0 offset:832
	s_waitcnt lgkmcnt(0)
	v_add_f32_e32 v9, v9, v18
	s_or_b64 exec, exec, s[2:3]
	s_and_saveexec_b64 s[2:3], vcc
	s_cbranch_execz .LBB26_105
.LBB26_125:
	ds_read_b32 v18, v0 offset:896
	s_waitcnt lgkmcnt(0)
	v_add_f32_e32 v16, v16, v18
	s_or_b64 exec, exec, s[2:3]
	s_and_saveexec_b64 s[2:3], vcc
	s_cbranch_execnz .LBB26_106
	s_branch .LBB26_107
	.section	.rodata,"a",@progbits
	.p2align	6, 0x0
	.amdhsa_kernel _ZN4vllm25paged_attention_v1_kernelIffLi256ELi16ELi128ELNS_18Fp8KVCacheDataTypeE0ELb1EEEvPT_PKS2_PKT0_S8_ifPKiSA_iPKfiiiSC_SC_iiiii
		.amdhsa_group_segment_fixed_size 1040
		.amdhsa_private_segment_fixed_size 0
		.amdhsa_kernarg_size 384
		.amdhsa_user_sgpr_count 2
		.amdhsa_user_sgpr_dispatch_ptr 0
		.amdhsa_user_sgpr_queue_ptr 0
		.amdhsa_user_sgpr_kernarg_segment_ptr 1
		.amdhsa_user_sgpr_dispatch_id 0
		.amdhsa_user_sgpr_kernarg_preload_length 0
		.amdhsa_user_sgpr_kernarg_preload_offset 0
		.amdhsa_user_sgpr_private_segment_size 0
		.amdhsa_uses_dynamic_stack 0
		.amdhsa_enable_private_segment 0
		.amdhsa_system_sgpr_workgroup_id_x 1
		.amdhsa_system_sgpr_workgroup_id_y 1
		.amdhsa_system_sgpr_workgroup_id_z 1
		.amdhsa_system_sgpr_workgroup_info 0
		.amdhsa_system_vgpr_workitem_id 0
		.amdhsa_next_free_vgpr 105
		.amdhsa_next_free_sgpr 47
		.amdhsa_accum_offset 108
		.amdhsa_reserve_vcc 1
		.amdhsa_float_round_mode_32 0
		.amdhsa_float_round_mode_16_64 0
		.amdhsa_float_denorm_mode_32 3
		.amdhsa_float_denorm_mode_16_64 3
		.amdhsa_dx10_clamp 1
		.amdhsa_ieee_mode 1
		.amdhsa_fp16_overflow 0
		.amdhsa_tg_split 0
		.amdhsa_exception_fp_ieee_invalid_op 0
		.amdhsa_exception_fp_denorm_src 0
		.amdhsa_exception_fp_ieee_div_zero 0
		.amdhsa_exception_fp_ieee_overflow 0
		.amdhsa_exception_fp_ieee_underflow 0
		.amdhsa_exception_fp_ieee_inexact 0
		.amdhsa_exception_int_div_zero 0
	.end_amdhsa_kernel
	.section	.text._ZN4vllm25paged_attention_v1_kernelIffLi256ELi16ELi128ELNS_18Fp8KVCacheDataTypeE0ELb1EEEvPT_PKS2_PKT0_S8_ifPKiSA_iPKfiiiSC_SC_iiiii,"axG",@progbits,_ZN4vllm25paged_attention_v1_kernelIffLi256ELi16ELi128ELNS_18Fp8KVCacheDataTypeE0ELb1EEEvPT_PKS2_PKT0_S8_ifPKiSA_iPKfiiiSC_SC_iiiii,comdat
.Lfunc_end26:
	.size	_ZN4vllm25paged_attention_v1_kernelIffLi256ELi16ELi128ELNS_18Fp8KVCacheDataTypeE0ELb1EEEvPT_PKS2_PKT0_S8_ifPKiSA_iPKfiiiSC_SC_iiiii, .Lfunc_end26-_ZN4vllm25paged_attention_v1_kernelIffLi256ELi16ELi128ELNS_18Fp8KVCacheDataTypeE0ELb1EEEvPT_PKS2_PKT0_S8_ifPKiSA_iPKfiiiSC_SC_iiiii
                                        ; -- End function
	.set _ZN4vllm25paged_attention_v1_kernelIffLi256ELi16ELi128ELNS_18Fp8KVCacheDataTypeE0ELb1EEEvPT_PKS2_PKT0_S8_ifPKiSA_iPKfiiiSC_SC_iiiii.num_vgpr, 105
	.set _ZN4vllm25paged_attention_v1_kernelIffLi256ELi16ELi128ELNS_18Fp8KVCacheDataTypeE0ELb1EEEvPT_PKS2_PKT0_S8_ifPKiSA_iPKfiiiSC_SC_iiiii.num_agpr, 0
	.set _ZN4vllm25paged_attention_v1_kernelIffLi256ELi16ELi128ELNS_18Fp8KVCacheDataTypeE0ELb1EEEvPT_PKS2_PKT0_S8_ifPKiSA_iPKfiiiSC_SC_iiiii.numbered_sgpr, 47
	.set _ZN4vllm25paged_attention_v1_kernelIffLi256ELi16ELi128ELNS_18Fp8KVCacheDataTypeE0ELb1EEEvPT_PKS2_PKT0_S8_ifPKiSA_iPKfiiiSC_SC_iiiii.num_named_barrier, 0
	.set _ZN4vllm25paged_attention_v1_kernelIffLi256ELi16ELi128ELNS_18Fp8KVCacheDataTypeE0ELb1EEEvPT_PKS2_PKT0_S8_ifPKiSA_iPKfiiiSC_SC_iiiii.private_seg_size, 0
	.set _ZN4vllm25paged_attention_v1_kernelIffLi256ELi16ELi128ELNS_18Fp8KVCacheDataTypeE0ELb1EEEvPT_PKS2_PKT0_S8_ifPKiSA_iPKfiiiSC_SC_iiiii.uses_vcc, 1
	.set _ZN4vllm25paged_attention_v1_kernelIffLi256ELi16ELi128ELNS_18Fp8KVCacheDataTypeE0ELb1EEEvPT_PKS2_PKT0_S8_ifPKiSA_iPKfiiiSC_SC_iiiii.uses_flat_scratch, 0
	.set _ZN4vllm25paged_attention_v1_kernelIffLi256ELi16ELi128ELNS_18Fp8KVCacheDataTypeE0ELb1EEEvPT_PKS2_PKT0_S8_ifPKiSA_iPKfiiiSC_SC_iiiii.has_dyn_sized_stack, 0
	.set _ZN4vllm25paged_attention_v1_kernelIffLi256ELi16ELi128ELNS_18Fp8KVCacheDataTypeE0ELb1EEEvPT_PKS2_PKT0_S8_ifPKiSA_iPKfiiiSC_SC_iiiii.has_recursion, 0
	.set _ZN4vllm25paged_attention_v1_kernelIffLi256ELi16ELi128ELNS_18Fp8KVCacheDataTypeE0ELb1EEEvPT_PKS2_PKT0_S8_ifPKiSA_iPKfiiiSC_SC_iiiii.has_indirect_call, 0
	.section	.AMDGPU.csdata,"",@progbits
; Kernel info:
; codeLenInByte = 7900
; TotalNumSgprs: 53
; NumVgprs: 105
; NumAgprs: 0
; TotalNumVgprs: 105
; ScratchSize: 0
; MemoryBound: 0
; FloatMode: 240
; IeeeMode: 1
; LDSByteSize: 1040 bytes/workgroup (compile time only)
; SGPRBlocks: 6
; VGPRBlocks: 13
; NumSGPRsForWavesPerEU: 53
; NumVGPRsForWavesPerEU: 105
; AccumOffset: 108
; Occupancy: 4
; WaveLimiterHint : 1
; COMPUTE_PGM_RSRC2:SCRATCH_EN: 0
; COMPUTE_PGM_RSRC2:USER_SGPR: 2
; COMPUTE_PGM_RSRC2:TRAP_HANDLER: 0
; COMPUTE_PGM_RSRC2:TGID_X_EN: 1
; COMPUTE_PGM_RSRC2:TGID_Y_EN: 1
; COMPUTE_PGM_RSRC2:TGID_Z_EN: 1
; COMPUTE_PGM_RSRC2:TIDIG_COMP_CNT: 0
; COMPUTE_PGM_RSRC3_GFX90A:ACCUM_OFFSET: 26
; COMPUTE_PGM_RSRC3_GFX90A:TG_SPLIT: 0
	.section	.text._ZN4vllm25paged_attention_v1_kernelIffLi32ELi16ELi128ELNS_18Fp8KVCacheDataTypeE0ELb0EEEvPT_PKS2_PKT0_S8_ifPKiSA_iPKfiiiSC_SC_iiiii,"axG",@progbits,_ZN4vllm25paged_attention_v1_kernelIffLi32ELi16ELi128ELNS_18Fp8KVCacheDataTypeE0ELb0EEEvPT_PKS2_PKT0_S8_ifPKiSA_iPKfiiiSC_SC_iiiii,comdat
	.protected	_ZN4vllm25paged_attention_v1_kernelIffLi32ELi16ELi128ELNS_18Fp8KVCacheDataTypeE0ELb0EEEvPT_PKS2_PKT0_S8_ifPKiSA_iPKfiiiSC_SC_iiiii ; -- Begin function _ZN4vllm25paged_attention_v1_kernelIffLi32ELi16ELi128ELNS_18Fp8KVCacheDataTypeE0ELb0EEEvPT_PKS2_PKT0_S8_ifPKiSA_iPKfiiiSC_SC_iiiii
	.globl	_ZN4vllm25paged_attention_v1_kernelIffLi32ELi16ELi128ELNS_18Fp8KVCacheDataTypeE0ELb0EEEvPT_PKS2_PKT0_S8_ifPKiSA_iPKfiiiSC_SC_iiiii
	.p2align	8
	.type	_ZN4vllm25paged_attention_v1_kernelIffLi32ELi16ELi128ELNS_18Fp8KVCacheDataTypeE0ELb0EEEvPT_PKS2_PKT0_S8_ifPKiSA_iPKfiiiSC_SC_iiiii,@function
_ZN4vllm25paged_attention_v1_kernelIffLi32ELi16ELi128ELNS_18Fp8KVCacheDataTypeE0ELb0EEEvPT_PKS2_PKT0_S8_ifPKiSA_iPKfiiiSC_SC_iiiii: ; @_ZN4vllm25paged_attention_v1_kernelIffLi32ELi16ELi128ELNS_18Fp8KVCacheDataTypeE0ELb0EEEvPT_PKS2_PKT0_S8_ifPKiSA_iPKfiiiSC_SC_iiiii
; %bb.0:
	s_load_dword s5, s[0:1], 0x80
	s_load_dwordx2 s[6:7], s[0:1], 0x30
	s_load_dwordx2 s[8:9], s[0:1], 0x20
	s_mov_b32 s10, s3
	s_ashr_i32 s11, s3, 31
	s_lshl_b64 s[12:13], s[10:11], 2
	s_waitcnt lgkmcnt(0)
	s_add_u32 s6, s6, s12
	s_addc_u32 s7, s7, s13
	s_abs_i32 s3, s8
	v_cvt_f32_u32_e32 v1, s3
	s_sub_i32 s12, 0, s3
	s_abs_i32 s11, s5
	s_xor_b32 s8, s5, s8
	v_rcp_iflag_f32_e32 v1, v1
	s_ashr_i32 s8, s8, 31
	v_mul_f32_e32 v1, 0x4f7ffffe, v1
	v_cvt_u32_f32_e32 v1, v1
	s_nop 0
	v_readfirstlane_b32 s13, v1
	s_mul_i32 s12, s12, s13
	s_mul_hi_u32 s12, s13, s12
	s_add_i32 s13, s13, s12
	s_mul_hi_u32 s12, s11, s13
	s_mul_i32 s13, s12, s3
	s_sub_i32 s11, s11, s13
	s_add_i32 s13, s12, 1
	s_sub_i32 s14, s11, s3
	s_cmp_ge_u32 s11, s3
	s_cselect_b32 s12, s13, s12
	s_cselect_b32 s11, s14, s11
	s_add_i32 s13, s12, 1
	s_cmp_ge_u32 s11, s3
	s_cselect_b32 s3, s13, s12
	s_xor_b32 s3, s3, s8
	s_sub_i32 s14, s3, s8
	s_abs_i32 s11, s14
	v_cvt_f32_u32_e32 v1, s11
	s_load_dwordx2 s[12:13], s[0:1], 0x40
	s_sub_i32 s3, 0, s11
	s_abs_i32 s18, s2
	v_rcp_iflag_f32_e32 v1, v1
	s_mov_b32 s8, 0
	v_mul_f32_e32 v1, 0x4f7ffffe, v1
	v_cvt_u32_f32_e32 v1, v1
	s_nop 0
	v_readfirstlane_b32 s15, v1
	s_mul_i32 s3, s3, s15
	s_mul_hi_u32 s3, s15, s3
	s_add_i32 s15, s15, s3
	s_waitcnt lgkmcnt(0)
	s_cmp_eq_u64 s[12:13], 0
	s_mul_hi_u32 s19, s18, s15
	s_cbranch_scc1 .LBB27_2
; %bb.1:
	s_ashr_i32 s3, s2, 31
	s_lshl_b64 s[16:17], s[2:3], 2
	s_add_u32 s12, s12, s16
	s_addc_u32 s13, s13, s17
	s_load_dword s8, s[12:13], 0x0
.LBB27_2:
	s_load_dword s33, s[6:7], 0x0
	s_ashr_i32 s7, s14, 31
	s_load_dwordx4 s[12:15], s[0:1], 0x48
	v_lshrrev_b32_e32 v20, 2, v0
	s_ashr_i32 s6, s2, 31
	v_and_b32_e32 v21, 3, v0
	s_lshl_b32 s16, s2, 5
	v_cmp_gt_u32_e32 vcc, 32, v0
	v_lshlrev_b32_e32 v16, 2, v0
	v_lshlrev_b32_e32 v1, 2, v20
	s_and_saveexec_b64 s[2:3], vcc
	s_cbranch_execz .LBB27_4
; %bb.3:
	s_load_dwordx2 s[20:21], s[0:1], 0x8
	s_waitcnt lgkmcnt(0)
	s_mul_i32 s22, s12, s10
	s_ashr_i32 s23, s22, 31
	s_lshl_b64 s[22:23], s[22:23], 2
	v_lshl_add_u32 v3, v21, 5, v1
	s_add_u32 s12, s20, s22
	s_addc_u32 s15, s21, s23
	s_ashr_i32 s17, s16, 31
	s_lshl_b64 s[20:21], s[16:17], 2
	s_add_u32 s20, s12, s20
	s_addc_u32 s21, s15, s21
	global_load_dword v2, v16, s[20:21]
	s_waitcnt vmcnt(0)
	ds_write_b32 v3, v2
.LBB27_4:
	s_or_b64 exec, exec, s[2:3]
	s_waitcnt lgkmcnt(0)
	s_add_i32 s3, s33, 15
	s_ashr_i32 s12, s3, 31
	s_lshr_b32 s12, s12, 28
	s_add_i32 s3, s3, s12
	s_ashr_i32 s12, s3, 4
	s_xor_b32 s3, s6, s7
	s_mul_i32 s6, s19, s11
	s_sub_i32 s6, s18, s6
	s_add_i32 s7, s19, 1
	s_sub_i32 s15, s6, s11
	s_load_dwordx2 s[20:21], s[0:1], 0x28
	s_load_dword s2, s[0:1], 0x38
	s_cmp_ge_u32 s6, s11
	s_cselect_b32 s7, s7, s19
	s_cselect_b32 s6, s15, s6
	s_add_i32 s15, s7, 1
	s_cmp_ge_u32 s6, s11
	s_cselect_b32 s6, s15, s7
	v_lshrrev_b32_e32 v22, 6, v0
	s_xor_b32 s6, s6, s3
	s_waitcnt lgkmcnt(0)
	s_mul_i32 s22, s2, s10
	s_sub_i32 s15, s6, s3
	s_ashr_i32 s23, s22, 31
	v_cmp_gt_i32_e64 s[2:3], s12, v22
	v_cmp_le_i32_e32 vcc, s12, v22
	v_mbcnt_lo_u32_b32 v12, -1, 0
	s_barrier
                                        ; implicit-def: $vgpr14
                                        ; implicit-def: $vgpr17
                                        ; implicit-def: $vgpr15
	s_and_saveexec_b64 s[6:7], vcc
	s_xor_b64 s[6:7], exec, s[6:7]
; %bb.5:
	v_mbcnt_hi_u32_b32 v14, -1, v12
	v_and_b32_e32 v17, 64, v14
	v_add_u32_e32 v15, 64, v17
                                        ; implicit-def: $vgpr12
; %bb.6:
	s_or_saveexec_b64 s[26:27], s[6:7]
	s_load_dwordx2 s[18:19], s[0:1], 0x0
	s_load_dwordx2 s[24:25], s[0:1], 0x18
	s_load_dword s11, s[0:1], 0x88
	v_mov_b32_e32 v19, 0xff7fffff
	s_mul_i32 s14, s15, s14
	v_lshrrev_b32_e32 v18, 4, v0
	s_xor_b64 exec, exec, s[26:27]
	s_cbranch_execz .LBB27_12
; %bb.7:
	s_load_dwordx2 s[0:1], s[0:1], 0x10
	s_ashr_i32 s15, s14, 31
	v_mbcnt_hi_u32_b32 v14, -1, v12
	s_lshl_b64 s[6:7], s[14:15], 2
	v_and_b32_e32 v17, 64, v14
	v_bfe_u32 v13, v0, 2, 4
	s_waitcnt lgkmcnt(0)
	s_add_u32 s0, s0, s6
	v_add_u32_e32 v15, 64, v17
	v_xor_b32_e32 v12, 2, v14
	s_addc_u32 s1, s1, s7
	v_lshlrev_b32_e32 v28, 4, v13
	v_mov_b32_e32 v29, 0
	v_cmp_lt_i32_e32 vcc, v12, v15
	v_lshl_add_u64 v[2:3], s[0:1], 0, v[28:29]
	v_lshlrev_b32_e32 v28, 2, v21
	v_lshlrev_b32_e32 v6, 5, v21
	v_cndmask_b32_e32 v12, v14, v12, vcc
	v_lshl_add_u64 v[10:11], v[2:3], 0, v[28:29]
	ds_read_b128 v[2:5], v6
	ds_read_b128 v[6:9], v6 offset:16
	v_lshlrev_b32_e32 v23, 2, v12
	v_xor_b32_e32 v12, 1, v14
	v_cmp_lt_i32_e32 vcc, v12, v15
	s_sub_i32 s15, 1, s33
	s_lshl_b64 s[6:7], s[22:23], 2
	v_lshlrev_b32_e32 v19, 2, v13
	v_cndmask_b32_e32 v12, v14, v12, vcc
	s_add_u32 s6, s20, s6
	v_lshlrev_b32_e32 v24, 2, v12
	v_lshl_or_b32 v12, v22, 6, v19
	v_and_b32_e32 v28, 60, v18
	s_addc_u32 s7, s21, s7
	s_mov_b32 s17, s13
	v_cmp_eq_u32_e32 vcc, 0, v21
	v_cmp_neq_f32_e64 s[0:1], s8, 0
	v_lshl_or_b32 v25, v22, 4, v13
	v_add_u32_e32 v26, 0x90, v12
	v_lshl_add_u64 v[12:13], s[6:7], 0, v[28:29]
	v_mov_b32_e32 v19, 0xff7fffff
	s_mov_b64 s[28:29], 0
	v_mov_b32_e32 v27, v22
	s_branch .LBB27_9
.LBB27_8:                               ;   in Loop: Header=BB27_9 Depth=1
	s_or_b64 exec, exec, s[30:31]
	v_add_u32_e32 v27, 2, v27
	v_cmp_le_i32_e64 s[6:7], s12, v27
	v_add_u32_e32 v25, 32, v25
	v_add_u32_e32 v26, 0x80, v26
	s_or_b64 s[28:29], s[6:7], s[28:29]
	v_lshl_add_u64 v[12:13], v[12:13], 0, 8
	s_andn2_b64 exec, exec, s[28:29]
	s_cbranch_execz .LBB27_11
.LBB27_9:                               ; =>This Inner Loop Header: Depth=1
	global_load_dword v28, v[12:13], off
	s_waitcnt vmcnt(0) lgkmcnt(0)
	v_mad_i64_i32 v[28:29], s[6:7], v28, s17, 0
	v_lshl_add_u64 v[28:29], v[28:29], 2, v[10:11]
	global_load_dword v30, v[28:29], off offset:256
	global_load_dword v31, v[28:29], off
	global_load_dword v32, v[28:29], off offset:512
	global_load_dword v33, v[28:29], off offset:768
	global_load_dword v34, v[28:29], off offset:1024
	global_load_dword v35, v[28:29], off offset:1280
	global_load_dword v36, v[28:29], off offset:1536
	global_load_dword v37, v[28:29], off offset:1792
	s_waitcnt vmcnt(7) lgkmcnt(1)
	v_mul_f32_e32 v28, v3, v30
	s_waitcnt vmcnt(6)
	v_fmac_f32_e32 v28, v2, v31
	s_waitcnt vmcnt(5)
	v_fmac_f32_e32 v28, v4, v32
	;; [unrolled: 2-line block ×3, first 2 shown]
	s_waitcnt vmcnt(3) lgkmcnt(0)
	v_fmac_f32_e32 v28, v6, v34
	s_waitcnt vmcnt(2)
	v_fmac_f32_e32 v28, v7, v35
	s_waitcnt vmcnt(1)
	;; [unrolled: 2-line block ×3, first 2 shown]
	v_fmac_f32_e32 v28, v9, v37
	ds_bpermute_b32 v29, v23, v28
	s_waitcnt lgkmcnt(0)
	v_add_f32_e32 v28, v28, v29
	ds_bpermute_b32 v29, v24, v28
	s_and_saveexec_b64 s[30:31], vcc
	s_cbranch_execz .LBB27_8
; %bb.10:                               ;   in Loop: Header=BB27_9 Depth=1
	v_add_u32_e32 v30, s15, v25
	v_cvt_f32_i32_e32 v30, v30
	s_waitcnt lgkmcnt(0)
	v_add_f32_e32 v28, v28, v29
	v_cmp_gt_i32_e64 s[6:7], s33, v25
	v_max_f32_e32 v29, v19, v19
	v_mul_f32_e32 v30, s8, v30
	v_cndmask_b32_e64 v30, 0, v30, s[0:1]
	v_fmac_f32_e32 v30, s9, v28
	v_cndmask_b32_e64 v28, 0, v30, s[6:7]
	ds_write_b32 v26, v28
	v_max_f32_e32 v28, v29, v30
	v_cndmask_b32_e64 v19, v19, v28, s[6:7]
	s_branch .LBB27_8
.LBB27_11:
	s_or_b64 exec, exec, s[28:29]
.LBB27_12:
	s_or_b64 exec, exec, s[26:27]
	v_xor_b32_e32 v2, 32, v14
	v_cmp_lt_i32_e32 vcc, v2, v15
	v_xor_b32_e32 v5, 16, v14
	v_max_f32_e32 v4, v19, v19
	v_cndmask_b32_e32 v2, v14, v2, vcc
	v_lshlrev_b32_e32 v2, 2, v2
	ds_bpermute_b32 v3, v2, v19
	v_cmp_lt_i32_e32 vcc, v5, v15
	v_xor_b32_e32 v6, 8, v14
	v_xor_b32_e32 v7, 4, v14
	v_and_b32_e32 v23, 63, v0
	s_waitcnt lgkmcnt(0)
	v_max_f32_e32 v3, v3, v3
	v_max_f32_e32 v4, v4, v3
	v_cndmask_b32_e32 v3, v14, v5, vcc
	v_lshlrev_b32_e32 v3, 2, v3
	ds_bpermute_b32 v5, v3, v4
	v_cmp_lt_i32_e32 vcc, v6, v15
	s_waitcnt lgkmcnt(0)
	v_max_f32_e32 v5, v5, v5
	v_max_f32_e32 v4, v4, v5
	v_cndmask_b32_e32 v5, v14, v6, vcc
	v_lshlrev_b32_e32 v6, 2, v5
	ds_bpermute_b32 v5, v6, v4
	v_cmp_lt_i32_e32 vcc, v7, v15
	s_waitcnt lgkmcnt(0)
	v_max_f32_e32 v5, v5, v5
	v_max_f32_e32 v5, v4, v5
	v_cndmask_b32_e32 v4, v14, v7, vcc
	v_lshlrev_b32_e32 v7, 2, v4
	ds_bpermute_b32 v8, v7, v5
	v_cmp_eq_u32_e32 vcc, 0, v23
	v_lshlrev_b32_e32 v4, 2, v22
	s_and_saveexec_b64 s[0:1], vcc
	s_cbranch_execz .LBB27_14
; %bb.13:
	s_waitcnt lgkmcnt(0)
	v_max_f32_e32 v8, v8, v8
	v_max_f32_e32 v5, v5, v5
	;; [unrolled: 1-line block ×3, first 2 shown]
	ds_write_b32 v4, v5 offset:128
.LBB27_14:
	s_or_b64 exec, exec, s[0:1]
	v_cmp_gt_u32_e64 s[0:1], 2, v23
	s_waitcnt lgkmcnt(0)
	v_mov_b32_e32 v8, 0xff7fffff
	v_lshlrev_b32_e32 v5, 2, v23
	s_barrier
	s_and_saveexec_b64 s[6:7], s[0:1]
; %bb.15:
	ds_read_b32 v8, v5 offset:128
; %bb.16:
	s_or_b64 exec, exec, s[6:7]
	v_xor_b32_e32 v9, 1, v14
	v_cmp_lt_i32_e64 s[6:7], v9, v15
	s_nop 1
	v_cndmask_b32_e64 v9, v14, v9, s[6:7]
	v_lshlrev_b32_e32 v24, 2, v9
	s_waitcnt lgkmcnt(0)
	ds_bpermute_b32 v9, v24, v8
	v_max_f32_e32 v8, v8, v8
	s_lshl_b32 s6, s12, 4
	s_min_i32 s15, s6, s33
	v_cmp_gt_i32_e64 s[6:7], s15, v0
	s_waitcnt lgkmcnt(0)
	v_max_f32_e32 v9, v9, v9
	v_max_f32_e32 v8, v8, v9
	v_lshlrev_b32_e32 v9, 2, v17
	ds_bpermute_b32 v9, v9, v8
	v_mov_b32_e32 v8, 0
	s_and_saveexec_b64 s[26:27], s[6:7]
	s_cbranch_execz .LBB27_20
; %bb.17:
	v_mov_b32_e32 v8, 0x90
	v_lshl_add_u32 v10, v0, 2, v8
	v_mov_b32_e32 v8, 0
	s_mov_b64 s[28:29], 0
	v_mov_b32_e32 v11, v0
.LBB27_18:                              ; =>This Inner Loop Header: Depth=1
	ds_read_b32 v12, v10
	v_add_u32_e32 v11, 0x80, v11
	v_cmp_le_i32_e64 s[8:9], s15, v11
	s_or_b64 s[28:29], s[8:9], s[28:29]
	s_waitcnt lgkmcnt(0)
	v_sub_f32_e32 v12, v12, v9
	v_mul_f32_e32 v12, 0x3fb8aa3b, v12
	v_exp_f32_e32 v12, v12
	ds_write_b32 v10, v12
	v_add_f32_e32 v8, v8, v12
	v_add_u32_e32 v10, 0x200, v10
	s_andn2_b64 exec, exec, s[28:29]
	s_cbranch_execnz .LBB27_18
; %bb.19:
	s_or_b64 exec, exec, s[28:29]
.LBB27_20:
	s_or_b64 exec, exec, s[26:27]
	ds_bpermute_b32 v2, v2, v8
	s_waitcnt lgkmcnt(0)
	v_add_f32_e32 v2, v8, v2
	ds_bpermute_b32 v3, v3, v2
	s_waitcnt lgkmcnt(0)
	v_add_f32_e32 v2, v2, v3
	ds_bpermute_b32 v3, v6, v2
	v_xor_b32_e32 v6, 2, v14
	v_cmp_lt_i32_e64 s[8:9], v6, v15
	s_waitcnt lgkmcnt(0)
	v_add_f32_e32 v2, v2, v3
	ds_bpermute_b32 v3, v7, v2
	v_cndmask_b32_e64 v6, v14, v6, s[8:9]
	v_lshlrev_b32_e32 v25, 2, v6
	s_waitcnt lgkmcnt(0)
	v_add_f32_e32 v2, v2, v3
	ds_bpermute_b32 v3, v25, v2
	s_waitcnt lgkmcnt(0)
	v_add_f32_e32 v2, v2, v3
	ds_bpermute_b32 v3, v24, v2
	s_waitcnt lgkmcnt(0)
	v_add_f32_e32 v2, v2, v3
	s_and_saveexec_b64 s[8:9], vcc
; %bb.21:
	ds_write_b32 v4, v2 offset:136
; %bb.22:
	s_or_b64 exec, exec, s[8:9]
	s_waitcnt lgkmcnt(0)
	s_barrier
	s_and_saveexec_b64 s[8:9], s[0:1]
; %bb.23:
	ds_read_b32 v2, v5 offset:136
; %bb.24:
	s_or_b64 exec, exec, s[8:9]
	s_waitcnt lgkmcnt(0)
	ds_bpermute_b32 v3, v24, v2
	v_lshlrev_b32_e32 v4, 2, v14
	s_waitcnt lgkmcnt(0)
	v_add_f32_e32 v2, v2, v3
	v_and_b32_e32 v3, 0xffffff00, v4
	ds_bpermute_b32 v2, v3, v2
	s_and_saveexec_b64 s[0:1], s[6:7]
	s_cbranch_execz .LBB27_37
; %bb.25:
	s_waitcnt lgkmcnt(0)
	v_add_f32_e32 v2, 0x358637bd, v2
	v_div_scale_f32 v3, s[6:7], v2, v2, 1.0
	v_rcp_f32_e32 v4, v3
	v_div_scale_f32 v5, vcc, 1.0, v2, 1.0
	s_movk_i32 s6, 0x7f
	v_fma_f32 v6, -v3, v4, 1.0
	v_fmac_f32_e32 v4, v6, v4
	v_mul_f32_e32 v6, v5, v4
	v_fma_f32 v7, -v3, v6, v5
	v_fmac_f32_e32 v6, v7, v4
	v_fma_f32 v3, -v3, v6, v5
	v_div_fmas_f32 v3, v3, v4, v6
	v_xad_u32 v4, v0, -1, s15
	v_div_fixup_f32 v2, v3, v2, 1.0
	v_cmp_lt_u32_e32 vcc, s6, v4
	s_mov_b64 s[8:9], -1
	v_mov_b32_e32 v3, v0
	s_and_saveexec_b64 s[6:7], vcc
	s_cbranch_execz .LBB27_34
; %bb.26:
	v_lshrrev_b32_e32 v4, 7, v4
	v_add_u32_e32 v6, -1, v4
	v_lshrrev_b32_e32 v5, 1, v6
	v_mov_b32_e32 v3, v2
	v_add_u32_e32 v5, 1, v5
	v_cmp_lt_u32_e32 vcc, 13, v6
	v_mov_b32_e32 v8, 0
	s_and_saveexec_b64 s[8:9], vcc
	s_cbranch_execz .LBB27_30
; %bb.27:
	v_mov_b32_e32 v7, 0x90
	v_and_b32_e32 v6, -8, v5
	v_lshl_add_u32 v7, v0, 2, v7
	s_mov_b32 s17, 0
	s_mov_b64 s[26:27], 0
.LBB27_28:                              ; =>This Inner Loop Header: Depth=1
	ds_read2st64_b32 v[8:9], v7 offset1:2
	ds_read2st64_b32 v[10:11], v7 offset0:4 offset1:6
	ds_read2st64_b32 v[12:13], v7 offset0:8 offset1:10
	;; [unrolled: 1-line block ×3, first 2 shown]
	v_add_u32_e32 v6, -8, v6
	s_waitcnt lgkmcnt(3)
	v_pk_mul_f32 v[8:9], v[2:3], v[8:9]
	s_waitcnt lgkmcnt(2)
	v_pk_mul_f32 v[10:11], v[2:3], v[10:11]
	ds_write2st64_b32 v7, v8, v9 offset1:2
	ds_write2st64_b32 v7, v10, v11 offset0:4 offset1:6
	ds_read2st64_b32 v[10:11], v7 offset0:16 offset1:18
	s_waitcnt lgkmcnt(4)
	v_pk_mul_f32 v[8:9], v[2:3], v[12:13]
	ds_write2st64_b32 v7, v8, v9 offset0:8 offset1:10
	s_waitcnt lgkmcnt(4)
	v_pk_mul_f32 v[8:9], v[2:3], v[14:15]
	ds_write2st64_b32 v7, v8, v9 offset0:12 offset1:14
	ds_read2st64_b32 v[8:9], v7 offset0:20 offset1:22
	s_waitcnt lgkmcnt(3)
	v_pk_mul_f32 v[10:11], v[2:3], v[10:11]
	ds_read2st64_b32 v[12:13], v7 offset0:24 offset1:26
	ds_write2st64_b32 v7, v10, v11 offset0:16 offset1:18
	ds_read2st64_b32 v[10:11], v7 offset0:28 offset1:30
	s_waitcnt lgkmcnt(3)
	v_pk_mul_f32 v[8:9], v[2:3], v[8:9]
	ds_write2st64_b32 v7, v8, v9 offset0:20 offset1:22
	s_waitcnt lgkmcnt(3)
	v_pk_mul_f32 v[8:9], v[2:3], v[12:13]
	ds_write2st64_b32 v7, v8, v9 offset0:24 offset1:26
	s_waitcnt lgkmcnt(2)
	v_pk_mul_f32 v[8:9], v[2:3], v[10:11]
	s_add_i32 s17, s17, 16
	v_cmp_eq_u32_e32 vcc, 0, v6
	ds_write2st64_b32 v7, v8, v9 offset0:28 offset1:30
	v_add_u32_e32 v7, 0x2000, v7
	s_or_b64 s[26:27], vcc, s[26:27]
	v_mov_b32_e32 v8, s17
	s_andn2_b64 exec, exec, s[26:27]
	s_cbranch_execnz .LBB27_28
; %bb.29:
	s_or_b64 exec, exec, s[26:27]
.LBB27_30:
	s_or_b64 exec, exec, s[8:9]
	v_and_b32_e32 v5, 7, v5
	v_cmp_ne_u32_e32 vcc, 0, v5
	s_and_saveexec_b64 s[8:9], vcc
	s_cbranch_execz .LBB27_33
; %bb.31:
	v_lshlrev_b32_e32 v6, 9, v8
	s_movk_i32 s17, 0x90
	v_add3_u32 v6, v6, v16, s17
	s_mov_b64 s[26:27], 0
.LBB27_32:                              ; =>This Inner Loop Header: Depth=1
	ds_read2st64_b32 v[8:9], v6 offset1:2
	v_add_u32_e32 v5, -1, v5
	v_cmp_eq_u32_e32 vcc, 0, v5
	s_or_b64 s[26:27], vcc, s[26:27]
	s_waitcnt lgkmcnt(0)
	v_pk_mul_f32 v[8:9], v[2:3], v[8:9]
	ds_write2st64_b32 v6, v8, v9 offset1:2
	v_add_u32_e32 v6, 0x400, v6
	s_andn2_b64 exec, exec, s[26:27]
	s_cbranch_execnz .LBB27_32
.LBB27_33:
	s_or_b64 exec, exec, s[8:9]
	v_add_u32_e32 v4, 1, v4
	v_and_b32_e32 v5, 0x3fffffe, v4
	v_cmp_ne_u32_e32 vcc, v4, v5
	v_lshl_add_u32 v3, v5, 7, v0
	s_orn2_b64 s[8:9], vcc, exec
.LBB27_34:
	s_or_b64 exec, exec, s[6:7]
	s_and_b64 exec, exec, s[8:9]
	s_cbranch_execz .LBB27_37
; %bb.35:
	v_mov_b32_e32 v4, 0x90
	v_lshl_add_u32 v4, v3, 2, v4
	s_mov_b64 s[6:7], 0
.LBB27_36:                              ; =>This Inner Loop Header: Depth=1
	ds_read_b32 v5, v4
	v_add_u32_e32 v3, 0x80, v3
	v_cmp_le_i32_e32 vcc, s15, v3
	s_or_b64 s[6:7], vcc, s[6:7]
	s_waitcnt lgkmcnt(0)
	v_mul_f32_e32 v5, v2, v5
	ds_write_b32 v4, v5
	v_add_u32_e32 v4, 0x200, v4
	s_andn2_b64 exec, exec, s[6:7]
	s_cbranch_execnz .LBB27_36
.LBB27_37:
	s_or_b64 exec, exec, s[0:1]
	v_mov_b32_e32 v15, 0
	v_mov_b32_e32 v14, 0
	s_waitcnt lgkmcnt(0)
	s_barrier
	s_and_saveexec_b64 s[6:7], s[2:3]
	s_cbranch_execz .LBB27_45
; %bb.38:
	s_ashr_i32 s15, s14, 31
	s_lshl_b64 s[0:1], s[14:15], 2
	s_add_u32 s0, s24, s0
	v_lshlrev_b32_e32 v3, 4, v0
	s_addc_u32 s1, s25, s1
	v_and_b32_e32 v14, 0x3f0, v3
	v_mov_b32_e32 v15, 0
	v_and_b32_e32 v2, 12, v16
	s_add_i32 s14, s12, -1
	v_lshl_add_u64 v[16:17], s[0:1], 0, v[14:15]
	s_lshl_b64 s[0:1], s[22:23], 2
	v_lshl_or_b32 v26, v22, 4, v2
	v_lshlrev_b32_e32 v2, 4, v21
	s_add_u32 s0, s20, s0
	v_lshl_or_b32 v2, v22, 6, v2
	v_and_b32_e32 v14, 60, v18
	s_addc_u32 s1, s21, s1
	s_mov_b32 s15, s33
	v_add_u32_e32 v27, 0x90, v2
	v_lshl_add_u64 v[18:19], s[0:1], 0, v[14:15]
	s_mov_b64 s[2:3], 0
	v_mov_b32_e32 v14, v15
	s_branch .LBB27_40
.LBB27_39:                              ;   in Loop: Header=BB27_40 Depth=1
	s_or_b64 exec, exec, s[0:1]
	s_waitcnt vmcnt(1) lgkmcnt(0)
	v_mul_f32_e32 v6, v2, v6
	v_fmac_f32_e32 v6, v3, v7
	v_fmac_f32_e32 v6, v4, v8
	s_waitcnt vmcnt(0)
	v_pk_mul_f32 v[2:3], v[2:3], v[10:11]
	v_fmac_f32_e32 v6, v5, v9
	v_pk_mul_f32 v[4:5], v[4:5], v[12:13]
	v_add_f32_e32 v2, v3, v2
	v_add_f32_e32 v2, v4, v2
	v_add_u32_e32 v22, 2, v22
	v_add_f32_e32 v2, v5, v2
	v_cmp_le_i32_e32 vcc, s12, v22
	v_add_f32_e32 v14, v14, v6
	v_add_f32_e32 v15, v15, v2
	v_add_u32_e32 v26, 32, v26
	v_add_u32_e32 v27, 0x80, v27
	s_or_b64 s[2:3], vcc, s[2:3]
	v_lshl_add_u64 v[18:19], v[18:19], 0, 8
	s_andn2_b64 exec, exec, s[2:3]
	s_cbranch_execz .LBB27_44
.LBB27_40:                              ; =>This Inner Loop Header: Depth=1
	global_load_dword v2, v[18:19], off
	v_cmp_eq_u32_e32 vcc, s14, v22
	v_add_u32_e32 v30, 1, v26
	v_or_b32_e32 v29, 3, v26
	v_or_b32_e32 v28, 2, v26
	s_waitcnt vmcnt(0)
	v_mad_i64_i32 v[2:3], s[0:1], v2, s13, 0
	v_lshl_add_u64 v[10:11], v[2:3], 2, v[16:17]
	global_load_dwordx4 v[6:9], v[10:11], off
	ds_read_b128 v[2:5], v27
	s_and_saveexec_b64 s[8:9], vcc
	s_cbranch_execz .LBB27_42
; %bb.41:                               ;   in Loop: Header=BB27_40 Depth=1
	v_cmp_gt_i32_e64 s[0:1], s15, v30
	s_waitcnt vmcnt(0)
	s_nop 0
	v_cndmask_b32_e64 v7, 0, v7, s[0:1]
	v_cmp_gt_i32_e64 s[0:1], s33, v26
	s_nop 1
	v_cndmask_b32_e64 v6, 0, v6, s[0:1]
	v_cmp_gt_i32_e64 s[0:1], s15, v29
	;; [unrolled: 3-line block ×3, first 2 shown]
	s_nop 1
	v_cndmask_b32_e64 v8, 0, v8, s[0:1]
.LBB27_42:                              ;   in Loop: Header=BB27_40 Depth=1
	s_or_b64 exec, exec, s[8:9]
	global_load_dwordx4 v[10:13], v[10:11], off offset:1024
	s_and_saveexec_b64 s[0:1], vcc
	s_cbranch_execz .LBB27_39
; %bb.43:                               ;   in Loop: Header=BB27_40 Depth=1
	v_cmp_gt_i32_e32 vcc, s15, v30
	s_waitcnt vmcnt(0)
	s_nop 0
	v_cndmask_b32_e32 v11, 0, v11, vcc
	v_cmp_gt_i32_e32 vcc, s33, v26
	s_nop 1
	v_cndmask_b32_e32 v10, 0, v10, vcc
	v_cmp_gt_i32_e32 vcc, s15, v29
	;; [unrolled: 3-line block ×3, first 2 shown]
	s_nop 1
	v_cndmask_b32_e32 v12, 0, v12, vcc
	s_branch .LBB27_39
.LBB27_44:
	s_or_b64 exec, exec, s[2:3]
.LBB27_45:
	s_or_b64 exec, exec, s[6:7]
	ds_bpermute_b32 v2, v25, v14
	ds_bpermute_b32 v3, v25, v15
	v_and_b32_e32 v4, 0x3c3, v0
	v_cmp_eq_u32_e32 vcc, 64, v4
	s_waitcnt lgkmcnt(0)
	s_barrier
	v_pk_add_f32 v[2:3], v[14:15], v[2:3]
	ds_bpermute_b32 v6, v24, v2
	ds_bpermute_b32 v7, v24, v3
	s_waitcnt lgkmcnt(0)
	v_pk_add_f32 v[2:3], v[2:3], v[6:7]
	s_and_saveexec_b64 s[0:1], vcc
; %bb.46:
	v_add_u32_e32 v5, 0x90, v23
	ds_write2_b32 v5, v2, v3 offset1:16
; %bb.47:
	s_or_b64 exec, exec, s[0:1]
	v_cmp_gt_u32_e32 vcc, 64, v0
	s_waitcnt lgkmcnt(0)
	s_barrier
	s_and_saveexec_b64 s[0:1], vcc
	s_cbranch_execz .LBB27_53
; %bb.48:
	v_mov_b32_e32 v0, 0x90
	v_cmp_eq_u32_e32 vcc, 0, v21
	v_lshl_add_u32 v0, v20, 2, v0
	s_and_saveexec_b64 s[2:3], vcc
	s_cbranch_execz .LBB27_50
; %bb.49:
	ds_read_b32 v5, v0
	s_waitcnt lgkmcnt(0)
	v_add_f32_e32 v2, v2, v5
.LBB27_50:
	s_or_b64 exec, exec, s[2:3]
	s_and_saveexec_b64 s[2:3], vcc
	s_cbranch_execz .LBB27_52
; %bb.51:
	ds_read_b32 v0, v0 offset:64
	s_waitcnt lgkmcnt(0)
	v_add_f32_e32 v3, v3, v0
.LBB27_52:
	s_or_b64 exec, exec, s[2:3]
.LBB27_53:
	s_or_b64 exec, exec, s[0:1]
	v_cmp_eq_u32_e32 vcc, 0, v4
	s_barrier
	s_and_saveexec_b64 s[0:1], vcc
	s_cbranch_execz .LBB27_55
; %bb.54:
	s_mul_i32 s0, s10, s11
	s_mul_i32 s0, s0, s5
	s_lshl_b32 s0, s0, 5
	s_ashr_i32 s1, s0, 31
	s_lshl_b64 s[0:1], s[0:1], 2
	s_add_u32 s2, s18, s0
	s_mul_i32 s0, s11, s16
	s_addc_u32 s3, s19, s1
	s_ashr_i32 s1, s0, 31
	s_lshl_b64 s[0:1], s[0:1], 2
	s_add_u32 s2, s2, s0
	s_addc_u32 s3, s3, s1
	s_lshl_b32 s0, s4, 5
	s_ashr_i32 s1, s0, 31
	s_lshl_b64 s[0:1], s[0:1], 2
	s_add_u32 s0, s2, s0
	s_addc_u32 s1, s3, s1
	global_store_dword v1, v2, s[0:1]
	global_store_dword v1, v3, s[0:1] offset:64
.LBB27_55:
	s_endpgm
	.section	.rodata,"a",@progbits
	.p2align	6, 0x0
	.amdhsa_kernel _ZN4vllm25paged_attention_v1_kernelIffLi32ELi16ELi128ELNS_18Fp8KVCacheDataTypeE0ELb0EEEvPT_PKS2_PKT0_S8_ifPKiSA_iPKfiiiSC_SC_iiiii
		.amdhsa_group_segment_fixed_size 144
		.amdhsa_private_segment_fixed_size 0
		.amdhsa_kernarg_size 384
		.amdhsa_user_sgpr_count 2
		.amdhsa_user_sgpr_dispatch_ptr 0
		.amdhsa_user_sgpr_queue_ptr 0
		.amdhsa_user_sgpr_kernarg_segment_ptr 1
		.amdhsa_user_sgpr_dispatch_id 0
		.amdhsa_user_sgpr_kernarg_preload_length 0
		.amdhsa_user_sgpr_kernarg_preload_offset 0
		.amdhsa_user_sgpr_private_segment_size 0
		.amdhsa_uses_dynamic_stack 0
		.amdhsa_enable_private_segment 0
		.amdhsa_system_sgpr_workgroup_id_x 1
		.amdhsa_system_sgpr_workgroup_id_y 1
		.amdhsa_system_sgpr_workgroup_id_z 1
		.amdhsa_system_sgpr_workgroup_info 0
		.amdhsa_system_vgpr_workitem_id 0
		.amdhsa_next_free_vgpr 38
		.amdhsa_next_free_sgpr 34
		.amdhsa_accum_offset 40
		.amdhsa_reserve_vcc 1
		.amdhsa_float_round_mode_32 0
		.amdhsa_float_round_mode_16_64 0
		.amdhsa_float_denorm_mode_32 3
		.amdhsa_float_denorm_mode_16_64 3
		.amdhsa_dx10_clamp 1
		.amdhsa_ieee_mode 1
		.amdhsa_fp16_overflow 0
		.amdhsa_tg_split 0
		.amdhsa_exception_fp_ieee_invalid_op 0
		.amdhsa_exception_fp_denorm_src 0
		.amdhsa_exception_fp_ieee_div_zero 0
		.amdhsa_exception_fp_ieee_overflow 0
		.amdhsa_exception_fp_ieee_underflow 0
		.amdhsa_exception_fp_ieee_inexact 0
		.amdhsa_exception_int_div_zero 0
	.end_amdhsa_kernel
	.section	.text._ZN4vllm25paged_attention_v1_kernelIffLi32ELi16ELi128ELNS_18Fp8KVCacheDataTypeE0ELb0EEEvPT_PKS2_PKT0_S8_ifPKiSA_iPKfiiiSC_SC_iiiii,"axG",@progbits,_ZN4vllm25paged_attention_v1_kernelIffLi32ELi16ELi128ELNS_18Fp8KVCacheDataTypeE0ELb0EEEvPT_PKS2_PKT0_S8_ifPKiSA_iPKfiiiSC_SC_iiiii,comdat
.Lfunc_end27:
	.size	_ZN4vllm25paged_attention_v1_kernelIffLi32ELi16ELi128ELNS_18Fp8KVCacheDataTypeE0ELb0EEEvPT_PKS2_PKT0_S8_ifPKiSA_iPKfiiiSC_SC_iiiii, .Lfunc_end27-_ZN4vllm25paged_attention_v1_kernelIffLi32ELi16ELi128ELNS_18Fp8KVCacheDataTypeE0ELb0EEEvPT_PKS2_PKT0_S8_ifPKiSA_iPKfiiiSC_SC_iiiii
                                        ; -- End function
	.set _ZN4vllm25paged_attention_v1_kernelIffLi32ELi16ELi128ELNS_18Fp8KVCacheDataTypeE0ELb0EEEvPT_PKS2_PKT0_S8_ifPKiSA_iPKfiiiSC_SC_iiiii.num_vgpr, 38
	.set _ZN4vllm25paged_attention_v1_kernelIffLi32ELi16ELi128ELNS_18Fp8KVCacheDataTypeE0ELb0EEEvPT_PKS2_PKT0_S8_ifPKiSA_iPKfiiiSC_SC_iiiii.num_agpr, 0
	.set _ZN4vllm25paged_attention_v1_kernelIffLi32ELi16ELi128ELNS_18Fp8KVCacheDataTypeE0ELb0EEEvPT_PKS2_PKT0_S8_ifPKiSA_iPKfiiiSC_SC_iiiii.numbered_sgpr, 34
	.set _ZN4vllm25paged_attention_v1_kernelIffLi32ELi16ELi128ELNS_18Fp8KVCacheDataTypeE0ELb0EEEvPT_PKS2_PKT0_S8_ifPKiSA_iPKfiiiSC_SC_iiiii.num_named_barrier, 0
	.set _ZN4vllm25paged_attention_v1_kernelIffLi32ELi16ELi128ELNS_18Fp8KVCacheDataTypeE0ELb0EEEvPT_PKS2_PKT0_S8_ifPKiSA_iPKfiiiSC_SC_iiiii.private_seg_size, 0
	.set _ZN4vllm25paged_attention_v1_kernelIffLi32ELi16ELi128ELNS_18Fp8KVCacheDataTypeE0ELb0EEEvPT_PKS2_PKT0_S8_ifPKiSA_iPKfiiiSC_SC_iiiii.uses_vcc, 1
	.set _ZN4vllm25paged_attention_v1_kernelIffLi32ELi16ELi128ELNS_18Fp8KVCacheDataTypeE0ELb0EEEvPT_PKS2_PKT0_S8_ifPKiSA_iPKfiiiSC_SC_iiiii.uses_flat_scratch, 0
	.set _ZN4vllm25paged_attention_v1_kernelIffLi32ELi16ELi128ELNS_18Fp8KVCacheDataTypeE0ELb0EEEvPT_PKS2_PKT0_S8_ifPKiSA_iPKfiiiSC_SC_iiiii.has_dyn_sized_stack, 0
	.set _ZN4vllm25paged_attention_v1_kernelIffLi32ELi16ELi128ELNS_18Fp8KVCacheDataTypeE0ELb0EEEvPT_PKS2_PKT0_S8_ifPKiSA_iPKfiiiSC_SC_iiiii.has_recursion, 0
	.set _ZN4vllm25paged_attention_v1_kernelIffLi32ELi16ELi128ELNS_18Fp8KVCacheDataTypeE0ELb0EEEvPT_PKS2_PKT0_S8_ifPKiSA_iPKfiiiSC_SC_iiiii.has_indirect_call, 0
	.section	.AMDGPU.csdata,"",@progbits
; Kernel info:
; codeLenInByte = 3240
; TotalNumSgprs: 40
; NumVgprs: 38
; NumAgprs: 0
; TotalNumVgprs: 38
; ScratchSize: 0
; MemoryBound: 0
; FloatMode: 240
; IeeeMode: 1
; LDSByteSize: 144 bytes/workgroup (compile time only)
; SGPRBlocks: 4
; VGPRBlocks: 4
; NumSGPRsForWavesPerEU: 40
; NumVGPRsForWavesPerEU: 38
; AccumOffset: 40
; Occupancy: 8
; WaveLimiterHint : 1
; COMPUTE_PGM_RSRC2:SCRATCH_EN: 0
; COMPUTE_PGM_RSRC2:USER_SGPR: 2
; COMPUTE_PGM_RSRC2:TRAP_HANDLER: 0
; COMPUTE_PGM_RSRC2:TGID_X_EN: 1
; COMPUTE_PGM_RSRC2:TGID_Y_EN: 1
; COMPUTE_PGM_RSRC2:TGID_Z_EN: 1
; COMPUTE_PGM_RSRC2:TIDIG_COMP_CNT: 0
; COMPUTE_PGM_RSRC3_GFX90A:ACCUM_OFFSET: 9
; COMPUTE_PGM_RSRC3_GFX90A:TG_SPLIT: 0
	.section	.text._ZN4vllm25paged_attention_v1_kernelIffLi64ELi16ELi128ELNS_18Fp8KVCacheDataTypeE0ELb0EEEvPT_PKS2_PKT0_S8_ifPKiSA_iPKfiiiSC_SC_iiiii,"axG",@progbits,_ZN4vllm25paged_attention_v1_kernelIffLi64ELi16ELi128ELNS_18Fp8KVCacheDataTypeE0ELb0EEEvPT_PKS2_PKT0_S8_ifPKiSA_iPKfiiiSC_SC_iiiii,comdat
	.protected	_ZN4vllm25paged_attention_v1_kernelIffLi64ELi16ELi128ELNS_18Fp8KVCacheDataTypeE0ELb0EEEvPT_PKS2_PKT0_S8_ifPKiSA_iPKfiiiSC_SC_iiiii ; -- Begin function _ZN4vllm25paged_attention_v1_kernelIffLi64ELi16ELi128ELNS_18Fp8KVCacheDataTypeE0ELb0EEEvPT_PKS2_PKT0_S8_ifPKiSA_iPKfiiiSC_SC_iiiii
	.globl	_ZN4vllm25paged_attention_v1_kernelIffLi64ELi16ELi128ELNS_18Fp8KVCacheDataTypeE0ELb0EEEvPT_PKS2_PKT0_S8_ifPKiSA_iPKfiiiSC_SC_iiiii
	.p2align	8
	.type	_ZN4vllm25paged_attention_v1_kernelIffLi64ELi16ELi128ELNS_18Fp8KVCacheDataTypeE0ELb0EEEvPT_PKS2_PKT0_S8_ifPKiSA_iPKfiiiSC_SC_iiiii,@function
_ZN4vllm25paged_attention_v1_kernelIffLi64ELi16ELi128ELNS_18Fp8KVCacheDataTypeE0ELb0EEEvPT_PKS2_PKT0_S8_ifPKiSA_iPKfiiiSC_SC_iiiii: ; @_ZN4vllm25paged_attention_v1_kernelIffLi64ELi16ELi128ELNS_18Fp8KVCacheDataTypeE0ELb0EEEvPT_PKS2_PKT0_S8_ifPKiSA_iPKfiiiSC_SC_iiiii
; %bb.0:
	s_load_dword s5, s[0:1], 0x80
	s_load_dwordx2 s[6:7], s[0:1], 0x30
	s_load_dwordx2 s[10:11], s[0:1], 0x20
	s_mov_b32 s16, s3
	s_ashr_i32 s17, s3, 31
	s_lshl_b64 s[8:9], s[16:17], 2
	s_waitcnt lgkmcnt(0)
	s_add_u32 s6, s6, s8
	s_addc_u32 s7, s7, s9
	s_abs_i32 s3, s10
	v_cvt_f32_u32_e32 v1, s3
	s_xor_b32 s8, s5, s10
	s_sub_i32 s10, 0, s3
	s_abs_i32 s9, s5
	v_rcp_iflag_f32_e32 v1, v1
	s_ashr_i32 s8, s8, 31
	v_mul_f32_e32 v1, 0x4f7ffffe, v1
	v_cvt_u32_f32_e32 v1, v1
	s_nop 0
	v_readfirstlane_b32 s12, v1
	s_mul_i32 s10, s10, s12
	s_mul_hi_u32 s10, s12, s10
	s_add_i32 s12, s12, s10
	s_mul_hi_u32 s10, s9, s12
	s_mul_i32 s12, s10, s3
	s_sub_i32 s9, s9, s12
	s_add_i32 s12, s10, 1
	s_sub_i32 s13, s9, s3
	s_cmp_ge_u32 s9, s3
	s_cselect_b32 s10, s12, s10
	s_cselect_b32 s9, s13, s9
	s_add_i32 s12, s10, 1
	s_cmp_ge_u32 s9, s3
	s_cselect_b32 s3, s12, s10
	s_xor_b32 s3, s3, s8
	s_sub_i32 s12, s3, s8
	s_abs_i32 s20, s12
	v_cvt_f32_u32_e32 v1, s20
	s_load_dwordx2 s[8:9], s[0:1], 0x40
	s_sub_i32 s3, 0, s20
	s_abs_i32 s21, s2
	v_rcp_iflag_f32_e32 v1, v1
	s_mov_b32 s10, 0
	v_mul_f32_e32 v1, 0x4f7ffffe, v1
	v_cvt_u32_f32_e32 v1, v1
	s_nop 0
	v_readfirstlane_b32 s13, v1
	s_mul_i32 s3, s3, s13
	s_mul_hi_u32 s3, s13, s3
	s_add_i32 s13, s13, s3
	s_waitcnt lgkmcnt(0)
	s_cmp_eq_u64 s[8:9], 0
	s_mul_hi_u32 s24, s21, s13
	s_cbranch_scc1 .LBB28_2
; %bb.1:
	s_ashr_i32 s3, s2, 31
	s_lshl_b64 s[14:15], s[2:3], 2
	s_add_u32 s8, s8, s14
	s_addc_u32 s9, s9, s15
	s_load_dword s10, s[8:9], 0x0
.LBB28_2:
	s_load_dword s17, s[6:7], 0x0
	s_ashr_i32 s7, s12, 31
	s_load_dwordx4 s[12:15], s[0:1], 0x48
	v_lshrrev_b32_e32 v31, 2, v0
	s_ashr_i32 s6, s2, 31
	v_and_b32_e32 v32, 3, v0
	s_lshl_b32 s18, s2, 6
	v_cmp_gt_u32_e64 s[8:9], 64, v0
	v_lshlrev_b32_e32 v26, 2, v0
	v_lshlrev_b32_e32 v30, 2, v31
	s_and_saveexec_b64 s[2:3], s[8:9]
	s_cbranch_execz .LBB28_4
; %bb.3:
	s_load_dwordx2 s[22:23], s[0:1], 0x8
	s_waitcnt lgkmcnt(0)
	s_mul_i32 s26, s12, s16
	s_ashr_i32 s27, s26, 31
	s_lshl_b64 s[26:27], s[26:27], 2
	v_lshl_add_u32 v2, v32, 6, v30
	s_add_u32 s12, s22, s26
	s_addc_u32 s15, s23, s27
	s_ashr_i32 s19, s18, 31
	s_lshl_b64 s[22:23], s[18:19], 2
	s_add_u32 s22, s12, s22
	s_addc_u32 s23, s15, s23
	global_load_dword v1, v26, s[22:23]
	s_waitcnt vmcnt(0)
	ds_write_b32 v2, v1
.LBB28_4:
	s_or_b64 exec, exec, s[2:3]
	s_waitcnt lgkmcnt(0)
	s_add_i32 s3, s17, 15
	s_ashr_i32 s12, s3, 31
	s_lshr_b32 s12, s12, 28
	s_add_i32 s3, s3, s12
	s_ashr_i32 s19, s3, 4
	s_xor_b32 s3, s6, s7
	s_mul_i32 s6, s24, s20
	s_sub_i32 s6, s21, s6
	s_add_i32 s7, s24, 1
	s_sub_i32 s12, s6, s20
	s_load_dwordx2 s[22:23], s[0:1], 0x28
	s_load_dword s2, s[0:1], 0x38
	s_cmp_ge_u32 s6, s20
	s_cselect_b32 s7, s7, s24
	s_cselect_b32 s6, s12, s6
	s_add_i32 s12, s7, 1
	s_cmp_ge_u32 s6, s20
	s_cselect_b32 s6, s12, s7
	v_lshrrev_b32_e32 v1, 6, v0
	s_xor_b32 s6, s6, s3
	s_waitcnt lgkmcnt(0)
	s_mul_i32 s24, s2, s16
	s_sub_i32 s15, s6, s3
	s_ashr_i32 s25, s24, 31
	v_cmp_gt_i32_e64 s[2:3], s19, v1
	v_cmp_le_i32_e32 vcc, s19, v1
	v_mbcnt_lo_u32_b32 v20, -1, 0
	s_barrier
                                        ; implicit-def: $vgpr22
                                        ; implicit-def: $vgpr24
                                        ; implicit-def: $vgpr23
	s_and_saveexec_b64 s[6:7], vcc
	s_xor_b64 s[6:7], exec, s[6:7]
; %bb.5:
	v_mbcnt_hi_u32_b32 v22, -1, v20
	v_and_b32_e32 v24, 64, v22
	v_add_u32_e32 v23, 64, v24
                                        ; implicit-def: $vgpr20
; %bb.6:
	s_or_saveexec_b64 s[28:29], s[6:7]
	s_load_dwordx2 s[20:21], s[0:1], 0x0
	s_load_dwordx2 s[26:27], s[0:1], 0x18
	s_load_dword s12, s[0:1], 0x88
	v_mov_b32_e32 v25, 0xff7fffff
	s_mul_i32 s14, s15, s14
	v_lshrrev_b32_e32 v28, 4, v0
	s_xor_b64 exec, exec, s[28:29]
	s_cbranch_execz .LBB28_12
; %bb.7:
	s_load_dwordx2 s[0:1], s[0:1], 0x10
	s_ashr_i32 s15, s14, 31
	s_lshl_b64 s[6:7], s[14:15], 2
	v_bfe_u32 v21, v0, 2, 4
	v_mbcnt_hi_u32_b32 v22, -1, v20
	s_waitcnt lgkmcnt(0)
	s_add_u32 s0, s0, s6
	s_addc_u32 s1, s1, s7
	v_lshlrev_b32_e32 v36, 4, v21
	v_mov_b32_e32 v37, 0
	v_and_b32_e32 v24, 64, v22
	v_lshl_add_u64 v[2:3], s[0:1], 0, v[36:37]
	v_lshlrev_b32_e32 v36, 2, v32
	v_lshlrev_b32_e32 v14, 6, v32
	v_add_u32_e32 v23, 64, v24
	v_xor_b32_e32 v20, 2, v22
	v_lshl_add_u64 v[18:19], v[2:3], 0, v[36:37]
	ds_read_b128 v[2:5], v14
	ds_read_b128 v[6:9], v14 offset:16
	ds_read_b128 v[10:13], v14 offset:32
	;; [unrolled: 1-line block ×3, first 2 shown]
	v_cmp_lt_i32_e32 vcc, v20, v23
	s_sub_i32 s15, 1, s17
	s_lshl_b64 s[6:7], s[24:25], 2
	v_cndmask_b32_e32 v20, v22, v20, vcc
	v_lshlrev_b32_e32 v27, 2, v20
	v_xor_b32_e32 v20, 1, v22
	v_cmp_lt_i32_e32 vcc, v20, v23
	v_lshlrev_b32_e32 v25, 2, v21
	s_add_u32 s6, s22, s6
	v_cndmask_b32_e32 v20, v22, v20, vcc
	v_lshlrev_b32_e32 v29, 2, v20
	v_lshl_or_b32 v20, v1, 6, v25
	v_and_b32_e32 v36, 60, v28
	s_addc_u32 s7, s23, s7
	s_mov_b32 s33, s13
	v_cmp_eq_u32_e32 vcc, 0, v32
	v_cmp_neq_f32_e64 s[0:1], s10, 0
	v_lshl_or_b32 v33, v1, 4, v21
	v_add_u32_e32 v34, 0x110, v20
	v_lshl_add_u64 v[20:21], s[6:7], 0, v[36:37]
	v_mov_b32_e32 v25, 0xff7fffff
	s_mov_b64 s[30:31], 0
	v_mov_b32_e32 v35, v1
	s_branch .LBB28_9
.LBB28_8:                               ;   in Loop: Header=BB28_9 Depth=1
	s_or_b64 exec, exec, s[34:35]
	v_add_u32_e32 v35, 2, v35
	v_cmp_le_i32_e64 s[6:7], s19, v35
	v_add_u32_e32 v33, 32, v33
	v_add_u32_e32 v34, 0x80, v34
	s_or_b64 s[30:31], s[6:7], s[30:31]
	v_lshl_add_u64 v[20:21], v[20:21], 0, 8
	s_andn2_b64 exec, exec, s[30:31]
	s_cbranch_execz .LBB28_11
.LBB28_9:                               ; =>This Inner Loop Header: Depth=1
	global_load_dword v36, v[20:21], off
	s_waitcnt vmcnt(0) lgkmcnt(0)
	v_mad_i64_i32 v[36:37], s[6:7], v36, s33, 0
	v_lshl_add_u64 v[36:37], v[36:37], 2, v[18:19]
	global_load_dword v38, v[36:37], off offset:256
	global_load_dword v39, v[36:37], off
	global_load_dword v40, v[36:37], off offset:512
	global_load_dword v41, v[36:37], off offset:768
	global_load_dword v42, v[36:37], off offset:1024
	global_load_dword v43, v[36:37], off offset:1280
	global_load_dword v44, v[36:37], off offset:1536
	global_load_dword v45, v[36:37], off offset:1792
	global_load_dword v46, v[36:37], off offset:2048
	global_load_dword v47, v[36:37], off offset:2304
	global_load_dword v48, v[36:37], off offset:2560
	global_load_dword v49, v[36:37], off offset:2816
	global_load_dword v50, v[36:37], off offset:3072
	global_load_dword v51, v[36:37], off offset:3328
	global_load_dword v52, v[36:37], off offset:3584
	s_nop 0
	global_load_dword v36, v[36:37], off offset:3840
	s_waitcnt vmcnt(15) lgkmcnt(3)
	v_mul_f32_e32 v37, v3, v38
	s_waitcnt vmcnt(14)
	v_fmac_f32_e32 v37, v2, v39
	s_waitcnt vmcnt(13)
	v_fmac_f32_e32 v37, v4, v40
	s_waitcnt vmcnt(12)
	v_fmac_f32_e32 v37, v5, v41
	s_waitcnt vmcnt(11) lgkmcnt(2)
	v_fmac_f32_e32 v37, v6, v42
	s_waitcnt vmcnt(10)
	v_fmac_f32_e32 v37, v7, v43
	s_waitcnt vmcnt(9)
	v_fmac_f32_e32 v37, v8, v44
	s_waitcnt vmcnt(8)
	v_fmac_f32_e32 v37, v9, v45
	s_waitcnt vmcnt(7) lgkmcnt(1)
	v_fmac_f32_e32 v37, v10, v46
	;; [unrolled: 8-line block ×3, first 2 shown]
	s_waitcnt vmcnt(2)
	v_fmac_f32_e32 v37, v15, v51
	s_waitcnt vmcnt(1)
	v_fmac_f32_e32 v37, v16, v52
	;; [unrolled: 2-line block ×3, first 2 shown]
	ds_bpermute_b32 v36, v27, v37
	s_waitcnt lgkmcnt(0)
	v_add_f32_e32 v36, v37, v36
	ds_bpermute_b32 v37, v29, v36
	s_and_saveexec_b64 s[34:35], vcc
	s_cbranch_execz .LBB28_8
; %bb.10:                               ;   in Loop: Header=BB28_9 Depth=1
	v_add_u32_e32 v38, s15, v33
	v_cvt_f32_i32_e32 v38, v38
	s_waitcnt lgkmcnt(0)
	v_add_f32_e32 v36, v36, v37
	v_cmp_gt_i32_e64 s[6:7], s17, v33
	v_max_f32_e32 v37, v25, v25
	v_mul_f32_e32 v38, s10, v38
	v_cndmask_b32_e64 v38, 0, v38, s[0:1]
	v_fmac_f32_e32 v38, s11, v36
	v_cndmask_b32_e64 v36, 0, v38, s[6:7]
	ds_write_b32 v34, v36
	v_max_f32_e32 v36, v37, v38
	v_cndmask_b32_e64 v25, v25, v36, s[6:7]
	s_branch .LBB28_8
.LBB28_11:
	s_or_b64 exec, exec, s[30:31]
.LBB28_12:
	s_or_b64 exec, exec, s[28:29]
	v_xor_b32_e32 v2, 32, v22
	v_cmp_lt_i32_e32 vcc, v2, v23
	v_xor_b32_e32 v5, 16, v22
	v_max_f32_e32 v4, v25, v25
	v_cndmask_b32_e32 v2, v22, v2, vcc
	v_lshlrev_b32_e32 v2, 2, v2
	ds_bpermute_b32 v3, v2, v25
	v_cmp_lt_i32_e32 vcc, v5, v23
	v_xor_b32_e32 v6, 8, v22
	v_xor_b32_e32 v7, 4, v22
	v_and_b32_e32 v33, 63, v0
	s_waitcnt lgkmcnt(0)
	v_max_f32_e32 v3, v3, v3
	v_max_f32_e32 v4, v4, v3
	v_cndmask_b32_e32 v3, v22, v5, vcc
	v_lshlrev_b32_e32 v3, 2, v3
	ds_bpermute_b32 v5, v3, v4
	v_cmp_lt_i32_e32 vcc, v6, v23
	s_waitcnt lgkmcnt(0)
	v_max_f32_e32 v5, v5, v5
	v_max_f32_e32 v4, v4, v5
	v_cndmask_b32_e32 v5, v22, v6, vcc
	v_lshlrev_b32_e32 v6, 2, v5
	ds_bpermute_b32 v5, v6, v4
	v_cmp_lt_i32_e32 vcc, v7, v23
	s_waitcnt lgkmcnt(0)
	v_max_f32_e32 v5, v5, v5
	v_max_f32_e32 v5, v4, v5
	v_cndmask_b32_e32 v4, v22, v7, vcc
	v_lshlrev_b32_e32 v7, 2, v4
	ds_bpermute_b32 v8, v7, v5
	v_cmp_eq_u32_e32 vcc, 0, v33
	v_lshlrev_b32_e32 v4, 2, v1
	s_and_saveexec_b64 s[0:1], vcc
	s_cbranch_execz .LBB28_14
; %bb.13:
	s_waitcnt lgkmcnt(0)
	v_max_f32_e32 v8, v8, v8
	v_max_f32_e32 v5, v5, v5
	;; [unrolled: 1-line block ×3, first 2 shown]
	ds_write_b32 v4, v5 offset:256
.LBB28_14:
	s_or_b64 exec, exec, s[0:1]
	v_cmp_gt_u32_e64 s[0:1], 2, v33
	s_waitcnt lgkmcnt(0)
	v_mov_b32_e32 v8, 0xff7fffff
	v_lshlrev_b32_e32 v5, 2, v33
	s_barrier
	s_and_saveexec_b64 s[6:7], s[0:1]
; %bb.15:
	ds_read_b32 v8, v5 offset:256
; %bb.16:
	s_or_b64 exec, exec, s[6:7]
	v_xor_b32_e32 v9, 1, v22
	v_cmp_lt_i32_e64 s[6:7], v9, v23
	s_nop 1
	v_cndmask_b32_e64 v9, v22, v9, s[6:7]
	v_lshlrev_b32_e32 v34, 2, v9
	s_waitcnt lgkmcnt(0)
	ds_bpermute_b32 v9, v34, v8
	v_max_f32_e32 v8, v8, v8
	s_lshl_b32 s6, s19, 4
	s_min_i32 s15, s6, s17
	v_cmp_gt_i32_e64 s[6:7], s15, v0
	s_waitcnt lgkmcnt(0)
	v_max_f32_e32 v9, v9, v9
	v_max_f32_e32 v8, v8, v9
	v_lshlrev_b32_e32 v9, 2, v24
	ds_bpermute_b32 v9, v9, v8
	v_mov_b32_e32 v8, 0
	s_and_saveexec_b64 s[28:29], s[6:7]
	s_cbranch_execz .LBB28_20
; %bb.17:
	v_mov_b32_e32 v8, 0x110
	v_lshl_add_u32 v10, v0, 2, v8
	v_mov_b32_e32 v8, 0
	s_mov_b64 s[30:31], 0
	v_mov_b32_e32 v11, v0
.LBB28_18:                              ; =>This Inner Loop Header: Depth=1
	ds_read_b32 v12, v10
	v_add_u32_e32 v11, 0x80, v11
	v_cmp_le_i32_e64 s[10:11], s15, v11
	s_or_b64 s[30:31], s[10:11], s[30:31]
	s_waitcnt lgkmcnt(0)
	v_sub_f32_e32 v12, v12, v9
	v_mul_f32_e32 v12, 0x3fb8aa3b, v12
	v_exp_f32_e32 v12, v12
	ds_write_b32 v10, v12
	v_add_f32_e32 v8, v8, v12
	v_add_u32_e32 v10, 0x200, v10
	s_andn2_b64 exec, exec, s[30:31]
	s_cbranch_execnz .LBB28_18
; %bb.19:
	s_or_b64 exec, exec, s[30:31]
.LBB28_20:
	s_or_b64 exec, exec, s[28:29]
	ds_bpermute_b32 v2, v2, v8
	s_waitcnt lgkmcnt(0)
	v_add_f32_e32 v2, v8, v2
	ds_bpermute_b32 v3, v3, v2
	s_waitcnt lgkmcnt(0)
	v_add_f32_e32 v2, v2, v3
	ds_bpermute_b32 v3, v6, v2
	v_xor_b32_e32 v6, 2, v22
	v_cmp_lt_i32_e64 s[10:11], v6, v23
	s_waitcnt lgkmcnt(0)
	v_add_f32_e32 v2, v2, v3
	ds_bpermute_b32 v3, v7, v2
	v_cndmask_b32_e64 v6, v22, v6, s[10:11]
	v_lshlrev_b32_e32 v35, 2, v6
	s_waitcnt lgkmcnt(0)
	v_add_f32_e32 v2, v2, v3
	ds_bpermute_b32 v3, v35, v2
	s_waitcnt lgkmcnt(0)
	v_add_f32_e32 v2, v2, v3
	ds_bpermute_b32 v3, v34, v2
	s_waitcnt lgkmcnt(0)
	v_add_f32_e32 v2, v2, v3
	s_and_saveexec_b64 s[10:11], vcc
; %bb.21:
	ds_write_b32 v4, v2 offset:264
; %bb.22:
	s_or_b64 exec, exec, s[10:11]
	s_waitcnt lgkmcnt(0)
	s_barrier
	s_and_saveexec_b64 s[10:11], s[0:1]
; %bb.23:
	ds_read_b32 v2, v5 offset:264
; %bb.24:
	s_or_b64 exec, exec, s[10:11]
	s_waitcnt lgkmcnt(0)
	ds_bpermute_b32 v3, v34, v2
	v_lshlrev_b32_e32 v4, 2, v22
	s_waitcnt lgkmcnt(0)
	v_add_f32_e32 v2, v2, v3
	v_and_b32_e32 v3, 0xffffff00, v4
	ds_bpermute_b32 v2, v3, v2
	s_and_saveexec_b64 s[0:1], s[6:7]
	s_cbranch_execz .LBB28_37
; %bb.25:
	s_waitcnt lgkmcnt(0)
	v_add_f32_e32 v2, 0x358637bd, v2
	v_div_scale_f32 v3, s[6:7], v2, v2, 1.0
	v_rcp_f32_e32 v4, v3
	v_div_scale_f32 v5, vcc, 1.0, v2, 1.0
	s_movk_i32 s6, 0x7f
	v_fma_f32 v6, -v3, v4, 1.0
	v_fmac_f32_e32 v4, v6, v4
	v_mul_f32_e32 v6, v5, v4
	v_fma_f32 v7, -v3, v6, v5
	v_fmac_f32_e32 v6, v7, v4
	v_fma_f32 v3, -v3, v6, v5
	v_div_fmas_f32 v3, v3, v4, v6
	v_xad_u32 v4, v0, -1, s15
	v_div_fixup_f32 v2, v3, v2, 1.0
	v_cmp_lt_u32_e32 vcc, s6, v4
	s_mov_b64 s[10:11], -1
	v_mov_b32_e32 v3, v0
	s_and_saveexec_b64 s[6:7], vcc
	s_cbranch_execz .LBB28_34
; %bb.26:
	v_lshrrev_b32_e32 v4, 7, v4
	v_add_u32_e32 v6, -1, v4
	v_lshrrev_b32_e32 v5, 1, v6
	v_mov_b32_e32 v3, v2
	v_add_u32_e32 v5, 1, v5
	v_cmp_lt_u32_e32 vcc, 13, v6
	v_mov_b32_e32 v8, 0
	s_and_saveexec_b64 s[10:11], vcc
	s_cbranch_execz .LBB28_30
; %bb.27:
	v_mov_b32_e32 v7, 0x110
	v_and_b32_e32 v6, -8, v5
	v_lshl_add_u32 v7, v0, 2, v7
	s_mov_b32 s30, 0
	s_mov_b64 s[28:29], 0
.LBB28_28:                              ; =>This Inner Loop Header: Depth=1
	ds_read2st64_b32 v[8:9], v7 offset1:2
	ds_read2st64_b32 v[10:11], v7 offset0:4 offset1:6
	ds_read2st64_b32 v[12:13], v7 offset0:8 offset1:10
	;; [unrolled: 1-line block ×3, first 2 shown]
	v_add_u32_e32 v6, -8, v6
	s_waitcnt lgkmcnt(3)
	v_pk_mul_f32 v[8:9], v[2:3], v[8:9]
	s_waitcnt lgkmcnt(2)
	v_pk_mul_f32 v[10:11], v[2:3], v[10:11]
	ds_write2st64_b32 v7, v8, v9 offset1:2
	ds_write2st64_b32 v7, v10, v11 offset0:4 offset1:6
	ds_read2st64_b32 v[10:11], v7 offset0:16 offset1:18
	s_waitcnt lgkmcnt(4)
	v_pk_mul_f32 v[8:9], v[2:3], v[12:13]
	ds_write2st64_b32 v7, v8, v9 offset0:8 offset1:10
	s_waitcnt lgkmcnt(4)
	v_pk_mul_f32 v[8:9], v[2:3], v[14:15]
	ds_write2st64_b32 v7, v8, v9 offset0:12 offset1:14
	ds_read2st64_b32 v[8:9], v7 offset0:20 offset1:22
	s_waitcnt lgkmcnt(3)
	v_pk_mul_f32 v[10:11], v[2:3], v[10:11]
	ds_read2st64_b32 v[12:13], v7 offset0:24 offset1:26
	ds_write2st64_b32 v7, v10, v11 offset0:16 offset1:18
	ds_read2st64_b32 v[10:11], v7 offset0:28 offset1:30
	s_waitcnt lgkmcnt(3)
	v_pk_mul_f32 v[8:9], v[2:3], v[8:9]
	ds_write2st64_b32 v7, v8, v9 offset0:20 offset1:22
	s_waitcnt lgkmcnt(3)
	v_pk_mul_f32 v[8:9], v[2:3], v[12:13]
	ds_write2st64_b32 v7, v8, v9 offset0:24 offset1:26
	s_waitcnt lgkmcnt(2)
	v_pk_mul_f32 v[8:9], v[2:3], v[10:11]
	s_add_i32 s30, s30, 16
	v_cmp_eq_u32_e32 vcc, 0, v6
	ds_write2st64_b32 v7, v8, v9 offset0:28 offset1:30
	v_add_u32_e32 v7, 0x2000, v7
	s_or_b64 s[28:29], vcc, s[28:29]
	v_mov_b32_e32 v8, s30
	s_andn2_b64 exec, exec, s[28:29]
	s_cbranch_execnz .LBB28_28
; %bb.29:
	s_or_b64 exec, exec, s[28:29]
.LBB28_30:
	s_or_b64 exec, exec, s[10:11]
	v_and_b32_e32 v5, 7, v5
	v_cmp_ne_u32_e32 vcc, 0, v5
	s_and_saveexec_b64 s[10:11], vcc
	s_cbranch_execz .LBB28_33
; %bb.31:
	v_lshlrev_b32_e32 v6, 9, v8
	s_movk_i32 s28, 0x110
	v_add3_u32 v6, v6, v26, s28
	s_mov_b64 s[28:29], 0
.LBB28_32:                              ; =>This Inner Loop Header: Depth=1
	ds_read2st64_b32 v[8:9], v6 offset1:2
	v_add_u32_e32 v5, -1, v5
	v_cmp_eq_u32_e32 vcc, 0, v5
	s_or_b64 s[28:29], vcc, s[28:29]
	s_waitcnt lgkmcnt(0)
	v_pk_mul_f32 v[8:9], v[2:3], v[8:9]
	ds_write2st64_b32 v6, v8, v9 offset1:2
	v_add_u32_e32 v6, 0x400, v6
	s_andn2_b64 exec, exec, s[28:29]
	s_cbranch_execnz .LBB28_32
.LBB28_33:
	s_or_b64 exec, exec, s[10:11]
	v_add_u32_e32 v4, 1, v4
	v_and_b32_e32 v5, 0x3fffffe, v4
	v_cmp_ne_u32_e32 vcc, v4, v5
	v_lshl_add_u32 v3, v5, 7, v0
	s_orn2_b64 s[10:11], vcc, exec
.LBB28_34:
	s_or_b64 exec, exec, s[6:7]
	s_and_b64 exec, exec, s[10:11]
	s_cbranch_execz .LBB28_37
; %bb.35:
	v_mov_b32_e32 v4, 0x110
	v_lshl_add_u32 v4, v3, 2, v4
	s_mov_b64 s[6:7], 0
.LBB28_36:                              ; =>This Inner Loop Header: Depth=1
	ds_read_b32 v5, v4
	v_add_u32_e32 v3, 0x80, v3
	v_cmp_le_i32_e32 vcc, s15, v3
	s_or_b64 s[6:7], vcc, s[6:7]
	s_waitcnt lgkmcnt(0)
	v_mul_f32_e32 v5, v2, v5
	ds_write_b32 v4, v5
	v_add_u32_e32 v4, 0x200, v4
	s_andn2_b64 exec, exec, s[6:7]
	s_cbranch_execnz .LBB28_36
.LBB28_37:
	s_or_b64 exec, exec, s[0:1]
	v_mov_b32_e32 v23, 0
	v_mov_b32_e32 v22, 0
	;; [unrolled: 1-line block ×4, first 2 shown]
	s_waitcnt lgkmcnt(0)
	s_barrier
	s_and_saveexec_b64 s[6:7], s[2:3]
	s_cbranch_execz .LBB28_49
; %bb.38:
	s_ashr_i32 s15, s14, 31
	s_lshl_b64 s[0:1], s[14:15], 2
	s_add_u32 s0, s26, s0
	v_lshlrev_b32_e32 v3, 4, v0
	s_addc_u32 s1, s27, s1
	v_and_b32_e32 v22, 0x3f0, v3
	v_mov_b32_e32 v23, 0
	v_and_b32_e32 v2, 12, v26
	s_add_i32 s14, s19, -1
	v_lshl_add_u64 v[26:27], s[0:1], 0, v[22:23]
	s_lshl_b64 s[0:1], s[24:25], 2
	v_lshl_or_b32 v36, v1, 4, v2
	v_lshlrev_b32_e32 v2, 4, v32
	s_add_u32 s0, s22, s0
	v_lshl_or_b32 v2, v1, 6, v2
	v_and_b32_e32 v22, 60, v28
	s_addc_u32 s1, s23, s1
	s_mov_b32 s15, s17
	v_add_u32_e32 v37, 0x110, v2
	v_lshl_add_u64 v[28:29], s[0:1], 0, v[22:23]
	s_mov_b64 s[2:3], 0
	v_mov_b32_e32 v22, v23
	v_mov_b32_e32 v25, v23
	;; [unrolled: 1-line block ×3, first 2 shown]
	s_branch .LBB28_40
.LBB28_39:                              ;   in Loop: Header=BB28_40 Depth=1
	s_or_b64 exec, exec, s[0:1]
	s_waitcnt vmcnt(1) lgkmcnt(0)
	v_mul_f32_e32 v14, v2, v14
	v_mul_f32_e32 v10, v2, v10
	;; [unrolled: 1-line block ×3, first 2 shown]
	v_fmac_f32_e32 v14, v3, v15
	v_fmac_f32_e32 v10, v3, v11
	;; [unrolled: 1-line block ×6, first 2 shown]
	s_waitcnt vmcnt(0)
	v_pk_mul_f32 v[2:3], v[2:3], v[18:19]
	v_fmac_f32_e32 v14, v5, v17
	v_fmac_f32_e32 v10, v5, v13
	;; [unrolled: 1-line block ×3, first 2 shown]
	v_pk_mul_f32 v[4:5], v[4:5], v[20:21]
	v_add_f32_e32 v2, v3, v2
	v_add_f32_e32 v2, v4, v2
	v_add_u32_e32 v1, 2, v1
	v_add_f32_e32 v2, v5, v2
	v_cmp_le_i32_e32 vcc, s19, v1
	v_add_f32_e32 v22, v22, v14
	v_add_f32_e32 v25, v25, v10
	;; [unrolled: 1-line block ×4, first 2 shown]
	v_add_u32_e32 v36, 32, v36
	v_add_u32_e32 v37, 0x80, v37
	s_or_b64 s[2:3], vcc, s[2:3]
	v_lshl_add_u64 v[28:29], v[28:29], 0, 8
	s_andn2_b64 exec, exec, s[2:3]
	s_cbranch_execz .LBB28_48
.LBB28_40:                              ; =>This Inner Loop Header: Depth=1
	global_load_dword v2, v[28:29], off
	v_cmp_eq_u32_e32 vcc, s14, v1
	v_add_u32_e32 v40, 1, v36
	v_or_b32_e32 v39, 3, v36
	v_or_b32_e32 v38, 2, v36
	s_waitcnt vmcnt(0)
	v_mad_i64_i32 v[2:3], s[0:1], v2, s13, 0
	v_lshl_add_u64 v[18:19], v[2:3], 2, v[26:27]
	global_load_dwordx4 v[6:9], v[18:19], off
	ds_read_b128 v[2:5], v37
	s_and_saveexec_b64 s[10:11], vcc
	s_cbranch_execnz .LBB28_44
; %bb.41:                               ;   in Loop: Header=BB28_40 Depth=1
	s_or_b64 exec, exec, s[10:11]
	global_load_dwordx4 v[10:13], v[18:19], off offset:1024
	s_and_saveexec_b64 s[10:11], vcc
	s_cbranch_execnz .LBB28_45
.LBB28_42:                              ;   in Loop: Header=BB28_40 Depth=1
	s_or_b64 exec, exec, s[10:11]
	global_load_dwordx4 v[14:17], v[18:19], off offset:2048
	s_and_saveexec_b64 s[10:11], vcc
	s_cbranch_execnz .LBB28_46
.LBB28_43:                              ;   in Loop: Header=BB28_40 Depth=1
	s_or_b64 exec, exec, s[10:11]
	global_load_dwordx4 v[18:21], v[18:19], off offset:3072
	s_and_saveexec_b64 s[0:1], vcc
	s_cbranch_execz .LBB28_39
	s_branch .LBB28_47
.LBB28_44:                              ;   in Loop: Header=BB28_40 Depth=1
	v_cmp_gt_i32_e64 s[0:1], s15, v40
	s_waitcnt vmcnt(0)
	s_nop 0
	v_cndmask_b32_e64 v7, 0, v7, s[0:1]
	v_cmp_gt_i32_e64 s[0:1], s17, v36
	s_nop 1
	v_cndmask_b32_e64 v6, 0, v6, s[0:1]
	v_cmp_gt_i32_e64 s[0:1], s15, v39
	s_nop 1
	v_cndmask_b32_e64 v9, 0, v9, s[0:1]
	v_cmp_gt_i32_e64 s[0:1], s17, v38
	s_nop 1
	v_cndmask_b32_e64 v8, 0, v8, s[0:1]
	s_or_b64 exec, exec, s[10:11]
	global_load_dwordx4 v[10:13], v[18:19], off offset:1024
	s_and_saveexec_b64 s[10:11], vcc
	s_cbranch_execz .LBB28_42
.LBB28_45:                              ;   in Loop: Header=BB28_40 Depth=1
	v_cmp_gt_i32_e64 s[0:1], s15, v40
	s_waitcnt vmcnt(0)
	s_nop 0
	v_cndmask_b32_e64 v11, 0, v11, s[0:1]
	v_cmp_gt_i32_e64 s[0:1], s17, v36
	s_nop 1
	v_cndmask_b32_e64 v10, 0, v10, s[0:1]
	v_cmp_gt_i32_e64 s[0:1], s15, v39
	;; [unrolled: 3-line block ×3, first 2 shown]
	s_nop 1
	v_cndmask_b32_e64 v12, 0, v12, s[0:1]
	s_or_b64 exec, exec, s[10:11]
	global_load_dwordx4 v[14:17], v[18:19], off offset:2048
	s_and_saveexec_b64 s[10:11], vcc
	s_cbranch_execz .LBB28_43
.LBB28_46:                              ;   in Loop: Header=BB28_40 Depth=1
	v_cmp_gt_i32_e64 s[0:1], s15, v40
	s_waitcnt vmcnt(0)
	s_nop 0
	v_cndmask_b32_e64 v15, 0, v15, s[0:1]
	v_cmp_gt_i32_e64 s[0:1], s17, v36
	s_nop 1
	v_cndmask_b32_e64 v14, 0, v14, s[0:1]
	v_cmp_gt_i32_e64 s[0:1], s15, v39
	;; [unrolled: 3-line block ×3, first 2 shown]
	s_nop 1
	v_cndmask_b32_e64 v16, 0, v16, s[0:1]
	s_or_b64 exec, exec, s[10:11]
	global_load_dwordx4 v[18:21], v[18:19], off offset:3072
	s_and_saveexec_b64 s[0:1], vcc
	s_cbranch_execz .LBB28_39
.LBB28_47:                              ;   in Loop: Header=BB28_40 Depth=1
	v_cmp_gt_i32_e32 vcc, s15, v40
	s_waitcnt vmcnt(0)
	s_nop 0
	v_cndmask_b32_e32 v19, 0, v19, vcc
	v_cmp_gt_i32_e32 vcc, s17, v36
	s_nop 1
	v_cndmask_b32_e32 v18, 0, v18, vcc
	v_cmp_gt_i32_e32 vcc, s15, v39
	;; [unrolled: 3-line block ×3, first 2 shown]
	s_nop 1
	v_cndmask_b32_e32 v20, 0, v20, vcc
	s_branch .LBB28_39
.LBB28_48:
	s_or_b64 exec, exec, s[2:3]
.LBB28_49:
	s_or_b64 exec, exec, s[6:7]
	ds_bpermute_b32 v2, v35, v24
	ds_bpermute_b32 v3, v35, v25
	;; [unrolled: 1-line block ×4, first 2 shown]
	s_waitcnt lgkmcnt(0)
	s_barrier
	v_pk_add_f32 v[2:3], v[24:25], v[2:3]
	ds_bpermute_b32 v8, v34, v2
	ds_bpermute_b32 v9, v34, v3
	v_pk_add_f32 v[4:5], v[22:23], v[4:5]
	ds_bpermute_b32 v6, v34, v4
	ds_bpermute_b32 v7, v34, v5
	s_waitcnt lgkmcnt(0)
	v_pk_add_f32 v[2:3], v[2:3], v[8:9]
	v_and_b32_e32 v8, 0x3c3, v0
	v_cmp_ne_u32_e32 vcc, 64, v8
	s_and_saveexec_b64 s[0:1], vcc
	s_xor_b64 s[0:1], exec, s[0:1]
; %bb.50:
                                        ; implicit-def: $vgpr33
; %bb.51:
	s_or_saveexec_b64 s[0:1], s[0:1]
	v_pk_add_f32 v[0:1], v[4:5], v[6:7]
	s_xor_b64 exec, exec, s[0:1]
	s_cbranch_execz .LBB28_53
; %bb.52:
	v_add_u32_e32 v4, 0x110, v33
	ds_write2_b32 v4, v2, v3 offset1:16
	ds_write2_b32 v4, v0, v1 offset0:32 offset1:48
.LBB28_53:
	s_or_b64 exec, exec, s[0:1]
	s_waitcnt lgkmcnt(0)
	s_barrier
	s_and_saveexec_b64 s[0:1], s[8:9]
	s_cbranch_execz .LBB28_60
; %bb.54:
	v_mov_b32_e32 v4, 0x110
	v_cmp_eq_u32_e32 vcc, 0, v32
	v_lshl_add_u32 v4, v31, 2, v4
	s_and_saveexec_b64 s[2:3], vcc
	s_cbranch_execnz .LBB28_63
; %bb.55:
	s_or_b64 exec, exec, s[2:3]
	s_and_saveexec_b64 s[2:3], vcc
	s_cbranch_execnz .LBB28_64
.LBB28_56:
	s_or_b64 exec, exec, s[2:3]
	s_and_saveexec_b64 s[2:3], vcc
	s_cbranch_execnz .LBB28_65
.LBB28_57:
	s_or_b64 exec, exec, s[2:3]
	s_and_saveexec_b64 s[2:3], vcc
	s_cbranch_execz .LBB28_59
.LBB28_58:
	ds_read_b32 v4, v4 offset:192
	s_waitcnt lgkmcnt(0)
	v_add_f32_e32 v1, v1, v4
.LBB28_59:
	s_or_b64 exec, exec, s[2:3]
.LBB28_60:
	s_or_b64 exec, exec, s[0:1]
	v_cmp_eq_u32_e32 vcc, 0, v8
	s_barrier
	s_and_saveexec_b64 s[0:1], vcc
	s_cbranch_execz .LBB28_62
; %bb.61:
	s_mul_i32 s0, s16, s12
	s_mul_i32 s0, s0, s5
	s_lshl_b32 s0, s0, 6
	s_ashr_i32 s1, s0, 31
	s_lshl_b64 s[0:1], s[0:1], 2
	s_add_u32 s2, s20, s0
	s_mul_i32 s0, s12, s18
	s_addc_u32 s3, s21, s1
	s_ashr_i32 s1, s0, 31
	s_lshl_b64 s[0:1], s[0:1], 2
	s_add_u32 s2, s2, s0
	s_addc_u32 s3, s3, s1
	s_lshl_b32 s0, s4, 6
	s_ashr_i32 s1, s0, 31
	s_lshl_b64 s[0:1], s[0:1], 2
	s_add_u32 s0, s2, s0
	s_addc_u32 s1, s3, s1
	global_store_dword v30, v2, s[0:1]
	global_store_dword v30, v3, s[0:1] offset:64
	global_store_dword v30, v0, s[0:1] offset:128
	;; [unrolled: 1-line block ×3, first 2 shown]
.LBB28_62:
	s_endpgm
.LBB28_63:
	ds_read_b32 v5, v4
	s_waitcnt lgkmcnt(0)
	v_add_f32_e32 v2, v2, v5
	s_or_b64 exec, exec, s[2:3]
	s_and_saveexec_b64 s[2:3], vcc
	s_cbranch_execz .LBB28_56
.LBB28_64:
	ds_read_b32 v5, v4 offset:64
	s_waitcnt lgkmcnt(0)
	v_add_f32_e32 v3, v3, v5
	s_or_b64 exec, exec, s[2:3]
	s_and_saveexec_b64 s[2:3], vcc
	s_cbranch_execz .LBB28_57
.LBB28_65:
	ds_read_b32 v5, v4 offset:128
	s_waitcnt lgkmcnt(0)
	v_add_f32_e32 v0, v0, v5
	s_or_b64 exec, exec, s[2:3]
	s_and_saveexec_b64 s[2:3], vcc
	s_cbranch_execnz .LBB28_58
	s_branch .LBB28_59
	.section	.rodata,"a",@progbits
	.p2align	6, 0x0
	.amdhsa_kernel _ZN4vllm25paged_attention_v1_kernelIffLi64ELi16ELi128ELNS_18Fp8KVCacheDataTypeE0ELb0EEEvPT_PKS2_PKT0_S8_ifPKiSA_iPKfiiiSC_SC_iiiii
		.amdhsa_group_segment_fixed_size 272
		.amdhsa_private_segment_fixed_size 0
		.amdhsa_kernarg_size 384
		.amdhsa_user_sgpr_count 2
		.amdhsa_user_sgpr_dispatch_ptr 0
		.amdhsa_user_sgpr_queue_ptr 0
		.amdhsa_user_sgpr_kernarg_segment_ptr 1
		.amdhsa_user_sgpr_dispatch_id 0
		.amdhsa_user_sgpr_kernarg_preload_length 0
		.amdhsa_user_sgpr_kernarg_preload_offset 0
		.amdhsa_user_sgpr_private_segment_size 0
		.amdhsa_uses_dynamic_stack 0
		.amdhsa_enable_private_segment 0
		.amdhsa_system_sgpr_workgroup_id_x 1
		.amdhsa_system_sgpr_workgroup_id_y 1
		.amdhsa_system_sgpr_workgroup_id_z 1
		.amdhsa_system_sgpr_workgroup_info 0
		.amdhsa_system_vgpr_workitem_id 0
		.amdhsa_next_free_vgpr 53
		.amdhsa_next_free_sgpr 36
		.amdhsa_accum_offset 56
		.amdhsa_reserve_vcc 1
		.amdhsa_float_round_mode_32 0
		.amdhsa_float_round_mode_16_64 0
		.amdhsa_float_denorm_mode_32 3
		.amdhsa_float_denorm_mode_16_64 3
		.amdhsa_dx10_clamp 1
		.amdhsa_ieee_mode 1
		.amdhsa_fp16_overflow 0
		.amdhsa_tg_split 0
		.amdhsa_exception_fp_ieee_invalid_op 0
		.amdhsa_exception_fp_denorm_src 0
		.amdhsa_exception_fp_ieee_div_zero 0
		.amdhsa_exception_fp_ieee_overflow 0
		.amdhsa_exception_fp_ieee_underflow 0
		.amdhsa_exception_fp_ieee_inexact 0
		.amdhsa_exception_int_div_zero 0
	.end_amdhsa_kernel
	.section	.text._ZN4vllm25paged_attention_v1_kernelIffLi64ELi16ELi128ELNS_18Fp8KVCacheDataTypeE0ELb0EEEvPT_PKS2_PKT0_S8_ifPKiSA_iPKfiiiSC_SC_iiiii,"axG",@progbits,_ZN4vllm25paged_attention_v1_kernelIffLi64ELi16ELi128ELNS_18Fp8KVCacheDataTypeE0ELb0EEEvPT_PKS2_PKT0_S8_ifPKiSA_iPKfiiiSC_SC_iiiii,comdat
.Lfunc_end28:
	.size	_ZN4vllm25paged_attention_v1_kernelIffLi64ELi16ELi128ELNS_18Fp8KVCacheDataTypeE0ELb0EEEvPT_PKS2_PKT0_S8_ifPKiSA_iPKfiiiSC_SC_iiiii, .Lfunc_end28-_ZN4vllm25paged_attention_v1_kernelIffLi64ELi16ELi128ELNS_18Fp8KVCacheDataTypeE0ELb0EEEvPT_PKS2_PKT0_S8_ifPKiSA_iPKfiiiSC_SC_iiiii
                                        ; -- End function
	.set _ZN4vllm25paged_attention_v1_kernelIffLi64ELi16ELi128ELNS_18Fp8KVCacheDataTypeE0ELb0EEEvPT_PKS2_PKT0_S8_ifPKiSA_iPKfiiiSC_SC_iiiii.num_vgpr, 53
	.set _ZN4vllm25paged_attention_v1_kernelIffLi64ELi16ELi128ELNS_18Fp8KVCacheDataTypeE0ELb0EEEvPT_PKS2_PKT0_S8_ifPKiSA_iPKfiiiSC_SC_iiiii.num_agpr, 0
	.set _ZN4vllm25paged_attention_v1_kernelIffLi64ELi16ELi128ELNS_18Fp8KVCacheDataTypeE0ELb0EEEvPT_PKS2_PKT0_S8_ifPKiSA_iPKfiiiSC_SC_iiiii.numbered_sgpr, 36
	.set _ZN4vllm25paged_attention_v1_kernelIffLi64ELi16ELi128ELNS_18Fp8KVCacheDataTypeE0ELb0EEEvPT_PKS2_PKT0_S8_ifPKiSA_iPKfiiiSC_SC_iiiii.num_named_barrier, 0
	.set _ZN4vllm25paged_attention_v1_kernelIffLi64ELi16ELi128ELNS_18Fp8KVCacheDataTypeE0ELb0EEEvPT_PKS2_PKT0_S8_ifPKiSA_iPKfiiiSC_SC_iiiii.private_seg_size, 0
	.set _ZN4vllm25paged_attention_v1_kernelIffLi64ELi16ELi128ELNS_18Fp8KVCacheDataTypeE0ELb0EEEvPT_PKS2_PKT0_S8_ifPKiSA_iPKfiiiSC_SC_iiiii.uses_vcc, 1
	.set _ZN4vllm25paged_attention_v1_kernelIffLi64ELi16ELi128ELNS_18Fp8KVCacheDataTypeE0ELb0EEEvPT_PKS2_PKT0_S8_ifPKiSA_iPKfiiiSC_SC_iiiii.uses_flat_scratch, 0
	.set _ZN4vllm25paged_attention_v1_kernelIffLi64ELi16ELi128ELNS_18Fp8KVCacheDataTypeE0ELb0EEEvPT_PKS2_PKT0_S8_ifPKiSA_iPKfiiiSC_SC_iiiii.has_dyn_sized_stack, 0
	.set _ZN4vllm25paged_attention_v1_kernelIffLi64ELi16ELi128ELNS_18Fp8KVCacheDataTypeE0ELb0EEEvPT_PKS2_PKT0_S8_ifPKiSA_iPKfiiiSC_SC_iiiii.has_recursion, 0
	.set _ZN4vllm25paged_attention_v1_kernelIffLi64ELi16ELi128ELNS_18Fp8KVCacheDataTypeE0ELb0EEEvPT_PKS2_PKT0_S8_ifPKiSA_iPKfiiiSC_SC_iiiii.has_indirect_call, 0
	.section	.AMDGPU.csdata,"",@progbits
; Kernel info:
; codeLenInByte = 3900
; TotalNumSgprs: 42
; NumVgprs: 53
; NumAgprs: 0
; TotalNumVgprs: 53
; ScratchSize: 0
; MemoryBound: 0
; FloatMode: 240
; IeeeMode: 1
; LDSByteSize: 272 bytes/workgroup (compile time only)
; SGPRBlocks: 5
; VGPRBlocks: 6
; NumSGPRsForWavesPerEU: 42
; NumVGPRsForWavesPerEU: 53
; AccumOffset: 56
; Occupancy: 8
; WaveLimiterHint : 1
; COMPUTE_PGM_RSRC2:SCRATCH_EN: 0
; COMPUTE_PGM_RSRC2:USER_SGPR: 2
; COMPUTE_PGM_RSRC2:TRAP_HANDLER: 0
; COMPUTE_PGM_RSRC2:TGID_X_EN: 1
; COMPUTE_PGM_RSRC2:TGID_Y_EN: 1
; COMPUTE_PGM_RSRC2:TGID_Z_EN: 1
; COMPUTE_PGM_RSRC2:TIDIG_COMP_CNT: 0
; COMPUTE_PGM_RSRC3_GFX90A:ACCUM_OFFSET: 13
; COMPUTE_PGM_RSRC3_GFX90A:TG_SPLIT: 0
	.section	.text._ZN4vllm25paged_attention_v1_kernelIffLi80ELi16ELi128ELNS_18Fp8KVCacheDataTypeE0ELb0EEEvPT_PKS2_PKT0_S8_ifPKiSA_iPKfiiiSC_SC_iiiii,"axG",@progbits,_ZN4vllm25paged_attention_v1_kernelIffLi80ELi16ELi128ELNS_18Fp8KVCacheDataTypeE0ELb0EEEvPT_PKS2_PKT0_S8_ifPKiSA_iPKfiiiSC_SC_iiiii,comdat
	.protected	_ZN4vllm25paged_attention_v1_kernelIffLi80ELi16ELi128ELNS_18Fp8KVCacheDataTypeE0ELb0EEEvPT_PKS2_PKT0_S8_ifPKiSA_iPKfiiiSC_SC_iiiii ; -- Begin function _ZN4vllm25paged_attention_v1_kernelIffLi80ELi16ELi128ELNS_18Fp8KVCacheDataTypeE0ELb0EEEvPT_PKS2_PKT0_S8_ifPKiSA_iPKfiiiSC_SC_iiiii
	.globl	_ZN4vllm25paged_attention_v1_kernelIffLi80ELi16ELi128ELNS_18Fp8KVCacheDataTypeE0ELb0EEEvPT_PKS2_PKT0_S8_ifPKiSA_iPKfiiiSC_SC_iiiii
	.p2align	8
	.type	_ZN4vllm25paged_attention_v1_kernelIffLi80ELi16ELi128ELNS_18Fp8KVCacheDataTypeE0ELb0EEEvPT_PKS2_PKT0_S8_ifPKiSA_iPKfiiiSC_SC_iiiii,@function
_ZN4vllm25paged_attention_v1_kernelIffLi80ELi16ELi128ELNS_18Fp8KVCacheDataTypeE0ELb0EEEvPT_PKS2_PKT0_S8_ifPKiSA_iPKfiiiSC_SC_iiiii: ; @_ZN4vllm25paged_attention_v1_kernelIffLi80ELi16ELi128ELNS_18Fp8KVCacheDataTypeE0ELb0EEEvPT_PKS2_PKT0_S8_ifPKiSA_iPKfiiiSC_SC_iiiii
; %bb.0:
	s_load_dword s5, s[0:1], 0x80
	s_load_dwordx2 s[6:7], s[0:1], 0x30
	s_load_dwordx2 s[8:9], s[0:1], 0x20
	s_mov_b32 s10, s3
	s_ashr_i32 s11, s3, 31
	s_lshl_b64 s[12:13], s[10:11], 2
	s_waitcnt lgkmcnt(0)
	s_add_u32 s6, s6, s12
	s_addc_u32 s7, s7, s13
	s_abs_i32 s3, s8
	v_cvt_f32_u32_e32 v1, s3
	s_sub_i32 s12, 0, s3
	s_abs_i32 s11, s5
	s_xor_b32 s8, s5, s8
	v_rcp_iflag_f32_e32 v1, v1
	s_ashr_i32 s8, s8, 31
	v_mul_f32_e32 v1, 0x4f7ffffe, v1
	v_cvt_u32_f32_e32 v1, v1
	s_nop 0
	v_readfirstlane_b32 s13, v1
	s_mul_i32 s12, s12, s13
	s_mul_hi_u32 s12, s13, s12
	s_add_i32 s13, s13, s12
	s_mul_hi_u32 s12, s11, s13
	s_mul_i32 s13, s12, s3
	s_sub_i32 s11, s11, s13
	s_add_i32 s13, s12, 1
	s_sub_i32 s14, s11, s3
	s_cmp_ge_u32 s11, s3
	s_cselect_b32 s12, s13, s12
	s_cselect_b32 s11, s14, s11
	s_add_i32 s13, s12, 1
	s_cmp_ge_u32 s11, s3
	s_cselect_b32 s3, s13, s12
	s_xor_b32 s3, s3, s8
	s_sub_i32 s14, s3, s8
	s_abs_i32 s11, s14
	v_cvt_f32_u32_e32 v1, s11
	s_load_dwordx2 s[12:13], s[0:1], 0x40
	s_sub_i32 s3, 0, s11
	s_abs_i32 s18, s2
	v_rcp_iflag_f32_e32 v1, v1
	s_mov_b32 s8, 0
	v_mul_f32_e32 v1, 0x4f7ffffe, v1
	v_cvt_u32_f32_e32 v1, v1
	s_nop 0
	v_readfirstlane_b32 s15, v1
	s_mul_i32 s3, s3, s15
	s_mul_hi_u32 s3, s15, s3
	s_add_i32 s15, s15, s3
	s_waitcnt lgkmcnt(0)
	s_cmp_eq_u64 s[12:13], 0
	s_mul_hi_u32 s19, s18, s15
	s_cbranch_scc1 .LBB29_2
; %bb.1:
	s_ashr_i32 s3, s2, 31
	s_lshl_b64 s[16:17], s[2:3], 2
	s_add_u32 s12, s12, s16
	s_addc_u32 s13, s13, s17
	s_load_dword s8, s[12:13], 0x0
.LBB29_2:
	s_load_dword s33, s[6:7], 0x0
	s_ashr_i32 s7, s14, 31
	s_load_dwordx4 s[12:15], s[0:1], 0x48
	v_lshrrev_b32_e32 v36, 2, v0
	s_waitcnt lgkmcnt(0)
	s_movk_i32 s15, 0x50
	s_ashr_i32 s6, s2, 31
	v_and_b32_e32 v37, 3, v0
	s_mul_i32 s16, s2, 0x50
	v_cmp_gt_u32_e32 vcc, s15, v0
	v_lshlrev_b32_e32 v26, 2, v0
	v_lshlrev_b32_e32 v1, 2, v36
	s_and_saveexec_b64 s[2:3], vcc
	s_cbranch_execz .LBB29_4
; %bb.3:
	s_load_dwordx2 s[20:21], s[0:1], 0x8
	s_mul_i32 s22, s12, s10
	s_ashr_i32 s23, s22, 31
	s_lshl_b64 s[22:23], s[22:23], 2
	v_mad_u32_u24 v3, v37, s15, v1
	s_waitcnt lgkmcnt(0)
	s_add_u32 s12, s20, s22
	s_addc_u32 s22, s21, s23
	s_ashr_i32 s17, s16, 31
	s_lshl_b64 s[20:21], s[16:17], 2
	s_add_u32 s20, s12, s20
	s_addc_u32 s21, s22, s21
	global_load_dword v2, v26, s[20:21]
	s_waitcnt vmcnt(0)
	ds_write_b32 v3, v2
.LBB29_4:
	s_or_b64 exec, exec, s[2:3]
	s_add_i32 s3, s33, 15
	s_ashr_i32 s12, s3, 31
	s_lshr_b32 s12, s12, 28
	s_add_i32 s3, s3, s12
	s_ashr_i32 s12, s3, 4
	s_xor_b32 s3, s6, s7
	s_mul_i32 s6, s19, s11
	s_sub_i32 s6, s18, s6
	s_add_i32 s7, s19, 1
	s_sub_i32 s15, s6, s11
	s_load_dwordx2 s[20:21], s[0:1], 0x28
	s_load_dword s2, s[0:1], 0x38
	s_cmp_ge_u32 s6, s11
	s_cselect_b32 s7, s7, s19
	s_cselect_b32 s6, s15, s6
	s_add_i32 s15, s7, 1
	s_cmp_ge_u32 s6, s11
	s_cselect_b32 s6, s15, s7
	v_lshrrev_b32_e32 v38, 6, v0
	s_xor_b32 s6, s6, s3
	s_waitcnt lgkmcnt(0)
	s_mul_i32 s22, s2, s10
	s_sub_i32 s15, s6, s3
	s_ashr_i32 s23, s22, 31
	v_cmp_gt_i32_e64 s[2:3], s12, v38
	v_cmp_le_i32_e32 vcc, s12, v38
	v_mbcnt_lo_u32_b32 v24, -1, 0
	s_barrier
                                        ; implicit-def: $vgpr27
                                        ; implicit-def: $vgpr29
                                        ; implicit-def: $vgpr28
	s_and_saveexec_b64 s[6:7], vcc
	s_xor_b64 s[6:7], exec, s[6:7]
; %bb.5:
	v_mbcnt_hi_u32_b32 v27, -1, v24
	v_and_b32_e32 v29, 64, v27
	v_add_u32_e32 v28, 64, v29
                                        ; implicit-def: $vgpr24
; %bb.6:
	s_or_saveexec_b64 s[26:27], s[6:7]
	s_load_dwordx2 s[18:19], s[0:1], 0x0
	s_load_dwordx2 s[24:25], s[0:1], 0x18
	s_load_dword s11, s[0:1], 0x88
	v_mov_b32_e32 v30, 0xff7fffff
	s_mul_i32 s14, s15, s14
	v_lshrrev_b32_e32 v34, 4, v0
	s_xor_b64 exec, exec, s[26:27]
	s_cbranch_execz .LBB29_12
; %bb.7:
	s_load_dwordx2 s[0:1], s[0:1], 0x10
	s_ashr_i32 s15, s14, 31
	s_lshl_b64 s[6:7], s[14:15], 2
	v_bfe_u32 v25, v0, 2, 4
	v_lshlrev_b32_e32 v40, 4, v25
	s_waitcnt lgkmcnt(0)
	s_add_u32 s0, s0, s6
	s_addc_u32 s1, s1, s7
	v_mov_b32_e32 v41, 0
	v_mbcnt_hi_u32_b32 v27, -1, v24
	v_lshl_add_u64 v[2:3], s[0:1], 0, v[40:41]
	v_lshlrev_b32_e32 v40, 2, v37
	v_mul_u32_u24_e32 v18, 0x50, v37
	v_and_b32_e32 v29, 64, v27
	v_lshl_add_u64 v[22:23], v[2:3], 0, v[40:41]
	ds_read_b128 v[2:5], v18
	ds_read_b128 v[6:9], v18 offset:16
	ds_read_b128 v[10:13], v18 offset:32
	;; [unrolled: 1-line block ×4, first 2 shown]
	v_add_u32_e32 v28, 64, v29
	v_xor_b32_e32 v24, 2, v27
	v_cmp_lt_i32_e32 vcc, v24, v28
	s_sub_i32 s15, 1, s33
	s_lshl_b64 s[6:7], s[22:23], 2
	v_cndmask_b32_e32 v24, v27, v24, vcc
	v_lshlrev_b32_e32 v31, 2, v24
	v_xor_b32_e32 v24, 1, v27
	v_cmp_lt_i32_e32 vcc, v24, v28
	v_lshlrev_b32_e32 v30, 2, v25
	s_add_u32 s6, s20, s6
	v_cndmask_b32_e32 v24, v27, v24, vcc
	v_lshlrev_b32_e32 v32, 2, v24
	v_lshl_or_b32 v24, v38, 6, v30
	v_and_b32_e32 v40, 60, v34
	s_addc_u32 s7, s21, s7
	s_mov_b32 s17, s13
	v_cmp_eq_u32_e32 vcc, 0, v37
	v_cmp_neq_f32_e64 s[0:1], s8, 0
	v_lshl_or_b32 v33, v38, 4, v25
	v_add_u32_e32 v35, 0x150, v24
	v_lshl_add_u64 v[24:25], s[6:7], 0, v[40:41]
	v_mov_b32_e32 v30, 0xff7fffff
	s_mov_b64 s[28:29], 0
	s_movk_i32 s34, 0x1000
	v_mov_b32_e32 v39, v38
	s_branch .LBB29_9
.LBB29_8:                               ;   in Loop: Header=BB29_9 Depth=1
	s_or_b64 exec, exec, s[30:31]
	v_add_u32_e32 v39, 2, v39
	v_cmp_le_i32_e64 s[6:7], s12, v39
	v_add_u32_e32 v33, 32, v33
	v_add_u32_e32 v35, 0x80, v35
	s_or_b64 s[28:29], s[6:7], s[28:29]
	v_lshl_add_u64 v[24:25], v[24:25], 0, 8
	s_andn2_b64 exec, exec, s[28:29]
	s_cbranch_execz .LBB29_11
.LBB29_9:                               ; =>This Inner Loop Header: Depth=1
	global_load_dword v40, v[24:25], off
	s_waitcnt vmcnt(0) lgkmcnt(0)
	v_mad_i64_i32 v[40:41], s[6:7], v40, s17, 0
	v_lshl_add_u64 v[40:41], v[40:41], 2, v[22:23]
	global_load_dword v42, v[40:41], off
	global_load_dword v43, v[40:41], off offset:256
	global_load_dword v44, v[40:41], off offset:512
	;; [unrolled: 1-line block ×15, first 2 shown]
	v_add_co_u32_e64 v40, s[6:7], s34, v40
	s_nop 1
	v_addc_co_u32_e64 v41, s[6:7], 0, v41, s[6:7]
	global_load_dword v58, v[40:41], off
	global_load_dword v59, v[40:41], off offset:256
	global_load_dword v60, v[40:41], off offset:512
	;; [unrolled: 1-line block ×3, first 2 shown]
	s_waitcnt vmcnt(18) lgkmcnt(4)
	v_mul_f32_e32 v40, v3, v43
	v_fmac_f32_e32 v40, v2, v42
	s_waitcnt vmcnt(17)
	v_fmac_f32_e32 v40, v4, v44
	s_waitcnt vmcnt(16)
	v_fmac_f32_e32 v40, v5, v45
	s_waitcnt vmcnt(15) lgkmcnt(3)
	v_fmac_f32_e32 v40, v6, v46
	s_waitcnt vmcnt(14)
	v_fmac_f32_e32 v40, v7, v47
	s_waitcnt vmcnt(13)
	v_fmac_f32_e32 v40, v8, v48
	s_waitcnt vmcnt(12)
	v_fmac_f32_e32 v40, v9, v49
	s_waitcnt vmcnt(11) lgkmcnt(2)
	v_fmac_f32_e32 v40, v10, v50
	s_waitcnt vmcnt(10)
	v_fmac_f32_e32 v40, v11, v51
	s_waitcnt vmcnt(9)
	v_fmac_f32_e32 v40, v12, v52
	s_waitcnt vmcnt(8)
	v_fmac_f32_e32 v40, v13, v53
	s_waitcnt vmcnt(7) lgkmcnt(1)
	v_fmac_f32_e32 v40, v14, v54
	s_waitcnt vmcnt(6)
	v_fmac_f32_e32 v40, v15, v55
	s_waitcnt vmcnt(5)
	v_fmac_f32_e32 v40, v16, v56
	s_waitcnt vmcnt(4)
	v_fmac_f32_e32 v40, v17, v57
	s_waitcnt vmcnt(3) lgkmcnt(0)
	v_fmac_f32_e32 v40, v18, v58
	s_waitcnt vmcnt(2)
	v_fmac_f32_e32 v40, v19, v59
	s_waitcnt vmcnt(1)
	v_fmac_f32_e32 v40, v20, v60
	s_waitcnt vmcnt(0)
	v_fmac_f32_e32 v40, v21, v61
	ds_bpermute_b32 v41, v31, v40
	s_waitcnt lgkmcnt(0)
	v_add_f32_e32 v40, v40, v41
	ds_bpermute_b32 v41, v32, v40
	s_and_saveexec_b64 s[30:31], vcc
	s_cbranch_execz .LBB29_8
; %bb.10:                               ;   in Loop: Header=BB29_9 Depth=1
	v_add_u32_e32 v42, s15, v33
	v_cvt_f32_i32_e32 v42, v42
	s_waitcnt lgkmcnt(0)
	v_add_f32_e32 v40, v40, v41
	v_cmp_gt_i32_e64 s[6:7], s33, v33
	v_max_f32_e32 v41, v30, v30
	v_mul_f32_e32 v42, s8, v42
	v_cndmask_b32_e64 v42, 0, v42, s[0:1]
	v_fmac_f32_e32 v42, s9, v40
	v_cndmask_b32_e64 v40, 0, v42, s[6:7]
	ds_write_b32 v35, v40
	v_max_f32_e32 v40, v41, v42
	v_cndmask_b32_e64 v30, v30, v40, s[6:7]
	s_branch .LBB29_8
.LBB29_11:
	s_or_b64 exec, exec, s[28:29]
.LBB29_12:
	s_or_b64 exec, exec, s[26:27]
	v_xor_b32_e32 v2, 32, v27
	v_cmp_lt_i32_e32 vcc, v2, v28
	v_xor_b32_e32 v5, 16, v27
	v_max_f32_e32 v4, v30, v30
	v_cndmask_b32_e32 v2, v27, v2, vcc
	v_lshlrev_b32_e32 v2, 2, v2
	ds_bpermute_b32 v3, v2, v30
	v_cmp_lt_i32_e32 vcc, v5, v28
	v_xor_b32_e32 v6, 8, v27
	v_xor_b32_e32 v7, 4, v27
	v_and_b32_e32 v39, 63, v0
	s_waitcnt lgkmcnt(0)
	v_max_f32_e32 v3, v3, v3
	v_max_f32_e32 v4, v4, v3
	v_cndmask_b32_e32 v3, v27, v5, vcc
	v_lshlrev_b32_e32 v3, 2, v3
	ds_bpermute_b32 v5, v3, v4
	v_cmp_lt_i32_e32 vcc, v6, v28
	s_waitcnt lgkmcnt(0)
	v_max_f32_e32 v5, v5, v5
	v_max_f32_e32 v4, v4, v5
	v_cndmask_b32_e32 v5, v27, v6, vcc
	v_lshlrev_b32_e32 v6, 2, v5
	ds_bpermute_b32 v5, v6, v4
	v_cmp_lt_i32_e32 vcc, v7, v28
	s_waitcnt lgkmcnt(0)
	v_max_f32_e32 v5, v5, v5
	v_max_f32_e32 v5, v4, v5
	v_cndmask_b32_e32 v4, v27, v7, vcc
	v_lshlrev_b32_e32 v7, 2, v4
	ds_bpermute_b32 v8, v7, v5
	v_cmp_eq_u32_e32 vcc, 0, v39
	v_lshlrev_b32_e32 v4, 2, v38
	s_and_saveexec_b64 s[0:1], vcc
	s_cbranch_execz .LBB29_14
; %bb.13:
	s_waitcnt lgkmcnt(0)
	v_max_f32_e32 v8, v8, v8
	v_max_f32_e32 v5, v5, v5
	;; [unrolled: 1-line block ×3, first 2 shown]
	ds_write_b32 v4, v5 offset:320
.LBB29_14:
	s_or_b64 exec, exec, s[0:1]
	v_cmp_gt_u32_e64 s[0:1], 2, v39
	s_waitcnt lgkmcnt(0)
	v_mov_b32_e32 v8, 0xff7fffff
	v_lshlrev_b32_e32 v5, 2, v39
	s_barrier
	s_and_saveexec_b64 s[6:7], s[0:1]
; %bb.15:
	ds_read_b32 v8, v5 offset:320
; %bb.16:
	s_or_b64 exec, exec, s[6:7]
	v_xor_b32_e32 v9, 1, v27
	v_cmp_lt_i32_e64 s[6:7], v9, v28
	s_nop 1
	v_cndmask_b32_e64 v9, v27, v9, s[6:7]
	v_lshlrev_b32_e32 v40, 2, v9
	s_waitcnt lgkmcnt(0)
	ds_bpermute_b32 v9, v40, v8
	v_max_f32_e32 v8, v8, v8
	s_lshl_b32 s6, s12, 4
	s_min_i32 s15, s6, s33
	v_cmp_gt_i32_e64 s[6:7], s15, v0
	s_waitcnt lgkmcnt(0)
	v_max_f32_e32 v9, v9, v9
	v_max_f32_e32 v8, v8, v9
	v_lshlrev_b32_e32 v9, 2, v29
	ds_bpermute_b32 v9, v9, v8
	v_mov_b32_e32 v8, 0
	s_and_saveexec_b64 s[26:27], s[6:7]
	s_cbranch_execz .LBB29_20
; %bb.17:
	v_mov_b32_e32 v8, 0x150
	v_lshl_add_u32 v10, v0, 2, v8
	v_mov_b32_e32 v8, 0
	s_mov_b64 s[28:29], 0
	v_mov_b32_e32 v11, v0
.LBB29_18:                              ; =>This Inner Loop Header: Depth=1
	ds_read_b32 v12, v10
	v_add_u32_e32 v11, 0x80, v11
	v_cmp_le_i32_e64 s[8:9], s15, v11
	s_or_b64 s[28:29], s[8:9], s[28:29]
	s_waitcnt lgkmcnt(0)
	v_sub_f32_e32 v12, v12, v9
	v_mul_f32_e32 v12, 0x3fb8aa3b, v12
	v_exp_f32_e32 v12, v12
	ds_write_b32 v10, v12
	v_add_f32_e32 v8, v8, v12
	v_add_u32_e32 v10, 0x200, v10
	s_andn2_b64 exec, exec, s[28:29]
	s_cbranch_execnz .LBB29_18
; %bb.19:
	s_or_b64 exec, exec, s[28:29]
.LBB29_20:
	s_or_b64 exec, exec, s[26:27]
	ds_bpermute_b32 v2, v2, v8
	s_waitcnt lgkmcnt(0)
	v_add_f32_e32 v2, v8, v2
	ds_bpermute_b32 v3, v3, v2
	s_waitcnt lgkmcnt(0)
	v_add_f32_e32 v2, v2, v3
	ds_bpermute_b32 v3, v6, v2
	v_xor_b32_e32 v6, 2, v27
	v_cmp_lt_i32_e64 s[8:9], v6, v28
	s_waitcnt lgkmcnt(0)
	v_add_f32_e32 v2, v2, v3
	ds_bpermute_b32 v3, v7, v2
	v_cndmask_b32_e64 v6, v27, v6, s[8:9]
	v_lshlrev_b32_e32 v41, 2, v6
	s_waitcnt lgkmcnt(0)
	v_add_f32_e32 v2, v2, v3
	ds_bpermute_b32 v3, v41, v2
	s_waitcnt lgkmcnt(0)
	v_add_f32_e32 v2, v2, v3
	ds_bpermute_b32 v3, v40, v2
	s_waitcnt lgkmcnt(0)
	v_add_f32_e32 v2, v2, v3
	s_and_saveexec_b64 s[8:9], vcc
; %bb.21:
	ds_write_b32 v4, v2 offset:328
; %bb.22:
	s_or_b64 exec, exec, s[8:9]
	s_waitcnt lgkmcnt(0)
	s_barrier
	s_and_saveexec_b64 s[8:9], s[0:1]
; %bb.23:
	ds_read_b32 v2, v5 offset:328
; %bb.24:
	s_or_b64 exec, exec, s[8:9]
	s_waitcnt lgkmcnt(0)
	ds_bpermute_b32 v3, v40, v2
	v_lshlrev_b32_e32 v4, 2, v27
	s_waitcnt lgkmcnt(0)
	v_add_f32_e32 v2, v2, v3
	v_and_b32_e32 v3, 0xffffff00, v4
	ds_bpermute_b32 v2, v3, v2
	s_and_saveexec_b64 s[0:1], s[6:7]
	s_cbranch_execz .LBB29_37
; %bb.25:
	s_waitcnt lgkmcnt(0)
	v_add_f32_e32 v2, 0x358637bd, v2
	v_div_scale_f32 v3, s[6:7], v2, v2, 1.0
	v_rcp_f32_e32 v4, v3
	v_div_scale_f32 v5, vcc, 1.0, v2, 1.0
	s_movk_i32 s6, 0x7f
	v_fma_f32 v6, -v3, v4, 1.0
	v_fmac_f32_e32 v4, v6, v4
	v_mul_f32_e32 v6, v5, v4
	v_fma_f32 v7, -v3, v6, v5
	v_fmac_f32_e32 v6, v7, v4
	v_fma_f32 v3, -v3, v6, v5
	v_div_fmas_f32 v3, v3, v4, v6
	v_xad_u32 v4, v0, -1, s15
	v_div_fixup_f32 v2, v3, v2, 1.0
	v_cmp_lt_u32_e32 vcc, s6, v4
	s_mov_b64 s[8:9], -1
	v_mov_b32_e32 v3, v0
	s_and_saveexec_b64 s[6:7], vcc
	s_cbranch_execz .LBB29_34
; %bb.26:
	v_lshrrev_b32_e32 v4, 7, v4
	v_add_u32_e32 v6, -1, v4
	v_lshrrev_b32_e32 v5, 1, v6
	v_mov_b32_e32 v3, v2
	v_add_u32_e32 v5, 1, v5
	v_cmp_lt_u32_e32 vcc, 13, v6
	v_mov_b32_e32 v8, 0
	s_and_saveexec_b64 s[8:9], vcc
	s_cbranch_execz .LBB29_30
; %bb.27:
	v_mov_b32_e32 v7, 0x150
	v_and_b32_e32 v6, -8, v5
	v_lshl_add_u32 v7, v0, 2, v7
	s_mov_b32 s17, 0
	s_mov_b64 s[26:27], 0
.LBB29_28:                              ; =>This Inner Loop Header: Depth=1
	ds_read2st64_b32 v[8:9], v7 offset1:2
	ds_read2st64_b32 v[10:11], v7 offset0:4 offset1:6
	ds_read2st64_b32 v[12:13], v7 offset0:8 offset1:10
	;; [unrolled: 1-line block ×3, first 2 shown]
	v_add_u32_e32 v6, -8, v6
	s_waitcnt lgkmcnt(3)
	v_pk_mul_f32 v[8:9], v[2:3], v[8:9]
	s_waitcnt lgkmcnt(2)
	v_pk_mul_f32 v[10:11], v[2:3], v[10:11]
	ds_write2st64_b32 v7, v8, v9 offset1:2
	ds_write2st64_b32 v7, v10, v11 offset0:4 offset1:6
	ds_read2st64_b32 v[10:11], v7 offset0:16 offset1:18
	s_waitcnt lgkmcnt(4)
	v_pk_mul_f32 v[8:9], v[2:3], v[12:13]
	ds_write2st64_b32 v7, v8, v9 offset0:8 offset1:10
	s_waitcnt lgkmcnt(4)
	v_pk_mul_f32 v[8:9], v[2:3], v[14:15]
	ds_write2st64_b32 v7, v8, v9 offset0:12 offset1:14
	ds_read2st64_b32 v[8:9], v7 offset0:20 offset1:22
	s_waitcnt lgkmcnt(3)
	v_pk_mul_f32 v[10:11], v[2:3], v[10:11]
	ds_read2st64_b32 v[12:13], v7 offset0:24 offset1:26
	ds_write2st64_b32 v7, v10, v11 offset0:16 offset1:18
	ds_read2st64_b32 v[10:11], v7 offset0:28 offset1:30
	s_waitcnt lgkmcnt(3)
	v_pk_mul_f32 v[8:9], v[2:3], v[8:9]
	ds_write2st64_b32 v7, v8, v9 offset0:20 offset1:22
	s_waitcnt lgkmcnt(3)
	v_pk_mul_f32 v[8:9], v[2:3], v[12:13]
	ds_write2st64_b32 v7, v8, v9 offset0:24 offset1:26
	s_waitcnt lgkmcnt(2)
	v_pk_mul_f32 v[8:9], v[2:3], v[10:11]
	s_add_i32 s17, s17, 16
	v_cmp_eq_u32_e32 vcc, 0, v6
	ds_write2st64_b32 v7, v8, v9 offset0:28 offset1:30
	v_add_u32_e32 v7, 0x2000, v7
	s_or_b64 s[26:27], vcc, s[26:27]
	v_mov_b32_e32 v8, s17
	s_andn2_b64 exec, exec, s[26:27]
	s_cbranch_execnz .LBB29_28
; %bb.29:
	s_or_b64 exec, exec, s[26:27]
.LBB29_30:
	s_or_b64 exec, exec, s[8:9]
	v_and_b32_e32 v5, 7, v5
	v_cmp_ne_u32_e32 vcc, 0, v5
	s_and_saveexec_b64 s[8:9], vcc
	s_cbranch_execz .LBB29_33
; %bb.31:
	v_lshlrev_b32_e32 v6, 9, v8
	s_movk_i32 s17, 0x150
	v_add3_u32 v6, v6, v26, s17
	s_mov_b64 s[26:27], 0
.LBB29_32:                              ; =>This Inner Loop Header: Depth=1
	ds_read2st64_b32 v[8:9], v6 offset1:2
	v_add_u32_e32 v5, -1, v5
	v_cmp_eq_u32_e32 vcc, 0, v5
	s_or_b64 s[26:27], vcc, s[26:27]
	s_waitcnt lgkmcnt(0)
	v_pk_mul_f32 v[8:9], v[2:3], v[8:9]
	ds_write2st64_b32 v6, v8, v9 offset1:2
	v_add_u32_e32 v6, 0x400, v6
	s_andn2_b64 exec, exec, s[26:27]
	s_cbranch_execnz .LBB29_32
.LBB29_33:
	s_or_b64 exec, exec, s[8:9]
	v_add_u32_e32 v4, 1, v4
	v_and_b32_e32 v5, 0x3fffffe, v4
	v_cmp_ne_u32_e32 vcc, v4, v5
	v_lshl_add_u32 v3, v5, 7, v0
	s_orn2_b64 s[8:9], vcc, exec
.LBB29_34:
	s_or_b64 exec, exec, s[6:7]
	s_and_b64 exec, exec, s[8:9]
	s_cbranch_execz .LBB29_37
; %bb.35:
	v_mov_b32_e32 v4, 0x150
	v_lshl_add_u32 v4, v3, 2, v4
	s_mov_b64 s[6:7], 0
.LBB29_36:                              ; =>This Inner Loop Header: Depth=1
	ds_read_b32 v5, v4
	v_add_u32_e32 v3, 0x80, v3
	v_cmp_le_i32_e32 vcc, s15, v3
	s_or_b64 s[6:7], vcc, s[6:7]
	s_waitcnt lgkmcnt(0)
	v_mul_f32_e32 v5, v2, v5
	ds_write_b32 v4, v5
	v_add_u32_e32 v4, 0x200, v4
	s_andn2_b64 exec, exec, s[6:7]
	s_cbranch_execnz .LBB29_36
.LBB29_37:
	s_or_b64 exec, exec, s[0:1]
	v_mov_b32_e32 v29, 0
	v_mov_b32_e32 v28, 0
	;; [unrolled: 1-line block ×5, first 2 shown]
	s_waitcnt lgkmcnt(0)
	s_barrier
	s_and_saveexec_b64 s[6:7], s[2:3]
	s_cbranch_execz .LBB29_51
; %bb.38:
	s_ashr_i32 s15, s14, 31
	s_lshl_b64 s[0:1], s[14:15], 2
	s_add_u32 s0, s24, s0
	v_lshlrev_b32_e32 v3, 4, v0
	v_and_b32_e32 v2, 12, v26
	s_addc_u32 s1, s25, s1
	v_and_b32_e32 v26, 0x3f0, v3
	v_mov_b32_e32 v27, 0
	s_add_i32 s14, s12, -1
	v_lshl_add_u64 v[32:33], s[0:1], 0, v[26:27]
	s_lshl_b64 s[0:1], s[22:23], 2
	v_lshl_or_b32 v42, v38, 4, v2
	v_lshlrev_b32_e32 v2, 4, v37
	s_add_u32 s0, s20, s0
	v_lshl_or_b32 v2, v38, 6, v2
	v_and_b32_e32 v26, 60, v34
	s_addc_u32 s1, s21, s1
	s_mov_b32 s15, s33
	v_add_u32_e32 v43, 0x150, v2
	v_lshl_add_u64 v[34:35], s[0:1], 0, v[26:27]
	s_mov_b64 s[2:3], 0
	v_mov_b32_e32 v29, v27
	v_mov_b32_e32 v28, v27
	;; [unrolled: 1-line block ×4, first 2 shown]
	s_branch .LBB29_40
.LBB29_39:                              ;   in Loop: Header=BB29_40 Depth=1
	s_or_b64 exec, exec, s[8:9]
	s_waitcnt vmcnt(1) lgkmcnt(0)
	v_mul_f32_e32 v18, v2, v18
	v_mul_f32_e32 v14, v2, v14
	;; [unrolled: 1-line block ×4, first 2 shown]
	v_fmac_f32_e32 v18, v3, v19
	v_fmac_f32_e32 v14, v3, v15
	;; [unrolled: 1-line block ×8, first 2 shown]
	s_waitcnt vmcnt(0)
	v_pk_mul_f32 v[2:3], v[2:3], v[22:23]
	v_fmac_f32_e32 v18, v5, v21
	v_fmac_f32_e32 v14, v5, v17
	;; [unrolled: 1-line block ×4, first 2 shown]
	v_pk_mul_f32 v[4:5], v[4:5], v[24:25]
	v_add_f32_e32 v2, v3, v2
	v_add_f32_e32 v2, v4, v2
	v_add_u32_e32 v38, 2, v38
	v_add_f32_e32 v2, v5, v2
	v_cmp_le_i32_e32 vcc, s12, v38
	v_add_f32_e32 v29, v29, v18
	v_add_f32_e32 v28, v28, v14
	;; [unrolled: 1-line block ×5, first 2 shown]
	v_add_u32_e32 v42, 32, v42
	v_add_u32_e32 v43, 0x80, v43
	s_or_b64 s[2:3], vcc, s[2:3]
	v_lshl_add_u64 v[34:35], v[34:35], 0, 8
	s_andn2_b64 exec, exec, s[2:3]
	s_cbranch_execz .LBB29_50
.LBB29_40:                              ; =>This Inner Loop Header: Depth=1
	global_load_dword v2, v[34:35], off
	v_add_u32_e32 v45, 1, v42
	v_or_b32_e32 v44, 3, v42
	v_or_b32_e32 v26, 2, v42
	s_waitcnt vmcnt(0)
	v_mad_i64_i32 v[2:3], s[0:1], v2, s13, 0
	v_lshl_add_u64 v[22:23], v[2:3], 2, v[32:33]
	global_load_dwordx4 v[6:9], v[22:23], off
	ds_read_b128 v[2:5], v43
	v_cmp_eq_u32_e64 s[0:1], s14, v38
	s_and_saveexec_b64 s[8:9], s[0:1]
	s_cbranch_execnz .LBB29_47
; %bb.41:                               ;   in Loop: Header=BB29_40 Depth=1
	s_or_b64 exec, exec, s[8:9]
	global_load_dwordx4 v[10:13], v[22:23], off offset:1024
	s_and_saveexec_b64 s[8:9], s[0:1]
	s_cbranch_execnz .LBB29_48
.LBB29_42:                              ;   in Loop: Header=BB29_40 Depth=1
	s_or_b64 exec, exec, s[8:9]
	global_load_dwordx4 v[14:17], v[22:23], off offset:2048
	s_and_saveexec_b64 s[8:9], s[0:1]
	s_cbranch_execnz .LBB29_49
.LBB29_43:                              ;   in Loop: Header=BB29_40 Depth=1
	s_or_b64 exec, exec, s[8:9]
	global_load_dwordx4 v[18:21], v[22:23], off offset:3072
	s_and_saveexec_b64 s[8:9], s[0:1]
	s_cbranch_execz .LBB29_45
.LBB29_44:                              ;   in Loop: Header=BB29_40 Depth=1
	v_cmp_gt_i32_e32 vcc, s15, v45
	s_waitcnt vmcnt(0)
	s_nop 0
	v_cndmask_b32_e32 v19, 0, v19, vcc
	v_cmp_gt_i32_e32 vcc, s33, v42
	s_nop 1
	v_cndmask_b32_e32 v18, 0, v18, vcc
	v_cmp_gt_i32_e32 vcc, s15, v44
	s_nop 1
	v_cndmask_b32_e32 v21, 0, v21, vcc
	v_cmp_gt_i32_e32 vcc, s33, v26
	s_nop 1
	v_cndmask_b32_e32 v20, 0, v20, vcc
.LBB29_45:                              ;   in Loop: Header=BB29_40 Depth=1
	s_or_b64 exec, exec, s[8:9]
	v_add_co_u32_e32 v22, vcc, 0x1000, v22
	s_nop 1
	v_addc_co_u32_e32 v23, vcc, 0, v23, vcc
	global_load_dwordx4 v[22:25], v[22:23], off
	s_and_saveexec_b64 s[8:9], s[0:1]
	s_cbranch_execz .LBB29_39
; %bb.46:                               ;   in Loop: Header=BB29_40 Depth=1
	v_cmp_gt_i32_e32 vcc, s15, v45
	s_waitcnt vmcnt(0)
	s_nop 0
	v_cndmask_b32_e32 v23, 0, v23, vcc
	v_cmp_gt_i32_e32 vcc, s33, v42
	s_nop 1
	v_cndmask_b32_e32 v22, 0, v22, vcc
	v_cmp_gt_i32_e32 vcc, s15, v44
	;; [unrolled: 3-line block ×3, first 2 shown]
	s_nop 1
	v_cndmask_b32_e32 v24, 0, v24, vcc
	s_branch .LBB29_39
.LBB29_47:                              ;   in Loop: Header=BB29_40 Depth=1
	v_cmp_gt_i32_e32 vcc, s15, v45
	s_waitcnt vmcnt(0)
	s_nop 0
	v_cndmask_b32_e32 v7, 0, v7, vcc
	v_cmp_gt_i32_e32 vcc, s33, v42
	s_nop 1
	v_cndmask_b32_e32 v6, 0, v6, vcc
	v_cmp_gt_i32_e32 vcc, s15, v44
	;; [unrolled: 3-line block ×3, first 2 shown]
	s_nop 1
	v_cndmask_b32_e32 v8, 0, v8, vcc
	s_or_b64 exec, exec, s[8:9]
	global_load_dwordx4 v[10:13], v[22:23], off offset:1024
	s_and_saveexec_b64 s[8:9], s[0:1]
	s_cbranch_execz .LBB29_42
.LBB29_48:                              ;   in Loop: Header=BB29_40 Depth=1
	v_cmp_gt_i32_e32 vcc, s15, v45
	s_waitcnt vmcnt(0)
	s_nop 0
	v_cndmask_b32_e32 v11, 0, v11, vcc
	v_cmp_gt_i32_e32 vcc, s33, v42
	s_nop 1
	v_cndmask_b32_e32 v10, 0, v10, vcc
	v_cmp_gt_i32_e32 vcc, s15, v44
	;; [unrolled: 3-line block ×3, first 2 shown]
	s_nop 1
	v_cndmask_b32_e32 v12, 0, v12, vcc
	s_or_b64 exec, exec, s[8:9]
	global_load_dwordx4 v[14:17], v[22:23], off offset:2048
	s_and_saveexec_b64 s[8:9], s[0:1]
	s_cbranch_execz .LBB29_43
.LBB29_49:                              ;   in Loop: Header=BB29_40 Depth=1
	v_cmp_gt_i32_e32 vcc, s15, v45
	s_waitcnt vmcnt(0)
	s_nop 0
	v_cndmask_b32_e32 v15, 0, v15, vcc
	v_cmp_gt_i32_e32 vcc, s33, v42
	s_nop 1
	v_cndmask_b32_e32 v14, 0, v14, vcc
	v_cmp_gt_i32_e32 vcc, s15, v44
	;; [unrolled: 3-line block ×3, first 2 shown]
	s_nop 1
	v_cndmask_b32_e32 v16, 0, v16, vcc
	s_or_b64 exec, exec, s[8:9]
	global_load_dwordx4 v[18:21], v[22:23], off offset:3072
	s_and_saveexec_b64 s[8:9], s[0:1]
	s_cbranch_execnz .LBB29_44
	s_branch .LBB29_45
.LBB29_50:
	s_or_b64 exec, exec, s[2:3]
.LBB29_51:
	s_or_b64 exec, exec, s[6:7]
	ds_bpermute_b32 v2, v41, v30
	ds_bpermute_b32 v3, v41, v31
	ds_bpermute_b32 v4, v41, v28
	ds_bpermute_b32 v5, v41, v29
	ds_bpermute_b32 v12, v41, v27
	s_waitcnt lgkmcnt(0)
	v_pk_add_f32 v[2:3], v[30:31], v[2:3]
	ds_bpermute_b32 v6, v40, v2
	ds_bpermute_b32 v7, v40, v3
	v_pk_add_f32 v[8:9], v[28:29], v[4:5]
	ds_bpermute_b32 v10, v40, v8
	ds_bpermute_b32 v11, v40, v9
	s_barrier
	s_waitcnt lgkmcnt(2)
	v_pk_add_f32 v[4:5], v[2:3], v[6:7]
	v_add_f32_e32 v7, v27, v12
	v_and_b32_e32 v6, 0x3c3, v0
	s_waitcnt lgkmcnt(0)
	v_pk_add_f32 v[2:3], v[8:9], v[10:11]
	ds_bpermute_b32 v8, v40, v7
	v_cmp_ne_u32_e32 vcc, 64, v6
	s_waitcnt lgkmcnt(0)
	s_and_saveexec_b64 s[0:1], vcc
	s_xor_b64 s[0:1], exec, s[0:1]
; %bb.52:
                                        ; implicit-def: $vgpr39
; %bb.53:
	s_or_saveexec_b64 s[0:1], s[0:1]
	v_add_f32_e32 v7, v7, v8
	s_xor_b64 exec, exec, s[0:1]
	s_cbranch_execz .LBB29_55
; %bb.54:
	v_add_u32_e32 v8, 0x150, v39
	ds_write2_b32 v8, v4, v5 offset1:16
	ds_write2_b32 v8, v2, v3 offset0:32 offset1:48
	ds_write_b32 v8, v7 offset:256
.LBB29_55:
	s_or_b64 exec, exec, s[0:1]
	v_cmp_gt_u32_e32 vcc, 64, v0
	s_waitcnt lgkmcnt(0)
	s_barrier
	s_and_saveexec_b64 s[0:1], vcc
	s_cbranch_execz .LBB29_63
; %bb.56:
	v_mov_b32_e32 v0, 0x150
	v_cmp_eq_u32_e32 vcc, 0, v37
	v_lshl_add_u32 v0, v36, 2, v0
	s_and_saveexec_b64 s[2:3], vcc
	s_cbranch_execnz .LBB29_66
; %bb.57:
	s_or_b64 exec, exec, s[2:3]
	s_and_saveexec_b64 s[2:3], vcc
	s_cbranch_execnz .LBB29_67
.LBB29_58:
	s_or_b64 exec, exec, s[2:3]
	s_and_saveexec_b64 s[2:3], vcc
	s_cbranch_execnz .LBB29_68
.LBB29_59:
	s_or_b64 exec, exec, s[2:3]
	s_and_saveexec_b64 s[2:3], vcc
	s_cbranch_execnz .LBB29_69
.LBB29_60:
	s_or_b64 exec, exec, s[2:3]
	s_and_saveexec_b64 s[2:3], vcc
	s_cbranch_execz .LBB29_62
.LBB29_61:
	ds_read_b32 v0, v0 offset:256
	s_waitcnt lgkmcnt(0)
	v_add_f32_e32 v7, v7, v0
.LBB29_62:
	s_or_b64 exec, exec, s[2:3]
.LBB29_63:
	s_or_b64 exec, exec, s[0:1]
	v_cmp_eq_u32_e32 vcc, 0, v6
	s_barrier
	s_and_saveexec_b64 s[0:1], vcc
	s_cbranch_execz .LBB29_65
; %bb.64:
	s_mul_i32 s0, s10, s11
	s_mul_i32 s0, s0, s5
	s_mulk_i32 s0, 0x50
	s_ashr_i32 s1, s0, 31
	s_lshl_b64 s[0:1], s[0:1], 2
	s_add_u32 s2, s18, s0
	s_mul_i32 s0, s11, s16
	s_addc_u32 s3, s19, s1
	s_ashr_i32 s1, s0, 31
	s_lshl_b64 s[0:1], s[0:1], 2
	s_add_u32 s2, s2, s0
	s_mul_i32 s0, s4, 0x50
	s_addc_u32 s3, s3, s1
	s_ashr_i32 s1, s0, 31
	s_lshl_b64 s[0:1], s[0:1], 2
	s_add_u32 s0, s2, s0
	s_addc_u32 s1, s3, s1
	global_store_dword v1, v4, s[0:1]
	global_store_dword v1, v5, s[0:1] offset:64
	global_store_dword v1, v2, s[0:1] offset:128
	;; [unrolled: 1-line block ×4, first 2 shown]
.LBB29_65:
	s_endpgm
.LBB29_66:
	ds_read_b32 v8, v0
	s_waitcnt lgkmcnt(0)
	v_add_f32_e32 v4, v4, v8
	s_or_b64 exec, exec, s[2:3]
	s_and_saveexec_b64 s[2:3], vcc
	s_cbranch_execz .LBB29_58
.LBB29_67:
	ds_read_b32 v8, v0 offset:64
	s_waitcnt lgkmcnt(0)
	v_add_f32_e32 v5, v5, v8
	s_or_b64 exec, exec, s[2:3]
	s_and_saveexec_b64 s[2:3], vcc
	s_cbranch_execz .LBB29_59
.LBB29_68:
	ds_read_b32 v8, v0 offset:128
	s_waitcnt lgkmcnt(0)
	v_add_f32_e32 v2, v2, v8
	s_or_b64 exec, exec, s[2:3]
	s_and_saveexec_b64 s[2:3], vcc
	s_cbranch_execz .LBB29_60
.LBB29_69:
	ds_read_b32 v8, v0 offset:192
	s_waitcnt lgkmcnt(0)
	v_add_f32_e32 v3, v3, v8
	s_or_b64 exec, exec, s[2:3]
	s_and_saveexec_b64 s[2:3], vcc
	s_cbranch_execnz .LBB29_61
	s_branch .LBB29_62
	.section	.rodata,"a",@progbits
	.p2align	6, 0x0
	.amdhsa_kernel _ZN4vllm25paged_attention_v1_kernelIffLi80ELi16ELi128ELNS_18Fp8KVCacheDataTypeE0ELb0EEEvPT_PKS2_PKT0_S8_ifPKiSA_iPKfiiiSC_SC_iiiii
		.amdhsa_group_segment_fixed_size 336
		.amdhsa_private_segment_fixed_size 0
		.amdhsa_kernarg_size 384
		.amdhsa_user_sgpr_count 2
		.amdhsa_user_sgpr_dispatch_ptr 0
		.amdhsa_user_sgpr_queue_ptr 0
		.amdhsa_user_sgpr_kernarg_segment_ptr 1
		.amdhsa_user_sgpr_dispatch_id 0
		.amdhsa_user_sgpr_kernarg_preload_length 0
		.amdhsa_user_sgpr_kernarg_preload_offset 0
		.amdhsa_user_sgpr_private_segment_size 0
		.amdhsa_uses_dynamic_stack 0
		.amdhsa_enable_private_segment 0
		.amdhsa_system_sgpr_workgroup_id_x 1
		.amdhsa_system_sgpr_workgroup_id_y 1
		.amdhsa_system_sgpr_workgroup_id_z 1
		.amdhsa_system_sgpr_workgroup_info 0
		.amdhsa_system_vgpr_workitem_id 0
		.amdhsa_next_free_vgpr 62
		.amdhsa_next_free_sgpr 35
		.amdhsa_accum_offset 64
		.amdhsa_reserve_vcc 1
		.amdhsa_float_round_mode_32 0
		.amdhsa_float_round_mode_16_64 0
		.amdhsa_float_denorm_mode_32 3
		.amdhsa_float_denorm_mode_16_64 3
		.amdhsa_dx10_clamp 1
		.amdhsa_ieee_mode 1
		.amdhsa_fp16_overflow 0
		.amdhsa_tg_split 0
		.amdhsa_exception_fp_ieee_invalid_op 0
		.amdhsa_exception_fp_denorm_src 0
		.amdhsa_exception_fp_ieee_div_zero 0
		.amdhsa_exception_fp_ieee_overflow 0
		.amdhsa_exception_fp_ieee_underflow 0
		.amdhsa_exception_fp_ieee_inexact 0
		.amdhsa_exception_int_div_zero 0
	.end_amdhsa_kernel
	.section	.text._ZN4vllm25paged_attention_v1_kernelIffLi80ELi16ELi128ELNS_18Fp8KVCacheDataTypeE0ELb0EEEvPT_PKS2_PKT0_S8_ifPKiSA_iPKfiiiSC_SC_iiiii,"axG",@progbits,_ZN4vllm25paged_attention_v1_kernelIffLi80ELi16ELi128ELNS_18Fp8KVCacheDataTypeE0ELb0EEEvPT_PKS2_PKT0_S8_ifPKiSA_iPKfiiiSC_SC_iiiii,comdat
.Lfunc_end29:
	.size	_ZN4vllm25paged_attention_v1_kernelIffLi80ELi16ELi128ELNS_18Fp8KVCacheDataTypeE0ELb0EEEvPT_PKS2_PKT0_S8_ifPKiSA_iPKfiiiSC_SC_iiiii, .Lfunc_end29-_ZN4vllm25paged_attention_v1_kernelIffLi80ELi16ELi128ELNS_18Fp8KVCacheDataTypeE0ELb0EEEvPT_PKS2_PKT0_S8_ifPKiSA_iPKfiiiSC_SC_iiiii
                                        ; -- End function
	.set _ZN4vllm25paged_attention_v1_kernelIffLi80ELi16ELi128ELNS_18Fp8KVCacheDataTypeE0ELb0EEEvPT_PKS2_PKT0_S8_ifPKiSA_iPKfiiiSC_SC_iiiii.num_vgpr, 62
	.set _ZN4vllm25paged_attention_v1_kernelIffLi80ELi16ELi128ELNS_18Fp8KVCacheDataTypeE0ELb0EEEvPT_PKS2_PKT0_S8_ifPKiSA_iPKfiiiSC_SC_iiiii.num_agpr, 0
	.set _ZN4vllm25paged_attention_v1_kernelIffLi80ELi16ELi128ELNS_18Fp8KVCacheDataTypeE0ELb0EEEvPT_PKS2_PKT0_S8_ifPKiSA_iPKfiiiSC_SC_iiiii.numbered_sgpr, 35
	.set _ZN4vllm25paged_attention_v1_kernelIffLi80ELi16ELi128ELNS_18Fp8KVCacheDataTypeE0ELb0EEEvPT_PKS2_PKT0_S8_ifPKiSA_iPKfiiiSC_SC_iiiii.num_named_barrier, 0
	.set _ZN4vllm25paged_attention_v1_kernelIffLi80ELi16ELi128ELNS_18Fp8KVCacheDataTypeE0ELb0EEEvPT_PKS2_PKT0_S8_ifPKiSA_iPKfiiiSC_SC_iiiii.private_seg_size, 0
	.set _ZN4vllm25paged_attention_v1_kernelIffLi80ELi16ELi128ELNS_18Fp8KVCacheDataTypeE0ELb0EEEvPT_PKS2_PKT0_S8_ifPKiSA_iPKfiiiSC_SC_iiiii.uses_vcc, 1
	.set _ZN4vllm25paged_attention_v1_kernelIffLi80ELi16ELi128ELNS_18Fp8KVCacheDataTypeE0ELb0EEEvPT_PKS2_PKT0_S8_ifPKiSA_iPKfiiiSC_SC_iiiii.uses_flat_scratch, 0
	.set _ZN4vllm25paged_attention_v1_kernelIffLi80ELi16ELi128ELNS_18Fp8KVCacheDataTypeE0ELb0EEEvPT_PKS2_PKT0_S8_ifPKiSA_iPKfiiiSC_SC_iiiii.has_dyn_sized_stack, 0
	.set _ZN4vllm25paged_attention_v1_kernelIffLi80ELi16ELi128ELNS_18Fp8KVCacheDataTypeE0ELb0EEEvPT_PKS2_PKT0_S8_ifPKiSA_iPKfiiiSC_SC_iiiii.has_recursion, 0
	.set _ZN4vllm25paged_attention_v1_kernelIffLi80ELi16ELi128ELNS_18Fp8KVCacheDataTypeE0ELb0EEEvPT_PKS2_PKT0_S8_ifPKiSA_iPKfiiiSC_SC_iiiii.has_indirect_call, 0
	.section	.AMDGPU.csdata,"",@progbits
; Kernel info:
; codeLenInByte = 4116
; TotalNumSgprs: 41
; NumVgprs: 62
; NumAgprs: 0
; TotalNumVgprs: 62
; ScratchSize: 0
; MemoryBound: 0
; FloatMode: 240
; IeeeMode: 1
; LDSByteSize: 336 bytes/workgroup (compile time only)
; SGPRBlocks: 5
; VGPRBlocks: 7
; NumSGPRsForWavesPerEU: 41
; NumVGPRsForWavesPerEU: 62
; AccumOffset: 64
; Occupancy: 8
; WaveLimiterHint : 1
; COMPUTE_PGM_RSRC2:SCRATCH_EN: 0
; COMPUTE_PGM_RSRC2:USER_SGPR: 2
; COMPUTE_PGM_RSRC2:TRAP_HANDLER: 0
; COMPUTE_PGM_RSRC2:TGID_X_EN: 1
; COMPUTE_PGM_RSRC2:TGID_Y_EN: 1
; COMPUTE_PGM_RSRC2:TGID_Z_EN: 1
; COMPUTE_PGM_RSRC2:TIDIG_COMP_CNT: 0
; COMPUTE_PGM_RSRC3_GFX90A:ACCUM_OFFSET: 15
; COMPUTE_PGM_RSRC3_GFX90A:TG_SPLIT: 0
	.section	.text._ZN4vllm25paged_attention_v1_kernelIffLi96ELi16ELi128ELNS_18Fp8KVCacheDataTypeE0ELb0EEEvPT_PKS2_PKT0_S8_ifPKiSA_iPKfiiiSC_SC_iiiii,"axG",@progbits,_ZN4vllm25paged_attention_v1_kernelIffLi96ELi16ELi128ELNS_18Fp8KVCacheDataTypeE0ELb0EEEvPT_PKS2_PKT0_S8_ifPKiSA_iPKfiiiSC_SC_iiiii,comdat
	.protected	_ZN4vllm25paged_attention_v1_kernelIffLi96ELi16ELi128ELNS_18Fp8KVCacheDataTypeE0ELb0EEEvPT_PKS2_PKT0_S8_ifPKiSA_iPKfiiiSC_SC_iiiii ; -- Begin function _ZN4vllm25paged_attention_v1_kernelIffLi96ELi16ELi128ELNS_18Fp8KVCacheDataTypeE0ELb0EEEvPT_PKS2_PKT0_S8_ifPKiSA_iPKfiiiSC_SC_iiiii
	.globl	_ZN4vllm25paged_attention_v1_kernelIffLi96ELi16ELi128ELNS_18Fp8KVCacheDataTypeE0ELb0EEEvPT_PKS2_PKT0_S8_ifPKiSA_iPKfiiiSC_SC_iiiii
	.p2align	8
	.type	_ZN4vllm25paged_attention_v1_kernelIffLi96ELi16ELi128ELNS_18Fp8KVCacheDataTypeE0ELb0EEEvPT_PKS2_PKT0_S8_ifPKiSA_iPKfiiiSC_SC_iiiii,@function
_ZN4vllm25paged_attention_v1_kernelIffLi96ELi16ELi128ELNS_18Fp8KVCacheDataTypeE0ELb0EEEvPT_PKS2_PKT0_S8_ifPKiSA_iPKfiiiSC_SC_iiiii: ; @_ZN4vllm25paged_attention_v1_kernelIffLi96ELi16ELi128ELNS_18Fp8KVCacheDataTypeE0ELb0EEEvPT_PKS2_PKT0_S8_ifPKiSA_iPKfiiiSC_SC_iiiii
; %bb.0:
	s_load_dword s5, s[0:1], 0x80
	s_load_dwordx2 s[6:7], s[0:1], 0x30
	s_load_dwordx2 s[8:9], s[0:1], 0x20
	s_mov_b32 s10, s3
	s_ashr_i32 s11, s3, 31
	s_lshl_b64 s[12:13], s[10:11], 2
	s_waitcnt lgkmcnt(0)
	s_add_u32 s6, s6, s12
	s_addc_u32 s7, s7, s13
	s_abs_i32 s3, s8
	v_cvt_f32_u32_e32 v1, s3
	s_sub_i32 s12, 0, s3
	s_abs_i32 s11, s5
	s_xor_b32 s8, s5, s8
	v_rcp_iflag_f32_e32 v1, v1
	s_ashr_i32 s8, s8, 31
	v_mul_f32_e32 v1, 0x4f7ffffe, v1
	v_cvt_u32_f32_e32 v1, v1
	s_nop 0
	v_readfirstlane_b32 s13, v1
	s_mul_i32 s12, s12, s13
	s_mul_hi_u32 s12, s13, s12
	s_add_i32 s13, s13, s12
	s_mul_hi_u32 s12, s11, s13
	s_mul_i32 s13, s12, s3
	s_sub_i32 s11, s11, s13
	s_add_i32 s13, s12, 1
	s_sub_i32 s14, s11, s3
	s_cmp_ge_u32 s11, s3
	s_cselect_b32 s12, s13, s12
	s_cselect_b32 s11, s14, s11
	s_add_i32 s13, s12, 1
	s_cmp_ge_u32 s11, s3
	s_cselect_b32 s3, s13, s12
	s_xor_b32 s3, s3, s8
	s_sub_i32 s14, s3, s8
	s_abs_i32 s11, s14
	v_cvt_f32_u32_e32 v1, s11
	s_load_dwordx2 s[12:13], s[0:1], 0x40
	s_sub_i32 s3, 0, s11
	s_abs_i32 s18, s2
	v_rcp_iflag_f32_e32 v1, v1
	s_mov_b32 s8, 0
	v_mul_f32_e32 v1, 0x4f7ffffe, v1
	v_cvt_u32_f32_e32 v1, v1
	s_nop 0
	v_readfirstlane_b32 s15, v1
	s_mul_i32 s3, s3, s15
	s_mul_hi_u32 s3, s15, s3
	s_add_i32 s15, s15, s3
	s_waitcnt lgkmcnt(0)
	s_cmp_eq_u64 s[12:13], 0
	s_mul_hi_u32 s19, s18, s15
	s_cbranch_scc1 .LBB30_2
; %bb.1:
	s_ashr_i32 s3, s2, 31
	s_lshl_b64 s[16:17], s[2:3], 2
	s_add_u32 s12, s12, s16
	s_addc_u32 s13, s13, s17
	s_load_dword s8, s[12:13], 0x0
.LBB30_2:
	s_load_dword s33, s[6:7], 0x0
	s_ashr_i32 s7, s14, 31
	s_load_dwordx4 s[12:15], s[0:1], 0x48
	v_lshrrev_b32_e32 v40, 2, v0
	s_waitcnt lgkmcnt(0)
	s_movk_i32 s15, 0x60
	s_ashr_i32 s6, s2, 31
	v_and_b32_e32 v41, 3, v0
	s_mul_i32 s16, s2, 0x60
	v_cmp_gt_u32_e32 vcc, s15, v0
	v_lshlrev_b32_e32 v36, 2, v0
	v_lshlrev_b32_e32 v1, 2, v40
	s_and_saveexec_b64 s[2:3], vcc
	s_cbranch_execz .LBB30_4
; %bb.3:
	s_load_dwordx2 s[20:21], s[0:1], 0x8
	s_mul_i32 s22, s12, s10
	s_ashr_i32 s23, s22, 31
	s_lshl_b64 s[22:23], s[22:23], 2
	v_mad_u32_u24 v3, v41, s15, v1
	s_waitcnt lgkmcnt(0)
	s_add_u32 s12, s20, s22
	s_addc_u32 s22, s21, s23
	s_ashr_i32 s17, s16, 31
	s_lshl_b64 s[20:21], s[16:17], 2
	s_add_u32 s20, s12, s20
	s_addc_u32 s21, s22, s21
	global_load_dword v2, v36, s[20:21]
	s_waitcnt vmcnt(0)
	ds_write_b32 v3, v2
.LBB30_4:
	s_or_b64 exec, exec, s[2:3]
	s_add_i32 s3, s33, 15
	s_ashr_i32 s12, s3, 31
	s_lshr_b32 s12, s12, 28
	s_add_i32 s3, s3, s12
	s_ashr_i32 s12, s3, 4
	s_xor_b32 s3, s6, s7
	s_mul_i32 s6, s19, s11
	s_sub_i32 s6, s18, s6
	s_add_i32 s7, s19, 1
	s_sub_i32 s15, s6, s11
	s_load_dwordx2 s[20:21], s[0:1], 0x28
	s_load_dword s2, s[0:1], 0x38
	s_cmp_ge_u32 s6, s11
	s_cselect_b32 s7, s7, s19
	s_cselect_b32 s6, s15, s6
	s_add_i32 s15, s7, 1
	s_cmp_ge_u32 s6, s11
	s_cselect_b32 s6, s15, s7
	v_lshrrev_b32_e32 v42, 6, v0
	s_xor_b32 s6, s6, s3
	s_waitcnt lgkmcnt(0)
	s_mul_i32 s22, s2, s10
	s_sub_i32 s15, s6, s3
	s_ashr_i32 s23, s22, 31
	v_cmp_gt_i32_e64 s[2:3], s12, v42
	v_cmp_le_i32_e32 vcc, s12, v42
	v_mbcnt_lo_u32_b32 v28, -1, 0
	s_barrier
                                        ; implicit-def: $vgpr30
                                        ; implicit-def: $vgpr32
                                        ; implicit-def: $vgpr31
	s_and_saveexec_b64 s[6:7], vcc
	s_xor_b64 s[6:7], exec, s[6:7]
; %bb.5:
	v_mbcnt_hi_u32_b32 v30, -1, v28
	v_and_b32_e32 v32, 64, v30
	v_add_u32_e32 v31, 64, v32
                                        ; implicit-def: $vgpr28
; %bb.6:
	s_or_saveexec_b64 s[26:27], s[6:7]
	s_load_dwordx2 s[18:19], s[0:1], 0x0
	s_load_dwordx2 s[24:25], s[0:1], 0x18
	s_load_dword s11, s[0:1], 0x88
	v_mov_b32_e32 v33, 0xff7fffff
	s_mul_i32 s14, s15, s14
	v_lshrrev_b32_e32 v38, 4, v0
	s_xor_b64 exec, exec, s[26:27]
	s_cbranch_execz .LBB30_12
; %bb.7:
	s_load_dwordx2 s[0:1], s[0:1], 0x10
	s_ashr_i32 s15, s14, 31
	s_lshl_b64 s[6:7], s[14:15], 2
	v_bfe_u32 v29, v0, 2, 4
	v_lshlrev_b32_e32 v44, 4, v29
	s_waitcnt lgkmcnt(0)
	s_add_u32 s0, s0, s6
	s_addc_u32 s1, s1, s7
	v_mov_b32_e32 v45, 0
	v_lshl_add_u64 v[2:3], s[0:1], 0, v[44:45]
	v_lshlrev_b32_e32 v44, 2, v41
	v_mul_u32_u24_e32 v22, 0x60, v41
	v_mbcnt_hi_u32_b32 v30, -1, v28
	v_lshl_add_u64 v[26:27], v[2:3], 0, v[44:45]
	ds_read_b128 v[2:5], v22
	ds_read_b128 v[6:9], v22 offset:16
	ds_read_b128 v[10:13], v22 offset:32
	;; [unrolled: 1-line block ×5, first 2 shown]
	v_and_b32_e32 v32, 64, v30
	v_add_u32_e32 v31, 64, v32
	v_xor_b32_e32 v28, 2, v30
	v_cmp_lt_i32_e32 vcc, v28, v31
	s_sub_i32 s15, 1, s33
	s_lshl_b64 s[6:7], s[22:23], 2
	v_cndmask_b32_e32 v28, v30, v28, vcc
	v_lshlrev_b32_e32 v34, 2, v28
	v_xor_b32_e32 v28, 1, v30
	v_cmp_lt_i32_e32 vcc, v28, v31
	v_lshlrev_b32_e32 v33, 2, v29
	s_add_u32 s6, s20, s6
	v_cndmask_b32_e32 v28, v30, v28, vcc
	v_lshlrev_b32_e32 v35, 2, v28
	v_lshl_or_b32 v28, v42, 6, v33
	v_and_b32_e32 v44, 60, v38
	s_addc_u32 s7, s21, s7
	s_mov_b32 s17, s13
	v_cmp_eq_u32_e32 vcc, 0, v41
	v_cmp_neq_f32_e64 s[0:1], s8, 0
	v_lshl_or_b32 v37, v42, 4, v29
	v_add_u32_e32 v39, 0x190, v28
	v_lshl_add_u64 v[28:29], s[6:7], 0, v[44:45]
	v_mov_b32_e32 v33, 0xff7fffff
	s_mov_b64 s[28:29], 0
	s_movk_i32 s34, 0x1000
	v_mov_b32_e32 v43, v42
	s_branch .LBB30_9
.LBB30_8:                               ;   in Loop: Header=BB30_9 Depth=1
	s_or_b64 exec, exec, s[30:31]
	v_add_u32_e32 v43, 2, v43
	v_cmp_le_i32_e64 s[6:7], s12, v43
	v_add_u32_e32 v37, 32, v37
	v_add_u32_e32 v39, 0x80, v39
	s_or_b64 s[28:29], s[6:7], s[28:29]
	v_lshl_add_u64 v[28:29], v[28:29], 0, 8
	s_andn2_b64 exec, exec, s[28:29]
	s_cbranch_execz .LBB30_11
.LBB30_9:                               ; =>This Inner Loop Header: Depth=1
	global_load_dword v44, v[28:29], off
	s_waitcnt vmcnt(0) lgkmcnt(0)
	v_mad_i64_i32 v[44:45], s[6:7], v44, s17, 0
	v_lshl_add_u64 v[44:45], v[44:45], 2, v[26:27]
	global_load_dword v46, v[44:45], off
	global_load_dword v47, v[44:45], off offset:256
	global_load_dword v48, v[44:45], off offset:512
	;; [unrolled: 1-line block ×15, first 2 shown]
	v_add_co_u32_e64 v44, s[6:7], s34, v44
	s_nop 1
	v_addc_co_u32_e64 v45, s[6:7], 0, v45, s[6:7]
	global_load_dword v62, v[44:45], off
	global_load_dword v63, v[44:45], off offset:256
	global_load_dword v64, v[44:45], off offset:512
	;; [unrolled: 1-line block ×6, first 2 shown]
	s_nop 0
	global_load_dword v44, v[44:45], off offset:1792
	s_waitcnt vmcnt(22) lgkmcnt(5)
	v_mul_f32_e32 v45, v3, v47
	v_fmac_f32_e32 v45, v2, v46
	s_waitcnt vmcnt(21)
	v_fmac_f32_e32 v45, v4, v48
	s_waitcnt vmcnt(20)
	v_fmac_f32_e32 v45, v5, v49
	s_waitcnt vmcnt(19) lgkmcnt(4)
	v_fmac_f32_e32 v45, v6, v50
	s_waitcnt vmcnt(18)
	v_fmac_f32_e32 v45, v7, v51
	s_waitcnt vmcnt(17)
	v_fmac_f32_e32 v45, v8, v52
	s_waitcnt vmcnt(16)
	v_fmac_f32_e32 v45, v9, v53
	s_waitcnt vmcnt(15) lgkmcnt(3)
	v_fmac_f32_e32 v45, v10, v54
	s_waitcnt vmcnt(14)
	;; [unrolled: 8-line block ×5, first 2 shown]
	v_fmac_f32_e32 v45, v23, v67
	s_waitcnt vmcnt(1)
	v_fmac_f32_e32 v45, v24, v68
	s_waitcnt vmcnt(0)
	v_fmac_f32_e32 v45, v25, v44
	ds_bpermute_b32 v44, v34, v45
	s_waitcnt lgkmcnt(0)
	v_add_f32_e32 v44, v45, v44
	ds_bpermute_b32 v45, v35, v44
	s_and_saveexec_b64 s[30:31], vcc
	s_cbranch_execz .LBB30_8
; %bb.10:                               ;   in Loop: Header=BB30_9 Depth=1
	v_add_u32_e32 v46, s15, v37
	v_cvt_f32_i32_e32 v46, v46
	s_waitcnt lgkmcnt(0)
	v_add_f32_e32 v44, v44, v45
	v_cmp_gt_i32_e64 s[6:7], s33, v37
	v_max_f32_e32 v45, v33, v33
	v_mul_f32_e32 v46, s8, v46
	v_cndmask_b32_e64 v46, 0, v46, s[0:1]
	v_fmac_f32_e32 v46, s9, v44
	v_cndmask_b32_e64 v44, 0, v46, s[6:7]
	ds_write_b32 v39, v44
	v_max_f32_e32 v44, v45, v46
	v_cndmask_b32_e64 v33, v33, v44, s[6:7]
	s_branch .LBB30_8
.LBB30_11:
	s_or_b64 exec, exec, s[28:29]
.LBB30_12:
	s_or_b64 exec, exec, s[26:27]
	v_xor_b32_e32 v2, 32, v30
	v_cmp_lt_i32_e32 vcc, v2, v31
	v_xor_b32_e32 v5, 16, v30
	v_max_f32_e32 v4, v33, v33
	v_cndmask_b32_e32 v2, v30, v2, vcc
	v_lshlrev_b32_e32 v2, 2, v2
	ds_bpermute_b32 v3, v2, v33
	v_cmp_lt_i32_e32 vcc, v5, v31
	v_xor_b32_e32 v6, 8, v30
	v_xor_b32_e32 v7, 4, v30
	v_and_b32_e32 v43, 63, v0
	s_waitcnt lgkmcnt(0)
	v_max_f32_e32 v3, v3, v3
	v_max_f32_e32 v4, v4, v3
	v_cndmask_b32_e32 v3, v30, v5, vcc
	v_lshlrev_b32_e32 v3, 2, v3
	ds_bpermute_b32 v5, v3, v4
	v_cmp_lt_i32_e32 vcc, v6, v31
	s_waitcnt lgkmcnt(0)
	v_max_f32_e32 v5, v5, v5
	v_max_f32_e32 v4, v4, v5
	v_cndmask_b32_e32 v5, v30, v6, vcc
	v_lshlrev_b32_e32 v6, 2, v5
	ds_bpermute_b32 v5, v6, v4
	v_cmp_lt_i32_e32 vcc, v7, v31
	s_waitcnt lgkmcnt(0)
	v_max_f32_e32 v5, v5, v5
	v_max_f32_e32 v5, v4, v5
	v_cndmask_b32_e32 v4, v30, v7, vcc
	v_lshlrev_b32_e32 v7, 2, v4
	ds_bpermute_b32 v8, v7, v5
	v_cmp_eq_u32_e32 vcc, 0, v43
	v_lshlrev_b32_e32 v4, 2, v42
	s_and_saveexec_b64 s[0:1], vcc
	s_cbranch_execz .LBB30_14
; %bb.13:
	s_waitcnt lgkmcnt(0)
	v_max_f32_e32 v8, v8, v8
	v_max_f32_e32 v5, v5, v5
	;; [unrolled: 1-line block ×3, first 2 shown]
	ds_write_b32 v4, v5 offset:384
.LBB30_14:
	s_or_b64 exec, exec, s[0:1]
	v_cmp_gt_u32_e64 s[0:1], 2, v43
	s_waitcnt lgkmcnt(0)
	v_mov_b32_e32 v8, 0xff7fffff
	v_lshlrev_b32_e32 v5, 2, v43
	s_barrier
	s_and_saveexec_b64 s[6:7], s[0:1]
; %bb.15:
	ds_read_b32 v8, v5 offset:384
; %bb.16:
	s_or_b64 exec, exec, s[6:7]
	v_xor_b32_e32 v9, 1, v30
	v_cmp_lt_i32_e64 s[6:7], v9, v31
	s_nop 1
	v_cndmask_b32_e64 v9, v30, v9, s[6:7]
	v_lshlrev_b32_e32 v44, 2, v9
	s_waitcnt lgkmcnt(0)
	ds_bpermute_b32 v9, v44, v8
	v_max_f32_e32 v8, v8, v8
	s_lshl_b32 s6, s12, 4
	s_min_i32 s15, s6, s33
	v_cmp_gt_i32_e64 s[6:7], s15, v0
	s_waitcnt lgkmcnt(0)
	v_max_f32_e32 v9, v9, v9
	v_max_f32_e32 v8, v8, v9
	v_lshlrev_b32_e32 v9, 2, v32
	ds_bpermute_b32 v9, v9, v8
	v_mov_b32_e32 v8, 0
	s_and_saveexec_b64 s[26:27], s[6:7]
	s_cbranch_execz .LBB30_20
; %bb.17:
	v_mov_b32_e32 v8, 0x190
	v_lshl_add_u32 v10, v0, 2, v8
	v_mov_b32_e32 v8, 0
	s_mov_b64 s[28:29], 0
	v_mov_b32_e32 v11, v0
.LBB30_18:                              ; =>This Inner Loop Header: Depth=1
	ds_read_b32 v12, v10
	v_add_u32_e32 v11, 0x80, v11
	v_cmp_le_i32_e64 s[8:9], s15, v11
	s_or_b64 s[28:29], s[8:9], s[28:29]
	s_waitcnt lgkmcnt(0)
	v_sub_f32_e32 v12, v12, v9
	v_mul_f32_e32 v12, 0x3fb8aa3b, v12
	v_exp_f32_e32 v12, v12
	ds_write_b32 v10, v12
	v_add_f32_e32 v8, v8, v12
	v_add_u32_e32 v10, 0x200, v10
	s_andn2_b64 exec, exec, s[28:29]
	s_cbranch_execnz .LBB30_18
; %bb.19:
	s_or_b64 exec, exec, s[28:29]
.LBB30_20:
	s_or_b64 exec, exec, s[26:27]
	ds_bpermute_b32 v2, v2, v8
	s_waitcnt lgkmcnt(0)
	v_add_f32_e32 v2, v8, v2
	ds_bpermute_b32 v3, v3, v2
	s_waitcnt lgkmcnt(0)
	v_add_f32_e32 v2, v2, v3
	ds_bpermute_b32 v3, v6, v2
	v_xor_b32_e32 v6, 2, v30
	v_cmp_lt_i32_e64 s[8:9], v6, v31
	s_waitcnt lgkmcnt(0)
	v_add_f32_e32 v2, v2, v3
	ds_bpermute_b32 v3, v7, v2
	v_cndmask_b32_e64 v6, v30, v6, s[8:9]
	v_lshlrev_b32_e32 v45, 2, v6
	s_waitcnt lgkmcnt(0)
	v_add_f32_e32 v2, v2, v3
	ds_bpermute_b32 v3, v45, v2
	s_waitcnt lgkmcnt(0)
	v_add_f32_e32 v2, v2, v3
	ds_bpermute_b32 v3, v44, v2
	s_waitcnt lgkmcnt(0)
	v_add_f32_e32 v2, v2, v3
	s_and_saveexec_b64 s[8:9], vcc
; %bb.21:
	ds_write_b32 v4, v2 offset:392
; %bb.22:
	s_or_b64 exec, exec, s[8:9]
	s_waitcnt lgkmcnt(0)
	s_barrier
	s_and_saveexec_b64 s[8:9], s[0:1]
; %bb.23:
	ds_read_b32 v2, v5 offset:392
; %bb.24:
	s_or_b64 exec, exec, s[8:9]
	s_waitcnt lgkmcnt(0)
	ds_bpermute_b32 v3, v44, v2
	v_lshlrev_b32_e32 v4, 2, v30
	s_waitcnt lgkmcnt(0)
	v_add_f32_e32 v2, v2, v3
	v_and_b32_e32 v3, 0xffffff00, v4
	ds_bpermute_b32 v2, v3, v2
	s_and_saveexec_b64 s[0:1], s[6:7]
	s_cbranch_execz .LBB30_37
; %bb.25:
	s_waitcnt lgkmcnt(0)
	v_add_f32_e32 v2, 0x358637bd, v2
	v_div_scale_f32 v3, s[6:7], v2, v2, 1.0
	v_rcp_f32_e32 v4, v3
	v_div_scale_f32 v5, vcc, 1.0, v2, 1.0
	s_movk_i32 s6, 0x7f
	v_fma_f32 v6, -v3, v4, 1.0
	v_fmac_f32_e32 v4, v6, v4
	v_mul_f32_e32 v6, v5, v4
	v_fma_f32 v7, -v3, v6, v5
	v_fmac_f32_e32 v6, v7, v4
	v_fma_f32 v3, -v3, v6, v5
	v_div_fmas_f32 v3, v3, v4, v6
	v_xad_u32 v4, v0, -1, s15
	v_div_fixup_f32 v2, v3, v2, 1.0
	v_cmp_lt_u32_e32 vcc, s6, v4
	s_mov_b64 s[8:9], -1
	v_mov_b32_e32 v3, v0
	s_and_saveexec_b64 s[6:7], vcc
	s_cbranch_execz .LBB30_34
; %bb.26:
	v_lshrrev_b32_e32 v4, 7, v4
	v_add_u32_e32 v6, -1, v4
	v_lshrrev_b32_e32 v5, 1, v6
	v_mov_b32_e32 v3, v2
	v_add_u32_e32 v5, 1, v5
	v_cmp_lt_u32_e32 vcc, 13, v6
	v_mov_b32_e32 v8, 0
	s_and_saveexec_b64 s[8:9], vcc
	s_cbranch_execz .LBB30_30
; %bb.27:
	v_mov_b32_e32 v7, 0x190
	v_and_b32_e32 v6, -8, v5
	v_lshl_add_u32 v7, v0, 2, v7
	s_mov_b32 s17, 0
	s_mov_b64 s[26:27], 0
.LBB30_28:                              ; =>This Inner Loop Header: Depth=1
	ds_read2st64_b32 v[8:9], v7 offset1:2
	ds_read2st64_b32 v[10:11], v7 offset0:4 offset1:6
	ds_read2st64_b32 v[12:13], v7 offset0:8 offset1:10
	;; [unrolled: 1-line block ×3, first 2 shown]
	v_add_u32_e32 v6, -8, v6
	s_waitcnt lgkmcnt(3)
	v_pk_mul_f32 v[8:9], v[2:3], v[8:9]
	s_waitcnt lgkmcnt(2)
	v_pk_mul_f32 v[10:11], v[2:3], v[10:11]
	ds_write2st64_b32 v7, v8, v9 offset1:2
	ds_write2st64_b32 v7, v10, v11 offset0:4 offset1:6
	ds_read2st64_b32 v[10:11], v7 offset0:16 offset1:18
	s_waitcnt lgkmcnt(4)
	v_pk_mul_f32 v[8:9], v[2:3], v[12:13]
	ds_write2st64_b32 v7, v8, v9 offset0:8 offset1:10
	s_waitcnt lgkmcnt(4)
	v_pk_mul_f32 v[8:9], v[2:3], v[14:15]
	ds_write2st64_b32 v7, v8, v9 offset0:12 offset1:14
	ds_read2st64_b32 v[8:9], v7 offset0:20 offset1:22
	s_waitcnt lgkmcnt(3)
	v_pk_mul_f32 v[10:11], v[2:3], v[10:11]
	ds_read2st64_b32 v[12:13], v7 offset0:24 offset1:26
	ds_write2st64_b32 v7, v10, v11 offset0:16 offset1:18
	ds_read2st64_b32 v[10:11], v7 offset0:28 offset1:30
	s_waitcnt lgkmcnt(3)
	v_pk_mul_f32 v[8:9], v[2:3], v[8:9]
	ds_write2st64_b32 v7, v8, v9 offset0:20 offset1:22
	s_waitcnt lgkmcnt(3)
	v_pk_mul_f32 v[8:9], v[2:3], v[12:13]
	ds_write2st64_b32 v7, v8, v9 offset0:24 offset1:26
	s_waitcnt lgkmcnt(2)
	v_pk_mul_f32 v[8:9], v[2:3], v[10:11]
	s_add_i32 s17, s17, 16
	v_cmp_eq_u32_e32 vcc, 0, v6
	ds_write2st64_b32 v7, v8, v9 offset0:28 offset1:30
	v_add_u32_e32 v7, 0x2000, v7
	s_or_b64 s[26:27], vcc, s[26:27]
	v_mov_b32_e32 v8, s17
	s_andn2_b64 exec, exec, s[26:27]
	s_cbranch_execnz .LBB30_28
; %bb.29:
	s_or_b64 exec, exec, s[26:27]
.LBB30_30:
	s_or_b64 exec, exec, s[8:9]
	v_and_b32_e32 v5, 7, v5
	v_cmp_ne_u32_e32 vcc, 0, v5
	s_and_saveexec_b64 s[8:9], vcc
	s_cbranch_execz .LBB30_33
; %bb.31:
	v_lshlrev_b32_e32 v6, 9, v8
	s_movk_i32 s17, 0x190
	v_add3_u32 v6, v6, v36, s17
	s_mov_b64 s[26:27], 0
.LBB30_32:                              ; =>This Inner Loop Header: Depth=1
	ds_read2st64_b32 v[8:9], v6 offset1:2
	v_add_u32_e32 v5, -1, v5
	v_cmp_eq_u32_e32 vcc, 0, v5
	s_or_b64 s[26:27], vcc, s[26:27]
	s_waitcnt lgkmcnt(0)
	v_pk_mul_f32 v[8:9], v[2:3], v[8:9]
	ds_write2st64_b32 v6, v8, v9 offset1:2
	v_add_u32_e32 v6, 0x400, v6
	s_andn2_b64 exec, exec, s[26:27]
	s_cbranch_execnz .LBB30_32
.LBB30_33:
	s_or_b64 exec, exec, s[8:9]
	v_add_u32_e32 v4, 1, v4
	v_and_b32_e32 v5, 0x3fffffe, v4
	v_cmp_ne_u32_e32 vcc, v4, v5
	v_lshl_add_u32 v3, v5, 7, v0
	s_orn2_b64 s[8:9], vcc, exec
.LBB30_34:
	s_or_b64 exec, exec, s[6:7]
	s_and_b64 exec, exec, s[8:9]
	s_cbranch_execz .LBB30_37
; %bb.35:
	v_mov_b32_e32 v4, 0x190
	v_lshl_add_u32 v4, v3, 2, v4
	s_mov_b64 s[6:7], 0
.LBB30_36:                              ; =>This Inner Loop Header: Depth=1
	ds_read_b32 v5, v4
	v_add_u32_e32 v3, 0x80, v3
	v_cmp_le_i32_e32 vcc, s15, v3
	s_or_b64 s[6:7], vcc, s[6:7]
	s_waitcnt lgkmcnt(0)
	v_mul_f32_e32 v5, v2, v5
	ds_write_b32 v4, v5
	v_add_u32_e32 v4, 0x200, v4
	s_andn2_b64 exec, exec, s[6:7]
	s_cbranch_execnz .LBB30_36
.LBB30_37:
	s_or_b64 exec, exec, s[0:1]
	v_mov_b32_e32 v31, 0
	v_mov_b32_e32 v30, 0
	;; [unrolled: 1-line block ×6, first 2 shown]
	s_waitcnt lgkmcnt(0)
	s_barrier
	s_and_saveexec_b64 s[6:7], s[2:3]
	s_cbranch_execz .LBB30_53
; %bb.38:
	s_ashr_i32 s15, s14, 31
	s_lshl_b64 s[0:1], s[14:15], 2
	s_add_u32 s0, s24, s0
	v_lshlrev_b32_e32 v3, 4, v0
	s_addc_u32 s1, s25, s1
	v_and_b32_e32 v30, 0x3f0, v3
	v_mov_b32_e32 v31, 0
	v_and_b32_e32 v2, 12, v36
	s_add_i32 s14, s12, -1
	v_lshl_add_u64 v[36:37], s[0:1], 0, v[30:31]
	s_lshl_b64 s[0:1], s[22:23], 2
	v_lshl_or_b32 v46, v42, 4, v2
	v_lshlrev_b32_e32 v2, 4, v41
	s_add_u32 s0, s20, s0
	v_lshl_or_b32 v2, v42, 6, v2
	v_and_b32_e32 v30, 60, v38
	s_addc_u32 s1, s21, s1
	s_mov_b32 s15, s33
	v_add_u32_e32 v47, 0x190, v2
	v_lshl_add_u64 v[38:39], s[0:1], 0, v[30:31]
	s_mov_b64 s[2:3], 0
	v_mov_b32_e32 v30, v31
	v_mov_b32_e32 v33, v31
	;; [unrolled: 1-line block ×5, first 2 shown]
	s_branch .LBB30_40
.LBB30_39:                              ;   in Loop: Header=BB30_40 Depth=1
	s_or_b64 exec, exec, s[8:9]
	s_waitcnt vmcnt(1) lgkmcnt(0)
	v_mul_f32_e32 v22, v2, v22
	v_mul_f32_e32 v18, v2, v18
	;; [unrolled: 1-line block ×5, first 2 shown]
	v_fmac_f32_e32 v22, v3, v23
	v_fmac_f32_e32 v18, v3, v19
	;; [unrolled: 1-line block ×10, first 2 shown]
	s_waitcnt vmcnt(0)
	v_pk_mul_f32 v[2:3], v[2:3], v[26:27]
	v_fmac_f32_e32 v22, v5, v25
	v_fmac_f32_e32 v18, v5, v21
	;; [unrolled: 1-line block ×5, first 2 shown]
	v_pk_mul_f32 v[4:5], v[4:5], v[28:29]
	v_add_f32_e32 v2, v3, v2
	v_add_f32_e32 v2, v4, v2
	v_add_u32_e32 v42, 2, v42
	v_add_f32_e32 v2, v5, v2
	v_cmp_le_i32_e32 vcc, s12, v42
	v_add_f32_e32 v30, v30, v22
	v_add_f32_e32 v33, v33, v18
	;; [unrolled: 1-line block ×6, first 2 shown]
	v_add_u32_e32 v46, 32, v46
	v_add_u32_e32 v47, 0x80, v47
	s_or_b64 s[2:3], vcc, s[2:3]
	v_lshl_add_u64 v[38:39], v[38:39], 0, 8
	s_andn2_b64 exec, exec, s[2:3]
	s_cbranch_execz .LBB30_52
.LBB30_40:                              ; =>This Inner Loop Header: Depth=1
	global_load_dword v2, v[38:39], off
	v_add_u32_e32 v50, 1, v46
	v_or_b32_e32 v49, 3, v46
	v_or_b32_e32 v48, 2, v46
	s_waitcnt vmcnt(0)
	v_mad_i64_i32 v[2:3], s[0:1], v2, s13, 0
	v_lshl_add_u64 v[26:27], v[2:3], 2, v[36:37]
	global_load_dwordx4 v[6:9], v[26:27], off
	ds_read_b128 v[2:5], v47
	v_cmp_eq_u32_e64 s[0:1], s14, v42
	s_and_saveexec_b64 s[8:9], s[0:1]
	s_cbranch_execnz .LBB30_49
; %bb.41:                               ;   in Loop: Header=BB30_40 Depth=1
	s_or_b64 exec, exec, s[8:9]
	global_load_dwordx4 v[10:13], v[26:27], off offset:1024
	s_and_saveexec_b64 s[8:9], s[0:1]
	s_cbranch_execnz .LBB30_50
.LBB30_42:                              ;   in Loop: Header=BB30_40 Depth=1
	s_or_b64 exec, exec, s[8:9]
	global_load_dwordx4 v[14:17], v[26:27], off offset:2048
	s_and_saveexec_b64 s[8:9], s[0:1]
	s_cbranch_execnz .LBB30_51
.LBB30_43:                              ;   in Loop: Header=BB30_40 Depth=1
	s_or_b64 exec, exec, s[8:9]
	global_load_dwordx4 v[18:21], v[26:27], off offset:3072
	s_and_saveexec_b64 s[8:9], s[0:1]
	s_cbranch_execz .LBB30_45
.LBB30_44:                              ;   in Loop: Header=BB30_40 Depth=1
	v_cmp_gt_i32_e32 vcc, s15, v50
	s_waitcnt vmcnt(0)
	s_nop 0
	v_cndmask_b32_e32 v19, 0, v19, vcc
	v_cmp_gt_i32_e32 vcc, s33, v46
	s_nop 1
	v_cndmask_b32_e32 v18, 0, v18, vcc
	v_cmp_gt_i32_e32 vcc, s15, v49
	;; [unrolled: 3-line block ×3, first 2 shown]
	s_nop 1
	v_cndmask_b32_e32 v20, 0, v20, vcc
.LBB30_45:                              ;   in Loop: Header=BB30_40 Depth=1
	s_or_b64 exec, exec, s[8:9]
	v_add_co_u32_e32 v22, vcc, 0x1000, v26
	s_nop 1
	v_addc_co_u32_e32 v23, vcc, 0, v27, vcc
	global_load_dwordx4 v[22:25], v[22:23], off
	s_and_saveexec_b64 s[8:9], s[0:1]
	s_cbranch_execz .LBB30_47
; %bb.46:                               ;   in Loop: Header=BB30_40 Depth=1
	v_cmp_gt_i32_e32 vcc, s15, v50
	s_waitcnt vmcnt(0)
	s_nop 0
	v_cndmask_b32_e32 v23, 0, v23, vcc
	v_cmp_gt_i32_e32 vcc, s33, v46
	s_nop 1
	v_cndmask_b32_e32 v22, 0, v22, vcc
	v_cmp_gt_i32_e32 vcc, s15, v49
	;; [unrolled: 3-line block ×3, first 2 shown]
	s_nop 1
	v_cndmask_b32_e32 v24, 0, v24, vcc
.LBB30_47:                              ;   in Loop: Header=BB30_40 Depth=1
	s_or_b64 exec, exec, s[8:9]
	v_add_co_u32_e32 v26, vcc, 0x1000, v26
	s_nop 1
	v_addc_co_u32_e32 v27, vcc, 0, v27, vcc
	global_load_dwordx4 v[26:29], v[26:27], off offset:1024
	s_and_saveexec_b64 s[8:9], s[0:1]
	s_cbranch_execz .LBB30_39
; %bb.48:                               ;   in Loop: Header=BB30_40 Depth=1
	v_cmp_gt_i32_e32 vcc, s15, v50
	s_waitcnt vmcnt(0)
	s_nop 0
	v_cndmask_b32_e32 v27, 0, v27, vcc
	v_cmp_gt_i32_e32 vcc, s33, v46
	s_nop 1
	v_cndmask_b32_e32 v26, 0, v26, vcc
	v_cmp_gt_i32_e32 vcc, s15, v49
	;; [unrolled: 3-line block ×3, first 2 shown]
	s_nop 1
	v_cndmask_b32_e32 v28, 0, v28, vcc
	s_branch .LBB30_39
.LBB30_49:                              ;   in Loop: Header=BB30_40 Depth=1
	v_cmp_gt_i32_e32 vcc, s15, v50
	s_waitcnt vmcnt(0)
	s_nop 0
	v_cndmask_b32_e32 v7, 0, v7, vcc
	v_cmp_gt_i32_e32 vcc, s33, v46
	s_nop 1
	v_cndmask_b32_e32 v6, 0, v6, vcc
	v_cmp_gt_i32_e32 vcc, s15, v49
	;; [unrolled: 3-line block ×3, first 2 shown]
	s_nop 1
	v_cndmask_b32_e32 v8, 0, v8, vcc
	s_or_b64 exec, exec, s[8:9]
	global_load_dwordx4 v[10:13], v[26:27], off offset:1024
	s_and_saveexec_b64 s[8:9], s[0:1]
	s_cbranch_execz .LBB30_42
.LBB30_50:                              ;   in Loop: Header=BB30_40 Depth=1
	v_cmp_gt_i32_e32 vcc, s15, v50
	s_waitcnt vmcnt(0)
	s_nop 0
	v_cndmask_b32_e32 v11, 0, v11, vcc
	v_cmp_gt_i32_e32 vcc, s33, v46
	s_nop 1
	v_cndmask_b32_e32 v10, 0, v10, vcc
	v_cmp_gt_i32_e32 vcc, s15, v49
	;; [unrolled: 3-line block ×3, first 2 shown]
	s_nop 1
	v_cndmask_b32_e32 v12, 0, v12, vcc
	s_or_b64 exec, exec, s[8:9]
	global_load_dwordx4 v[14:17], v[26:27], off offset:2048
	s_and_saveexec_b64 s[8:9], s[0:1]
	s_cbranch_execz .LBB30_43
.LBB30_51:                              ;   in Loop: Header=BB30_40 Depth=1
	v_cmp_gt_i32_e32 vcc, s15, v50
	s_waitcnt vmcnt(0)
	s_nop 0
	v_cndmask_b32_e32 v15, 0, v15, vcc
	v_cmp_gt_i32_e32 vcc, s33, v46
	s_nop 1
	v_cndmask_b32_e32 v14, 0, v14, vcc
	v_cmp_gt_i32_e32 vcc, s15, v49
	;; [unrolled: 3-line block ×3, first 2 shown]
	s_nop 1
	v_cndmask_b32_e32 v16, 0, v16, vcc
	s_or_b64 exec, exec, s[8:9]
	global_load_dwordx4 v[18:21], v[26:27], off offset:3072
	s_and_saveexec_b64 s[8:9], s[0:1]
	s_cbranch_execnz .LBB30_44
	s_branch .LBB30_45
.LBB30_52:
	s_or_b64 exec, exec, s[2:3]
.LBB30_53:
	s_or_b64 exec, exec, s[6:7]
	ds_bpermute_b32 v2, v45, v34
	ds_bpermute_b32 v3, v45, v35
	;; [unrolled: 1-line block ×6, first 2 shown]
	s_waitcnt lgkmcnt(4)
	v_pk_add_f32 v[2:3], v[34:35], v[2:3]
	ds_bpermute_b32 v6, v44, v2
	ds_bpermute_b32 v7, v44, v3
	s_waitcnt lgkmcnt(4)
	v_pk_add_f32 v[8:9], v[32:33], v[4:5]
	ds_bpermute_b32 v10, v44, v8
	ds_bpermute_b32 v11, v44, v9
	s_waitcnt lgkmcnt(0)
	v_pk_add_f32 v[4:5], v[2:3], v[6:7]
	v_pk_add_f32 v[6:7], v[30:31], v[12:13]
	s_barrier
	v_pk_add_f32 v[2:3], v[8:9], v[10:11]
	ds_bpermute_b32 v8, v44, v6
	ds_bpermute_b32 v9, v44, v7
	v_and_b32_e32 v10, 0x3c3, v0
	v_cmp_ne_u32_e32 vcc, 64, v10
	s_waitcnt lgkmcnt(0)
	s_and_saveexec_b64 s[0:1], vcc
	s_xor_b64 s[0:1], exec, s[0:1]
; %bb.54:
                                        ; implicit-def: $vgpr43
; %bb.55:
	s_or_saveexec_b64 s[0:1], s[0:1]
	v_pk_add_f32 v[6:7], v[6:7], v[8:9]
	s_xor_b64 exec, exec, s[0:1]
	s_cbranch_execz .LBB30_57
; %bb.56:
	v_add_u32_e32 v8, 0x190, v43
	ds_write2_b32 v8, v4, v5 offset1:16
	ds_write2_b32 v8, v2, v3 offset0:32 offset1:48
	ds_write2_b32 v8, v6, v7 offset0:64 offset1:80
.LBB30_57:
	s_or_b64 exec, exec, s[0:1]
	v_cmp_gt_u32_e32 vcc, 64, v0
	s_waitcnt lgkmcnt(0)
	s_barrier
	s_and_saveexec_b64 s[0:1], vcc
	s_cbranch_execz .LBB30_66
; %bb.58:
	v_mov_b32_e32 v0, 0x190
	v_cmp_eq_u32_e32 vcc, 0, v41
	v_lshl_add_u32 v0, v40, 2, v0
	s_and_saveexec_b64 s[2:3], vcc
	s_cbranch_execnz .LBB30_69
; %bb.59:
	s_or_b64 exec, exec, s[2:3]
	s_and_saveexec_b64 s[2:3], vcc
	s_cbranch_execnz .LBB30_70
.LBB30_60:
	s_or_b64 exec, exec, s[2:3]
	s_and_saveexec_b64 s[2:3], vcc
	s_cbranch_execnz .LBB30_71
.LBB30_61:
	s_or_b64 exec, exec, s[2:3]
	s_and_saveexec_b64 s[2:3], vcc
	s_cbranch_execnz .LBB30_72
.LBB30_62:
	s_or_b64 exec, exec, s[2:3]
	s_and_saveexec_b64 s[2:3], vcc
	s_cbranch_execnz .LBB30_73
.LBB30_63:
	s_or_b64 exec, exec, s[2:3]
	s_and_saveexec_b64 s[2:3], vcc
	s_cbranch_execz .LBB30_65
.LBB30_64:
	ds_read_b32 v0, v0 offset:320
	s_waitcnt lgkmcnt(0)
	v_add_f32_e32 v7, v7, v0
.LBB30_65:
	s_or_b64 exec, exec, s[2:3]
.LBB30_66:
	s_or_b64 exec, exec, s[0:1]
	v_cmp_eq_u32_e32 vcc, 0, v10
	s_barrier
	s_and_saveexec_b64 s[0:1], vcc
	s_cbranch_execz .LBB30_68
; %bb.67:
	s_mul_i32 s0, s10, s11
	s_mul_i32 s0, s0, s5
	s_mulk_i32 s0, 0x60
	s_ashr_i32 s1, s0, 31
	s_lshl_b64 s[0:1], s[0:1], 2
	s_add_u32 s2, s18, s0
	s_mul_i32 s0, s11, s16
	s_addc_u32 s3, s19, s1
	s_ashr_i32 s1, s0, 31
	s_lshl_b64 s[0:1], s[0:1], 2
	s_add_u32 s2, s2, s0
	s_mul_i32 s0, s4, 0x60
	s_addc_u32 s3, s3, s1
	s_ashr_i32 s1, s0, 31
	s_lshl_b64 s[0:1], s[0:1], 2
	s_add_u32 s0, s2, s0
	s_addc_u32 s1, s3, s1
	global_store_dword v1, v4, s[0:1]
	global_store_dword v1, v5, s[0:1] offset:64
	global_store_dword v1, v2, s[0:1] offset:128
	;; [unrolled: 1-line block ×5, first 2 shown]
.LBB30_68:
	s_endpgm
.LBB30_69:
	ds_read_b32 v8, v0
	s_waitcnt lgkmcnt(0)
	v_add_f32_e32 v4, v4, v8
	s_or_b64 exec, exec, s[2:3]
	s_and_saveexec_b64 s[2:3], vcc
	s_cbranch_execz .LBB30_60
.LBB30_70:
	ds_read_b32 v8, v0 offset:64
	s_waitcnt lgkmcnt(0)
	v_add_f32_e32 v5, v5, v8
	s_or_b64 exec, exec, s[2:3]
	s_and_saveexec_b64 s[2:3], vcc
	s_cbranch_execz .LBB30_61
.LBB30_71:
	ds_read_b32 v8, v0 offset:128
	s_waitcnt lgkmcnt(0)
	v_add_f32_e32 v2, v2, v8
	s_or_b64 exec, exec, s[2:3]
	s_and_saveexec_b64 s[2:3], vcc
	s_cbranch_execz .LBB30_62
.LBB30_72:
	ds_read_b32 v8, v0 offset:192
	s_waitcnt lgkmcnt(0)
	v_add_f32_e32 v3, v3, v8
	s_or_b64 exec, exec, s[2:3]
	s_and_saveexec_b64 s[2:3], vcc
	s_cbranch_execz .LBB30_63
.LBB30_73:
	ds_read_b32 v8, v0 offset:256
	s_waitcnt lgkmcnt(0)
	v_add_f32_e32 v6, v6, v8
	s_or_b64 exec, exec, s[2:3]
	s_and_saveexec_b64 s[2:3], vcc
	s_cbranch_execnz .LBB30_64
	s_branch .LBB30_65
	.section	.rodata,"a",@progbits
	.p2align	6, 0x0
	.amdhsa_kernel _ZN4vllm25paged_attention_v1_kernelIffLi96ELi16ELi128ELNS_18Fp8KVCacheDataTypeE0ELb0EEEvPT_PKS2_PKT0_S8_ifPKiSA_iPKfiiiSC_SC_iiiii
		.amdhsa_group_segment_fixed_size 400
		.amdhsa_private_segment_fixed_size 0
		.amdhsa_kernarg_size 384
		.amdhsa_user_sgpr_count 2
		.amdhsa_user_sgpr_dispatch_ptr 0
		.amdhsa_user_sgpr_queue_ptr 0
		.amdhsa_user_sgpr_kernarg_segment_ptr 1
		.amdhsa_user_sgpr_dispatch_id 0
		.amdhsa_user_sgpr_kernarg_preload_length 0
		.amdhsa_user_sgpr_kernarg_preload_offset 0
		.amdhsa_user_sgpr_private_segment_size 0
		.amdhsa_uses_dynamic_stack 0
		.amdhsa_enable_private_segment 0
		.amdhsa_system_sgpr_workgroup_id_x 1
		.amdhsa_system_sgpr_workgroup_id_y 1
		.amdhsa_system_sgpr_workgroup_id_z 1
		.amdhsa_system_sgpr_workgroup_info 0
		.amdhsa_system_vgpr_workitem_id 0
		.amdhsa_next_free_vgpr 69
		.amdhsa_next_free_sgpr 35
		.amdhsa_accum_offset 72
		.amdhsa_reserve_vcc 1
		.amdhsa_float_round_mode_32 0
		.amdhsa_float_round_mode_16_64 0
		.amdhsa_float_denorm_mode_32 3
		.amdhsa_float_denorm_mode_16_64 3
		.amdhsa_dx10_clamp 1
		.amdhsa_ieee_mode 1
		.amdhsa_fp16_overflow 0
		.amdhsa_tg_split 0
		.amdhsa_exception_fp_ieee_invalid_op 0
		.amdhsa_exception_fp_denorm_src 0
		.amdhsa_exception_fp_ieee_div_zero 0
		.amdhsa_exception_fp_ieee_overflow 0
		.amdhsa_exception_fp_ieee_underflow 0
		.amdhsa_exception_fp_ieee_inexact 0
		.amdhsa_exception_int_div_zero 0
	.end_amdhsa_kernel
	.section	.text._ZN4vllm25paged_attention_v1_kernelIffLi96ELi16ELi128ELNS_18Fp8KVCacheDataTypeE0ELb0EEEvPT_PKS2_PKT0_S8_ifPKiSA_iPKfiiiSC_SC_iiiii,"axG",@progbits,_ZN4vllm25paged_attention_v1_kernelIffLi96ELi16ELi128ELNS_18Fp8KVCacheDataTypeE0ELb0EEEvPT_PKS2_PKT0_S8_ifPKiSA_iPKfiiiSC_SC_iiiii,comdat
.Lfunc_end30:
	.size	_ZN4vllm25paged_attention_v1_kernelIffLi96ELi16ELi128ELNS_18Fp8KVCacheDataTypeE0ELb0EEEvPT_PKS2_PKT0_S8_ifPKiSA_iPKfiiiSC_SC_iiiii, .Lfunc_end30-_ZN4vllm25paged_attention_v1_kernelIffLi96ELi16ELi128ELNS_18Fp8KVCacheDataTypeE0ELb0EEEvPT_PKS2_PKT0_S8_ifPKiSA_iPKfiiiSC_SC_iiiii
                                        ; -- End function
	.set _ZN4vllm25paged_attention_v1_kernelIffLi96ELi16ELi128ELNS_18Fp8KVCacheDataTypeE0ELb0EEEvPT_PKS2_PKT0_S8_ifPKiSA_iPKfiiiSC_SC_iiiii.num_vgpr, 69
	.set _ZN4vllm25paged_attention_v1_kernelIffLi96ELi16ELi128ELNS_18Fp8KVCacheDataTypeE0ELb0EEEvPT_PKS2_PKT0_S8_ifPKiSA_iPKfiiiSC_SC_iiiii.num_agpr, 0
	.set _ZN4vllm25paged_attention_v1_kernelIffLi96ELi16ELi128ELNS_18Fp8KVCacheDataTypeE0ELb0EEEvPT_PKS2_PKT0_S8_ifPKiSA_iPKfiiiSC_SC_iiiii.numbered_sgpr, 35
	.set _ZN4vllm25paged_attention_v1_kernelIffLi96ELi16ELi128ELNS_18Fp8KVCacheDataTypeE0ELb0EEEvPT_PKS2_PKT0_S8_ifPKiSA_iPKfiiiSC_SC_iiiii.num_named_barrier, 0
	.set _ZN4vllm25paged_attention_v1_kernelIffLi96ELi16ELi128ELNS_18Fp8KVCacheDataTypeE0ELb0EEEvPT_PKS2_PKT0_S8_ifPKiSA_iPKfiiiSC_SC_iiiii.private_seg_size, 0
	.set _ZN4vllm25paged_attention_v1_kernelIffLi96ELi16ELi128ELNS_18Fp8KVCacheDataTypeE0ELb0EEEvPT_PKS2_PKT0_S8_ifPKiSA_iPKfiiiSC_SC_iiiii.uses_vcc, 1
	.set _ZN4vllm25paged_attention_v1_kernelIffLi96ELi16ELi128ELNS_18Fp8KVCacheDataTypeE0ELb0EEEvPT_PKS2_PKT0_S8_ifPKiSA_iPKfiiiSC_SC_iiiii.uses_flat_scratch, 0
	.set _ZN4vllm25paged_attention_v1_kernelIffLi96ELi16ELi128ELNS_18Fp8KVCacheDataTypeE0ELb0EEEvPT_PKS2_PKT0_S8_ifPKiSA_iPKfiiiSC_SC_iiiii.has_dyn_sized_stack, 0
	.set _ZN4vllm25paged_attention_v1_kernelIffLi96ELi16ELi128ELNS_18Fp8KVCacheDataTypeE0ELb0EEEvPT_PKS2_PKT0_S8_ifPKiSA_iPKfiiiSC_SC_iiiii.has_recursion, 0
	.set _ZN4vllm25paged_attention_v1_kernelIffLi96ELi16ELi128ELNS_18Fp8KVCacheDataTypeE0ELb0EEEvPT_PKS2_PKT0_S8_ifPKiSA_iPKfiiiSC_SC_iiiii.has_indirect_call, 0
	.section	.AMDGPU.csdata,"",@progbits
; Kernel info:
; codeLenInByte = 4380
; TotalNumSgprs: 41
; NumVgprs: 69
; NumAgprs: 0
; TotalNumVgprs: 69
; ScratchSize: 0
; MemoryBound: 0
; FloatMode: 240
; IeeeMode: 1
; LDSByteSize: 400 bytes/workgroup (compile time only)
; SGPRBlocks: 5
; VGPRBlocks: 8
; NumSGPRsForWavesPerEU: 41
; NumVGPRsForWavesPerEU: 69
; AccumOffset: 72
; Occupancy: 7
; WaveLimiterHint : 1
; COMPUTE_PGM_RSRC2:SCRATCH_EN: 0
; COMPUTE_PGM_RSRC2:USER_SGPR: 2
; COMPUTE_PGM_RSRC2:TRAP_HANDLER: 0
; COMPUTE_PGM_RSRC2:TGID_X_EN: 1
; COMPUTE_PGM_RSRC2:TGID_Y_EN: 1
; COMPUTE_PGM_RSRC2:TGID_Z_EN: 1
; COMPUTE_PGM_RSRC2:TIDIG_COMP_CNT: 0
; COMPUTE_PGM_RSRC3_GFX90A:ACCUM_OFFSET: 17
; COMPUTE_PGM_RSRC3_GFX90A:TG_SPLIT: 0
	.section	.text._ZN4vllm25paged_attention_v1_kernelIffLi112ELi16ELi128ELNS_18Fp8KVCacheDataTypeE0ELb0EEEvPT_PKS2_PKT0_S8_ifPKiSA_iPKfiiiSC_SC_iiiii,"axG",@progbits,_ZN4vllm25paged_attention_v1_kernelIffLi112ELi16ELi128ELNS_18Fp8KVCacheDataTypeE0ELb0EEEvPT_PKS2_PKT0_S8_ifPKiSA_iPKfiiiSC_SC_iiiii,comdat
	.protected	_ZN4vllm25paged_attention_v1_kernelIffLi112ELi16ELi128ELNS_18Fp8KVCacheDataTypeE0ELb0EEEvPT_PKS2_PKT0_S8_ifPKiSA_iPKfiiiSC_SC_iiiii ; -- Begin function _ZN4vllm25paged_attention_v1_kernelIffLi112ELi16ELi128ELNS_18Fp8KVCacheDataTypeE0ELb0EEEvPT_PKS2_PKT0_S8_ifPKiSA_iPKfiiiSC_SC_iiiii
	.globl	_ZN4vllm25paged_attention_v1_kernelIffLi112ELi16ELi128ELNS_18Fp8KVCacheDataTypeE0ELb0EEEvPT_PKS2_PKT0_S8_ifPKiSA_iPKfiiiSC_SC_iiiii
	.p2align	8
	.type	_ZN4vllm25paged_attention_v1_kernelIffLi112ELi16ELi128ELNS_18Fp8KVCacheDataTypeE0ELb0EEEvPT_PKS2_PKT0_S8_ifPKiSA_iPKfiiiSC_SC_iiiii,@function
_ZN4vllm25paged_attention_v1_kernelIffLi112ELi16ELi128ELNS_18Fp8KVCacheDataTypeE0ELb0EEEvPT_PKS2_PKT0_S8_ifPKiSA_iPKfiiiSC_SC_iiiii: ; @_ZN4vllm25paged_attention_v1_kernelIffLi112ELi16ELi128ELNS_18Fp8KVCacheDataTypeE0ELb0EEEvPT_PKS2_PKT0_S8_ifPKiSA_iPKfiiiSC_SC_iiiii
; %bb.0:
	s_load_dword s5, s[0:1], 0x80
	s_load_dwordx2 s[6:7], s[0:1], 0x30
	s_load_dwordx2 s[8:9], s[0:1], 0x20
	s_mov_b32 s10, s3
	s_ashr_i32 s11, s3, 31
	s_lshl_b64 s[12:13], s[10:11], 2
	s_waitcnt lgkmcnt(0)
	s_add_u32 s6, s6, s12
	s_addc_u32 s7, s7, s13
	s_abs_i32 s3, s8
	v_cvt_f32_u32_e32 v1, s3
	s_sub_i32 s12, 0, s3
	s_abs_i32 s11, s5
	s_xor_b32 s8, s5, s8
	v_rcp_iflag_f32_e32 v1, v1
	s_ashr_i32 s8, s8, 31
	v_mul_f32_e32 v1, 0x4f7ffffe, v1
	v_cvt_u32_f32_e32 v1, v1
	s_nop 0
	v_readfirstlane_b32 s13, v1
	s_mul_i32 s12, s12, s13
	s_mul_hi_u32 s12, s13, s12
	s_add_i32 s13, s13, s12
	s_mul_hi_u32 s12, s11, s13
	s_mul_i32 s13, s12, s3
	s_sub_i32 s11, s11, s13
	s_add_i32 s13, s12, 1
	s_sub_i32 s14, s11, s3
	s_cmp_ge_u32 s11, s3
	s_cselect_b32 s12, s13, s12
	s_cselect_b32 s11, s14, s11
	s_add_i32 s13, s12, 1
	s_cmp_ge_u32 s11, s3
	s_cselect_b32 s3, s13, s12
	s_xor_b32 s3, s3, s8
	s_sub_i32 s14, s3, s8
	s_abs_i32 s11, s14
	v_cvt_f32_u32_e32 v1, s11
	s_load_dwordx2 s[12:13], s[0:1], 0x40
	s_sub_i32 s3, 0, s11
	s_abs_i32 s18, s2
	v_rcp_iflag_f32_e32 v1, v1
	s_mov_b32 s8, 0
	v_mul_f32_e32 v1, 0x4f7ffffe, v1
	v_cvt_u32_f32_e32 v1, v1
	s_nop 0
	v_readfirstlane_b32 s15, v1
	s_mul_i32 s3, s3, s15
	s_mul_hi_u32 s3, s15, s3
	s_add_i32 s15, s15, s3
	s_waitcnt lgkmcnt(0)
	s_cmp_eq_u64 s[12:13], 0
	s_mul_hi_u32 s19, s18, s15
	s_cbranch_scc1 .LBB31_2
; %bb.1:
	s_ashr_i32 s3, s2, 31
	s_lshl_b64 s[16:17], s[2:3], 2
	s_add_u32 s12, s12, s16
	s_addc_u32 s13, s13, s17
	s_load_dword s8, s[12:13], 0x0
.LBB31_2:
	s_load_dword s33, s[6:7], 0x0
	s_ashr_i32 s7, s14, 31
	s_load_dwordx4 s[12:15], s[0:1], 0x48
	v_lshrrev_b32_e32 v46, 2, v0
	s_waitcnt lgkmcnt(0)
	s_movk_i32 s15, 0x70
	s_ashr_i32 s6, s2, 31
	v_and_b32_e32 v47, 3, v0
	s_mul_i32 s16, s2, 0x70
	v_cmp_gt_u32_e32 vcc, s15, v0
	v_lshlrev_b32_e32 v34, 2, v0
	v_lshlrev_b32_e32 v1, 2, v46
	s_and_saveexec_b64 s[2:3], vcc
	s_cbranch_execz .LBB31_4
; %bb.3:
	s_load_dwordx2 s[20:21], s[0:1], 0x8
	s_mul_i32 s22, s12, s10
	s_ashr_i32 s23, s22, 31
	s_lshl_b64 s[22:23], s[22:23], 2
	v_mad_u32_u24 v3, v47, s15, v1
	s_waitcnt lgkmcnt(0)
	s_add_u32 s12, s20, s22
	s_addc_u32 s22, s21, s23
	s_ashr_i32 s17, s16, 31
	s_lshl_b64 s[20:21], s[16:17], 2
	s_add_u32 s20, s12, s20
	s_addc_u32 s21, s22, s21
	global_load_dword v2, v34, s[20:21]
	s_waitcnt vmcnt(0)
	ds_write_b32 v3, v2
.LBB31_4:
	s_or_b64 exec, exec, s[2:3]
	s_add_i32 s3, s33, 15
	s_ashr_i32 s12, s3, 31
	s_lshr_b32 s12, s12, 28
	s_add_i32 s3, s3, s12
	s_ashr_i32 s12, s3, 4
	s_xor_b32 s3, s6, s7
	s_mul_i32 s6, s19, s11
	s_sub_i32 s6, s18, s6
	s_add_i32 s7, s19, 1
	s_sub_i32 s15, s6, s11
	s_load_dwordx2 s[20:21], s[0:1], 0x28
	s_load_dword s2, s[0:1], 0x38
	s_cmp_ge_u32 s6, s11
	s_cselect_b32 s7, s7, s19
	s_cselect_b32 s6, s15, s6
	s_add_i32 s15, s7, 1
	s_cmp_ge_u32 s6, s11
	s_cselect_b32 s6, s15, s7
	v_lshrrev_b32_e32 v48, 6, v0
	s_xor_b32 s6, s6, s3
	s_waitcnt lgkmcnt(0)
	s_mul_i32 s22, s2, s10
	s_sub_i32 s15, s6, s3
	s_ashr_i32 s23, s22, 31
	v_cmp_gt_i32_e64 s[2:3], s12, v48
	v_cmp_le_i32_e32 vcc, s12, v48
	v_mbcnt_lo_u32_b32 v32, -1, 0
	s_barrier
                                        ; implicit-def: $vgpr35
                                        ; implicit-def: $vgpr37
                                        ; implicit-def: $vgpr36
	s_and_saveexec_b64 s[6:7], vcc
	s_xor_b64 s[6:7], exec, s[6:7]
; %bb.5:
	v_mbcnt_hi_u32_b32 v35, -1, v32
	v_and_b32_e32 v37, 64, v35
	v_add_u32_e32 v36, 64, v37
                                        ; implicit-def: $vgpr32
; %bb.6:
	s_or_saveexec_b64 s[26:27], s[6:7]
	s_load_dwordx2 s[18:19], s[0:1], 0x0
	s_load_dwordx2 s[24:25], s[0:1], 0x18
	s_load_dword s11, s[0:1], 0x88
	v_mov_b32_e32 v38, 0xff7fffff
	s_mul_i32 s14, s15, s14
	v_lshrrev_b32_e32 v44, 4, v0
	s_xor_b64 exec, exec, s[26:27]
	s_cbranch_execz .LBB31_12
; %bb.7:
	s_load_dwordx2 s[0:1], s[0:1], 0x10
	s_ashr_i32 s15, s14, 31
	s_lshl_b64 s[6:7], s[14:15], 2
	v_bfe_u32 v33, v0, 2, 4
	v_lshlrev_b32_e32 v50, 4, v33
	s_waitcnt lgkmcnt(0)
	s_add_u32 s0, s0, s6
	s_addc_u32 s1, s1, s7
	v_mov_b32_e32 v51, 0
	v_lshl_add_u64 v[2:3], s[0:1], 0, v[50:51]
	v_lshlrev_b32_e32 v50, 2, v47
	v_mul_u32_u24_e32 v26, 0x70, v47
	v_lshl_add_u64 v[30:31], v[2:3], 0, v[50:51]
	ds_read_b128 v[2:5], v26
	ds_read_b128 v[6:9], v26 offset:16
	ds_read_b128 v[10:13], v26 offset:32
	;; [unrolled: 1-line block ×6, first 2 shown]
	v_mbcnt_hi_u32_b32 v35, -1, v32
	v_and_b32_e32 v37, 64, v35
	v_add_u32_e32 v36, 64, v37
	v_xor_b32_e32 v32, 2, v35
	v_cmp_lt_i32_e32 vcc, v32, v36
	s_sub_i32 s15, 1, s33
	s_lshl_b64 s[6:7], s[22:23], 2
	v_cndmask_b32_e32 v32, v35, v32, vcc
	v_lshlrev_b32_e32 v39, 2, v32
	v_xor_b32_e32 v32, 1, v35
	v_cmp_lt_i32_e32 vcc, v32, v36
	v_lshlrev_b32_e32 v38, 2, v33
	s_add_u32 s6, s20, s6
	v_cndmask_b32_e32 v32, v35, v32, vcc
	v_lshlrev_b32_e32 v40, 2, v32
	v_lshl_or_b32 v32, v48, 6, v38
	v_and_b32_e32 v50, 60, v44
	s_addc_u32 s7, s21, s7
	s_mov_b32 s17, s13
	v_cmp_eq_u32_e32 vcc, 0, v47
	v_cmp_neq_f32_e64 s[0:1], s8, 0
	v_lshl_or_b32 v41, v48, 4, v33
	v_add_u32_e32 v42, 0x1d0, v32
	v_lshl_add_u64 v[32:33], s[6:7], 0, v[50:51]
	v_mov_b32_e32 v38, 0xff7fffff
	s_mov_b64 s[28:29], 0
	s_movk_i32 s34, 0x1000
	v_mov_b32_e32 v43, v48
	s_branch .LBB31_9
.LBB31_8:                               ;   in Loop: Header=BB31_9 Depth=1
	s_or_b64 exec, exec, s[30:31]
	v_add_u32_e32 v43, 2, v43
	v_cmp_le_i32_e64 s[6:7], s12, v43
	v_add_u32_e32 v41, 32, v41
	v_add_u32_e32 v42, 0x80, v42
	s_or_b64 s[28:29], s[6:7], s[28:29]
	v_lshl_add_u64 v[32:33], v[32:33], 0, 8
	s_andn2_b64 exec, exec, s[28:29]
	s_cbranch_execz .LBB31_11
.LBB31_9:                               ; =>This Inner Loop Header: Depth=1
	global_load_dword v45, v[32:33], off
	s_waitcnt vmcnt(0)
	v_mad_i64_i32 v[50:51], s[6:7], v45, s17, 0
	v_lshl_add_u64 v[50:51], v[50:51], 2, v[30:31]
	global_load_dword v45, v[50:51], off
	s_waitcnt lgkmcnt(0)
	global_load_dword v49, v[50:51], off offset:256
	global_load_dword v52, v[50:51], off offset:512
	;; [unrolled: 1-line block ×15, first 2 shown]
	v_add_co_u32_e64 v50, s[6:7], s34, v50
	s_waitcnt vmcnt(14) lgkmcnt(6)
	v_mul_f32_e32 v49, v3, v49
	v_addc_co_u32_e64 v51, s[6:7], 0, v51, s[6:7]
	global_load_dword v66, v[50:51], off
	global_load_dword v67, v[50:51], off offset:256
	global_load_dword v68, v[50:51], off offset:512
	;; [unrolled: 1-line block ×10, first 2 shown]
	s_nop 0
	global_load_dword v50, v[50:51], off offset:2816
	v_fmac_f32_e32 v49, v2, v45
	s_waitcnt vmcnt(25)
	v_fmac_f32_e32 v49, v4, v52
	s_waitcnt vmcnt(24)
	v_fmac_f32_e32 v49, v5, v53
	s_waitcnt vmcnt(23) lgkmcnt(5)
	v_fmac_f32_e32 v49, v6, v54
	s_waitcnt vmcnt(22)
	v_fmac_f32_e32 v49, v7, v55
	s_waitcnt vmcnt(21)
	v_fmac_f32_e32 v49, v8, v56
	s_waitcnt vmcnt(20)
	v_fmac_f32_e32 v49, v9, v57
	s_waitcnt vmcnt(19) lgkmcnt(4)
	v_fmac_f32_e32 v49, v10, v58
	s_waitcnt vmcnt(18)
	;; [unrolled: 8-line block ×6, first 2 shown]
	v_fmac_f32_e32 v49, v27, v75
	s_waitcnt vmcnt(1)
	v_fmac_f32_e32 v49, v28, v76
	s_waitcnt vmcnt(0)
	v_fmac_f32_e32 v49, v29, v50
	ds_bpermute_b32 v45, v39, v49
	s_waitcnt lgkmcnt(0)
	v_add_f32_e32 v45, v49, v45
	ds_bpermute_b32 v49, v40, v45
	s_and_saveexec_b64 s[30:31], vcc
	s_cbranch_execz .LBB31_8
; %bb.10:                               ;   in Loop: Header=BB31_9 Depth=1
	v_add_u32_e32 v50, s15, v41
	v_cvt_f32_i32_e32 v50, v50
	s_waitcnt lgkmcnt(0)
	v_add_f32_e32 v45, v45, v49
	v_cmp_gt_i32_e64 s[6:7], s33, v41
	v_max_f32_e32 v49, v38, v38
	v_mul_f32_e32 v50, s8, v50
	v_cndmask_b32_e64 v50, 0, v50, s[0:1]
	v_fmac_f32_e32 v50, s9, v45
	v_cndmask_b32_e64 v45, 0, v50, s[6:7]
	ds_write_b32 v42, v45
	v_max_f32_e32 v45, v49, v50
	v_cndmask_b32_e64 v38, v38, v45, s[6:7]
	s_branch .LBB31_8
.LBB31_11:
	s_or_b64 exec, exec, s[28:29]
.LBB31_12:
	s_or_b64 exec, exec, s[26:27]
	v_xor_b32_e32 v2, 32, v35
	v_cmp_lt_i32_e32 vcc, v2, v36
	v_xor_b32_e32 v5, 16, v35
	v_max_f32_e32 v4, v38, v38
	v_cndmask_b32_e32 v2, v35, v2, vcc
	v_lshlrev_b32_e32 v2, 2, v2
	ds_bpermute_b32 v3, v2, v38
	v_cmp_lt_i32_e32 vcc, v5, v36
	v_xor_b32_e32 v6, 8, v35
	v_xor_b32_e32 v7, 4, v35
	s_waitcnt lgkmcnt(0)
	v_and_b32_e32 v49, 63, v0
	v_max_f32_e32 v3, v3, v3
	v_max_f32_e32 v4, v4, v3
	v_cndmask_b32_e32 v3, v35, v5, vcc
	v_lshlrev_b32_e32 v3, 2, v3
	ds_bpermute_b32 v5, v3, v4
	v_cmp_lt_i32_e32 vcc, v6, v36
	s_waitcnt lgkmcnt(0)
	v_max_f32_e32 v5, v5, v5
	v_max_f32_e32 v4, v4, v5
	v_cndmask_b32_e32 v5, v35, v6, vcc
	v_lshlrev_b32_e32 v6, 2, v5
	ds_bpermute_b32 v5, v6, v4
	v_cmp_lt_i32_e32 vcc, v7, v36
	s_waitcnt lgkmcnt(0)
	v_max_f32_e32 v5, v5, v5
	v_max_f32_e32 v5, v4, v5
	v_cndmask_b32_e32 v4, v35, v7, vcc
	v_lshlrev_b32_e32 v7, 2, v4
	ds_bpermute_b32 v8, v7, v5
	v_cmp_eq_u32_e32 vcc, 0, v49
	v_lshlrev_b32_e32 v4, 2, v48
	s_and_saveexec_b64 s[0:1], vcc
	s_cbranch_execz .LBB31_14
; %bb.13:
	s_waitcnt lgkmcnt(0)
	v_max_f32_e32 v8, v8, v8
	v_max_f32_e32 v5, v5, v5
	;; [unrolled: 1-line block ×3, first 2 shown]
	ds_write_b32 v4, v5 offset:448
.LBB31_14:
	s_or_b64 exec, exec, s[0:1]
	v_cmp_gt_u32_e64 s[0:1], 2, v49
	s_waitcnt lgkmcnt(0)
	v_mov_b32_e32 v8, 0xff7fffff
	v_lshlrev_b32_e32 v5, 2, v49
	s_barrier
	s_and_saveexec_b64 s[6:7], s[0:1]
; %bb.15:
	ds_read_b32 v8, v5 offset:448
; %bb.16:
	s_or_b64 exec, exec, s[6:7]
	v_xor_b32_e32 v9, 1, v35
	v_cmp_lt_i32_e64 s[6:7], v9, v36
	s_nop 1
	v_cndmask_b32_e64 v9, v35, v9, s[6:7]
	v_lshlrev_b32_e32 v50, 2, v9
	s_waitcnt lgkmcnt(0)
	ds_bpermute_b32 v9, v50, v8
	v_max_f32_e32 v8, v8, v8
	s_lshl_b32 s6, s12, 4
	s_min_i32 s15, s6, s33
	v_cmp_gt_i32_e64 s[6:7], s15, v0
	s_waitcnt lgkmcnt(0)
	v_max_f32_e32 v9, v9, v9
	v_max_f32_e32 v8, v8, v9
	v_lshlrev_b32_e32 v9, 2, v37
	ds_bpermute_b32 v9, v9, v8
	v_mov_b32_e32 v8, 0
	s_and_saveexec_b64 s[26:27], s[6:7]
	s_cbranch_execz .LBB31_20
; %bb.17:
	v_mov_b32_e32 v8, 0x1d0
	v_lshl_add_u32 v10, v0, 2, v8
	v_mov_b32_e32 v8, 0
	s_mov_b64 s[28:29], 0
	v_mov_b32_e32 v11, v0
.LBB31_18:                              ; =>This Inner Loop Header: Depth=1
	ds_read_b32 v12, v10
	v_add_u32_e32 v11, 0x80, v11
	v_cmp_le_i32_e64 s[8:9], s15, v11
	s_or_b64 s[28:29], s[8:9], s[28:29]
	s_waitcnt lgkmcnt(0)
	v_sub_f32_e32 v12, v12, v9
	v_mul_f32_e32 v12, 0x3fb8aa3b, v12
	v_exp_f32_e32 v12, v12
	ds_write_b32 v10, v12
	v_add_f32_e32 v8, v8, v12
	v_add_u32_e32 v10, 0x200, v10
	s_andn2_b64 exec, exec, s[28:29]
	s_cbranch_execnz .LBB31_18
; %bb.19:
	s_or_b64 exec, exec, s[28:29]
.LBB31_20:
	s_or_b64 exec, exec, s[26:27]
	ds_bpermute_b32 v2, v2, v8
	s_waitcnt lgkmcnt(0)
	v_add_f32_e32 v2, v8, v2
	ds_bpermute_b32 v3, v3, v2
	s_waitcnt lgkmcnt(0)
	v_add_f32_e32 v2, v2, v3
	ds_bpermute_b32 v3, v6, v2
	v_xor_b32_e32 v6, 2, v35
	v_cmp_lt_i32_e64 s[8:9], v6, v36
	s_waitcnt lgkmcnt(0)
	v_add_f32_e32 v2, v2, v3
	ds_bpermute_b32 v3, v7, v2
	v_cndmask_b32_e64 v6, v35, v6, s[8:9]
	v_lshlrev_b32_e32 v51, 2, v6
	s_waitcnt lgkmcnt(0)
	v_add_f32_e32 v2, v2, v3
	ds_bpermute_b32 v3, v51, v2
	s_waitcnt lgkmcnt(0)
	v_add_f32_e32 v2, v2, v3
	ds_bpermute_b32 v3, v50, v2
	s_waitcnt lgkmcnt(0)
	v_add_f32_e32 v2, v2, v3
	s_and_saveexec_b64 s[8:9], vcc
; %bb.21:
	ds_write_b32 v4, v2 offset:456
; %bb.22:
	s_or_b64 exec, exec, s[8:9]
	s_waitcnt lgkmcnt(0)
	s_barrier
	s_and_saveexec_b64 s[8:9], s[0:1]
; %bb.23:
	ds_read_b32 v2, v5 offset:456
; %bb.24:
	s_or_b64 exec, exec, s[8:9]
	s_waitcnt lgkmcnt(0)
	ds_bpermute_b32 v3, v50, v2
	v_lshlrev_b32_e32 v4, 2, v35
	s_waitcnt lgkmcnt(0)
	v_add_f32_e32 v2, v2, v3
	v_and_b32_e32 v3, 0xffffff00, v4
	ds_bpermute_b32 v2, v3, v2
	s_and_saveexec_b64 s[0:1], s[6:7]
	s_cbranch_execz .LBB31_37
; %bb.25:
	s_waitcnt lgkmcnt(0)
	v_add_f32_e32 v2, 0x358637bd, v2
	v_div_scale_f32 v3, s[6:7], v2, v2, 1.0
	v_rcp_f32_e32 v4, v3
	v_div_scale_f32 v5, vcc, 1.0, v2, 1.0
	s_movk_i32 s6, 0x7f
	v_fma_f32 v6, -v3, v4, 1.0
	v_fmac_f32_e32 v4, v6, v4
	v_mul_f32_e32 v6, v5, v4
	v_fma_f32 v7, -v3, v6, v5
	v_fmac_f32_e32 v6, v7, v4
	v_fma_f32 v3, -v3, v6, v5
	v_div_fmas_f32 v3, v3, v4, v6
	v_xad_u32 v4, v0, -1, s15
	v_div_fixup_f32 v2, v3, v2, 1.0
	v_cmp_lt_u32_e32 vcc, s6, v4
	s_mov_b64 s[8:9], -1
	v_mov_b32_e32 v3, v0
	s_and_saveexec_b64 s[6:7], vcc
	s_cbranch_execz .LBB31_34
; %bb.26:
	v_lshrrev_b32_e32 v4, 7, v4
	v_add_u32_e32 v6, -1, v4
	v_lshrrev_b32_e32 v5, 1, v6
	v_mov_b32_e32 v3, v2
	v_add_u32_e32 v5, 1, v5
	v_cmp_lt_u32_e32 vcc, 13, v6
	v_mov_b32_e32 v8, 0
	s_and_saveexec_b64 s[8:9], vcc
	s_cbranch_execz .LBB31_30
; %bb.27:
	v_mov_b32_e32 v7, 0x1d0
	v_and_b32_e32 v6, -8, v5
	v_lshl_add_u32 v7, v0, 2, v7
	s_mov_b32 s17, 0
	s_mov_b64 s[26:27], 0
.LBB31_28:                              ; =>This Inner Loop Header: Depth=1
	ds_read2st64_b32 v[8:9], v7 offset1:2
	ds_read2st64_b32 v[10:11], v7 offset0:4 offset1:6
	ds_read2st64_b32 v[12:13], v7 offset0:8 offset1:10
	ds_read2st64_b32 v[14:15], v7 offset0:12 offset1:14
	v_add_u32_e32 v6, -8, v6
	s_waitcnt lgkmcnt(3)
	v_pk_mul_f32 v[8:9], v[2:3], v[8:9]
	s_waitcnt lgkmcnt(2)
	v_pk_mul_f32 v[10:11], v[2:3], v[10:11]
	ds_write2st64_b32 v7, v8, v9 offset1:2
	ds_write2st64_b32 v7, v10, v11 offset0:4 offset1:6
	ds_read2st64_b32 v[10:11], v7 offset0:16 offset1:18
	s_waitcnt lgkmcnt(4)
	v_pk_mul_f32 v[8:9], v[2:3], v[12:13]
	ds_write2st64_b32 v7, v8, v9 offset0:8 offset1:10
	s_waitcnt lgkmcnt(4)
	v_pk_mul_f32 v[8:9], v[2:3], v[14:15]
	ds_write2st64_b32 v7, v8, v9 offset0:12 offset1:14
	ds_read2st64_b32 v[8:9], v7 offset0:20 offset1:22
	s_waitcnt lgkmcnt(3)
	v_pk_mul_f32 v[10:11], v[2:3], v[10:11]
	ds_read2st64_b32 v[12:13], v7 offset0:24 offset1:26
	ds_write2st64_b32 v7, v10, v11 offset0:16 offset1:18
	ds_read2st64_b32 v[10:11], v7 offset0:28 offset1:30
	s_waitcnt lgkmcnt(3)
	v_pk_mul_f32 v[8:9], v[2:3], v[8:9]
	ds_write2st64_b32 v7, v8, v9 offset0:20 offset1:22
	s_waitcnt lgkmcnt(3)
	v_pk_mul_f32 v[8:9], v[2:3], v[12:13]
	ds_write2st64_b32 v7, v8, v9 offset0:24 offset1:26
	s_waitcnt lgkmcnt(2)
	v_pk_mul_f32 v[8:9], v[2:3], v[10:11]
	s_add_i32 s17, s17, 16
	v_cmp_eq_u32_e32 vcc, 0, v6
	ds_write2st64_b32 v7, v8, v9 offset0:28 offset1:30
	v_add_u32_e32 v7, 0x2000, v7
	s_or_b64 s[26:27], vcc, s[26:27]
	v_mov_b32_e32 v8, s17
	s_andn2_b64 exec, exec, s[26:27]
	s_cbranch_execnz .LBB31_28
; %bb.29:
	s_or_b64 exec, exec, s[26:27]
.LBB31_30:
	s_or_b64 exec, exec, s[8:9]
	v_and_b32_e32 v5, 7, v5
	v_cmp_ne_u32_e32 vcc, 0, v5
	s_and_saveexec_b64 s[8:9], vcc
	s_cbranch_execz .LBB31_33
; %bb.31:
	v_lshlrev_b32_e32 v6, 9, v8
	s_movk_i32 s17, 0x1d0
	v_add3_u32 v6, v6, v34, s17
	s_mov_b64 s[26:27], 0
.LBB31_32:                              ; =>This Inner Loop Header: Depth=1
	ds_read2st64_b32 v[8:9], v6 offset1:2
	v_add_u32_e32 v5, -1, v5
	v_cmp_eq_u32_e32 vcc, 0, v5
	s_or_b64 s[26:27], vcc, s[26:27]
	s_waitcnt lgkmcnt(0)
	v_pk_mul_f32 v[8:9], v[2:3], v[8:9]
	ds_write2st64_b32 v6, v8, v9 offset1:2
	v_add_u32_e32 v6, 0x400, v6
	s_andn2_b64 exec, exec, s[26:27]
	s_cbranch_execnz .LBB31_32
.LBB31_33:
	s_or_b64 exec, exec, s[8:9]
	v_add_u32_e32 v4, 1, v4
	v_and_b32_e32 v5, 0x3fffffe, v4
	v_cmp_ne_u32_e32 vcc, v4, v5
	v_lshl_add_u32 v3, v5, 7, v0
	s_orn2_b64 s[8:9], vcc, exec
.LBB31_34:
	s_or_b64 exec, exec, s[6:7]
	s_and_b64 exec, exec, s[8:9]
	s_cbranch_execz .LBB31_37
; %bb.35:
	v_mov_b32_e32 v4, 0x1d0
	v_lshl_add_u32 v4, v3, 2, v4
	s_mov_b64 s[6:7], 0
.LBB31_36:                              ; =>This Inner Loop Header: Depth=1
	ds_read_b32 v5, v4
	v_add_u32_e32 v3, 0x80, v3
	v_cmp_le_i32_e32 vcc, s15, v3
	s_or_b64 s[6:7], vcc, s[6:7]
	s_waitcnt lgkmcnt(0)
	v_mul_f32_e32 v5, v2, v5
	ds_write_b32 v4, v5
	v_add_u32_e32 v4, 0x200, v4
	s_andn2_b64 exec, exec, s[6:7]
	s_cbranch_execnz .LBB31_36
.LBB31_37:
	s_or_b64 exec, exec, s[0:1]
	v_mov_b32_e32 v37, 0
	v_mov_b32_e32 v36, 0
	;; [unrolled: 1-line block ×7, first 2 shown]
	s_waitcnt lgkmcnt(0)
	s_barrier
	s_and_saveexec_b64 s[6:7], s[2:3]
	s_cbranch_execz .LBB31_55
; %bb.38:
	s_ashr_i32 s15, s14, 31
	s_lshl_b64 s[0:1], s[14:15], 2
	s_add_u32 s0, s24, s0
	v_lshlrev_b32_e32 v3, 4, v0
	v_and_b32_e32 v2, 12, v34
	s_addc_u32 s1, s25, s1
	v_and_b32_e32 v34, 0x3f0, v3
	v_mov_b32_e32 v35, 0
	s_add_i32 s14, s12, -1
	v_lshl_add_u64 v[42:43], s[0:1], 0, v[34:35]
	s_lshl_b64 s[0:1], s[22:23], 2
	v_lshl_or_b32 v52, v48, 4, v2
	v_lshlrev_b32_e32 v2, 4, v47
	s_add_u32 s0, s20, s0
	v_lshl_or_b32 v2, v48, 6, v2
	v_and_b32_e32 v34, 60, v44
	s_addc_u32 s1, s21, s1
	s_mov_b32 s15, s33
	v_add_u32_e32 v53, 0x1d0, v2
	v_lshl_add_u64 v[44:45], s[0:1], 0, v[34:35]
	s_mov_b64 s[2:3], 0
	v_mov_b32_e32 v37, v35
	v_mov_b32_e32 v36, v35
	;; [unrolled: 1-line block ×6, first 2 shown]
	s_branch .LBB31_40
.LBB31_39:                              ;   in Loop: Header=BB31_40 Depth=1
	s_or_b64 exec, exec, s[8:9]
	s_waitcnt vmcnt(1) lgkmcnt(0)
	v_mul_f32_e32 v30, v2, v30
	v_mul_f32_e32 v22, v2, v22
	;; [unrolled: 1-line block ×6, first 2 shown]
	v_fmac_f32_e32 v30, v3, v31
	v_fmac_f32_e32 v22, v3, v23
	;; [unrolled: 1-line block ×12, first 2 shown]
	s_waitcnt vmcnt(0)
	v_pk_mul_f32 v[2:3], v[2:3], v[26:27]
	v_fmac_f32_e32 v30, v5, v33
	v_fmac_f32_e32 v22, v5, v25
	;; [unrolled: 1-line block ×6, first 2 shown]
	v_pk_mul_f32 v[4:5], v[4:5], v[28:29]
	v_add_f32_e32 v2, v3, v2
	v_add_f32_e32 v2, v4, v2
	v_add_u32_e32 v48, 2, v48
	v_add_f32_e32 v2, v5, v2
	v_cmp_le_i32_e32 vcc, s12, v48
	v_add_f32_e32 v37, v37, v30
	v_add_f32_e32 v36, v36, v22
	;; [unrolled: 1-line block ×7, first 2 shown]
	v_add_u32_e32 v52, 32, v52
	v_add_u32_e32 v53, 0x80, v53
	s_or_b64 s[2:3], vcc, s[2:3]
	v_lshl_add_u64 v[44:45], v[44:45], 0, 8
	s_andn2_b64 exec, exec, s[2:3]
	s_cbranch_execz .LBB31_54
.LBB31_40:                              ; =>This Inner Loop Header: Depth=1
	global_load_dword v2, v[44:45], off
	v_add_u32_e32 v55, 1, v52
	v_or_b32_e32 v54, 3, v52
	v_or_b32_e32 v34, 2, v52
	s_waitcnt vmcnt(0)
	v_mad_i64_i32 v[2:3], s[0:1], v2, s13, 0
	v_lshl_add_u64 v[26:27], v[2:3], 2, v[42:43]
	global_load_dwordx4 v[6:9], v[26:27], off
	ds_read_b128 v[2:5], v53
	v_cmp_eq_u32_e64 s[0:1], s14, v48
	s_and_saveexec_b64 s[8:9], s[0:1]
	s_cbranch_execnz .LBB31_51
; %bb.41:                               ;   in Loop: Header=BB31_40 Depth=1
	s_or_b64 exec, exec, s[8:9]
	global_load_dwordx4 v[10:13], v[26:27], off offset:1024
	s_and_saveexec_b64 s[8:9], s[0:1]
	s_cbranch_execnz .LBB31_52
.LBB31_42:                              ;   in Loop: Header=BB31_40 Depth=1
	s_or_b64 exec, exec, s[8:9]
	global_load_dwordx4 v[14:17], v[26:27], off offset:2048
	s_and_saveexec_b64 s[8:9], s[0:1]
	s_cbranch_execnz .LBB31_53
.LBB31_43:                              ;   in Loop: Header=BB31_40 Depth=1
	s_or_b64 exec, exec, s[8:9]
	global_load_dwordx4 v[18:21], v[26:27], off offset:3072
	s_and_saveexec_b64 s[8:9], s[0:1]
	s_cbranch_execz .LBB31_45
.LBB31_44:                              ;   in Loop: Header=BB31_40 Depth=1
	v_cmp_gt_i32_e32 vcc, s15, v55
	s_waitcnt vmcnt(0)
	s_nop 0
	v_cndmask_b32_e32 v19, 0, v19, vcc
	v_cmp_gt_i32_e32 vcc, s33, v52
	s_nop 1
	v_cndmask_b32_e32 v18, 0, v18, vcc
	v_cmp_gt_i32_e32 vcc, s15, v54
	;; [unrolled: 3-line block ×3, first 2 shown]
	s_nop 1
	v_cndmask_b32_e32 v20, 0, v20, vcc
.LBB31_45:                              ;   in Loop: Header=BB31_40 Depth=1
	s_or_b64 exec, exec, s[8:9]
	v_add_co_u32_e32 v22, vcc, 0x1000, v26
	s_nop 1
	v_addc_co_u32_e32 v23, vcc, 0, v27, vcc
	global_load_dwordx4 v[22:25], v[22:23], off
	s_and_saveexec_b64 s[8:9], s[0:1]
	s_cbranch_execz .LBB31_47
; %bb.46:                               ;   in Loop: Header=BB31_40 Depth=1
	v_cmp_gt_i32_e32 vcc, s15, v55
	s_waitcnt vmcnt(0)
	s_nop 0
	v_cndmask_b32_e32 v23, 0, v23, vcc
	v_cmp_gt_i32_e32 vcc, s33, v52
	s_nop 1
	v_cndmask_b32_e32 v22, 0, v22, vcc
	v_cmp_gt_i32_e32 vcc, s15, v54
	;; [unrolled: 3-line block ×3, first 2 shown]
	s_nop 1
	v_cndmask_b32_e32 v24, 0, v24, vcc
.LBB31_47:                              ;   in Loop: Header=BB31_40 Depth=1
	s_or_b64 exec, exec, s[8:9]
	v_add_co_u32_e32 v28, vcc, 0x1000, v26
	s_nop 1
	v_addc_co_u32_e32 v29, vcc, 0, v27, vcc
	global_load_dwordx4 v[30:33], v[28:29], off offset:1024
	s_and_saveexec_b64 s[8:9], s[0:1]
	s_cbranch_execz .LBB31_49
; %bb.48:                               ;   in Loop: Header=BB31_40 Depth=1
	v_cmp_gt_i32_e32 vcc, s15, v55
	s_waitcnt vmcnt(0)
	s_nop 0
	v_cndmask_b32_e32 v31, 0, v31, vcc
	v_cmp_gt_i32_e32 vcc, s33, v52
	s_nop 1
	v_cndmask_b32_e32 v30, 0, v30, vcc
	v_cmp_gt_i32_e32 vcc, s15, v54
	;; [unrolled: 3-line block ×3, first 2 shown]
	s_nop 1
	v_cndmask_b32_e32 v32, 0, v32, vcc
.LBB31_49:                              ;   in Loop: Header=BB31_40 Depth=1
	s_or_b64 exec, exec, s[8:9]
	v_add_co_u32_e32 v26, vcc, 0x1000, v26
	s_nop 1
	v_addc_co_u32_e32 v27, vcc, 0, v27, vcc
	global_load_dwordx4 v[26:29], v[26:27], off offset:2048
	s_and_saveexec_b64 s[8:9], s[0:1]
	s_cbranch_execz .LBB31_39
; %bb.50:                               ;   in Loop: Header=BB31_40 Depth=1
	v_cmp_gt_i32_e32 vcc, s15, v55
	s_waitcnt vmcnt(0)
	s_nop 0
	v_cndmask_b32_e32 v27, 0, v27, vcc
	v_cmp_gt_i32_e32 vcc, s33, v52
	s_nop 1
	v_cndmask_b32_e32 v26, 0, v26, vcc
	v_cmp_gt_i32_e32 vcc, s15, v54
	;; [unrolled: 3-line block ×3, first 2 shown]
	s_nop 1
	v_cndmask_b32_e32 v28, 0, v28, vcc
	s_branch .LBB31_39
.LBB31_51:                              ;   in Loop: Header=BB31_40 Depth=1
	v_cmp_gt_i32_e32 vcc, s15, v55
	s_waitcnt vmcnt(0)
	s_nop 0
	v_cndmask_b32_e32 v7, 0, v7, vcc
	v_cmp_gt_i32_e32 vcc, s33, v52
	s_nop 1
	v_cndmask_b32_e32 v6, 0, v6, vcc
	v_cmp_gt_i32_e32 vcc, s15, v54
	s_nop 1
	v_cndmask_b32_e32 v9, 0, v9, vcc
	v_cmp_gt_i32_e32 vcc, s33, v34
	s_nop 1
	v_cndmask_b32_e32 v8, 0, v8, vcc
	s_or_b64 exec, exec, s[8:9]
	global_load_dwordx4 v[10:13], v[26:27], off offset:1024
	s_and_saveexec_b64 s[8:9], s[0:1]
	s_cbranch_execz .LBB31_42
.LBB31_52:                              ;   in Loop: Header=BB31_40 Depth=1
	v_cmp_gt_i32_e32 vcc, s15, v55
	s_waitcnt vmcnt(0)
	s_nop 0
	v_cndmask_b32_e32 v11, 0, v11, vcc
	v_cmp_gt_i32_e32 vcc, s33, v52
	s_nop 1
	v_cndmask_b32_e32 v10, 0, v10, vcc
	v_cmp_gt_i32_e32 vcc, s15, v54
	;; [unrolled: 3-line block ×3, first 2 shown]
	s_nop 1
	v_cndmask_b32_e32 v12, 0, v12, vcc
	s_or_b64 exec, exec, s[8:9]
	global_load_dwordx4 v[14:17], v[26:27], off offset:2048
	s_and_saveexec_b64 s[8:9], s[0:1]
	s_cbranch_execz .LBB31_43
.LBB31_53:                              ;   in Loop: Header=BB31_40 Depth=1
	v_cmp_gt_i32_e32 vcc, s15, v55
	s_waitcnt vmcnt(0)
	s_nop 0
	v_cndmask_b32_e32 v15, 0, v15, vcc
	v_cmp_gt_i32_e32 vcc, s33, v52
	s_nop 1
	v_cndmask_b32_e32 v14, 0, v14, vcc
	v_cmp_gt_i32_e32 vcc, s15, v54
	;; [unrolled: 3-line block ×3, first 2 shown]
	s_nop 1
	v_cndmask_b32_e32 v16, 0, v16, vcc
	s_or_b64 exec, exec, s[8:9]
	global_load_dwordx4 v[18:21], v[26:27], off offset:3072
	s_and_saveexec_b64 s[8:9], s[0:1]
	s_cbranch_execnz .LBB31_44
	s_branch .LBB31_45
.LBB31_54:
	s_or_b64 exec, exec, s[2:3]
.LBB31_55:
	s_or_b64 exec, exec, s[6:7]
	ds_bpermute_b32 v2, v51, v40
	ds_bpermute_b32 v3, v51, v41
	;; [unrolled: 1-line block ×6, first 2 shown]
	s_waitcnt lgkmcnt(4)
	v_pk_add_f32 v[2:3], v[40:41], v[2:3]
	ds_bpermute_b32 v8, v50, v2
	ds_bpermute_b32 v9, v50, v3
	s_waitcnt lgkmcnt(4)
	v_pk_add_f32 v[4:5], v[38:39], v[4:5]
	ds_bpermute_b32 v16, v51, v35
	ds_bpermute_b32 v10, v50, v4
	;; [unrolled: 1-line block ×3, first 2 shown]
	s_waitcnt lgkmcnt(5)
	v_pk_add_f32 v[12:13], v[36:37], v[6:7]
	ds_bpermute_b32 v14, v50, v12
	ds_bpermute_b32 v15, v50, v13
	s_waitcnt lgkmcnt(5)
	v_pk_add_f32 v[6:7], v[2:3], v[8:9]
	s_waitcnt lgkmcnt(4)
	v_add_f32_e32 v9, v35, v16
	s_waitcnt lgkmcnt(2)
	v_pk_add_f32 v[4:5], v[4:5], v[10:11]
	ds_bpermute_b32 v10, v50, v9
	v_and_b32_e32 v8, 0x3c3, v0
	s_waitcnt lgkmcnt(1)
	v_pk_add_f32 v[2:3], v[12:13], v[14:15]
	v_cmp_ne_u32_e32 vcc, 64, v8
	s_waitcnt lgkmcnt(0)
	s_barrier
	s_and_saveexec_b64 s[0:1], vcc
	s_xor_b64 s[0:1], exec, s[0:1]
; %bb.56:
                                        ; implicit-def: $vgpr49
; %bb.57:
	s_or_saveexec_b64 s[0:1], s[0:1]
	v_add_f32_e32 v9, v9, v10
	s_xor_b64 exec, exec, s[0:1]
	s_cbranch_execz .LBB31_59
; %bb.58:
	v_add_u32_e32 v10, 0x1d0, v49
	ds_write2_b32 v10, v6, v7 offset1:16
	ds_write2_b32 v10, v4, v5 offset0:32 offset1:48
	ds_write2_b32 v10, v2, v3 offset0:64 offset1:80
	ds_write_b32 v10, v9 offset:384
.LBB31_59:
	s_or_b64 exec, exec, s[0:1]
	v_cmp_gt_u32_e32 vcc, 64, v0
	s_waitcnt lgkmcnt(0)
	s_barrier
	s_and_saveexec_b64 s[0:1], vcc
	s_cbranch_execz .LBB31_69
; %bb.60:
	v_mov_b32_e32 v0, 0x1d0
	v_cmp_eq_u32_e32 vcc, 0, v47
	v_lshl_add_u32 v0, v46, 2, v0
	s_and_saveexec_b64 s[2:3], vcc
	s_cbranch_execnz .LBB31_72
; %bb.61:
	s_or_b64 exec, exec, s[2:3]
	s_and_saveexec_b64 s[2:3], vcc
	s_cbranch_execnz .LBB31_73
.LBB31_62:
	s_or_b64 exec, exec, s[2:3]
	s_and_saveexec_b64 s[2:3], vcc
	s_cbranch_execnz .LBB31_74
.LBB31_63:
	s_or_b64 exec, exec, s[2:3]
	s_and_saveexec_b64 s[2:3], vcc
	s_cbranch_execnz .LBB31_75
.LBB31_64:
	s_or_b64 exec, exec, s[2:3]
	s_and_saveexec_b64 s[2:3], vcc
	s_cbranch_execnz .LBB31_76
.LBB31_65:
	s_or_b64 exec, exec, s[2:3]
	s_and_saveexec_b64 s[2:3], vcc
	s_cbranch_execnz .LBB31_77
.LBB31_66:
	s_or_b64 exec, exec, s[2:3]
	s_and_saveexec_b64 s[2:3], vcc
	s_cbranch_execz .LBB31_68
.LBB31_67:
	ds_read_b32 v0, v0 offset:384
	s_waitcnt lgkmcnt(0)
	v_add_f32_e32 v9, v9, v0
.LBB31_68:
	s_or_b64 exec, exec, s[2:3]
.LBB31_69:
	s_or_b64 exec, exec, s[0:1]
	v_cmp_eq_u32_e32 vcc, 0, v8
	s_barrier
	s_and_saveexec_b64 s[0:1], vcc
	s_cbranch_execz .LBB31_71
; %bb.70:
	s_mul_i32 s0, s10, s11
	s_mul_i32 s0, s0, s5
	s_mulk_i32 s0, 0x70
	s_ashr_i32 s1, s0, 31
	s_lshl_b64 s[0:1], s[0:1], 2
	s_add_u32 s2, s18, s0
	s_mul_i32 s0, s11, s16
	s_addc_u32 s3, s19, s1
	s_ashr_i32 s1, s0, 31
	s_lshl_b64 s[0:1], s[0:1], 2
	s_add_u32 s2, s2, s0
	s_mul_i32 s0, s4, 0x70
	s_addc_u32 s3, s3, s1
	s_ashr_i32 s1, s0, 31
	s_lshl_b64 s[0:1], s[0:1], 2
	s_add_u32 s0, s2, s0
	s_addc_u32 s1, s3, s1
	global_store_dword v1, v6, s[0:1]
	global_store_dword v1, v7, s[0:1] offset:64
	global_store_dword v1, v4, s[0:1] offset:128
	;; [unrolled: 1-line block ×6, first 2 shown]
.LBB31_71:
	s_endpgm
.LBB31_72:
	ds_read_b32 v10, v0
	s_waitcnt lgkmcnt(0)
	v_add_f32_e32 v6, v6, v10
	s_or_b64 exec, exec, s[2:3]
	s_and_saveexec_b64 s[2:3], vcc
	s_cbranch_execz .LBB31_62
.LBB31_73:
	ds_read_b32 v10, v0 offset:64
	s_waitcnt lgkmcnt(0)
	v_add_f32_e32 v7, v7, v10
	s_or_b64 exec, exec, s[2:3]
	s_and_saveexec_b64 s[2:3], vcc
	s_cbranch_execz .LBB31_63
.LBB31_74:
	ds_read_b32 v10, v0 offset:128
	s_waitcnt lgkmcnt(0)
	v_add_f32_e32 v4, v4, v10
	s_or_b64 exec, exec, s[2:3]
	s_and_saveexec_b64 s[2:3], vcc
	s_cbranch_execz .LBB31_64
.LBB31_75:
	ds_read_b32 v10, v0 offset:192
	s_waitcnt lgkmcnt(0)
	v_add_f32_e32 v5, v5, v10
	s_or_b64 exec, exec, s[2:3]
	s_and_saveexec_b64 s[2:3], vcc
	s_cbranch_execz .LBB31_65
.LBB31_76:
	ds_read_b32 v10, v0 offset:256
	s_waitcnt lgkmcnt(0)
	v_add_f32_e32 v2, v2, v10
	s_or_b64 exec, exec, s[2:3]
	s_and_saveexec_b64 s[2:3], vcc
	s_cbranch_execz .LBB31_66
.LBB31_77:
	ds_read_b32 v10, v0 offset:320
	s_waitcnt lgkmcnt(0)
	v_add_f32_e32 v3, v3, v10
	s_or_b64 exec, exec, s[2:3]
	s_and_saveexec_b64 s[2:3], vcc
	s_cbranch_execnz .LBB31_67
	s_branch .LBB31_68
	.section	.rodata,"a",@progbits
	.p2align	6, 0x0
	.amdhsa_kernel _ZN4vllm25paged_attention_v1_kernelIffLi112ELi16ELi128ELNS_18Fp8KVCacheDataTypeE0ELb0EEEvPT_PKS2_PKT0_S8_ifPKiSA_iPKfiiiSC_SC_iiiii
		.amdhsa_group_segment_fixed_size 464
		.amdhsa_private_segment_fixed_size 0
		.amdhsa_kernarg_size 384
		.amdhsa_user_sgpr_count 2
		.amdhsa_user_sgpr_dispatch_ptr 0
		.amdhsa_user_sgpr_queue_ptr 0
		.amdhsa_user_sgpr_kernarg_segment_ptr 1
		.amdhsa_user_sgpr_dispatch_id 0
		.amdhsa_user_sgpr_kernarg_preload_length 0
		.amdhsa_user_sgpr_kernarg_preload_offset 0
		.amdhsa_user_sgpr_private_segment_size 0
		.amdhsa_uses_dynamic_stack 0
		.amdhsa_enable_private_segment 0
		.amdhsa_system_sgpr_workgroup_id_x 1
		.amdhsa_system_sgpr_workgroup_id_y 1
		.amdhsa_system_sgpr_workgroup_id_z 1
		.amdhsa_system_sgpr_workgroup_info 0
		.amdhsa_system_vgpr_workitem_id 0
		.amdhsa_next_free_vgpr 77
		.amdhsa_next_free_sgpr 35
		.amdhsa_accum_offset 80
		.amdhsa_reserve_vcc 1
		.amdhsa_float_round_mode_32 0
		.amdhsa_float_round_mode_16_64 0
		.amdhsa_float_denorm_mode_32 3
		.amdhsa_float_denorm_mode_16_64 3
		.amdhsa_dx10_clamp 1
		.amdhsa_ieee_mode 1
		.amdhsa_fp16_overflow 0
		.amdhsa_tg_split 0
		.amdhsa_exception_fp_ieee_invalid_op 0
		.amdhsa_exception_fp_denorm_src 0
		.amdhsa_exception_fp_ieee_div_zero 0
		.amdhsa_exception_fp_ieee_overflow 0
		.amdhsa_exception_fp_ieee_underflow 0
		.amdhsa_exception_fp_ieee_inexact 0
		.amdhsa_exception_int_div_zero 0
	.end_amdhsa_kernel
	.section	.text._ZN4vllm25paged_attention_v1_kernelIffLi112ELi16ELi128ELNS_18Fp8KVCacheDataTypeE0ELb0EEEvPT_PKS2_PKT0_S8_ifPKiSA_iPKfiiiSC_SC_iiiii,"axG",@progbits,_ZN4vllm25paged_attention_v1_kernelIffLi112ELi16ELi128ELNS_18Fp8KVCacheDataTypeE0ELb0EEEvPT_PKS2_PKT0_S8_ifPKiSA_iPKfiiiSC_SC_iiiii,comdat
.Lfunc_end31:
	.size	_ZN4vllm25paged_attention_v1_kernelIffLi112ELi16ELi128ELNS_18Fp8KVCacheDataTypeE0ELb0EEEvPT_PKS2_PKT0_S8_ifPKiSA_iPKfiiiSC_SC_iiiii, .Lfunc_end31-_ZN4vllm25paged_attention_v1_kernelIffLi112ELi16ELi128ELNS_18Fp8KVCacheDataTypeE0ELb0EEEvPT_PKS2_PKT0_S8_ifPKiSA_iPKfiiiSC_SC_iiiii
                                        ; -- End function
	.set _ZN4vllm25paged_attention_v1_kernelIffLi112ELi16ELi128ELNS_18Fp8KVCacheDataTypeE0ELb0EEEvPT_PKS2_PKT0_S8_ifPKiSA_iPKfiiiSC_SC_iiiii.num_vgpr, 77
	.set _ZN4vllm25paged_attention_v1_kernelIffLi112ELi16ELi128ELNS_18Fp8KVCacheDataTypeE0ELb0EEEvPT_PKS2_PKT0_S8_ifPKiSA_iPKfiiiSC_SC_iiiii.num_agpr, 0
	.set _ZN4vllm25paged_attention_v1_kernelIffLi112ELi16ELi128ELNS_18Fp8KVCacheDataTypeE0ELb0EEEvPT_PKS2_PKT0_S8_ifPKiSA_iPKfiiiSC_SC_iiiii.numbered_sgpr, 35
	.set _ZN4vllm25paged_attention_v1_kernelIffLi112ELi16ELi128ELNS_18Fp8KVCacheDataTypeE0ELb0EEEvPT_PKS2_PKT0_S8_ifPKiSA_iPKfiiiSC_SC_iiiii.num_named_barrier, 0
	.set _ZN4vllm25paged_attention_v1_kernelIffLi112ELi16ELi128ELNS_18Fp8KVCacheDataTypeE0ELb0EEEvPT_PKS2_PKT0_S8_ifPKiSA_iPKfiiiSC_SC_iiiii.private_seg_size, 0
	.set _ZN4vllm25paged_attention_v1_kernelIffLi112ELi16ELi128ELNS_18Fp8KVCacheDataTypeE0ELb0EEEvPT_PKS2_PKT0_S8_ifPKiSA_iPKfiiiSC_SC_iiiii.uses_vcc, 1
	.set _ZN4vllm25paged_attention_v1_kernelIffLi112ELi16ELi128ELNS_18Fp8KVCacheDataTypeE0ELb0EEEvPT_PKS2_PKT0_S8_ifPKiSA_iPKfiiiSC_SC_iiiii.uses_flat_scratch, 0
	.set _ZN4vllm25paged_attention_v1_kernelIffLi112ELi16ELi128ELNS_18Fp8KVCacheDataTypeE0ELb0EEEvPT_PKS2_PKT0_S8_ifPKiSA_iPKfiiiSC_SC_iiiii.has_dyn_sized_stack, 0
	.set _ZN4vllm25paged_attention_v1_kernelIffLi112ELi16ELi128ELNS_18Fp8KVCacheDataTypeE0ELb0EEEvPT_PKS2_PKT0_S8_ifPKiSA_iPKfiiiSC_SC_iiiii.has_recursion, 0
	.set _ZN4vllm25paged_attention_v1_kernelIffLi112ELi16ELi128ELNS_18Fp8KVCacheDataTypeE0ELb0EEEvPT_PKS2_PKT0_S8_ifPKiSA_iPKfiiiSC_SC_iiiii.has_indirect_call, 0
	.section	.AMDGPU.csdata,"",@progbits
; Kernel info:
; codeLenInByte = 4664
; TotalNumSgprs: 41
; NumVgprs: 77
; NumAgprs: 0
; TotalNumVgprs: 77
; ScratchSize: 0
; MemoryBound: 0
; FloatMode: 240
; IeeeMode: 1
; LDSByteSize: 464 bytes/workgroup (compile time only)
; SGPRBlocks: 5
; VGPRBlocks: 9
; NumSGPRsForWavesPerEU: 41
; NumVGPRsForWavesPerEU: 77
; AccumOffset: 80
; Occupancy: 6
; WaveLimiterHint : 1
; COMPUTE_PGM_RSRC2:SCRATCH_EN: 0
; COMPUTE_PGM_RSRC2:USER_SGPR: 2
; COMPUTE_PGM_RSRC2:TRAP_HANDLER: 0
; COMPUTE_PGM_RSRC2:TGID_X_EN: 1
; COMPUTE_PGM_RSRC2:TGID_Y_EN: 1
; COMPUTE_PGM_RSRC2:TGID_Z_EN: 1
; COMPUTE_PGM_RSRC2:TIDIG_COMP_CNT: 0
; COMPUTE_PGM_RSRC3_GFX90A:ACCUM_OFFSET: 19
; COMPUTE_PGM_RSRC3_GFX90A:TG_SPLIT: 0
	.section	.text._ZN4vllm25paged_attention_v1_kernelIffLi120ELi16ELi128ELNS_18Fp8KVCacheDataTypeE0ELb0EEEvPT_PKS2_PKT0_S8_ifPKiSA_iPKfiiiSC_SC_iiiii,"axG",@progbits,_ZN4vllm25paged_attention_v1_kernelIffLi120ELi16ELi128ELNS_18Fp8KVCacheDataTypeE0ELb0EEEvPT_PKS2_PKT0_S8_ifPKiSA_iPKfiiiSC_SC_iiiii,comdat
	.protected	_ZN4vllm25paged_attention_v1_kernelIffLi120ELi16ELi128ELNS_18Fp8KVCacheDataTypeE0ELb0EEEvPT_PKS2_PKT0_S8_ifPKiSA_iPKfiiiSC_SC_iiiii ; -- Begin function _ZN4vllm25paged_attention_v1_kernelIffLi120ELi16ELi128ELNS_18Fp8KVCacheDataTypeE0ELb0EEEvPT_PKS2_PKT0_S8_ifPKiSA_iPKfiiiSC_SC_iiiii
	.globl	_ZN4vllm25paged_attention_v1_kernelIffLi120ELi16ELi128ELNS_18Fp8KVCacheDataTypeE0ELb0EEEvPT_PKS2_PKT0_S8_ifPKiSA_iPKfiiiSC_SC_iiiii
	.p2align	8
	.type	_ZN4vllm25paged_attention_v1_kernelIffLi120ELi16ELi128ELNS_18Fp8KVCacheDataTypeE0ELb0EEEvPT_PKS2_PKT0_S8_ifPKiSA_iPKfiiiSC_SC_iiiii,@function
_ZN4vllm25paged_attention_v1_kernelIffLi120ELi16ELi128ELNS_18Fp8KVCacheDataTypeE0ELb0EEEvPT_PKS2_PKT0_S8_ifPKiSA_iPKfiiiSC_SC_iiiii: ; @_ZN4vllm25paged_attention_v1_kernelIffLi120ELi16ELi128ELNS_18Fp8KVCacheDataTypeE0ELb0EEEvPT_PKS2_PKT0_S8_ifPKiSA_iPKfiiiSC_SC_iiiii
; %bb.0:
	s_load_dword s5, s[0:1], 0x80
	s_load_dwordx2 s[6:7], s[0:1], 0x30
	s_load_dwordx2 s[8:9], s[0:1], 0x20
	s_mov_b32 s10, s3
	s_ashr_i32 s11, s3, 31
	s_lshl_b64 s[12:13], s[10:11], 2
	s_waitcnt lgkmcnt(0)
	s_add_u32 s6, s6, s12
	s_addc_u32 s7, s7, s13
	s_abs_i32 s3, s8
	v_cvt_f32_u32_e32 v1, s3
	s_sub_i32 s12, 0, s3
	s_abs_i32 s11, s5
	s_xor_b32 s8, s5, s8
	v_rcp_iflag_f32_e32 v1, v1
	s_ashr_i32 s8, s8, 31
	v_mul_f32_e32 v1, 0x4f7ffffe, v1
	v_cvt_u32_f32_e32 v1, v1
	s_nop 0
	v_readfirstlane_b32 s13, v1
	s_mul_i32 s12, s12, s13
	s_mul_hi_u32 s12, s13, s12
	s_add_i32 s13, s13, s12
	s_mul_hi_u32 s12, s11, s13
	s_mul_i32 s13, s12, s3
	s_sub_i32 s11, s11, s13
	s_add_i32 s13, s12, 1
	s_sub_i32 s14, s11, s3
	s_cmp_ge_u32 s11, s3
	s_cselect_b32 s12, s13, s12
	s_cselect_b32 s11, s14, s11
	s_add_i32 s13, s12, 1
	s_cmp_ge_u32 s11, s3
	s_cselect_b32 s3, s13, s12
	s_xor_b32 s3, s3, s8
	s_sub_i32 s14, s3, s8
	s_abs_i32 s11, s14
	v_cvt_f32_u32_e32 v1, s11
	s_load_dwordx2 s[12:13], s[0:1], 0x40
	s_sub_i32 s3, 0, s11
	s_abs_i32 s18, s2
	v_rcp_iflag_f32_e32 v1, v1
	s_mov_b32 s8, 0
	v_mul_f32_e32 v1, 0x4f7ffffe, v1
	v_cvt_u32_f32_e32 v1, v1
	s_nop 0
	v_readfirstlane_b32 s15, v1
	s_mul_i32 s3, s3, s15
	s_mul_hi_u32 s3, s15, s3
	s_add_i32 s15, s15, s3
	s_waitcnt lgkmcnt(0)
	s_cmp_eq_u64 s[12:13], 0
	s_mul_hi_u32 s19, s18, s15
	s_cbranch_scc1 .LBB32_2
; %bb.1:
	s_ashr_i32 s3, s2, 31
	s_lshl_b64 s[16:17], s[2:3], 2
	s_add_u32 s12, s12, s16
	s_addc_u32 s13, s13, s17
	s_load_dword s8, s[12:13], 0x0
.LBB32_2:
	s_load_dword s33, s[6:7], 0x0
	s_ashr_i32 s7, s14, 31
	s_load_dwordx4 s[12:15], s[0:1], 0x48
	v_lshrrev_b32_e32 v52, 2, v0
	s_waitcnt lgkmcnt(0)
	s_movk_i32 s15, 0x78
	s_ashr_i32 s6, s2, 31
	v_and_b32_e32 v53, 3, v0
	s_mul_i32 s16, s2, 0x78
	v_cmp_gt_u32_e32 vcc, s15, v0
	v_lshlrev_b32_e32 v36, 2, v0
	v_lshlrev_b32_e32 v1, 2, v52
	s_and_saveexec_b64 s[2:3], vcc
	s_cbranch_execz .LBB32_4
; %bb.3:
	s_load_dwordx2 s[20:21], s[0:1], 0x8
	s_mul_i32 s22, s12, s10
	s_ashr_i32 s23, s22, 31
	s_lshl_b64 s[22:23], s[22:23], 2
	v_mad_u32_u24 v3, v53, s15, v1
	s_waitcnt lgkmcnt(0)
	s_add_u32 s12, s20, s22
	s_addc_u32 s22, s21, s23
	s_ashr_i32 s17, s16, 31
	s_lshl_b64 s[20:21], s[16:17], 2
	s_add_u32 s20, s12, s20
	s_addc_u32 s21, s22, s21
	global_load_dword v2, v36, s[20:21]
	s_waitcnt vmcnt(0)
	ds_write_b32 v3, v2
.LBB32_4:
	s_or_b64 exec, exec, s[2:3]
	s_add_i32 s3, s33, 15
	s_ashr_i32 s12, s3, 31
	s_lshr_b32 s12, s12, 28
	s_add_i32 s3, s3, s12
	s_ashr_i32 s17, s3, 4
	s_xor_b32 s3, s6, s7
	s_mul_i32 s6, s19, s11
	s_sub_i32 s6, s18, s6
	s_add_i32 s7, s19, 1
	s_sub_i32 s12, s6, s11
	s_load_dwordx2 s[20:21], s[0:1], 0x28
	s_load_dword s2, s[0:1], 0x38
	s_cmp_ge_u32 s6, s11
	s_cselect_b32 s7, s7, s19
	s_cselect_b32 s6, s12, s6
	s_add_i32 s12, s7, 1
	s_cmp_ge_u32 s6, s11
	s_cselect_b32 s6, s12, s7
	v_lshrrev_b32_e32 v54, 6, v0
	s_xor_b32 s6, s6, s3
	s_waitcnt lgkmcnt(0)
	s_mul_i32 s22, s2, s10
	s_sub_i32 s12, s6, s3
	s_ashr_i32 s23, s22, 31
	v_cmp_le_i32_e64 s[2:3], s17, v54
	v_mbcnt_lo_u32_b32 v34, -1, 0
	s_barrier
                                        ; implicit-def: $vgpr38
                                        ; implicit-def: $vgpr40
                                        ; implicit-def: $vgpr39
	s_and_saveexec_b64 s[6:7], s[2:3]
	s_xor_b64 s[6:7], exec, s[6:7]
; %bb.5:
	v_mbcnt_hi_u32_b32 v38, -1, v34
	v_and_b32_e32 v40, 64, v38
	v_add_u32_e32 v39, 64, v40
                                        ; implicit-def: $vgpr34
; %bb.6:
	s_or_saveexec_b64 s[26:27], s[6:7]
	s_load_dwordx2 s[18:19], s[0:1], 0x0
	s_load_dwordx2 s[24:25], s[0:1], 0x18
	s_load_dword s11, s[0:1], 0x88
	v_mov_b32_e32 v41, 0xff7fffff
	s_mul_i32 s14, s12, s14
	v_lshrrev_b32_e32 v37, 4, v0
	s_xor_b64 exec, exec, s[26:27]
	s_cbranch_execz .LBB32_12
; %bb.7:
	s_load_dwordx2 s[0:1], s[0:1], 0x10
	s_ashr_i32 s15, s14, 31
	s_lshl_b64 s[6:7], s[14:15], 2
	v_bfe_u32 v35, v0, 2, 4
	v_lshlrev_b32_e32 v46, 4, v35
	s_waitcnt lgkmcnt(0)
	s_add_u32 s0, s0, s6
	s_addc_u32 s1, s1, s7
	v_mov_b32_e32 v47, 0
	v_lshl_add_u64 v[2:3], s[0:1], 0, v[46:47]
	v_lshlrev_b32_e32 v46, 2, v53
	v_mul_u32_u24_e32 v32, 0x78, v53
	v_lshl_add_u64 v[30:31], v[2:3], 0, v[46:47]
	ds_read2_b64 v[2:5], v32 offset1:1
	ds_read2_b64 v[6:9], v32 offset0:2 offset1:3
	ds_read2_b64 v[10:13], v32 offset0:4 offset1:5
	;; [unrolled: 1-line block ×6, first 2 shown]
	ds_read_b64 v[32:33], v32 offset:112
	v_mbcnt_hi_u32_b32 v38, -1, v34
	v_and_b32_e32 v40, 64, v38
	v_add_u32_e32 v39, 64, v40
	v_xor_b32_e32 v34, 2, v38
	v_cmp_lt_i32_e32 vcc, v34, v39
	s_sub_i32 s15, 1, s33
	s_lshl_b64 s[6:7], s[22:23], 2
	v_cndmask_b32_e32 v34, v38, v34, vcc
	v_lshlrev_b32_e32 v42, 2, v34
	v_xor_b32_e32 v34, 1, v38
	v_cmp_lt_i32_e32 vcc, v34, v39
	v_lshlrev_b32_e32 v41, 2, v35
	s_add_u32 s6, s20, s6
	v_cndmask_b32_e32 v34, v38, v34, vcc
	v_lshlrev_b32_e32 v43, 2, v34
	v_lshl_or_b32 v34, v54, 6, v41
	v_and_b32_e32 v46, 60, v37
	s_addc_u32 s7, s21, s7
	s_mov_b32 s12, s13
	v_cmp_eq_u32_e32 vcc, 0, v53
	v_cmp_neq_f32_e64 s[0:1], s8, 0
	v_lshl_or_b32 v44, v54, 4, v35
	v_add_u32_e32 v45, 0x1f0, v34
	v_lshl_add_u64 v[34:35], s[6:7], 0, v[46:47]
	v_mov_b32_e32 v41, 0xff7fffff
	s_mov_b64 s[28:29], 0
	s_movk_i32 s34, 0x1000
	v_mov_b32_e32 v46, v54
	s_branch .LBB32_9
.LBB32_8:                               ;   in Loop: Header=BB32_9 Depth=1
	s_or_b64 exec, exec, s[30:31]
	v_add_u32_e32 v46, 2, v46
	v_cmp_le_i32_e64 s[6:7], s17, v46
	v_add_u32_e32 v44, 32, v44
	v_add_u32_e32 v45, 0x80, v45
	s_or_b64 s[28:29], s[6:7], s[28:29]
	v_lshl_add_u64 v[34:35], v[34:35], 0, 8
	s_andn2_b64 exec, exec, s[28:29]
	s_cbranch_execz .LBB32_11
.LBB32_9:                               ; =>This Inner Loop Header: Depth=1
	global_load_dword v47, v[34:35], off
	s_waitcnt vmcnt(0) lgkmcnt(0)
	v_mad_i64_i32 v[48:49], s[6:7], v47, s12, 0
	v_lshl_add_u64 v[48:49], v[48:49], 2, v[30:31]
	global_load_dword v47, v[48:49], off
	global_load_dword v50, v[48:49], off offset:256
	global_load_dword v51, v[48:49], off offset:512
	;; [unrolled: 1-line block ×15, first 2 shown]
	v_add_co_u32_e64 v48, s[6:7], s34, v48
	s_nop 1
	v_addc_co_u32_e64 v49, s[6:7], 0, v49, s[6:7]
	global_load_dword v68, v[48:49], off
	global_load_dword v69, v[48:49], off offset:256
	global_load_dword v70, v[48:49], off offset:512
	;; [unrolled: 1-line block ×12, first 2 shown]
	s_nop 0
	global_load_dword v48, v[48:49], off offset:3328
	s_waitcnt vmcnt(28) lgkmcnt(7)
	v_mul_f32_e32 v49, v3, v50
	v_fmac_f32_e32 v49, v2, v47
	s_waitcnt vmcnt(27)
	v_fmac_f32_e32 v49, v4, v51
	s_waitcnt vmcnt(26)
	v_fmac_f32_e32 v49, v5, v55
	s_waitcnt vmcnt(25) lgkmcnt(6)
	v_fmac_f32_e32 v49, v6, v56
	s_waitcnt vmcnt(24)
	v_fmac_f32_e32 v49, v7, v57
	s_waitcnt vmcnt(23)
	v_fmac_f32_e32 v49, v8, v58
	s_waitcnt vmcnt(22)
	v_fmac_f32_e32 v49, v9, v59
	s_waitcnt vmcnt(21) lgkmcnt(5)
	v_fmac_f32_e32 v49, v10, v60
	s_waitcnt vmcnt(20)
	v_fmac_f32_e32 v49, v11, v61
	s_waitcnt vmcnt(19)
	v_fmac_f32_e32 v49, v12, v62
	s_waitcnt vmcnt(18)
	v_fmac_f32_e32 v49, v13, v63
	s_waitcnt vmcnt(17) lgkmcnt(4)
	v_fmac_f32_e32 v49, v14, v64
	s_waitcnt vmcnt(16)
	v_fmac_f32_e32 v49, v15, v65
	s_waitcnt vmcnt(15)
	v_fmac_f32_e32 v49, v16, v66
	s_waitcnt vmcnt(14)
	v_fmac_f32_e32 v49, v17, v67
	s_waitcnt vmcnt(13) lgkmcnt(3)
	v_fmac_f32_e32 v49, v18, v68
	s_waitcnt vmcnt(12)
	v_fmac_f32_e32 v49, v19, v69
	s_waitcnt vmcnt(11)
	v_fmac_f32_e32 v49, v20, v70
	s_waitcnt vmcnt(10)
	v_fmac_f32_e32 v49, v21, v71
	s_waitcnt vmcnt(9) lgkmcnt(2)
	v_fmac_f32_e32 v49, v22, v72
	s_waitcnt vmcnt(8)
	v_fmac_f32_e32 v49, v23, v73
	s_waitcnt vmcnt(7)
	v_fmac_f32_e32 v49, v24, v74
	s_waitcnt vmcnt(6)
	v_fmac_f32_e32 v49, v25, v75
	s_waitcnt vmcnt(5) lgkmcnt(1)
	v_fmac_f32_e32 v49, v26, v76
	s_waitcnt vmcnt(4)
	v_fmac_f32_e32 v49, v27, v77
	s_waitcnt vmcnt(3)
	v_fmac_f32_e32 v49, v28, v78
	s_waitcnt vmcnt(2)
	v_fmac_f32_e32 v49, v29, v79
	s_waitcnt vmcnt(1) lgkmcnt(0)
	v_fmac_f32_e32 v49, v32, v80
	s_waitcnt vmcnt(0)
	v_fmac_f32_e32 v49, v33, v48
	ds_bpermute_b32 v47, v42, v49
	s_waitcnt lgkmcnt(0)
	v_add_f32_e32 v47, v49, v47
	ds_bpermute_b32 v48, v43, v47
	s_and_saveexec_b64 s[30:31], vcc
	s_cbranch_execz .LBB32_8
; %bb.10:                               ;   in Loop: Header=BB32_9 Depth=1
	v_add_u32_e32 v49, s15, v44
	v_cvt_f32_i32_e32 v49, v49
	s_waitcnt lgkmcnt(0)
	v_add_f32_e32 v47, v47, v48
	v_cmp_gt_i32_e64 s[6:7], s33, v44
	v_max_f32_e32 v48, v41, v41
	v_mul_f32_e32 v49, s8, v49
	v_cndmask_b32_e64 v49, 0, v49, s[0:1]
	v_fmac_f32_e32 v49, s9, v47
	v_cndmask_b32_e64 v47, 0, v49, s[6:7]
	ds_write_b32 v45, v47
	v_max_f32_e32 v47, v48, v49
	v_cndmask_b32_e64 v41, v41, v47, s[6:7]
	s_branch .LBB32_8
.LBB32_11:
	s_or_b64 exec, exec, s[28:29]
.LBB32_12:
	s_or_b64 exec, exec, s[26:27]
	v_xor_b32_e32 v2, 32, v38
	v_cmp_lt_i32_e32 vcc, v2, v39
	v_xor_b32_e32 v5, 16, v38
	v_max_f32_e32 v4, v41, v41
	v_cndmask_b32_e32 v2, v38, v2, vcc
	v_lshlrev_b32_e32 v2, 2, v2
	ds_bpermute_b32 v3, v2, v41
	v_cmp_lt_i32_e32 vcc, v5, v39
	v_xor_b32_e32 v6, 8, v38
	v_xor_b32_e32 v8, 4, v38
	s_waitcnt lgkmcnt(0)
	v_max_f32_e32 v3, v3, v3
	v_max_f32_e32 v4, v4, v3
	v_cndmask_b32_e32 v3, v38, v5, vcc
	v_lshlrev_b32_e32 v3, 2, v3
	ds_bpermute_b32 v5, v3, v4
	v_cmp_lt_i32_e32 vcc, v6, v39
	s_waitcnt lgkmcnt(0)
	v_max_f32_e32 v5, v5, v5
	v_max_f32_e32 v4, v4, v5
	v_cndmask_b32_e32 v5, v38, v6, vcc
	v_lshlrev_b32_e32 v7, 2, v5
	ds_bpermute_b32 v5, v7, v4
	v_cmp_lt_i32_e32 vcc, v8, v39
	s_waitcnt lgkmcnt(0)
	v_max_f32_e32 v5, v5, v5
	v_max_f32_e32 v6, v4, v5
	v_cndmask_b32_e32 v4, v38, v8, vcc
	v_lshlrev_b32_e32 v8, 2, v4
	ds_bpermute_b32 v9, v8, v6
	v_and_b32_e32 v4, 63, v0
	v_cmp_eq_u32_e32 vcc, 0, v4
	v_lshlrev_b32_e32 v5, 2, v54
	s_and_saveexec_b64 s[0:1], vcc
	s_cbranch_execz .LBB32_14
; %bb.13:
	s_waitcnt lgkmcnt(0)
	v_max_f32_e32 v9, v9, v9
	v_max_f32_e32 v6, v6, v6
	;; [unrolled: 1-line block ×3, first 2 shown]
	ds_write_b32 v5, v6 offset:480
.LBB32_14:
	s_or_b64 exec, exec, s[0:1]
	v_cmp_gt_u32_e64 s[0:1], 2, v4
	s_waitcnt lgkmcnt(0)
	v_mov_b32_e32 v9, 0xff7fffff
	v_lshlrev_b32_e32 v6, 2, v4
	s_barrier
	s_and_saveexec_b64 s[6:7], s[0:1]
; %bb.15:
	ds_read_b32 v9, v6 offset:480
; %bb.16:
	s_or_b64 exec, exec, s[6:7]
	v_xor_b32_e32 v10, 1, v38
	v_cmp_lt_i32_e64 s[6:7], v10, v39
	s_nop 1
	v_cndmask_b32_e64 v10, v38, v10, s[6:7]
	v_lshlrev_b32_e32 v55, 2, v10
	s_waitcnt lgkmcnt(0)
	ds_bpermute_b32 v10, v55, v9
	v_max_f32_e32 v9, v9, v9
	s_lshl_b32 s6, s17, 4
	s_min_i32 s12, s6, s33
	v_cmp_gt_i32_e64 s[6:7], s12, v0
	s_waitcnt lgkmcnt(0)
	v_max_f32_e32 v10, v10, v10
	v_max_f32_e32 v9, v9, v10
	v_lshlrev_b32_e32 v10, 2, v40
	ds_bpermute_b32 v10, v10, v9
	v_mov_b32_e32 v9, 0
	s_and_saveexec_b64 s[26:27], s[6:7]
	s_cbranch_execz .LBB32_20
; %bb.17:
	v_mov_b32_e32 v9, 0x1f0
	v_lshl_add_u32 v11, v0, 2, v9
	v_mov_b32_e32 v9, 0
	s_mov_b64 s[28:29], 0
	v_mov_b32_e32 v12, v0
.LBB32_18:                              ; =>This Inner Loop Header: Depth=1
	ds_read_b32 v13, v11
	v_add_u32_e32 v12, 0x80, v12
	v_cmp_le_i32_e64 s[8:9], s12, v12
	s_or_b64 s[28:29], s[8:9], s[28:29]
	s_waitcnt lgkmcnt(0)
	v_sub_f32_e32 v13, v13, v10
	v_mul_f32_e32 v13, 0x3fb8aa3b, v13
	v_exp_f32_e32 v13, v13
	ds_write_b32 v11, v13
	v_add_f32_e32 v9, v9, v13
	v_add_u32_e32 v11, 0x200, v11
	s_andn2_b64 exec, exec, s[28:29]
	s_cbranch_execnz .LBB32_18
; %bb.19:
	s_or_b64 exec, exec, s[28:29]
.LBB32_20:
	s_or_b64 exec, exec, s[26:27]
	ds_bpermute_b32 v2, v2, v9
	s_waitcnt lgkmcnt(0)
	v_add_f32_e32 v2, v9, v2
	ds_bpermute_b32 v3, v3, v2
	s_waitcnt lgkmcnt(0)
	v_add_f32_e32 v2, v2, v3
	ds_bpermute_b32 v3, v7, v2
	v_xor_b32_e32 v7, 2, v38
	v_cmp_lt_i32_e64 s[8:9], v7, v39
	s_waitcnt lgkmcnt(0)
	v_add_f32_e32 v2, v2, v3
	ds_bpermute_b32 v3, v8, v2
	v_cndmask_b32_e64 v7, v38, v7, s[8:9]
	v_lshlrev_b32_e32 v56, 2, v7
	s_waitcnt lgkmcnt(0)
	v_add_f32_e32 v2, v2, v3
	ds_bpermute_b32 v3, v56, v2
	s_waitcnt lgkmcnt(0)
	v_add_f32_e32 v2, v2, v3
	ds_bpermute_b32 v3, v55, v2
	s_waitcnt lgkmcnt(0)
	v_add_f32_e32 v2, v2, v3
	s_and_saveexec_b64 s[8:9], vcc
; %bb.21:
	ds_write_b32 v5, v2 offset:488
; %bb.22:
	s_or_b64 exec, exec, s[8:9]
	s_waitcnt lgkmcnt(0)
	s_barrier
	s_and_saveexec_b64 s[8:9], s[0:1]
; %bb.23:
	ds_read_b32 v2, v6 offset:488
; %bb.24:
	s_or_b64 exec, exec, s[8:9]
	s_waitcnt lgkmcnt(0)
	ds_bpermute_b32 v3, v55, v2
	v_lshlrev_b32_e32 v5, 2, v38
	s_waitcnt lgkmcnt(0)
	v_add_f32_e32 v2, v2, v3
	v_and_b32_e32 v3, 0xffffff00, v5
	ds_bpermute_b32 v2, v3, v2
	s_and_saveexec_b64 s[0:1], s[6:7]
	s_cbranch_execz .LBB32_37
; %bb.25:
	s_waitcnt lgkmcnt(0)
	v_add_f32_e32 v2, 0x358637bd, v2
	v_div_scale_f32 v3, s[6:7], v2, v2, 1.0
	v_rcp_f32_e32 v5, v3
	v_div_scale_f32 v6, vcc, 1.0, v2, 1.0
	s_movk_i32 s6, 0x7f
	v_fma_f32 v7, -v3, v5, 1.0
	v_fmac_f32_e32 v5, v7, v5
	v_mul_f32_e32 v7, v6, v5
	v_fma_f32 v8, -v3, v7, v6
	v_fmac_f32_e32 v7, v8, v5
	v_fma_f32 v3, -v3, v7, v6
	v_div_fmas_f32 v3, v3, v5, v7
	v_xad_u32 v5, v0, -1, s12
	v_div_fixup_f32 v2, v3, v2, 1.0
	v_cmp_lt_u32_e32 vcc, s6, v5
	s_mov_b64 s[8:9], -1
	v_mov_b32_e32 v3, v0
	s_and_saveexec_b64 s[6:7], vcc
	s_cbranch_execz .LBB32_34
; %bb.26:
	v_lshrrev_b32_e32 v5, 7, v5
	v_add_u32_e32 v7, -1, v5
	v_lshrrev_b32_e32 v6, 1, v7
	v_mov_b32_e32 v3, v2
	v_add_u32_e32 v6, 1, v6
	v_cmp_lt_u32_e32 vcc, 13, v7
	v_mov_b32_e32 v9, 0
	s_and_saveexec_b64 s[8:9], vcc
	s_cbranch_execz .LBB32_30
; %bb.27:
	v_mov_b32_e32 v8, 0x1f0
	v_and_b32_e32 v7, -8, v6
	v_lshl_add_u32 v8, v0, 2, v8
	s_mov_b32 s15, 0
	s_mov_b64 s[26:27], 0
.LBB32_28:                              ; =>This Inner Loop Header: Depth=1
	ds_read2st64_b32 v[10:11], v8 offset1:2
	ds_read2st64_b32 v[12:13], v8 offset0:4 offset1:6
	ds_read2st64_b32 v[14:15], v8 offset0:8 offset1:10
	;; [unrolled: 1-line block ×3, first 2 shown]
	v_add_u32_e32 v7, -8, v7
	s_waitcnt lgkmcnt(3)
	v_pk_mul_f32 v[10:11], v[2:3], v[10:11]
	s_waitcnt lgkmcnt(2)
	v_pk_mul_f32 v[12:13], v[2:3], v[12:13]
	ds_write2st64_b32 v8, v10, v11 offset1:2
	ds_write2st64_b32 v8, v12, v13 offset0:4 offset1:6
	ds_read2st64_b32 v[12:13], v8 offset0:16 offset1:18
	s_waitcnt lgkmcnt(4)
	v_pk_mul_f32 v[10:11], v[2:3], v[14:15]
	ds_write2st64_b32 v8, v10, v11 offset0:8 offset1:10
	s_waitcnt lgkmcnt(4)
	v_pk_mul_f32 v[10:11], v[2:3], v[16:17]
	ds_write2st64_b32 v8, v10, v11 offset0:12 offset1:14
	ds_read2st64_b32 v[10:11], v8 offset0:20 offset1:22
	s_waitcnt lgkmcnt(3)
	v_pk_mul_f32 v[12:13], v[2:3], v[12:13]
	ds_read2st64_b32 v[14:15], v8 offset0:24 offset1:26
	ds_write2st64_b32 v8, v12, v13 offset0:16 offset1:18
	ds_read2st64_b32 v[12:13], v8 offset0:28 offset1:30
	s_waitcnt lgkmcnt(3)
	v_pk_mul_f32 v[10:11], v[2:3], v[10:11]
	ds_write2st64_b32 v8, v10, v11 offset0:20 offset1:22
	s_waitcnt lgkmcnt(3)
	v_pk_mul_f32 v[10:11], v[2:3], v[14:15]
	ds_write2st64_b32 v8, v10, v11 offset0:24 offset1:26
	s_waitcnt lgkmcnt(2)
	v_pk_mul_f32 v[10:11], v[2:3], v[12:13]
	s_add_i32 s15, s15, 16
	v_cmp_eq_u32_e32 vcc, 0, v7
	ds_write2st64_b32 v8, v10, v11 offset0:28 offset1:30
	v_add_u32_e32 v8, 0x2000, v8
	s_or_b64 s[26:27], vcc, s[26:27]
	v_mov_b32_e32 v9, s15
	s_andn2_b64 exec, exec, s[26:27]
	s_cbranch_execnz .LBB32_28
; %bb.29:
	s_or_b64 exec, exec, s[26:27]
.LBB32_30:
	s_or_b64 exec, exec, s[8:9]
	v_and_b32_e32 v6, 7, v6
	v_cmp_ne_u32_e32 vcc, 0, v6
	s_and_saveexec_b64 s[8:9], vcc
	s_cbranch_execz .LBB32_33
; %bb.31:
	v_lshlrev_b32_e32 v7, 9, v9
	s_movk_i32 s15, 0x1f0
	v_add3_u32 v7, v7, v36, s15
	s_mov_b64 s[26:27], 0
.LBB32_32:                              ; =>This Inner Loop Header: Depth=1
	ds_read2st64_b32 v[8:9], v7 offset1:2
	v_add_u32_e32 v6, -1, v6
	v_cmp_eq_u32_e32 vcc, 0, v6
	s_or_b64 s[26:27], vcc, s[26:27]
	s_waitcnt lgkmcnt(0)
	v_pk_mul_f32 v[8:9], v[2:3], v[8:9]
	ds_write2st64_b32 v7, v8, v9 offset1:2
	v_add_u32_e32 v7, 0x400, v7
	s_andn2_b64 exec, exec, s[26:27]
	s_cbranch_execnz .LBB32_32
.LBB32_33:
	s_or_b64 exec, exec, s[8:9]
	v_add_u32_e32 v5, 1, v5
	v_and_b32_e32 v6, 0x3fffffe, v5
	v_cmp_ne_u32_e32 vcc, v5, v6
	v_lshl_add_u32 v3, v6, 7, v0
	s_orn2_b64 s[8:9], vcc, exec
.LBB32_34:
	s_or_b64 exec, exec, s[6:7]
	s_and_b64 exec, exec, s[8:9]
	s_cbranch_execz .LBB32_37
; %bb.35:
	v_mov_b32_e32 v5, 0x1f0
	v_lshl_add_u32 v5, v3, 2, v5
	s_mov_b64 s[6:7], 0
.LBB32_36:                              ; =>This Inner Loop Header: Depth=1
	ds_read_b32 v6, v5
	v_add_u32_e32 v3, 0x80, v3
	v_cmp_le_i32_e32 vcc, s12, v3
	s_or_b64 s[6:7], vcc, s[6:7]
	s_waitcnt lgkmcnt(0)
	v_mul_f32_e32 v6, v2, v6
	ds_write_b32 v5, v6
	v_add_u32_e32 v5, 0x200, v5
	s_andn2_b64 exec, exec, s[6:7]
	s_cbranch_execnz .LBB32_36
.LBB32_37:
	s_or_b64 exec, exec, s[0:1]
	v_lshrrev_b32_e32 v57, 2, v4
	s_waitcnt lgkmcnt(0)
	s_barrier
	s_and_saveexec_b64 s[0:1], s[2:3]
	s_xor_b64 s[0:1], exec, s[0:1]
; %bb.38:
	v_lshrrev_b32_e32 v57, 2, v4
                                        ; implicit-def: $vgpr54
                                        ; implicit-def: $vgpr36
                                        ; implicit-def: $vgpr37
; %bb.39:
	s_or_saveexec_b64 s[6:7], s[0:1]
	v_mov_b32_e32 v39, 0
	v_mov_b32_e32 v38, 0
	v_mov_b32_e32 v41, 0
	v_mov_b32_e32 v40, 0
	v_mov_b32_e32 v43, 0
	v_mov_b32_e32 v42, 0
	v_mov_b32_e32 v45, 0
	v_mov_b32_e32 v44, 0
	s_xor_b64 exec, exec, s[6:7]
	s_cbranch_execz .LBB32_61
; %bb.40:
	s_ashr_i32 s15, s14, 31
	s_lshl_b64 s[0:1], s[14:15], 2
	s_add_u32 s8, s24, s0
	v_and_b32_e32 v3, 12, v36
	s_addc_u32 s9, s25, s1
	s_add_i32 s24, s17, -1
	v_or_b32_e32 v4, 0x70, v57
	s_movk_i32 s0, 0x78
	s_lshl_b64 s[2:3], s[22:23], 2
	v_lshl_or_b32 v2, v57, 4, v3
	v_cmp_gt_u32_e64 s[0:1], s0, v4
	v_lshl_or_b32 v4, v4, 4, v3
	v_lshl_or_b32 v58, v54, 4, v3
	v_lshlrev_b32_e32 v3, 4, v53
	s_add_u32 s2, s20, s2
	v_mov_b32_e32 v47, 0
	v_lshl_or_b32 v3, v54, 6, v3
	v_and_b32_e32 v46, 60, v37
	s_addc_u32 s3, s21, s3
	s_mov_b32 s26, s13
	s_mov_b32 s25, s33
	v_add_u32_e32 v59, 0x1f0, v3
	v_lshl_add_u64 v[48:49], s[2:3], 0, v[46:47]
	s_mov_b64 s[12:13], 0
	v_lshlrev_b32_e32 v50, 2, v2
	v_mov_b32_e32 v51, v47
	v_lshlrev_b32_e32 v46, 2, v4
	v_mov_b32_e32 v39, v47
	v_mov_b32_e32 v38, v47
	;; [unrolled: 1-line block ×8, first 2 shown]
	s_branch .LBB32_43
.LBB32_41:                              ;   in Loop: Header=BB32_43 Depth=1
	s_or_b64 exec, exec, s[20:21]
	s_waitcnt vmcnt(0) lgkmcnt(0)
	v_pk_mul_f32 v[34:35], v[6:7], v[34:35]
	v_pk_mul_f32 v[36:37], v[8:9], v[36:37]
	v_add_f32_e32 v34, v35, v34
	v_add_f32_e32 v34, v36, v34
	v_add_f32_e32 v34, v37, v34
	v_add_f32_e32 v39, v39, v34
.LBB32_42:                              ;   in Loop: Header=BB32_43 Depth=1
	s_or_b64 exec, exec, s[14:15]
	s_waitcnt vmcnt(0) lgkmcnt(0)
	v_mul_f32_e32 v30, v6, v30
	v_mul_f32_e32 v26, v6, v26
	v_mul_f32_e32 v22, v6, v22
	v_mul_f32_e32 v18, v6, v18
	v_mul_f32_e32 v14, v6, v14
	v_mul_f32_e32 v10, v6, v10
	v_mul_f32_e32 v2, v6, v2
	v_fmac_f32_e32 v30, v7, v31
	v_fmac_f32_e32 v26, v7, v27
	;; [unrolled: 1-line block ×14, first 2 shown]
	v_add_u32_e32 v54, 2, v54
	v_fmac_f32_e32 v30, v9, v33
	v_fmac_f32_e32 v26, v9, v29
	;; [unrolled: 1-line block ×7, first 2 shown]
	v_cmp_le_i32_e32 vcc, s17, v54
	v_add_f32_e32 v38, v38, v30
	v_add_f32_e32 v41, v41, v26
	;; [unrolled: 1-line block ×7, first 2 shown]
	v_add_u32_e32 v58, 32, v58
	v_add_u32_e32 v59, 0x80, v59
	s_or_b64 s[12:13], vcc, s[12:13]
	v_lshl_add_u64 v[48:49], v[48:49], 0, 8
	s_andn2_b64 exec, exec, s[12:13]
	s_cbranch_execz .LBB32_60
.LBB32_43:                              ; =>This Inner Loop Header: Depth=1
	global_load_dword v2, v[48:49], off
	ds_read_b128 v[6:9], v59
	s_waitcnt vmcnt(0)
	v_mad_i64_i32 v[2:3], s[2:3], v2, s26, 0
	v_lshl_add_u64 v[34:35], v[2:3], 2, s[8:9]
	v_lshl_add_u64 v[30:31], v[34:35], 0, v[50:51]
	global_load_dwordx4 v[2:5], v[30:31], off
	v_cmp_eq_u32_e64 s[2:3], s24, v54
	s_and_saveexec_b64 s[14:15], s[2:3]
	s_cbranch_execnz .LBB32_57
; %bb.44:                               ;   in Loop: Header=BB32_43 Depth=1
	s_or_b64 exec, exec, s[14:15]
	global_load_dwordx4 v[10:13], v[30:31], off offset:1024
	s_and_saveexec_b64 s[14:15], s[2:3]
	s_cbranch_execnz .LBB32_58
.LBB32_45:                              ;   in Loop: Header=BB32_43 Depth=1
	s_or_b64 exec, exec, s[14:15]
	global_load_dwordx4 v[14:17], v[30:31], off offset:2048
	s_and_saveexec_b64 s[14:15], s[2:3]
	s_cbranch_execnz .LBB32_59
.LBB32_46:                              ;   in Loop: Header=BB32_43 Depth=1
	s_or_b64 exec, exec, s[14:15]
	global_load_dwordx4 v[18:21], v[30:31], off offset:3072
	s_and_saveexec_b64 s[14:15], s[2:3]
	s_cbranch_execz .LBB32_48
.LBB32_47:                              ;   in Loop: Header=BB32_43 Depth=1
	v_add_u32_e32 v22, 1, v58
	v_cmp_gt_i32_e32 vcc, s25, v22
	v_or_b32_e32 v22, 3, v58
	v_or_b32_e32 v23, 2, v58
	s_waitcnt vmcnt(0)
	v_cndmask_b32_e32 v19, 0, v19, vcc
	v_cmp_gt_i32_e32 vcc, s33, v58
	s_nop 1
	v_cndmask_b32_e32 v18, 0, v18, vcc
	v_cmp_gt_i32_e32 vcc, s25, v22
	s_nop 1
	v_cndmask_b32_e32 v21, 0, v21, vcc
	v_cmp_gt_i32_e32 vcc, s33, v23
	s_nop 1
	v_cndmask_b32_e32 v20, 0, v20, vcc
.LBB32_48:                              ;   in Loop: Header=BB32_43 Depth=1
	s_or_b64 exec, exec, s[14:15]
	v_add_co_u32_e32 v22, vcc, 0x1000, v30
	s_nop 1
	v_addc_co_u32_e32 v23, vcc, 0, v31, vcc
	global_load_dwordx4 v[22:25], v[22:23], off
	s_and_saveexec_b64 s[14:15], s[2:3]
	s_cbranch_execz .LBB32_50
; %bb.49:                               ;   in Loop: Header=BB32_43 Depth=1
	v_add_u32_e32 v26, 1, v58
	v_cmp_gt_i32_e32 vcc, s25, v26
	v_or_b32_e32 v26, 3, v58
	v_or_b32_e32 v27, 2, v58
	s_waitcnt vmcnt(0)
	v_cndmask_b32_e32 v23, 0, v23, vcc
	v_cmp_gt_i32_e32 vcc, s33, v58
	s_nop 1
	v_cndmask_b32_e32 v22, 0, v22, vcc
	v_cmp_gt_i32_e32 vcc, s25, v26
	s_nop 1
	;; [unrolled: 3-line block ×3, first 2 shown]
	v_cndmask_b32_e32 v24, 0, v24, vcc
.LBB32_50:                              ;   in Loop: Header=BB32_43 Depth=1
	s_or_b64 exec, exec, s[14:15]
	v_add_co_u32_e32 v26, vcc, 0x1000, v30
	s_nop 1
	v_addc_co_u32_e32 v27, vcc, 0, v31, vcc
	global_load_dwordx4 v[26:29], v[26:27], off offset:1024
	s_and_saveexec_b64 s[14:15], s[2:3]
	s_cbranch_execz .LBB32_52
; %bb.51:                               ;   in Loop: Header=BB32_43 Depth=1
	v_add_u32_e32 v32, 1, v58
	v_cmp_gt_i32_e32 vcc, s25, v32
	v_or_b32_e32 v32, 3, v58
	v_or_b32_e32 v33, 2, v58
	s_waitcnt vmcnt(0)
	v_cndmask_b32_e32 v27, 0, v27, vcc
	v_cmp_gt_i32_e32 vcc, s33, v58
	s_nop 1
	v_cndmask_b32_e32 v26, 0, v26, vcc
	v_cmp_gt_i32_e32 vcc, s25, v32
	s_nop 1
	;; [unrolled: 3-line block ×3, first 2 shown]
	v_cndmask_b32_e32 v28, 0, v28, vcc
.LBB32_52:                              ;   in Loop: Header=BB32_43 Depth=1
	s_or_b64 exec, exec, s[14:15]
	v_add_co_u32_e32 v30, vcc, 0x1000, v30
	s_nop 1
	v_addc_co_u32_e32 v31, vcc, 0, v31, vcc
	global_load_dwordx4 v[30:33], v[30:31], off offset:2048
	s_and_saveexec_b64 s[14:15], s[2:3]
	s_cbranch_execz .LBB32_54
; %bb.53:                               ;   in Loop: Header=BB32_43 Depth=1
	v_add_u32_e32 v36, 1, v58
	v_cmp_gt_i32_e32 vcc, s25, v36
	v_or_b32_e32 v36, 3, v58
	v_or_b32_e32 v37, 2, v58
	s_waitcnt vmcnt(0)
	v_cndmask_b32_e32 v31, 0, v31, vcc
	v_cmp_gt_i32_e32 vcc, s33, v58
	s_nop 1
	v_cndmask_b32_e32 v30, 0, v30, vcc
	v_cmp_gt_i32_e32 vcc, s25, v36
	s_nop 1
	;; [unrolled: 3-line block ×3, first 2 shown]
	v_cndmask_b32_e32 v32, 0, v32, vcc
.LBB32_54:                              ;   in Loop: Header=BB32_43 Depth=1
	s_or_b64 exec, exec, s[14:15]
	s_and_saveexec_b64 s[14:15], s[0:1]
	s_cbranch_execz .LBB32_42
; %bb.55:                               ;   in Loop: Header=BB32_43 Depth=1
	v_lshl_add_u64 v[34:35], v[34:35], 0, v[46:47]
	global_load_dwordx4 v[34:37], v[34:35], off
	s_and_saveexec_b64 s[20:21], s[2:3]
	s_cbranch_execz .LBB32_41
; %bb.56:                               ;   in Loop: Header=BB32_43 Depth=1
	v_add_u32_e32 v60, 1, v58
	v_cmp_gt_i32_e32 vcc, s25, v60
	v_or_b32_e32 v60, 3, v58
	v_or_b32_e32 v61, 2, v58
	s_waitcnt vmcnt(0)
	v_cndmask_b32_e32 v35, 0, v35, vcc
	v_cmp_gt_i32_e32 vcc, s33, v58
	s_nop 1
	v_cndmask_b32_e32 v34, 0, v34, vcc
	v_cmp_gt_i32_e32 vcc, s25, v60
	s_nop 1
	;; [unrolled: 3-line block ×3, first 2 shown]
	v_cndmask_b32_e32 v36, 0, v36, vcc
	s_branch .LBB32_41
.LBB32_57:                              ;   in Loop: Header=BB32_43 Depth=1
	v_add_u32_e32 v10, 1, v58
	v_cmp_gt_i32_e32 vcc, s25, v10
	v_or_b32_e32 v10, 3, v58
	v_or_b32_e32 v11, 2, v58
	s_waitcnt vmcnt(0)
	v_cndmask_b32_e32 v3, 0, v3, vcc
	v_cmp_gt_i32_e32 vcc, s33, v58
	s_nop 1
	v_cndmask_b32_e32 v2, 0, v2, vcc
	v_cmp_gt_i32_e32 vcc, s25, v10
	s_nop 1
	;; [unrolled: 3-line block ×3, first 2 shown]
	v_cndmask_b32_e32 v4, 0, v4, vcc
	s_or_b64 exec, exec, s[14:15]
	global_load_dwordx4 v[10:13], v[30:31], off offset:1024
	s_and_saveexec_b64 s[14:15], s[2:3]
	s_cbranch_execz .LBB32_45
.LBB32_58:                              ;   in Loop: Header=BB32_43 Depth=1
	v_add_u32_e32 v14, 1, v58
	v_cmp_gt_i32_e32 vcc, s25, v14
	v_or_b32_e32 v14, 3, v58
	v_or_b32_e32 v15, 2, v58
	s_waitcnt vmcnt(0)
	v_cndmask_b32_e32 v11, 0, v11, vcc
	v_cmp_gt_i32_e32 vcc, s33, v58
	s_nop 1
	v_cndmask_b32_e32 v10, 0, v10, vcc
	v_cmp_gt_i32_e32 vcc, s25, v14
	s_nop 1
	;; [unrolled: 3-line block ×3, first 2 shown]
	v_cndmask_b32_e32 v12, 0, v12, vcc
	s_or_b64 exec, exec, s[14:15]
	global_load_dwordx4 v[14:17], v[30:31], off offset:2048
	s_and_saveexec_b64 s[14:15], s[2:3]
	s_cbranch_execz .LBB32_46
.LBB32_59:                              ;   in Loop: Header=BB32_43 Depth=1
	v_add_u32_e32 v18, 1, v58
	v_cmp_gt_i32_e32 vcc, s25, v18
	v_or_b32_e32 v18, 3, v58
	v_or_b32_e32 v19, 2, v58
	s_waitcnt vmcnt(0)
	v_cndmask_b32_e32 v15, 0, v15, vcc
	v_cmp_gt_i32_e32 vcc, s33, v58
	s_nop 1
	v_cndmask_b32_e32 v14, 0, v14, vcc
	v_cmp_gt_i32_e32 vcc, s25, v18
	s_nop 1
	;; [unrolled: 3-line block ×3, first 2 shown]
	v_cndmask_b32_e32 v16, 0, v16, vcc
	s_or_b64 exec, exec, s[14:15]
	global_load_dwordx4 v[18:21], v[30:31], off offset:3072
	s_and_saveexec_b64 s[14:15], s[2:3]
	s_cbranch_execnz .LBB32_47
	s_branch .LBB32_48
.LBB32_60:
	s_or_b64 exec, exec, s[12:13]
.LBB32_61:
	s_or_b64 exec, exec, s[6:7]
	ds_bpermute_b32 v2, v56, v44
	ds_bpermute_b32 v3, v56, v45
	;; [unrolled: 1-line block ×8, first 2 shown]
	s_waitcnt lgkmcnt(6)
	v_pk_add_f32 v[2:3], v[44:45], v[2:3]
	s_waitcnt lgkmcnt(4)
	v_pk_add_f32 v[4:5], v[42:43], v[4:5]
	ds_bpermute_b32 v6, v55, v2
	ds_bpermute_b32 v7, v55, v3
	ds_bpermute_b32 v10, v55, v4
	ds_bpermute_b32 v11, v55, v5
	s_waitcnt lgkmcnt(6)
	v_pk_add_f32 v[14:15], v[40:41], v[8:9]
	s_waitcnt lgkmcnt(4)
	v_pk_add_f32 v[12:13], v[38:39], v[12:13]
	ds_bpermute_b32 v16, v55, v14
	ds_bpermute_b32 v17, v55, v15
	;; [unrolled: 1-line block ×4, first 2 shown]
	s_waitcnt lgkmcnt(6)
	v_pk_add_f32 v[8:9], v[2:3], v[6:7]
	s_waitcnt lgkmcnt(4)
	v_pk_add_f32 v[6:7], v[4:5], v[10:11]
	v_and_b32_e32 v10, 0x3c0, v0
	s_waitcnt lgkmcnt(2)
	v_pk_add_f32 v[4:5], v[14:15], v[16:17]
	s_waitcnt lgkmcnt(0)
	v_pk_add_f32 v[2:3], v[12:13], v[18:19]
	v_cmp_eq_u32_e64 s[0:1], 64, v10
	v_cmp_eq_u32_e32 vcc, 0, v53
	s_barrier
	s_and_saveexec_b64 s[2:3], s[0:1]
	s_cbranch_execz .LBB32_66
; %bb.62:
	s_and_saveexec_b64 s[0:1], vcc
	s_cbranch_execz .LBB32_64
; %bb.63:
	v_mov_b32_e32 v10, 0x1f0
	v_lshl_add_u32 v10, v57, 2, v10
	ds_write2_b32 v10, v8, v9 offset1:16
	ds_write2_b32 v10, v6, v7 offset0:32 offset1:48
	ds_write2_b32 v10, v4, v5 offset0:64 offset1:80
	ds_write_b32 v10, v2 offset:384
.LBB32_64:
	s_or_b64 exec, exec, s[0:1]
	v_or_b32_e32 v10, 0x70, v57
	s_movk_i32 s0, 0x78
	v_cmp_gt_u32_e64 s[0:1], s0, v10
	s_and_b64 s[0:1], vcc, s[0:1]
	s_and_b64 exec, exec, s[0:1]
; %bb.65:
	v_mov_b32_e32 v10, 0x1f0
	v_lshl_add_u32 v10, v57, 2, v10
	ds_write_b32 v10, v3 offset:448
.LBB32_66:
	s_or_b64 exec, exec, s[2:3]
	v_cmp_gt_u32_e64 s[0:1], 64, v0
	s_waitcnt lgkmcnt(0)
	s_barrier
	s_and_saveexec_b64 s[6:7], s[0:1]
	s_cbranch_execz .LBB32_84
; %bb.67:
	s_and_saveexec_b64 s[2:3], vcc
	s_cbranch_execz .LBB32_69
; %bb.68:
	v_mov_b32_e32 v0, 0x1f0
	v_lshl_add_u32 v0, v52, 2, v0
	ds_read_b32 v0, v0
	s_waitcnt lgkmcnt(0)
	v_add_f32_e32 v8, v8, v0
.LBB32_69:
	s_or_b64 exec, exec, s[2:3]
	v_or_b32_e32 v0, 16, v52
	s_movk_i32 s8, 0x78
	v_cmp_gt_u32_e64 s[2:3], s8, v0
	s_and_b64 s[12:13], vcc, s[2:3]
	s_and_saveexec_b64 s[2:3], s[12:13]
	s_cbranch_execz .LBB32_71
; %bb.70:
	v_mov_b32_e32 v0, 0x1f0
	v_lshl_add_u32 v0, v52, 2, v0
	ds_read_b32 v0, v0 offset:64
	s_waitcnt lgkmcnt(0)
	v_add_f32_e32 v9, v9, v0
.LBB32_71:
	s_or_b64 exec, exec, s[2:3]
	v_or_b32_e32 v0, 32, v52
	v_cmp_gt_u32_e64 s[2:3], s8, v0
	s_and_b64 s[8:9], vcc, s[2:3]
	s_and_saveexec_b64 s[2:3], s[8:9]
	s_cbranch_execz .LBB32_73
; %bb.72:
	v_mov_b32_e32 v0, 0x1f0
	v_lshl_add_u32 v0, v52, 2, v0
	ds_read_b32 v0, v0 offset:128
	s_waitcnt lgkmcnt(0)
	v_add_f32_e32 v6, v6, v0
.LBB32_73:
	s_or_b64 exec, exec, s[2:3]
	v_or_b32_e32 v0, 48, v52
	s_movk_i32 s8, 0x78
	v_cmp_gt_u32_e64 s[2:3], s8, v0
	s_and_b64 s[12:13], vcc, s[2:3]
	s_and_saveexec_b64 s[2:3], s[12:13]
	s_cbranch_execz .LBB32_75
; %bb.74:
	v_mov_b32_e32 v0, 0x1f0
	v_lshl_add_u32 v0, v52, 2, v0
	ds_read_b32 v0, v0 offset:192
	s_waitcnt lgkmcnt(0)
	v_add_f32_e32 v7, v7, v0
.LBB32_75:
	s_or_b64 exec, exec, s[2:3]
	v_or_b32_e32 v0, 64, v52
	v_cmp_gt_u32_e64 s[2:3], s8, v0
	s_and_b64 s[8:9], vcc, s[2:3]
	s_and_saveexec_b64 s[2:3], s[8:9]
	s_cbranch_execz .LBB32_77
; %bb.76:
	v_mov_b32_e32 v0, 0x1f0
	v_lshl_add_u32 v0, v52, 2, v0
	ds_read_b32 v0, v0 offset:256
	s_waitcnt lgkmcnt(0)
	v_add_f32_e32 v4, v4, v0
.LBB32_77:
	s_or_b64 exec, exec, s[2:3]
	v_or_b32_e32 v0, 0x50, v52
	s_movk_i32 s8, 0x78
	v_cmp_gt_u32_e64 s[2:3], s8, v0
	s_and_b64 s[12:13], vcc, s[2:3]
	s_and_saveexec_b64 s[2:3], s[12:13]
	s_cbranch_execz .LBB32_79
; %bb.78:
	v_mov_b32_e32 v0, 0x1f0
	v_lshl_add_u32 v0, v52, 2, v0
	ds_read_b32 v0, v0 offset:320
	s_waitcnt lgkmcnt(0)
	v_add_f32_e32 v5, v5, v0
.LBB32_79:
	s_or_b64 exec, exec, s[2:3]
	v_or_b32_e32 v0, 0x60, v52
	v_cmp_gt_u32_e64 s[2:3], s8, v0
	s_and_b64 s[8:9], vcc, s[2:3]
	s_and_saveexec_b64 s[2:3], s[8:9]
	s_cbranch_execz .LBB32_81
; %bb.80:
	v_mov_b32_e32 v0, 0x1f0
	v_lshl_add_u32 v0, v52, 2, v0
	ds_read_b32 v0, v0 offset:384
	s_waitcnt lgkmcnt(0)
	v_add_f32_e32 v2, v2, v0
.LBB32_81:
	s_or_b64 exec, exec, s[2:3]
	v_or_b32_e32 v0, 0x70, v52
	s_movk_i32 s2, 0x78
	v_cmp_gt_u32_e64 s[2:3], s2, v0
	s_and_b64 s[8:9], vcc, s[2:3]
	s_and_saveexec_b64 s[2:3], s[8:9]
	s_cbranch_execz .LBB32_83
; %bb.82:
	v_mov_b32_e32 v0, 0x1f0
	v_lshl_add_u32 v0, v52, 2, v0
	ds_read_b32 v0, v0 offset:448
	s_waitcnt lgkmcnt(0)
	v_add_f32_e32 v3, v3, v0
.LBB32_83:
	s_or_b64 exec, exec, s[2:3]
.LBB32_84:
	s_or_b64 exec, exec, s[6:7]
	s_barrier
	s_and_saveexec_b64 s[2:3], s[0:1]
	s_cbranch_execz .LBB32_101
; %bb.85:
	s_mul_i32 s0, s10, s11
	s_mul_i32 s0, s0, s5
	s_mulk_i32 s0, 0x78
	s_ashr_i32 s1, s0, 31
	s_lshl_b64 s[0:1], s[0:1], 2
	s_add_u32 s2, s18, s0
	s_mul_i32 s0, s11, s16
	s_addc_u32 s3, s19, s1
	s_ashr_i32 s1, s0, 31
	s_lshl_b64 s[0:1], s[0:1], 2
	s_add_u32 s2, s2, s0
	s_mul_i32 s0, s4, 0x78
	s_addc_u32 s3, s3, s1
	s_ashr_i32 s1, s0, 31
	s_lshl_b64 s[0:1], s[0:1], 2
	s_add_u32 s2, s2, s0
	s_movk_i32 s5, 0x78
	s_addc_u32 s3, s3, s1
	s_and_saveexec_b64 s[0:1], vcc
	s_cbranch_execz .LBB32_87
; %bb.86:
	global_store_dword v1, v8, s[2:3]
.LBB32_87:
	s_or_b64 exec, exec, s[0:1]
	v_or_b32_e32 v0, 16, v52
	v_cmp_gt_u32_e64 s[0:1], s5, v0
	s_and_b64 s[4:5], vcc, s[0:1]
	s_and_saveexec_b64 s[0:1], s[4:5]
	s_cbranch_execz .LBB32_89
; %bb.88:
	global_store_dword v1, v9, s[2:3] offset:64
.LBB32_89:
	s_or_b64 exec, exec, s[0:1]
	v_or_b32_e32 v0, 32, v52
	s_movk_i32 s4, 0x78
	v_cmp_gt_u32_e64 s[0:1], s4, v0
	s_and_b64 s[6:7], vcc, s[0:1]
	s_and_saveexec_b64 s[0:1], s[6:7]
	s_cbranch_execz .LBB32_91
; %bb.90:
	global_store_dword v1, v6, s[2:3] offset:128
.LBB32_91:
	s_or_b64 exec, exec, s[0:1]
	v_or_b32_e32 v0, 48, v52
	v_cmp_gt_u32_e64 s[0:1], s4, v0
	s_and_b64 s[4:5], vcc, s[0:1]
	s_and_saveexec_b64 s[0:1], s[4:5]
	s_cbranch_execz .LBB32_93
; %bb.92:
	global_store_dword v1, v7, s[2:3] offset:192
.LBB32_93:
	s_or_b64 exec, exec, s[0:1]
	v_or_b32_e32 v0, 64, v52
	s_movk_i32 s4, 0x78
	v_cmp_gt_u32_e64 s[0:1], s4, v0
	s_and_b64 s[6:7], vcc, s[0:1]
	s_and_saveexec_b64 s[0:1], s[6:7]
	s_cbranch_execz .LBB32_95
; %bb.94:
	global_store_dword v1, v4, s[2:3] offset:256
.LBB32_95:
	;; [unrolled: 19-line block ×3, first 2 shown]
	s_or_b64 exec, exec, s[0:1]
	v_or_b32_e32 v0, 0x70, v52
	v_cmp_gt_u32_e64 s[0:1], s4, v0
	s_and_b64 s[0:1], vcc, s[0:1]
	s_and_b64 exec, exec, s[0:1]
	s_cbranch_execz .LBB32_101
; %bb.100:
	global_store_dword v1, v3, s[2:3] offset:448
.LBB32_101:
	s_endpgm
	.section	.rodata,"a",@progbits
	.p2align	6, 0x0
	.amdhsa_kernel _ZN4vllm25paged_attention_v1_kernelIffLi120ELi16ELi128ELNS_18Fp8KVCacheDataTypeE0ELb0EEEvPT_PKS2_PKT0_S8_ifPKiSA_iPKfiiiSC_SC_iiiii
		.amdhsa_group_segment_fixed_size 496
		.amdhsa_private_segment_fixed_size 0
		.amdhsa_kernarg_size 384
		.amdhsa_user_sgpr_count 2
		.amdhsa_user_sgpr_dispatch_ptr 0
		.amdhsa_user_sgpr_queue_ptr 0
		.amdhsa_user_sgpr_kernarg_segment_ptr 1
		.amdhsa_user_sgpr_dispatch_id 0
		.amdhsa_user_sgpr_kernarg_preload_length 0
		.amdhsa_user_sgpr_kernarg_preload_offset 0
		.amdhsa_user_sgpr_private_segment_size 0
		.amdhsa_uses_dynamic_stack 0
		.amdhsa_enable_private_segment 0
		.amdhsa_system_sgpr_workgroup_id_x 1
		.amdhsa_system_sgpr_workgroup_id_y 1
		.amdhsa_system_sgpr_workgroup_id_z 1
		.amdhsa_system_sgpr_workgroup_info 0
		.amdhsa_system_vgpr_workitem_id 0
		.amdhsa_next_free_vgpr 81
		.amdhsa_next_free_sgpr 35
		.amdhsa_accum_offset 84
		.amdhsa_reserve_vcc 1
		.amdhsa_float_round_mode_32 0
		.amdhsa_float_round_mode_16_64 0
		.amdhsa_float_denorm_mode_32 3
		.amdhsa_float_denorm_mode_16_64 3
		.amdhsa_dx10_clamp 1
		.amdhsa_ieee_mode 1
		.amdhsa_fp16_overflow 0
		.amdhsa_tg_split 0
		.amdhsa_exception_fp_ieee_invalid_op 0
		.amdhsa_exception_fp_denorm_src 0
		.amdhsa_exception_fp_ieee_div_zero 0
		.amdhsa_exception_fp_ieee_overflow 0
		.amdhsa_exception_fp_ieee_underflow 0
		.amdhsa_exception_fp_ieee_inexact 0
		.amdhsa_exception_int_div_zero 0
	.end_amdhsa_kernel
	.section	.text._ZN4vllm25paged_attention_v1_kernelIffLi120ELi16ELi128ELNS_18Fp8KVCacheDataTypeE0ELb0EEEvPT_PKS2_PKT0_S8_ifPKiSA_iPKfiiiSC_SC_iiiii,"axG",@progbits,_ZN4vllm25paged_attention_v1_kernelIffLi120ELi16ELi128ELNS_18Fp8KVCacheDataTypeE0ELb0EEEvPT_PKS2_PKT0_S8_ifPKiSA_iPKfiiiSC_SC_iiiii,comdat
.Lfunc_end32:
	.size	_ZN4vllm25paged_attention_v1_kernelIffLi120ELi16ELi128ELNS_18Fp8KVCacheDataTypeE0ELb0EEEvPT_PKS2_PKT0_S8_ifPKiSA_iPKfiiiSC_SC_iiiii, .Lfunc_end32-_ZN4vllm25paged_attention_v1_kernelIffLi120ELi16ELi128ELNS_18Fp8KVCacheDataTypeE0ELb0EEEvPT_PKS2_PKT0_S8_ifPKiSA_iPKfiiiSC_SC_iiiii
                                        ; -- End function
	.set _ZN4vllm25paged_attention_v1_kernelIffLi120ELi16ELi128ELNS_18Fp8KVCacheDataTypeE0ELb0EEEvPT_PKS2_PKT0_S8_ifPKiSA_iPKfiiiSC_SC_iiiii.num_vgpr, 81
	.set _ZN4vllm25paged_attention_v1_kernelIffLi120ELi16ELi128ELNS_18Fp8KVCacheDataTypeE0ELb0EEEvPT_PKS2_PKT0_S8_ifPKiSA_iPKfiiiSC_SC_iiiii.num_agpr, 0
	.set _ZN4vllm25paged_attention_v1_kernelIffLi120ELi16ELi128ELNS_18Fp8KVCacheDataTypeE0ELb0EEEvPT_PKS2_PKT0_S8_ifPKiSA_iPKfiiiSC_SC_iiiii.numbered_sgpr, 35
	.set _ZN4vllm25paged_attention_v1_kernelIffLi120ELi16ELi128ELNS_18Fp8KVCacheDataTypeE0ELb0EEEvPT_PKS2_PKT0_S8_ifPKiSA_iPKfiiiSC_SC_iiiii.num_named_barrier, 0
	.set _ZN4vllm25paged_attention_v1_kernelIffLi120ELi16ELi128ELNS_18Fp8KVCacheDataTypeE0ELb0EEEvPT_PKS2_PKT0_S8_ifPKiSA_iPKfiiiSC_SC_iiiii.private_seg_size, 0
	.set _ZN4vllm25paged_attention_v1_kernelIffLi120ELi16ELi128ELNS_18Fp8KVCacheDataTypeE0ELb0EEEvPT_PKS2_PKT0_S8_ifPKiSA_iPKfiiiSC_SC_iiiii.uses_vcc, 1
	.set _ZN4vllm25paged_attention_v1_kernelIffLi120ELi16ELi128ELNS_18Fp8KVCacheDataTypeE0ELb0EEEvPT_PKS2_PKT0_S8_ifPKiSA_iPKfiiiSC_SC_iiiii.uses_flat_scratch, 0
	.set _ZN4vllm25paged_attention_v1_kernelIffLi120ELi16ELi128ELNS_18Fp8KVCacheDataTypeE0ELb0EEEvPT_PKS2_PKT0_S8_ifPKiSA_iPKfiiiSC_SC_iiiii.has_dyn_sized_stack, 0
	.set _ZN4vllm25paged_attention_v1_kernelIffLi120ELi16ELi128ELNS_18Fp8KVCacheDataTypeE0ELb0EEEvPT_PKS2_PKT0_S8_ifPKiSA_iPKfiiiSC_SC_iiiii.has_recursion, 0
	.set _ZN4vllm25paged_attention_v1_kernelIffLi120ELi16ELi128ELNS_18Fp8KVCacheDataTypeE0ELb0EEEvPT_PKS2_PKT0_S8_ifPKiSA_iPKfiiiSC_SC_iiiii.has_indirect_call, 0
	.section	.AMDGPU.csdata,"",@progbits
; Kernel info:
; codeLenInByte = 5468
; TotalNumSgprs: 41
; NumVgprs: 81
; NumAgprs: 0
; TotalNumVgprs: 81
; ScratchSize: 0
; MemoryBound: 0
; FloatMode: 240
; IeeeMode: 1
; LDSByteSize: 496 bytes/workgroup (compile time only)
; SGPRBlocks: 5
; VGPRBlocks: 10
; NumSGPRsForWavesPerEU: 41
; NumVGPRsForWavesPerEU: 81
; AccumOffset: 84
; Occupancy: 5
; WaveLimiterHint : 1
; COMPUTE_PGM_RSRC2:SCRATCH_EN: 0
; COMPUTE_PGM_RSRC2:USER_SGPR: 2
; COMPUTE_PGM_RSRC2:TRAP_HANDLER: 0
; COMPUTE_PGM_RSRC2:TGID_X_EN: 1
; COMPUTE_PGM_RSRC2:TGID_Y_EN: 1
; COMPUTE_PGM_RSRC2:TGID_Z_EN: 1
; COMPUTE_PGM_RSRC2:TIDIG_COMP_CNT: 0
; COMPUTE_PGM_RSRC3_GFX90A:ACCUM_OFFSET: 20
; COMPUTE_PGM_RSRC3_GFX90A:TG_SPLIT: 0
	.section	.text._ZN4vllm25paged_attention_v1_kernelIffLi128ELi16ELi128ELNS_18Fp8KVCacheDataTypeE0ELb0EEEvPT_PKS2_PKT0_S8_ifPKiSA_iPKfiiiSC_SC_iiiii,"axG",@progbits,_ZN4vllm25paged_attention_v1_kernelIffLi128ELi16ELi128ELNS_18Fp8KVCacheDataTypeE0ELb0EEEvPT_PKS2_PKT0_S8_ifPKiSA_iPKfiiiSC_SC_iiiii,comdat
	.protected	_ZN4vllm25paged_attention_v1_kernelIffLi128ELi16ELi128ELNS_18Fp8KVCacheDataTypeE0ELb0EEEvPT_PKS2_PKT0_S8_ifPKiSA_iPKfiiiSC_SC_iiiii ; -- Begin function _ZN4vllm25paged_attention_v1_kernelIffLi128ELi16ELi128ELNS_18Fp8KVCacheDataTypeE0ELb0EEEvPT_PKS2_PKT0_S8_ifPKiSA_iPKfiiiSC_SC_iiiii
	.globl	_ZN4vllm25paged_attention_v1_kernelIffLi128ELi16ELi128ELNS_18Fp8KVCacheDataTypeE0ELb0EEEvPT_PKS2_PKT0_S8_ifPKiSA_iPKfiiiSC_SC_iiiii
	.p2align	8
	.type	_ZN4vllm25paged_attention_v1_kernelIffLi128ELi16ELi128ELNS_18Fp8KVCacheDataTypeE0ELb0EEEvPT_PKS2_PKT0_S8_ifPKiSA_iPKfiiiSC_SC_iiiii,@function
_ZN4vllm25paged_attention_v1_kernelIffLi128ELi16ELi128ELNS_18Fp8KVCacheDataTypeE0ELb0EEEvPT_PKS2_PKT0_S8_ifPKiSA_iPKfiiiSC_SC_iiiii: ; @_ZN4vllm25paged_attention_v1_kernelIffLi128ELi16ELi128ELNS_18Fp8KVCacheDataTypeE0ELb0EEEvPT_PKS2_PKT0_S8_ifPKiSA_iPKfiiiSC_SC_iiiii
; %bb.0:
	s_load_dword s5, s[0:1], 0x80
	s_load_dwordx2 s[6:7], s[0:1], 0x30
	s_load_dwordx2 s[8:9], s[0:1], 0x20
	s_mov_b32 s10, s3
	s_ashr_i32 s11, s3, 31
	s_lshl_b64 s[12:13], s[10:11], 2
	s_waitcnt lgkmcnt(0)
	s_add_u32 s6, s6, s12
	s_addc_u32 s7, s7, s13
	s_abs_i32 s3, s8
	v_cvt_f32_u32_e32 v1, s3
	s_sub_i32 s12, 0, s3
	s_abs_i32 s11, s5
	s_xor_b32 s8, s5, s8
	v_rcp_iflag_f32_e32 v1, v1
	s_ashr_i32 s8, s8, 31
	v_mul_f32_e32 v1, 0x4f7ffffe, v1
	v_cvt_u32_f32_e32 v1, v1
	s_nop 0
	v_readfirstlane_b32 s13, v1
	s_mul_i32 s12, s12, s13
	s_mul_hi_u32 s12, s13, s12
	s_add_i32 s13, s13, s12
	s_mul_hi_u32 s12, s11, s13
	s_mul_i32 s13, s12, s3
	s_sub_i32 s11, s11, s13
	s_add_i32 s13, s12, 1
	s_sub_i32 s14, s11, s3
	s_cmp_ge_u32 s11, s3
	s_cselect_b32 s12, s13, s12
	s_cselect_b32 s11, s14, s11
	s_add_i32 s13, s12, 1
	s_cmp_ge_u32 s11, s3
	s_cselect_b32 s3, s13, s12
	s_xor_b32 s3, s3, s8
	s_sub_i32 s14, s3, s8
	s_abs_i32 s11, s14
	v_cvt_f32_u32_e32 v1, s11
	s_load_dwordx2 s[12:13], s[0:1], 0x40
	s_sub_i32 s3, 0, s11
	s_abs_i32 s18, s2
	v_rcp_iflag_f32_e32 v1, v1
	s_mov_b32 s8, 0
	v_mul_f32_e32 v1, 0x4f7ffffe, v1
	v_cvt_u32_f32_e32 v1, v1
	s_nop 0
	v_readfirstlane_b32 s15, v1
	s_mul_i32 s3, s3, s15
	s_mul_hi_u32 s3, s15, s3
	s_add_i32 s15, s15, s3
	s_waitcnt lgkmcnt(0)
	s_cmp_eq_u64 s[12:13], 0
	s_mul_hi_u32 s19, s18, s15
	s_cbranch_scc1 .LBB33_2
; %bb.1:
	s_ashr_i32 s3, s2, 31
	s_lshl_b64 s[16:17], s[2:3], 2
	s_add_u32 s12, s12, s16
	s_addc_u32 s13, s13, s17
	s_load_dword s8, s[12:13], 0x0
.LBB33_2:
	s_load_dword s33, s[6:7], 0x0
	s_ashr_i32 s7, s14, 31
	s_load_dwordx4 s[12:15], s[0:1], 0x48
	s_ashr_i32 s6, s2, 31
	v_lshrrev_b32_e32 v50, 2, v0
	s_lshl_b32 s16, s2, 7
	s_movk_i32 s2, 0x80
	v_and_b32_e32 v51, 3, v0
	v_cmp_gt_u32_e32 vcc, s2, v0
	v_lshlrev_b32_e32 v46, 2, v0
	v_lshlrev_b32_e32 v1, 2, v50
	s_and_saveexec_b64 s[2:3], vcc
	s_cbranch_execz .LBB33_4
; %bb.3:
	s_load_dwordx2 s[20:21], s[0:1], 0x8
	s_waitcnt lgkmcnt(0)
	s_mul_i32 s22, s12, s10
	s_ashr_i32 s23, s22, 31
	s_lshl_b64 s[22:23], s[22:23], 2
	v_lshl_add_u32 v3, v51, 7, v1
	s_add_u32 s12, s20, s22
	s_addc_u32 s15, s21, s23
	s_ashr_i32 s17, s16, 31
	s_lshl_b64 s[20:21], s[16:17], 2
	s_add_u32 s20, s12, s20
	s_addc_u32 s21, s15, s21
	global_load_dword v2, v46, s[20:21]
	s_waitcnt vmcnt(0)
	ds_write_b32 v3, v2
.LBB33_4:
	s_or_b64 exec, exec, s[2:3]
	s_waitcnt lgkmcnt(0)
	s_add_i32 s3, s33, 15
	s_ashr_i32 s12, s3, 31
	s_lshr_b32 s12, s12, 28
	s_add_i32 s3, s3, s12
	s_ashr_i32 s12, s3, 4
	s_xor_b32 s3, s6, s7
	s_mul_i32 s6, s19, s11
	s_sub_i32 s6, s18, s6
	s_add_i32 s7, s19, 1
	s_sub_i32 s15, s6, s11
	s_load_dwordx2 s[20:21], s[0:1], 0x28
	s_load_dword s2, s[0:1], 0x38
	s_cmp_ge_u32 s6, s11
	s_cselect_b32 s7, s7, s19
	s_cselect_b32 s6, s15, s6
	s_add_i32 s15, s7, 1
	s_cmp_ge_u32 s6, s11
	s_cselect_b32 s6, s15, s7
	v_lshrrev_b32_e32 v52, 6, v0
	s_xor_b32 s6, s6, s3
	s_waitcnt lgkmcnt(0)
	s_mul_i32 s22, s2, s10
	s_sub_i32 s15, s6, s3
	s_ashr_i32 s23, s22, 31
	v_cmp_gt_i32_e64 s[2:3], s12, v52
	v_cmp_le_i32_e32 vcc, s12, v52
	v_mbcnt_lo_u32_b32 v36, -1, 0
	s_barrier
                                        ; implicit-def: $vgpr38
                                        ; implicit-def: $vgpr40
                                        ; implicit-def: $vgpr39
	s_and_saveexec_b64 s[6:7], vcc
	s_xor_b64 s[6:7], exec, s[6:7]
; %bb.5:
	v_mbcnt_hi_u32_b32 v38, -1, v36
	v_and_b32_e32 v40, 64, v38
	v_add_u32_e32 v39, 64, v40
                                        ; implicit-def: $vgpr36
; %bb.6:
	s_or_saveexec_b64 s[26:27], s[6:7]
	s_load_dwordx2 s[18:19], s[0:1], 0x0
	s_load_dwordx2 s[24:25], s[0:1], 0x18
	s_load_dword s11, s[0:1], 0x88
	v_mov_b32_e32 v41, 0xff7fffff
	s_mul_i32 s14, s15, s14
	v_lshrrev_b32_e32 v48, 4, v0
	s_xor_b64 exec, exec, s[26:27]
	s_cbranch_execz .LBB33_12
; %bb.7:
	s_load_dwordx2 s[0:1], s[0:1], 0x10
	s_ashr_i32 s15, s14, 31
	s_lshl_b64 s[6:7], s[14:15], 2
	v_bfe_u32 v37, v0, 2, 4
	v_lshlrev_b32_e32 v54, 4, v37
	s_waitcnt lgkmcnt(0)
	s_add_u32 s0, s0, s6
	s_addc_u32 s1, s1, s7
	v_mov_b32_e32 v55, 0
	v_lshl_add_u64 v[2:3], s[0:1], 0, v[54:55]
	v_lshlrev_b32_e32 v54, 2, v51
	v_lshlrev_b32_e32 v30, 7, v51
	v_lshl_add_u64 v[34:35], v[2:3], 0, v[54:55]
	ds_read_b128 v[2:5], v30
	ds_read_b128 v[6:9], v30 offset:16
	ds_read_b128 v[10:13], v30 offset:32
	ds_read_b128 v[14:17], v30 offset:48
	ds_read_b128 v[18:21], v30 offset:64
	ds_read_b128 v[22:25], v30 offset:80
	ds_read_b128 v[26:29], v30 offset:96
	ds_read_b128 v[30:33], v30 offset:112
	v_mbcnt_hi_u32_b32 v38, -1, v36
	v_and_b32_e32 v40, 64, v38
	v_add_u32_e32 v39, 64, v40
	v_xor_b32_e32 v36, 2, v38
	v_cmp_lt_i32_e32 vcc, v36, v39
	s_sub_i32 s15, 1, s33
	s_lshl_b64 s[6:7], s[22:23], 2
	v_cndmask_b32_e32 v36, v38, v36, vcc
	v_lshlrev_b32_e32 v42, 2, v36
	v_xor_b32_e32 v36, 1, v38
	v_cmp_lt_i32_e32 vcc, v36, v39
	v_lshlrev_b32_e32 v41, 2, v37
	s_add_u32 s6, s20, s6
	v_cndmask_b32_e32 v36, v38, v36, vcc
	v_lshlrev_b32_e32 v43, 2, v36
	v_lshl_or_b32 v36, v52, 6, v41
	v_and_b32_e32 v54, 60, v48
	s_addc_u32 s7, s21, s7
	s_mov_b32 s17, s13
	v_cmp_eq_u32_e32 vcc, 0, v51
	v_cmp_neq_f32_e64 s[0:1], s8, 0
	v_lshl_or_b32 v44, v52, 4, v37
	v_add_u32_e32 v45, 0x210, v36
	v_lshl_add_u64 v[36:37], s[6:7], 0, v[54:55]
	v_mov_b32_e32 v41, 0xff7fffff
	s_mov_b64 s[28:29], 0
	s_movk_i32 s34, 0x1000
	v_mov_b32_e32 v47, v52
	s_branch .LBB33_9
.LBB33_8:                               ;   in Loop: Header=BB33_9 Depth=1
	s_or_b64 exec, exec, s[30:31]
	v_add_u32_e32 v47, 2, v47
	v_cmp_le_i32_e64 s[6:7], s12, v47
	v_add_u32_e32 v44, 32, v44
	v_add_u32_e32 v45, 0x80, v45
	s_or_b64 s[28:29], s[6:7], s[28:29]
	v_lshl_add_u64 v[36:37], v[36:37], 0, 8
	s_andn2_b64 exec, exec, s[28:29]
	s_cbranch_execz .LBB33_11
.LBB33_9:                               ; =>This Inner Loop Header: Depth=1
	global_load_dword v49, v[36:37], off
	s_waitcnt vmcnt(0)
	v_mad_i64_i32 v[54:55], s[6:7], v49, s17, 0
	v_lshl_add_u64 v[54:55], v[54:55], 2, v[34:35]
	global_load_dword v49, v[54:55], off
	s_waitcnt lgkmcnt(0)
	global_load_dword v53, v[54:55], off offset:256
	global_load_dword v56, v[54:55], off offset:512
	;; [unrolled: 1-line block ×15, first 2 shown]
	v_add_co_u32_e64 v54, s[6:7], s34, v54
	s_waitcnt vmcnt(14) lgkmcnt(7)
	v_mul_f32_e32 v53, v3, v53
	v_addc_co_u32_e64 v55, s[6:7], 0, v55, s[6:7]
	global_load_dword v70, v[54:55], off
	global_load_dword v71, v[54:55], off offset:256
	global_load_dword v72, v[54:55], off offset:512
	;; [unrolled: 1-line block ×14, first 2 shown]
	s_nop 0
	global_load_dword v54, v[54:55], off offset:3840
	v_fmac_f32_e32 v53, v2, v49
	s_waitcnt vmcnt(29)
	v_fmac_f32_e32 v53, v4, v56
	s_waitcnt vmcnt(28)
	v_fmac_f32_e32 v53, v5, v57
	s_waitcnt vmcnt(27) lgkmcnt(6)
	v_fmac_f32_e32 v53, v6, v58
	s_waitcnt vmcnt(26)
	v_fmac_f32_e32 v53, v7, v59
	s_waitcnt vmcnt(25)
	v_fmac_f32_e32 v53, v8, v60
	s_waitcnt vmcnt(24)
	v_fmac_f32_e32 v53, v9, v61
	s_waitcnt vmcnt(23) lgkmcnt(5)
	v_fmac_f32_e32 v53, v10, v62
	s_waitcnt vmcnt(22)
	;; [unrolled: 8-line block ×7, first 2 shown]
	v_fmac_f32_e32 v53, v31, v83
	s_waitcnt vmcnt(1)
	v_fmac_f32_e32 v53, v32, v84
	s_waitcnt vmcnt(0)
	v_fmac_f32_e32 v53, v33, v54
	ds_bpermute_b32 v49, v42, v53
	s_waitcnt lgkmcnt(0)
	v_add_f32_e32 v49, v53, v49
	ds_bpermute_b32 v53, v43, v49
	s_and_saveexec_b64 s[30:31], vcc
	s_cbranch_execz .LBB33_8
; %bb.10:                               ;   in Loop: Header=BB33_9 Depth=1
	v_add_u32_e32 v54, s15, v44
	v_cvt_f32_i32_e32 v54, v54
	s_waitcnt lgkmcnt(0)
	v_add_f32_e32 v49, v49, v53
	v_cmp_gt_i32_e64 s[6:7], s33, v44
	v_max_f32_e32 v53, v41, v41
	v_mul_f32_e32 v54, s8, v54
	v_cndmask_b32_e64 v54, 0, v54, s[0:1]
	v_fmac_f32_e32 v54, s9, v49
	v_cndmask_b32_e64 v49, 0, v54, s[6:7]
	ds_write_b32 v45, v49
	v_max_f32_e32 v49, v53, v54
	v_cndmask_b32_e64 v41, v41, v49, s[6:7]
	s_branch .LBB33_8
.LBB33_11:
	s_or_b64 exec, exec, s[28:29]
.LBB33_12:
	s_or_b64 exec, exec, s[26:27]
	v_xor_b32_e32 v2, 32, v38
	v_cmp_lt_i32_e32 vcc, v2, v39
	v_xor_b32_e32 v5, 16, v38
	v_max_f32_e32 v4, v41, v41
	v_cndmask_b32_e32 v2, v38, v2, vcc
	v_lshlrev_b32_e32 v2, 2, v2
	ds_bpermute_b32 v3, v2, v41
	v_cmp_lt_i32_e32 vcc, v5, v39
	v_xor_b32_e32 v6, 8, v38
	v_xor_b32_e32 v7, 4, v38
	s_waitcnt lgkmcnt(0)
	v_and_b32_e32 v53, 63, v0
	v_max_f32_e32 v3, v3, v3
	v_max_f32_e32 v4, v4, v3
	v_cndmask_b32_e32 v3, v38, v5, vcc
	v_lshlrev_b32_e32 v3, 2, v3
	ds_bpermute_b32 v5, v3, v4
	v_cmp_lt_i32_e32 vcc, v6, v39
	s_waitcnt lgkmcnt(0)
	v_max_f32_e32 v5, v5, v5
	v_max_f32_e32 v4, v4, v5
	v_cndmask_b32_e32 v5, v38, v6, vcc
	v_lshlrev_b32_e32 v6, 2, v5
	ds_bpermute_b32 v5, v6, v4
	v_cmp_lt_i32_e32 vcc, v7, v39
	s_waitcnt lgkmcnt(0)
	v_max_f32_e32 v5, v5, v5
	v_max_f32_e32 v5, v4, v5
	v_cndmask_b32_e32 v4, v38, v7, vcc
	v_lshlrev_b32_e32 v7, 2, v4
	ds_bpermute_b32 v8, v7, v5
	v_cmp_eq_u32_e32 vcc, 0, v53
	v_lshlrev_b32_e32 v4, 2, v52
	s_and_saveexec_b64 s[0:1], vcc
	s_cbranch_execz .LBB33_14
; %bb.13:
	s_waitcnt lgkmcnt(0)
	v_max_f32_e32 v8, v8, v8
	v_max_f32_e32 v5, v5, v5
	;; [unrolled: 1-line block ×3, first 2 shown]
	ds_write_b32 v4, v5 offset:512
.LBB33_14:
	s_or_b64 exec, exec, s[0:1]
	v_cmp_gt_u32_e64 s[0:1], 2, v53
	s_waitcnt lgkmcnt(0)
	v_mov_b32_e32 v8, 0xff7fffff
	v_lshlrev_b32_e32 v5, 2, v53
	s_barrier
	s_and_saveexec_b64 s[6:7], s[0:1]
; %bb.15:
	ds_read_b32 v8, v5 offset:512
; %bb.16:
	s_or_b64 exec, exec, s[6:7]
	v_xor_b32_e32 v9, 1, v38
	v_cmp_lt_i32_e64 s[6:7], v9, v39
	s_nop 1
	v_cndmask_b32_e64 v9, v38, v9, s[6:7]
	v_lshlrev_b32_e32 v54, 2, v9
	s_waitcnt lgkmcnt(0)
	ds_bpermute_b32 v9, v54, v8
	v_max_f32_e32 v8, v8, v8
	s_lshl_b32 s6, s12, 4
	s_min_i32 s15, s6, s33
	v_cmp_gt_i32_e64 s[6:7], s15, v0
	s_waitcnt lgkmcnt(0)
	v_max_f32_e32 v9, v9, v9
	v_max_f32_e32 v8, v8, v9
	v_lshlrev_b32_e32 v9, 2, v40
	ds_bpermute_b32 v9, v9, v8
	v_mov_b32_e32 v8, 0
	s_and_saveexec_b64 s[26:27], s[6:7]
	s_cbranch_execz .LBB33_20
; %bb.17:
	v_mov_b32_e32 v8, 0x210
	v_lshl_add_u32 v10, v0, 2, v8
	v_mov_b32_e32 v8, 0
	s_mov_b64 s[28:29], 0
	v_mov_b32_e32 v11, v0
.LBB33_18:                              ; =>This Inner Loop Header: Depth=1
	ds_read_b32 v12, v10
	v_add_u32_e32 v11, 0x80, v11
	v_cmp_le_i32_e64 s[8:9], s15, v11
	s_or_b64 s[28:29], s[8:9], s[28:29]
	s_waitcnt lgkmcnt(0)
	v_sub_f32_e32 v12, v12, v9
	v_mul_f32_e32 v12, 0x3fb8aa3b, v12
	v_exp_f32_e32 v12, v12
	ds_write_b32 v10, v12
	v_add_f32_e32 v8, v8, v12
	v_add_u32_e32 v10, 0x200, v10
	s_andn2_b64 exec, exec, s[28:29]
	s_cbranch_execnz .LBB33_18
; %bb.19:
	s_or_b64 exec, exec, s[28:29]
.LBB33_20:
	s_or_b64 exec, exec, s[26:27]
	ds_bpermute_b32 v2, v2, v8
	s_waitcnt lgkmcnt(0)
	v_add_f32_e32 v2, v8, v2
	ds_bpermute_b32 v3, v3, v2
	s_waitcnt lgkmcnt(0)
	v_add_f32_e32 v2, v2, v3
	ds_bpermute_b32 v3, v6, v2
	v_xor_b32_e32 v6, 2, v38
	v_cmp_lt_i32_e64 s[8:9], v6, v39
	s_waitcnt lgkmcnt(0)
	v_add_f32_e32 v2, v2, v3
	ds_bpermute_b32 v3, v7, v2
	v_cndmask_b32_e64 v6, v38, v6, s[8:9]
	v_lshlrev_b32_e32 v55, 2, v6
	s_waitcnt lgkmcnt(0)
	v_add_f32_e32 v2, v2, v3
	ds_bpermute_b32 v3, v55, v2
	s_waitcnt lgkmcnt(0)
	v_add_f32_e32 v2, v2, v3
	ds_bpermute_b32 v3, v54, v2
	s_waitcnt lgkmcnt(0)
	v_add_f32_e32 v2, v2, v3
	s_and_saveexec_b64 s[8:9], vcc
; %bb.21:
	ds_write_b32 v4, v2 offset:520
; %bb.22:
	s_or_b64 exec, exec, s[8:9]
	s_waitcnt lgkmcnt(0)
	s_barrier
	s_and_saveexec_b64 s[8:9], s[0:1]
; %bb.23:
	ds_read_b32 v2, v5 offset:520
; %bb.24:
	s_or_b64 exec, exec, s[8:9]
	s_waitcnt lgkmcnt(0)
	ds_bpermute_b32 v3, v54, v2
	v_lshlrev_b32_e32 v4, 2, v38
	s_waitcnt lgkmcnt(0)
	v_add_f32_e32 v2, v2, v3
	v_and_b32_e32 v3, 0xffffff00, v4
	ds_bpermute_b32 v2, v3, v2
	s_and_saveexec_b64 s[0:1], s[6:7]
	s_cbranch_execz .LBB33_37
; %bb.25:
	s_waitcnt lgkmcnt(0)
	v_add_f32_e32 v2, 0x358637bd, v2
	v_div_scale_f32 v3, s[6:7], v2, v2, 1.0
	v_rcp_f32_e32 v4, v3
	v_div_scale_f32 v5, vcc, 1.0, v2, 1.0
	s_movk_i32 s6, 0x7f
	v_fma_f32 v6, -v3, v4, 1.0
	v_fmac_f32_e32 v4, v6, v4
	v_mul_f32_e32 v6, v5, v4
	v_fma_f32 v7, -v3, v6, v5
	v_fmac_f32_e32 v6, v7, v4
	v_fma_f32 v3, -v3, v6, v5
	v_div_fmas_f32 v3, v3, v4, v6
	v_xad_u32 v4, v0, -1, s15
	v_div_fixup_f32 v2, v3, v2, 1.0
	v_cmp_lt_u32_e32 vcc, s6, v4
	s_mov_b64 s[8:9], -1
	v_mov_b32_e32 v3, v0
	s_and_saveexec_b64 s[6:7], vcc
	s_cbranch_execz .LBB33_34
; %bb.26:
	v_lshrrev_b32_e32 v4, 7, v4
	v_add_u32_e32 v6, -1, v4
	v_lshrrev_b32_e32 v5, 1, v6
	v_mov_b32_e32 v3, v2
	v_add_u32_e32 v5, 1, v5
	v_cmp_lt_u32_e32 vcc, 13, v6
	v_mov_b32_e32 v8, 0
	s_and_saveexec_b64 s[8:9], vcc
	s_cbranch_execz .LBB33_30
; %bb.27:
	v_mov_b32_e32 v7, 0x210
	v_and_b32_e32 v6, -8, v5
	v_lshl_add_u32 v7, v0, 2, v7
	s_mov_b32 s17, 0
	s_mov_b64 s[26:27], 0
.LBB33_28:                              ; =>This Inner Loop Header: Depth=1
	ds_read2st64_b32 v[8:9], v7 offset1:2
	ds_read2st64_b32 v[10:11], v7 offset0:4 offset1:6
	ds_read2st64_b32 v[12:13], v7 offset0:8 offset1:10
	;; [unrolled: 1-line block ×3, first 2 shown]
	v_add_u32_e32 v6, -8, v6
	s_waitcnt lgkmcnt(3)
	v_pk_mul_f32 v[8:9], v[2:3], v[8:9]
	s_waitcnt lgkmcnt(2)
	v_pk_mul_f32 v[10:11], v[2:3], v[10:11]
	ds_write2st64_b32 v7, v8, v9 offset1:2
	ds_write2st64_b32 v7, v10, v11 offset0:4 offset1:6
	ds_read2st64_b32 v[10:11], v7 offset0:16 offset1:18
	s_waitcnt lgkmcnt(4)
	v_pk_mul_f32 v[8:9], v[2:3], v[12:13]
	ds_write2st64_b32 v7, v8, v9 offset0:8 offset1:10
	s_waitcnt lgkmcnt(4)
	v_pk_mul_f32 v[8:9], v[2:3], v[14:15]
	ds_write2st64_b32 v7, v8, v9 offset0:12 offset1:14
	ds_read2st64_b32 v[8:9], v7 offset0:20 offset1:22
	s_waitcnt lgkmcnt(3)
	v_pk_mul_f32 v[10:11], v[2:3], v[10:11]
	ds_read2st64_b32 v[12:13], v7 offset0:24 offset1:26
	ds_write2st64_b32 v7, v10, v11 offset0:16 offset1:18
	ds_read2st64_b32 v[10:11], v7 offset0:28 offset1:30
	s_waitcnt lgkmcnt(3)
	v_pk_mul_f32 v[8:9], v[2:3], v[8:9]
	ds_write2st64_b32 v7, v8, v9 offset0:20 offset1:22
	s_waitcnt lgkmcnt(3)
	v_pk_mul_f32 v[8:9], v[2:3], v[12:13]
	ds_write2st64_b32 v7, v8, v9 offset0:24 offset1:26
	s_waitcnt lgkmcnt(2)
	v_pk_mul_f32 v[8:9], v[2:3], v[10:11]
	s_add_i32 s17, s17, 16
	v_cmp_eq_u32_e32 vcc, 0, v6
	ds_write2st64_b32 v7, v8, v9 offset0:28 offset1:30
	v_add_u32_e32 v7, 0x2000, v7
	s_or_b64 s[26:27], vcc, s[26:27]
	v_mov_b32_e32 v8, s17
	s_andn2_b64 exec, exec, s[26:27]
	s_cbranch_execnz .LBB33_28
; %bb.29:
	s_or_b64 exec, exec, s[26:27]
.LBB33_30:
	s_or_b64 exec, exec, s[8:9]
	v_and_b32_e32 v5, 7, v5
	v_cmp_ne_u32_e32 vcc, 0, v5
	s_and_saveexec_b64 s[8:9], vcc
	s_cbranch_execz .LBB33_33
; %bb.31:
	v_lshlrev_b32_e32 v6, 9, v8
	s_movk_i32 s17, 0x210
	v_add3_u32 v6, v6, v46, s17
	s_mov_b64 s[26:27], 0
.LBB33_32:                              ; =>This Inner Loop Header: Depth=1
	ds_read2st64_b32 v[8:9], v6 offset1:2
	v_add_u32_e32 v5, -1, v5
	v_cmp_eq_u32_e32 vcc, 0, v5
	s_or_b64 s[26:27], vcc, s[26:27]
	s_waitcnt lgkmcnt(0)
	v_pk_mul_f32 v[8:9], v[2:3], v[8:9]
	ds_write2st64_b32 v6, v8, v9 offset1:2
	v_add_u32_e32 v6, 0x400, v6
	s_andn2_b64 exec, exec, s[26:27]
	s_cbranch_execnz .LBB33_32
.LBB33_33:
	s_or_b64 exec, exec, s[8:9]
	v_add_u32_e32 v4, 1, v4
	v_and_b32_e32 v5, 0x3fffffe, v4
	v_cmp_ne_u32_e32 vcc, v4, v5
	v_lshl_add_u32 v3, v5, 7, v0
	s_orn2_b64 s[8:9], vcc, exec
.LBB33_34:
	s_or_b64 exec, exec, s[6:7]
	s_and_b64 exec, exec, s[8:9]
	s_cbranch_execz .LBB33_37
; %bb.35:
	v_mov_b32_e32 v4, 0x210
	v_lshl_add_u32 v4, v3, 2, v4
	s_mov_b64 s[6:7], 0
.LBB33_36:                              ; =>This Inner Loop Header: Depth=1
	ds_read_b32 v5, v4
	v_add_u32_e32 v3, 0x80, v3
	v_cmp_le_i32_e32 vcc, s15, v3
	s_or_b64 s[6:7], vcc, s[6:7]
	s_waitcnt lgkmcnt(0)
	v_mul_f32_e32 v5, v2, v5
	ds_write_b32 v4, v5
	v_add_u32_e32 v4, 0x200, v4
	s_andn2_b64 exec, exec, s[6:7]
	s_cbranch_execnz .LBB33_36
.LBB33_37:
	s_or_b64 exec, exec, s[0:1]
	v_mov_b32_e32 v39, 0
	v_mov_b32_e32 v38, 0
	;; [unrolled: 1-line block ×8, first 2 shown]
	s_waitcnt lgkmcnt(0)
	s_barrier
	s_and_saveexec_b64 s[6:7], s[2:3]
	s_cbranch_execz .LBB33_57
; %bb.38:
	s_ashr_i32 s15, s14, 31
	s_lshl_b64 s[0:1], s[14:15], 2
	s_add_u32 s0, s24, s0
	v_lshlrev_b32_e32 v3, 4, v0
	s_addc_u32 s1, s25, s1
	v_and_b32_e32 v38, 0x3f0, v3
	v_mov_b32_e32 v39, 0
	v_and_b32_e32 v2, 12, v46
	s_add_i32 s14, s12, -1
	v_lshl_add_u64 v[46:47], s[0:1], 0, v[38:39]
	s_lshl_b64 s[0:1], s[22:23], 2
	v_lshl_or_b32 v56, v52, 4, v2
	v_lshlrev_b32_e32 v2, 4, v51
	s_add_u32 s0, s20, s0
	v_lshl_or_b32 v2, v52, 6, v2
	v_and_b32_e32 v38, 60, v48
	s_addc_u32 s1, s21, s1
	s_mov_b32 s15, s33
	v_add_u32_e32 v57, 0x210, v2
	v_lshl_add_u64 v[48:49], s[0:1], 0, v[38:39]
	s_mov_b64 s[2:3], 0
	v_mov_b32_e32 v38, v39
	v_mov_b32_e32 v41, v39
	;; [unrolled: 1-line block ×7, first 2 shown]
	s_branch .LBB33_40
.LBB33_39:                              ;   in Loop: Header=BB33_40 Depth=1
	s_or_b64 exec, exec, s[8:9]
	s_waitcnt vmcnt(1) lgkmcnt(0)
	v_mul_f32_e32 v34, v2, v34
	v_mul_f32_e32 v26, v2, v26
	v_mul_f32_e32 v22, v2, v22
	v_mul_f32_e32 v18, v2, v18
	v_mul_f32_e32 v14, v2, v14
	v_mul_f32_e32 v10, v2, v10
	v_mul_f32_e32 v6, v2, v6
	v_fmac_f32_e32 v34, v3, v35
	v_fmac_f32_e32 v26, v3, v27
	;; [unrolled: 1-line block ×14, first 2 shown]
	s_waitcnt vmcnt(0)
	v_pk_mul_f32 v[2:3], v[2:3], v[30:31]
	v_fmac_f32_e32 v34, v5, v37
	v_fmac_f32_e32 v26, v5, v29
	;; [unrolled: 1-line block ×7, first 2 shown]
	v_pk_mul_f32 v[4:5], v[4:5], v[32:33]
	v_add_f32_e32 v2, v3, v2
	v_add_f32_e32 v2, v4, v2
	v_add_u32_e32 v52, 2, v52
	v_add_f32_e32 v2, v5, v2
	v_cmp_le_i32_e32 vcc, s12, v52
	v_add_f32_e32 v38, v38, v34
	v_add_f32_e32 v41, v41, v26
	;; [unrolled: 1-line block ×8, first 2 shown]
	v_add_u32_e32 v56, 32, v56
	v_add_u32_e32 v57, 0x80, v57
	s_or_b64 s[2:3], vcc, s[2:3]
	v_lshl_add_u64 v[48:49], v[48:49], 0, 8
	s_andn2_b64 exec, exec, s[2:3]
	s_cbranch_execz .LBB33_56
.LBB33_40:                              ; =>This Inner Loop Header: Depth=1
	global_load_dword v2, v[48:49], off
	v_add_u32_e32 v60, 1, v56
	v_or_b32_e32 v59, 3, v56
	v_or_b32_e32 v58, 2, v56
	s_waitcnt vmcnt(0)
	v_mad_i64_i32 v[2:3], s[0:1], v2, s13, 0
	v_lshl_add_u64 v[30:31], v[2:3], 2, v[46:47]
	global_load_dwordx4 v[6:9], v[30:31], off
	ds_read_b128 v[2:5], v57
	v_cmp_eq_u32_e64 s[0:1], s14, v52
	s_and_saveexec_b64 s[8:9], s[0:1]
	s_cbranch_execnz .LBB33_53
; %bb.41:                               ;   in Loop: Header=BB33_40 Depth=1
	s_or_b64 exec, exec, s[8:9]
	global_load_dwordx4 v[10:13], v[30:31], off offset:1024
	s_and_saveexec_b64 s[8:9], s[0:1]
	s_cbranch_execnz .LBB33_54
.LBB33_42:                              ;   in Loop: Header=BB33_40 Depth=1
	s_or_b64 exec, exec, s[8:9]
	global_load_dwordx4 v[14:17], v[30:31], off offset:2048
	s_and_saveexec_b64 s[8:9], s[0:1]
	s_cbranch_execnz .LBB33_55
.LBB33_43:                              ;   in Loop: Header=BB33_40 Depth=1
	s_or_b64 exec, exec, s[8:9]
	global_load_dwordx4 v[18:21], v[30:31], off offset:3072
	s_and_saveexec_b64 s[8:9], s[0:1]
	s_cbranch_execz .LBB33_45
.LBB33_44:                              ;   in Loop: Header=BB33_40 Depth=1
	v_cmp_gt_i32_e32 vcc, s15, v60
	s_waitcnt vmcnt(0)
	s_nop 0
	v_cndmask_b32_e32 v19, 0, v19, vcc
	v_cmp_gt_i32_e32 vcc, s33, v56
	s_nop 1
	v_cndmask_b32_e32 v18, 0, v18, vcc
	v_cmp_gt_i32_e32 vcc, s15, v59
	;; [unrolled: 3-line block ×3, first 2 shown]
	s_nop 1
	v_cndmask_b32_e32 v20, 0, v20, vcc
.LBB33_45:                              ;   in Loop: Header=BB33_40 Depth=1
	s_or_b64 exec, exec, s[8:9]
	v_add_co_u32_e32 v22, vcc, 0x1000, v30
	s_nop 1
	v_addc_co_u32_e32 v23, vcc, 0, v31, vcc
	global_load_dwordx4 v[22:25], v[22:23], off
	s_and_saveexec_b64 s[8:9], s[0:1]
	s_cbranch_execz .LBB33_47
; %bb.46:                               ;   in Loop: Header=BB33_40 Depth=1
	v_cmp_gt_i32_e32 vcc, s15, v60
	s_waitcnt vmcnt(0)
	s_nop 0
	v_cndmask_b32_e32 v23, 0, v23, vcc
	v_cmp_gt_i32_e32 vcc, s33, v56
	s_nop 1
	v_cndmask_b32_e32 v22, 0, v22, vcc
	v_cmp_gt_i32_e32 vcc, s15, v59
	s_nop 1
	v_cndmask_b32_e32 v25, 0, v25, vcc
	v_cmp_gt_i32_e32 vcc, s33, v58
	s_nop 1
	v_cndmask_b32_e32 v24, 0, v24, vcc
.LBB33_47:                              ;   in Loop: Header=BB33_40 Depth=1
	s_or_b64 exec, exec, s[8:9]
	v_add_co_u32_e32 v26, vcc, 0x1000, v30
	s_nop 1
	v_addc_co_u32_e32 v27, vcc, 0, v31, vcc
	global_load_dwordx4 v[26:29], v[26:27], off offset:1024
	s_and_saveexec_b64 s[8:9], s[0:1]
	s_cbranch_execz .LBB33_49
; %bb.48:                               ;   in Loop: Header=BB33_40 Depth=1
	v_cmp_gt_i32_e32 vcc, s15, v60
	s_waitcnt vmcnt(0)
	s_nop 0
	v_cndmask_b32_e32 v27, 0, v27, vcc
	v_cmp_gt_i32_e32 vcc, s33, v56
	s_nop 1
	v_cndmask_b32_e32 v26, 0, v26, vcc
	v_cmp_gt_i32_e32 vcc, s15, v59
	s_nop 1
	v_cndmask_b32_e32 v29, 0, v29, vcc
	v_cmp_gt_i32_e32 vcc, s33, v58
	s_nop 1
	v_cndmask_b32_e32 v28, 0, v28, vcc
.LBB33_49:                              ;   in Loop: Header=BB33_40 Depth=1
	s_or_b64 exec, exec, s[8:9]
	v_add_co_u32_e32 v32, vcc, 0x1000, v30
	s_nop 1
	v_addc_co_u32_e32 v33, vcc, 0, v31, vcc
	global_load_dwordx4 v[34:37], v[32:33], off offset:2048
	s_and_saveexec_b64 s[8:9], s[0:1]
	s_cbranch_execz .LBB33_51
; %bb.50:                               ;   in Loop: Header=BB33_40 Depth=1
	v_cmp_gt_i32_e32 vcc, s15, v60
	s_waitcnt vmcnt(0)
	s_nop 0
	v_cndmask_b32_e32 v35, 0, v35, vcc
	v_cmp_gt_i32_e32 vcc, s33, v56
	s_nop 1
	v_cndmask_b32_e32 v34, 0, v34, vcc
	v_cmp_gt_i32_e32 vcc, s15, v59
	s_nop 1
	v_cndmask_b32_e32 v37, 0, v37, vcc
	v_cmp_gt_i32_e32 vcc, s33, v58
	s_nop 1
	v_cndmask_b32_e32 v36, 0, v36, vcc
.LBB33_51:                              ;   in Loop: Header=BB33_40 Depth=1
	s_or_b64 exec, exec, s[8:9]
	v_add_co_u32_e32 v30, vcc, 0x1000, v30
	s_nop 1
	v_addc_co_u32_e32 v31, vcc, 0, v31, vcc
	global_load_dwordx4 v[30:33], v[30:31], off offset:3072
	s_and_saveexec_b64 s[8:9], s[0:1]
	s_cbranch_execz .LBB33_39
; %bb.52:                               ;   in Loop: Header=BB33_40 Depth=1
	v_cmp_gt_i32_e32 vcc, s15, v60
	s_waitcnt vmcnt(0)
	s_nop 0
	v_cndmask_b32_e32 v31, 0, v31, vcc
	v_cmp_gt_i32_e32 vcc, s33, v56
	s_nop 1
	v_cndmask_b32_e32 v30, 0, v30, vcc
	v_cmp_gt_i32_e32 vcc, s15, v59
	;; [unrolled: 3-line block ×3, first 2 shown]
	s_nop 1
	v_cndmask_b32_e32 v32, 0, v32, vcc
	s_branch .LBB33_39
.LBB33_53:                              ;   in Loop: Header=BB33_40 Depth=1
	v_cmp_gt_i32_e32 vcc, s15, v60
	s_waitcnt vmcnt(0)
	s_nop 0
	v_cndmask_b32_e32 v7, 0, v7, vcc
	v_cmp_gt_i32_e32 vcc, s33, v56
	s_nop 1
	v_cndmask_b32_e32 v6, 0, v6, vcc
	v_cmp_gt_i32_e32 vcc, s15, v59
	;; [unrolled: 3-line block ×3, first 2 shown]
	s_nop 1
	v_cndmask_b32_e32 v8, 0, v8, vcc
	s_or_b64 exec, exec, s[8:9]
	global_load_dwordx4 v[10:13], v[30:31], off offset:1024
	s_and_saveexec_b64 s[8:9], s[0:1]
	s_cbranch_execz .LBB33_42
.LBB33_54:                              ;   in Loop: Header=BB33_40 Depth=1
	v_cmp_gt_i32_e32 vcc, s15, v60
	s_waitcnt vmcnt(0)
	s_nop 0
	v_cndmask_b32_e32 v11, 0, v11, vcc
	v_cmp_gt_i32_e32 vcc, s33, v56
	s_nop 1
	v_cndmask_b32_e32 v10, 0, v10, vcc
	v_cmp_gt_i32_e32 vcc, s15, v59
	;; [unrolled: 3-line block ×3, first 2 shown]
	s_nop 1
	v_cndmask_b32_e32 v12, 0, v12, vcc
	s_or_b64 exec, exec, s[8:9]
	global_load_dwordx4 v[14:17], v[30:31], off offset:2048
	s_and_saveexec_b64 s[8:9], s[0:1]
	s_cbranch_execz .LBB33_43
.LBB33_55:                              ;   in Loop: Header=BB33_40 Depth=1
	v_cmp_gt_i32_e32 vcc, s15, v60
	s_waitcnt vmcnt(0)
	s_nop 0
	v_cndmask_b32_e32 v15, 0, v15, vcc
	v_cmp_gt_i32_e32 vcc, s33, v56
	s_nop 1
	v_cndmask_b32_e32 v14, 0, v14, vcc
	v_cmp_gt_i32_e32 vcc, s15, v59
	;; [unrolled: 3-line block ×3, first 2 shown]
	s_nop 1
	v_cndmask_b32_e32 v16, 0, v16, vcc
	s_or_b64 exec, exec, s[8:9]
	global_load_dwordx4 v[18:21], v[30:31], off offset:3072
	s_and_saveexec_b64 s[8:9], s[0:1]
	s_cbranch_execnz .LBB33_44
	s_branch .LBB33_45
.LBB33_56:
	s_or_b64 exec, exec, s[2:3]
.LBB33_57:
	s_or_b64 exec, exec, s[6:7]
	ds_bpermute_b32 v2, v55, v44
	ds_bpermute_b32 v3, v55, v45
	ds_bpermute_b32 v4, v55, v42
	ds_bpermute_b32 v5, v55, v43
	ds_bpermute_b32 v6, v55, v40
	ds_bpermute_b32 v7, v55, v41
	s_waitcnt lgkmcnt(4)
	v_pk_add_f32 v[2:3], v[44:45], v[2:3]
	ds_bpermute_b32 v8, v54, v2
	ds_bpermute_b32 v9, v54, v3
	s_waitcnt lgkmcnt(4)
	v_pk_add_f32 v[4:5], v[42:43], v[4:5]
	ds_bpermute_b32 v16, v55, v38
	ds_bpermute_b32 v17, v55, v39
	;; [unrolled: 1-line block ×4, first 2 shown]
	s_waitcnt lgkmcnt(6)
	v_pk_add_f32 v[12:13], v[40:41], v[6:7]
	ds_bpermute_b32 v14, v54, v12
	ds_bpermute_b32 v15, v54, v13
	s_waitcnt lgkmcnt(6)
	v_pk_add_f32 v[6:7], v[2:3], v[8:9]
	s_waitcnt lgkmcnt(4)
	v_pk_add_f32 v[8:9], v[38:39], v[16:17]
	;; [unrolled: 2-line block ×3, first 2 shown]
	ds_bpermute_b32 v10, v54, v8
	ds_bpermute_b32 v11, v54, v9
	s_waitcnt lgkmcnt(2)
	v_pk_add_f32 v[2:3], v[12:13], v[14:15]
	v_and_b32_e32 v12, 0x3c3, v0
	v_cmp_ne_u32_e32 vcc, 64, v12
	s_waitcnt lgkmcnt(0)
	s_barrier
	s_and_saveexec_b64 s[0:1], vcc
	s_xor_b64 s[0:1], exec, s[0:1]
; %bb.58:
                                        ; implicit-def: $vgpr53
; %bb.59:
	s_or_saveexec_b64 s[0:1], s[0:1]
	v_pk_add_f32 v[8:9], v[8:9], v[10:11]
	s_xor_b64 exec, exec, s[0:1]
	s_cbranch_execz .LBB33_61
; %bb.60:
	v_add_u32_e32 v10, 0x210, v53
	ds_write2_b32 v10, v6, v7 offset1:16
	ds_write2_b32 v10, v4, v5 offset0:32 offset1:48
	ds_write2_b32 v10, v2, v3 offset0:64 offset1:80
	;; [unrolled: 1-line block ×3, first 2 shown]
.LBB33_61:
	s_or_b64 exec, exec, s[0:1]
	v_cmp_gt_u32_e32 vcc, 64, v0
	s_waitcnt lgkmcnt(0)
	s_barrier
	s_and_saveexec_b64 s[0:1], vcc
	s_cbranch_execz .LBB33_72
; %bb.62:
	v_mov_b32_e32 v0, 0x210
	v_cmp_eq_u32_e32 vcc, 0, v51
	v_lshl_add_u32 v0, v50, 2, v0
	s_and_saveexec_b64 s[2:3], vcc
	s_cbranch_execnz .LBB33_75
; %bb.63:
	s_or_b64 exec, exec, s[2:3]
	s_and_saveexec_b64 s[2:3], vcc
	s_cbranch_execnz .LBB33_76
.LBB33_64:
	s_or_b64 exec, exec, s[2:3]
	s_and_saveexec_b64 s[2:3], vcc
	s_cbranch_execnz .LBB33_77
.LBB33_65:
	s_or_b64 exec, exec, s[2:3]
	s_and_saveexec_b64 s[2:3], vcc
	s_cbranch_execnz .LBB33_78
.LBB33_66:
	s_or_b64 exec, exec, s[2:3]
	s_and_saveexec_b64 s[2:3], vcc
	s_cbranch_execnz .LBB33_79
.LBB33_67:
	s_or_b64 exec, exec, s[2:3]
	s_and_saveexec_b64 s[2:3], vcc
	s_cbranch_execnz .LBB33_80
.LBB33_68:
	s_or_b64 exec, exec, s[2:3]
	s_and_saveexec_b64 s[2:3], vcc
	s_cbranch_execnz .LBB33_81
.LBB33_69:
	s_or_b64 exec, exec, s[2:3]
	s_and_saveexec_b64 s[2:3], vcc
	s_cbranch_execz .LBB33_71
.LBB33_70:
	ds_read_b32 v0, v0 offset:448
	s_waitcnt lgkmcnt(0)
	v_add_f32_e32 v9, v9, v0
.LBB33_71:
	s_or_b64 exec, exec, s[2:3]
.LBB33_72:
	s_or_b64 exec, exec, s[0:1]
	v_cmp_eq_u32_e32 vcc, 0, v12
	s_barrier
	s_and_saveexec_b64 s[0:1], vcc
	s_cbranch_execz .LBB33_74
; %bb.73:
	s_mul_i32 s0, s10, s11
	s_mul_i32 s0, s0, s5
	s_lshl_b32 s0, s0, 7
	s_ashr_i32 s1, s0, 31
	s_lshl_b64 s[0:1], s[0:1], 2
	s_add_u32 s2, s18, s0
	s_mul_i32 s0, s11, s16
	s_addc_u32 s3, s19, s1
	s_ashr_i32 s1, s0, 31
	s_lshl_b64 s[0:1], s[0:1], 2
	s_add_u32 s2, s2, s0
	s_addc_u32 s3, s3, s1
	s_lshl_b32 s0, s4, 7
	s_ashr_i32 s1, s0, 31
	s_lshl_b64 s[0:1], s[0:1], 2
	s_add_u32 s0, s2, s0
	s_addc_u32 s1, s3, s1
	global_store_dword v1, v6, s[0:1]
	global_store_dword v1, v7, s[0:1] offset:64
	global_store_dword v1, v4, s[0:1] offset:128
	;; [unrolled: 1-line block ×7, first 2 shown]
.LBB33_74:
	s_endpgm
.LBB33_75:
	ds_read_b32 v10, v0
	s_waitcnt lgkmcnt(0)
	v_add_f32_e32 v6, v6, v10
	s_or_b64 exec, exec, s[2:3]
	s_and_saveexec_b64 s[2:3], vcc
	s_cbranch_execz .LBB33_64
.LBB33_76:
	ds_read_b32 v10, v0 offset:64
	s_waitcnt lgkmcnt(0)
	v_add_f32_e32 v7, v7, v10
	s_or_b64 exec, exec, s[2:3]
	s_and_saveexec_b64 s[2:3], vcc
	s_cbranch_execz .LBB33_65
.LBB33_77:
	ds_read_b32 v10, v0 offset:128
	s_waitcnt lgkmcnt(0)
	v_add_f32_e32 v4, v4, v10
	s_or_b64 exec, exec, s[2:3]
	s_and_saveexec_b64 s[2:3], vcc
	s_cbranch_execz .LBB33_66
.LBB33_78:
	ds_read_b32 v10, v0 offset:192
	s_waitcnt lgkmcnt(0)
	v_add_f32_e32 v5, v5, v10
	s_or_b64 exec, exec, s[2:3]
	s_and_saveexec_b64 s[2:3], vcc
	s_cbranch_execz .LBB33_67
.LBB33_79:
	ds_read_b32 v10, v0 offset:256
	s_waitcnt lgkmcnt(0)
	v_add_f32_e32 v2, v2, v10
	s_or_b64 exec, exec, s[2:3]
	s_and_saveexec_b64 s[2:3], vcc
	s_cbranch_execz .LBB33_68
.LBB33_80:
	ds_read_b32 v10, v0 offset:320
	s_waitcnt lgkmcnt(0)
	v_add_f32_e32 v3, v3, v10
	s_or_b64 exec, exec, s[2:3]
	s_and_saveexec_b64 s[2:3], vcc
	s_cbranch_execz .LBB33_69
.LBB33_81:
	ds_read_b32 v10, v0 offset:384
	s_waitcnt lgkmcnt(0)
	v_add_f32_e32 v8, v8, v10
	s_or_b64 exec, exec, s[2:3]
	s_and_saveexec_b64 s[2:3], vcc
	s_cbranch_execnz .LBB33_70
	s_branch .LBB33_71
	.section	.rodata,"a",@progbits
	.p2align	6, 0x0
	.amdhsa_kernel _ZN4vllm25paged_attention_v1_kernelIffLi128ELi16ELi128ELNS_18Fp8KVCacheDataTypeE0ELb0EEEvPT_PKS2_PKT0_S8_ifPKiSA_iPKfiiiSC_SC_iiiii
		.amdhsa_group_segment_fixed_size 528
		.amdhsa_private_segment_fixed_size 0
		.amdhsa_kernarg_size 384
		.amdhsa_user_sgpr_count 2
		.amdhsa_user_sgpr_dispatch_ptr 0
		.amdhsa_user_sgpr_queue_ptr 0
		.amdhsa_user_sgpr_kernarg_segment_ptr 1
		.amdhsa_user_sgpr_dispatch_id 0
		.amdhsa_user_sgpr_kernarg_preload_length 0
		.amdhsa_user_sgpr_kernarg_preload_offset 0
		.amdhsa_user_sgpr_private_segment_size 0
		.amdhsa_uses_dynamic_stack 0
		.amdhsa_enable_private_segment 0
		.amdhsa_system_sgpr_workgroup_id_x 1
		.amdhsa_system_sgpr_workgroup_id_y 1
		.amdhsa_system_sgpr_workgroup_id_z 1
		.amdhsa_system_sgpr_workgroup_info 0
		.amdhsa_system_vgpr_workitem_id 0
		.amdhsa_next_free_vgpr 85
		.amdhsa_next_free_sgpr 35
		.amdhsa_accum_offset 88
		.amdhsa_reserve_vcc 1
		.amdhsa_float_round_mode_32 0
		.amdhsa_float_round_mode_16_64 0
		.amdhsa_float_denorm_mode_32 3
		.amdhsa_float_denorm_mode_16_64 3
		.amdhsa_dx10_clamp 1
		.amdhsa_ieee_mode 1
		.amdhsa_fp16_overflow 0
		.amdhsa_tg_split 0
		.amdhsa_exception_fp_ieee_invalid_op 0
		.amdhsa_exception_fp_denorm_src 0
		.amdhsa_exception_fp_ieee_div_zero 0
		.amdhsa_exception_fp_ieee_overflow 0
		.amdhsa_exception_fp_ieee_underflow 0
		.amdhsa_exception_fp_ieee_inexact 0
		.amdhsa_exception_int_div_zero 0
	.end_amdhsa_kernel
	.section	.text._ZN4vllm25paged_attention_v1_kernelIffLi128ELi16ELi128ELNS_18Fp8KVCacheDataTypeE0ELb0EEEvPT_PKS2_PKT0_S8_ifPKiSA_iPKfiiiSC_SC_iiiii,"axG",@progbits,_ZN4vllm25paged_attention_v1_kernelIffLi128ELi16ELi128ELNS_18Fp8KVCacheDataTypeE0ELb0EEEvPT_PKS2_PKT0_S8_ifPKiSA_iPKfiiiSC_SC_iiiii,comdat
.Lfunc_end33:
	.size	_ZN4vllm25paged_attention_v1_kernelIffLi128ELi16ELi128ELNS_18Fp8KVCacheDataTypeE0ELb0EEEvPT_PKS2_PKT0_S8_ifPKiSA_iPKfiiiSC_SC_iiiii, .Lfunc_end33-_ZN4vllm25paged_attention_v1_kernelIffLi128ELi16ELi128ELNS_18Fp8KVCacheDataTypeE0ELb0EEEvPT_PKS2_PKT0_S8_ifPKiSA_iPKfiiiSC_SC_iiiii
                                        ; -- End function
	.set _ZN4vllm25paged_attention_v1_kernelIffLi128ELi16ELi128ELNS_18Fp8KVCacheDataTypeE0ELb0EEEvPT_PKS2_PKT0_S8_ifPKiSA_iPKfiiiSC_SC_iiiii.num_vgpr, 85
	.set _ZN4vllm25paged_attention_v1_kernelIffLi128ELi16ELi128ELNS_18Fp8KVCacheDataTypeE0ELb0EEEvPT_PKS2_PKT0_S8_ifPKiSA_iPKfiiiSC_SC_iiiii.num_agpr, 0
	.set _ZN4vllm25paged_attention_v1_kernelIffLi128ELi16ELi128ELNS_18Fp8KVCacheDataTypeE0ELb0EEEvPT_PKS2_PKT0_S8_ifPKiSA_iPKfiiiSC_SC_iiiii.numbered_sgpr, 35
	.set _ZN4vllm25paged_attention_v1_kernelIffLi128ELi16ELi128ELNS_18Fp8KVCacheDataTypeE0ELb0EEEvPT_PKS2_PKT0_S8_ifPKiSA_iPKfiiiSC_SC_iiiii.num_named_barrier, 0
	.set _ZN4vllm25paged_attention_v1_kernelIffLi128ELi16ELi128ELNS_18Fp8KVCacheDataTypeE0ELb0EEEvPT_PKS2_PKT0_S8_ifPKiSA_iPKfiiiSC_SC_iiiii.private_seg_size, 0
	.set _ZN4vllm25paged_attention_v1_kernelIffLi128ELi16ELi128ELNS_18Fp8KVCacheDataTypeE0ELb0EEEvPT_PKS2_PKT0_S8_ifPKiSA_iPKfiiiSC_SC_iiiii.uses_vcc, 1
	.set _ZN4vllm25paged_attention_v1_kernelIffLi128ELi16ELi128ELNS_18Fp8KVCacheDataTypeE0ELb0EEEvPT_PKS2_PKT0_S8_ifPKiSA_iPKfiiiSC_SC_iiiii.uses_flat_scratch, 0
	.set _ZN4vllm25paged_attention_v1_kernelIffLi128ELi16ELi128ELNS_18Fp8KVCacheDataTypeE0ELb0EEEvPT_PKS2_PKT0_S8_ifPKiSA_iPKfiiiSC_SC_iiiii.has_dyn_sized_stack, 0
	.set _ZN4vllm25paged_attention_v1_kernelIffLi128ELi16ELi128ELNS_18Fp8KVCacheDataTypeE0ELb0EEEvPT_PKS2_PKT0_S8_ifPKiSA_iPKfiiiSC_SC_iiiii.has_recursion, 0
	.set _ZN4vllm25paged_attention_v1_kernelIffLi128ELi16ELi128ELNS_18Fp8KVCacheDataTypeE0ELb0EEEvPT_PKS2_PKT0_S8_ifPKiSA_iPKfiiiSC_SC_iiiii.has_indirect_call, 0
	.section	.AMDGPU.csdata,"",@progbits
; Kernel info:
; codeLenInByte = 4912
; TotalNumSgprs: 41
; NumVgprs: 85
; NumAgprs: 0
; TotalNumVgprs: 85
; ScratchSize: 0
; MemoryBound: 0
; FloatMode: 240
; IeeeMode: 1
; LDSByteSize: 528 bytes/workgroup (compile time only)
; SGPRBlocks: 5
; VGPRBlocks: 10
; NumSGPRsForWavesPerEU: 41
; NumVGPRsForWavesPerEU: 85
; AccumOffset: 88
; Occupancy: 5
; WaveLimiterHint : 1
; COMPUTE_PGM_RSRC2:SCRATCH_EN: 0
; COMPUTE_PGM_RSRC2:USER_SGPR: 2
; COMPUTE_PGM_RSRC2:TRAP_HANDLER: 0
; COMPUTE_PGM_RSRC2:TGID_X_EN: 1
; COMPUTE_PGM_RSRC2:TGID_Y_EN: 1
; COMPUTE_PGM_RSRC2:TGID_Z_EN: 1
; COMPUTE_PGM_RSRC2:TIDIG_COMP_CNT: 0
; COMPUTE_PGM_RSRC3_GFX90A:ACCUM_OFFSET: 21
; COMPUTE_PGM_RSRC3_GFX90A:TG_SPLIT: 0
	.section	.text._ZN4vllm25paged_attention_v1_kernelIffLi192ELi16ELi128ELNS_18Fp8KVCacheDataTypeE0ELb0EEEvPT_PKS2_PKT0_S8_ifPKiSA_iPKfiiiSC_SC_iiiii,"axG",@progbits,_ZN4vllm25paged_attention_v1_kernelIffLi192ELi16ELi128ELNS_18Fp8KVCacheDataTypeE0ELb0EEEvPT_PKS2_PKT0_S8_ifPKiSA_iPKfiiiSC_SC_iiiii,comdat
	.protected	_ZN4vllm25paged_attention_v1_kernelIffLi192ELi16ELi128ELNS_18Fp8KVCacheDataTypeE0ELb0EEEvPT_PKS2_PKT0_S8_ifPKiSA_iPKfiiiSC_SC_iiiii ; -- Begin function _ZN4vllm25paged_attention_v1_kernelIffLi192ELi16ELi128ELNS_18Fp8KVCacheDataTypeE0ELb0EEEvPT_PKS2_PKT0_S8_ifPKiSA_iPKfiiiSC_SC_iiiii
	.globl	_ZN4vllm25paged_attention_v1_kernelIffLi192ELi16ELi128ELNS_18Fp8KVCacheDataTypeE0ELb0EEEvPT_PKS2_PKT0_S8_ifPKiSA_iPKfiiiSC_SC_iiiii
	.p2align	8
	.type	_ZN4vllm25paged_attention_v1_kernelIffLi192ELi16ELi128ELNS_18Fp8KVCacheDataTypeE0ELb0EEEvPT_PKS2_PKT0_S8_ifPKiSA_iPKfiiiSC_SC_iiiii,@function
_ZN4vllm25paged_attention_v1_kernelIffLi192ELi16ELi128ELNS_18Fp8KVCacheDataTypeE0ELb0EEEvPT_PKS2_PKT0_S8_ifPKiSA_iPKfiiiSC_SC_iiiii: ; @_ZN4vllm25paged_attention_v1_kernelIffLi192ELi16ELi128ELNS_18Fp8KVCacheDataTypeE0ELb0EEEvPT_PKS2_PKT0_S8_ifPKiSA_iPKfiiiSC_SC_iiiii
; %bb.0:
	s_load_dword s5, s[0:1], 0x80
	s_load_dwordx2 s[6:7], s[0:1], 0x30
	s_load_dwordx2 s[8:9], s[0:1], 0x20
	s_mov_b32 s10, s3
	s_ashr_i32 s11, s3, 31
	s_lshl_b64 s[12:13], s[10:11], 2
	s_waitcnt lgkmcnt(0)
	s_add_u32 s6, s6, s12
	s_addc_u32 s7, s7, s13
	s_abs_i32 s3, s8
	v_cvt_f32_u32_e32 v1, s3
	s_sub_i32 s12, 0, s3
	s_abs_i32 s11, s5
	s_xor_b32 s8, s5, s8
	v_rcp_iflag_f32_e32 v1, v1
	s_ashr_i32 s8, s8, 31
	v_mul_f32_e32 v1, 0x4f7ffffe, v1
	v_cvt_u32_f32_e32 v1, v1
	s_nop 0
	v_readfirstlane_b32 s13, v1
	s_mul_i32 s12, s12, s13
	s_mul_hi_u32 s12, s13, s12
	s_add_i32 s13, s13, s12
	s_mul_hi_u32 s12, s11, s13
	s_mul_i32 s13, s12, s3
	s_sub_i32 s11, s11, s13
	s_add_i32 s13, s12, 1
	s_sub_i32 s14, s11, s3
	s_cmp_ge_u32 s11, s3
	s_cselect_b32 s12, s13, s12
	s_cselect_b32 s11, s14, s11
	s_add_i32 s13, s12, 1
	s_cmp_ge_u32 s11, s3
	s_cselect_b32 s3, s13, s12
	s_xor_b32 s3, s3, s8
	s_sub_i32 s11, s3, s8
	s_abs_i32 s18, s11
	v_cvt_f32_u32_e32 v1, s18
	s_load_dwordx2 s[12:13], s[0:1], 0x40
	s_sub_i32 s3, 0, s18
	s_abs_i32 s19, s2
	v_rcp_iflag_f32_e32 v1, v1
	s_mov_b32 s8, 0
	v_mul_f32_e32 v1, 0x4f7ffffe, v1
	v_cvt_u32_f32_e32 v1, v1
	s_nop 0
	v_readfirstlane_b32 s14, v1
	s_mul_i32 s3, s3, s14
	s_mul_hi_u32 s3, s14, s3
	s_add_i32 s14, s14, s3
	s_waitcnt lgkmcnt(0)
	s_cmp_eq_u64 s[12:13], 0
	s_mul_hi_u32 s22, s19, s14
	s_cbranch_scc1 .LBB34_2
; %bb.1:
	s_ashr_i32 s3, s2, 31
	s_lshl_b64 s[14:15], s[2:3], 2
	s_add_u32 s12, s12, s14
	s_addc_u32 s13, s13, s15
	s_load_dword s8, s[12:13], 0x0
.LBB34_2:
	s_load_dword s33, s[6:7], 0x0
	s_ashr_i32 s24, s11, 31
	s_load_dword s11, s[0:1], 0x88
	s_load_dwordx4 s[12:15], s[0:1], 0x48
	v_lshrrev_b32_e32 v70, 2, v0
	s_waitcnt lgkmcnt(0)
	s_movk_i32 s15, 0xc0
	s_ashr_i32 s23, s2, 31
	v_and_b32_e32 v71, 3, v0
	s_mul_i32 s16, s2, 0xc0
	v_cmp_gt_u32_e32 vcc, s15, v0
	v_lshlrev_b32_e32 v66, 2, v0
	v_lshlrev_b32_e32 v1, 2, v70
	s_and_saveexec_b64 s[2:3], vcc
	s_cbranch_execz .LBB34_5
; %bb.3:
	s_load_dwordx2 s[6:7], s[0:1], 0x8
	s_mul_i32 s20, s12, s10
	s_ashr_i32 s21, s20, 31
	s_lshl_b64 s[20:21], s[20:21], 2
	v_mad_u32_u24 v2, v71, s15, v1
	s_waitcnt lgkmcnt(0)
	s_add_u32 s12, s6, s20
	s_addc_u32 s20, s7, s21
	s_ashr_i32 s17, s16, 31
	s_lshl_b64 s[6:7], s[16:17], 2
	s_add_u32 s6, s12, s6
	s_addc_u32 s7, s20, s7
	global_load_dword v3, v66, s[6:7]
	v_cmp_gt_u32_e32 vcc, 64, v0
	s_waitcnt vmcnt(0)
	ds_write_b32 v2, v3
	s_and_b64 exec, exec, vcc
	s_cbranch_execz .LBB34_5
; %bb.4:
	v_lshlrev_b32_e32 v3, 4, v70
	v_lshlrev_b32_e32 v4, 2, v71
	s_movk_i32 s12, 0x200
	v_or3_b32 v3, v3, v4, s12
	global_load_dword v3, v3, s[6:7]
	s_waitcnt vmcnt(0)
	ds_write_b32 v2, v3 offset:128
.LBB34_5:
	s_or_b64 exec, exec, s[2:3]
	s_add_i32 s3, s33, 15
	s_ashr_i32 s6, s3, 31
	s_lshr_b32 s6, s6, 28
	s_add_i32 s3, s3, s6
	s_mul_i32 s6, s22, s18
	s_sub_i32 s6, s19, s6
	s_ashr_i32 s12, s3, 4
	s_xor_b32 s3, s23, s24
	s_add_i32 s7, s22, 1
	s_sub_i32 s15, s6, s18
	s_load_dwordx2 s[20:21], s[0:1], 0x28
	s_load_dword s2, s[0:1], 0x38
	s_cmp_ge_u32 s6, s18
	s_cselect_b32 s7, s7, s22
	s_cselect_b32 s6, s15, s6
	s_add_i32 s15, s7, 1
	s_cmp_ge_u32 s6, s18
	s_cselect_b32 s6, s15, s7
	v_lshrrev_b32_e32 v72, 6, v0
	s_xor_b32 s6, s6, s3
	s_waitcnt lgkmcnt(0)
	s_mul_i32 s22, s2, s10
	s_sub_i32 s15, s6, s3
	s_ashr_i32 s23, s22, 31
	v_cmp_gt_i32_e64 s[6:7], s12, v72
	v_cmp_le_i32_e32 vcc, s12, v72
	v_mbcnt_lo_u32_b32 v42, -1, 0
	s_barrier
                                        ; implicit-def: $vgpr54
                                        ; implicit-def: $vgpr56
                                        ; implicit-def: $vgpr55
	s_and_saveexec_b64 s[2:3], vcc
	s_xor_b64 s[2:3], exec, s[2:3]
; %bb.6:
	v_mbcnt_hi_u32_b32 v54, -1, v42
	v_and_b32_e32 v56, 64, v54
	v_add_u32_e32 v55, 64, v56
                                        ; implicit-def: $vgpr42
; %bb.7:
	s_or_saveexec_b64 s[26:27], s[2:3]
	s_load_dwordx2 s[18:19], s[0:1], 0x0
	s_load_dwordx2 s[24:25], s[0:1], 0x18
	v_mov_b32_e32 v57, 0xff7fffff
	s_mul_i32 s14, s15, s14
	v_lshrrev_b32_e32 v68, 4, v0
	s_xor_b64 exec, exec, s[26:27]
	s_cbranch_execz .LBB34_13
; %bb.8:
	s_load_dwordx2 s[0:1], s[0:1], 0x10
	s_ashr_i32 s15, s14, 31
	s_lshl_b64 s[2:3], s[14:15], 2
	v_bfe_u32 v43, v0, 2, 4
	v_lshlrev_b32_e32 v44, 4, v43
	s_waitcnt lgkmcnt(0)
	s_add_u32 s0, s0, s2
	s_addc_u32 s1, s1, s3
	v_mov_b32_e32 v45, 0
	v_lshl_add_u64 v[2:3], s[0:1], 0, v[44:45]
	v_lshlrev_b32_e32 v44, 2, v71
	v_mul_u32_u24_e32 v47, 0xc0, v71
	v_mbcnt_hi_u32_b32 v54, -1, v42
	v_lshl_add_u64 v[50:51], v[2:3], 0, v[44:45]
	ds_read_b128 v[2:5], v47
	ds_read_b128 v[6:9], v47 offset:16
	ds_read_b128 v[10:13], v47 offset:32
	;; [unrolled: 1-line block ×9, first 2 shown]
	v_and_b32_e32 v56, 64, v54
	v_add_u32_e32 v55, 64, v56
	v_xor_b32_e32 v42, 2, v54
	v_cmp_lt_i32_e32 vcc, v42, v55
	s_sub_i32 s15, 1, s33
	s_lshl_b64 s[0:1], s[22:23], 2
	v_cndmask_b32_e32 v42, v54, v42, vcc
	v_lshlrev_b32_e32 v58, 2, v42
	v_xor_b32_e32 v42, 1, v54
	v_cmp_lt_i32_e32 vcc, v42, v55
	v_lshlrev_b32_e32 v46, 2, v43
	s_add_u32 s0, s20, s0
	v_cndmask_b32_e32 v42, v54, v42, vcc
	v_lshlrev_b32_e32 v59, 2, v42
	v_lshl_or_b32 v42, v72, 6, v46
	v_and_b32_e32 v44, 60, v68
	s_addc_u32 s1, s21, s1
	v_lshl_or_b32 v60, v72, 4, v43
	v_add_u32_e32 v61, 0x310, v42
	v_lshl_add_u64 v[52:53], s[0:1], 0, v[44:45]
	ds_read_b128 v[42:45], v47 offset:160
	ds_read_b128 v[46:49], v47 offset:176
	s_mov_b32 s17, s13
	v_cmp_eq_u32_e32 vcc, 0, v71
	v_cmp_neq_f32_e64 s[2:3], s8, 0
	v_mov_b32_e32 v57, 0xff7fffff
	s_mov_b64 s[28:29], 0
	s_movk_i32 s34, 0x1000
	s_movk_i32 s35, 0x2000
	v_mov_b32_e32 v62, v72
	s_branch .LBB34_10
.LBB34_9:                               ;   in Loop: Header=BB34_10 Depth=1
	s_or_b64 exec, exec, s[30:31]
	v_add_u32_e32 v62, 2, v62
	v_cmp_le_i32_e64 s[0:1], s12, v62
	v_add_u32_e32 v60, 32, v60
	v_add_u32_e32 v61, 0x80, v61
	s_or_b64 s[28:29], s[0:1], s[28:29]
	v_lshl_add_u64 v[52:53], v[52:53], 0, 8
	s_andn2_b64 exec, exec, s[28:29]
	s_cbranch_execz .LBB34_12
.LBB34_10:                              ; =>This Inner Loop Header: Depth=1
	global_load_dword v63, v[52:53], off
	s_waitcnt vmcnt(0) lgkmcnt(0)
	v_mad_i64_i32 v[64:65], s[0:1], v63, s17, 0
	v_lshl_add_u64 v[64:65], v[64:65], 2, v[50:51]
	global_load_dword v63, v[64:65], off
	global_load_dword v67, v[64:65], off offset:256
	global_load_dword v69, v[64:65], off offset:512
	;; [unrolled: 1-line block ×15, first 2 shown]
	v_add_co_u32_e64 v74, s[0:1], s34, v64
	s_nop 1
	v_addc_co_u32_e64 v75, s[0:1], 0, v65, s[0:1]
	v_add_co_u32_e64 v64, s[0:1], s35, v64
	s_nop 1
	v_addc_co_u32_e64 v65, s[0:1], 0, v65, s[0:1]
	global_load_dword v88, v[64:65], off offset:-4096
	global_load_dword v89, v[74:75], off offset:256
	global_load_dword v90, v[74:75], off offset:512
	;; [unrolled: 1-line block ×14, first 2 shown]
	s_nop 0
	global_load_dword v74, v[74:75], off offset:3840
	s_nop 0
	global_load_dword v75, v[64:65], off
	global_load_dword v103, v[64:65], off offset:256
	global_load_dword v104, v[64:65], off offset:512
	;; [unrolled: 1-line block ×14, first 2 shown]
	s_nop 0
	global_load_dword v64, v[64:65], off offset:3840
	s_waitcnt vmcnt(46) lgkmcnt(11)
	v_mul_f32_e32 v65, v3, v67
	v_fmac_f32_e32 v65, v2, v63
	s_waitcnt vmcnt(45)
	v_fmac_f32_e32 v65, v4, v69
	s_waitcnt vmcnt(44)
	v_fmac_f32_e32 v65, v5, v73
	s_waitcnt vmcnt(43) lgkmcnt(10)
	v_fmac_f32_e32 v65, v6, v76
	s_waitcnt vmcnt(42)
	v_fmac_f32_e32 v65, v7, v77
	s_waitcnt vmcnt(41)
	v_fmac_f32_e32 v65, v8, v78
	s_waitcnt vmcnt(40)
	v_fmac_f32_e32 v65, v9, v79
	s_waitcnt vmcnt(39) lgkmcnt(9)
	v_fmac_f32_e32 v65, v10, v80
	s_waitcnt vmcnt(38)
	;; [unrolled: 8-line block ×11, first 2 shown]
	v_fmac_f32_e32 v65, v47, v115
	s_waitcnt vmcnt(1)
	v_fmac_f32_e32 v65, v48, v116
	s_waitcnt vmcnt(0)
	v_fmac_f32_e32 v65, v49, v64
	ds_bpermute_b32 v63, v58, v65
	s_waitcnt lgkmcnt(0)
	v_add_f32_e32 v63, v65, v63
	ds_bpermute_b32 v64, v59, v63
	s_and_saveexec_b64 s[30:31], vcc
	s_cbranch_execz .LBB34_9
; %bb.11:                               ;   in Loop: Header=BB34_10 Depth=1
	v_add_u32_e32 v65, s15, v60
	v_cvt_f32_i32_e32 v65, v65
	s_waitcnt lgkmcnt(0)
	v_add_f32_e32 v63, v63, v64
	v_cmp_gt_i32_e64 s[0:1], s33, v60
	v_max_f32_e32 v64, v57, v57
	v_mul_f32_e32 v65, s8, v65
	v_cndmask_b32_e64 v65, 0, v65, s[2:3]
	v_fmac_f32_e32 v65, s9, v63
	v_cndmask_b32_e64 v63, 0, v65, s[0:1]
	ds_write_b32 v61, v63
	v_max_f32_e32 v63, v64, v65
	v_cndmask_b32_e64 v57, v57, v63, s[0:1]
	s_branch .LBB34_9
.LBB34_12:
	s_or_b64 exec, exec, s[28:29]
.LBB34_13:
	s_or_b64 exec, exec, s[26:27]
	v_xor_b32_e32 v2, 32, v54
	v_cmp_lt_i32_e32 vcc, v2, v55
	v_xor_b32_e32 v5, 16, v54
	v_max_f32_e32 v4, v57, v57
	v_cndmask_b32_e32 v2, v54, v2, vcc
	v_lshlrev_b32_e32 v2, 2, v2
	ds_bpermute_b32 v3, v2, v57
	v_cmp_lt_i32_e32 vcc, v5, v55
	v_xor_b32_e32 v6, 8, v54
	v_xor_b32_e32 v7, 4, v54
	v_and_b32_e32 v73, 63, v0
	s_waitcnt lgkmcnt(0)
	v_max_f32_e32 v3, v3, v3
	v_max_f32_e32 v4, v4, v3
	v_cndmask_b32_e32 v3, v54, v5, vcc
	v_lshlrev_b32_e32 v3, 2, v3
	ds_bpermute_b32 v5, v3, v4
	v_cmp_lt_i32_e32 vcc, v6, v55
	s_waitcnt lgkmcnt(0)
	v_max_f32_e32 v5, v5, v5
	v_max_f32_e32 v4, v4, v5
	v_cndmask_b32_e32 v5, v54, v6, vcc
	v_lshlrev_b32_e32 v6, 2, v5
	ds_bpermute_b32 v5, v6, v4
	v_cmp_lt_i32_e32 vcc, v7, v55
	s_waitcnt lgkmcnt(0)
	v_max_f32_e32 v5, v5, v5
	v_max_f32_e32 v5, v4, v5
	v_cndmask_b32_e32 v4, v54, v7, vcc
	v_lshlrev_b32_e32 v7, 2, v4
	ds_bpermute_b32 v8, v7, v5
	v_cmp_eq_u32_e32 vcc, 0, v73
	v_lshlrev_b32_e32 v4, 2, v72
	s_and_saveexec_b64 s[0:1], vcc
	s_cbranch_execz .LBB34_15
; %bb.14:
	s_waitcnt lgkmcnt(0)
	v_max_f32_e32 v8, v8, v8
	v_max_f32_e32 v5, v5, v5
	;; [unrolled: 1-line block ×3, first 2 shown]
	ds_write_b32 v4, v5 offset:768
.LBB34_15:
	s_or_b64 exec, exec, s[0:1]
	v_cmp_gt_u32_e64 s[0:1], 2, v73
	s_waitcnt lgkmcnt(0)
	v_mov_b32_e32 v8, 0xff7fffff
	v_lshlrev_b32_e32 v5, 2, v73
	s_barrier
	s_and_saveexec_b64 s[2:3], s[0:1]
; %bb.16:
	ds_read_b32 v8, v5 offset:768
; %bb.17:
	s_or_b64 exec, exec, s[2:3]
	v_xor_b32_e32 v9, 1, v54
	v_cmp_lt_i32_e64 s[2:3], v9, v55
	s_nop 1
	v_cndmask_b32_e64 v9, v54, v9, s[2:3]
	v_lshlrev_b32_e32 v74, 2, v9
	s_waitcnt lgkmcnt(0)
	ds_bpermute_b32 v9, v74, v8
	v_max_f32_e32 v8, v8, v8
	s_lshl_b32 s2, s12, 4
	s_min_i32 s15, s2, s33
	v_cmp_gt_i32_e64 s[2:3], s15, v0
	s_waitcnt lgkmcnt(0)
	v_max_f32_e32 v9, v9, v9
	v_max_f32_e32 v8, v8, v9
	v_lshlrev_b32_e32 v9, 2, v56
	ds_bpermute_b32 v9, v9, v8
	v_mov_b32_e32 v8, 0
	s_and_saveexec_b64 s[26:27], s[2:3]
	s_cbranch_execz .LBB34_21
; %bb.18:
	v_mov_b32_e32 v8, 0x310
	v_lshl_add_u32 v10, v0, 2, v8
	v_mov_b32_e32 v8, 0
	s_mov_b64 s[28:29], 0
	v_mov_b32_e32 v11, v0
.LBB34_19:                              ; =>This Inner Loop Header: Depth=1
	ds_read_b32 v12, v10
	v_add_u32_e32 v11, 0x80, v11
	v_cmp_le_i32_e64 s[8:9], s15, v11
	s_or_b64 s[28:29], s[8:9], s[28:29]
	s_waitcnt lgkmcnt(0)
	v_sub_f32_e32 v12, v12, v9
	v_mul_f32_e32 v12, 0x3fb8aa3b, v12
	v_exp_f32_e32 v12, v12
	ds_write_b32 v10, v12
	v_add_f32_e32 v8, v8, v12
	v_add_u32_e32 v10, 0x200, v10
	s_andn2_b64 exec, exec, s[28:29]
	s_cbranch_execnz .LBB34_19
; %bb.20:
	s_or_b64 exec, exec, s[28:29]
.LBB34_21:
	s_or_b64 exec, exec, s[26:27]
	ds_bpermute_b32 v2, v2, v8
	s_waitcnt lgkmcnt(0)
	v_add_f32_e32 v2, v8, v2
	ds_bpermute_b32 v3, v3, v2
	s_waitcnt lgkmcnt(0)
	v_add_f32_e32 v2, v2, v3
	ds_bpermute_b32 v3, v6, v2
	v_xor_b32_e32 v6, 2, v54
	v_cmp_lt_i32_e64 s[8:9], v6, v55
	s_waitcnt lgkmcnt(0)
	v_add_f32_e32 v2, v2, v3
	ds_bpermute_b32 v3, v7, v2
	v_cndmask_b32_e64 v6, v54, v6, s[8:9]
	v_lshlrev_b32_e32 v75, 2, v6
	s_waitcnt lgkmcnt(0)
	v_add_f32_e32 v2, v2, v3
	ds_bpermute_b32 v3, v75, v2
	s_waitcnt lgkmcnt(0)
	v_add_f32_e32 v2, v2, v3
	ds_bpermute_b32 v3, v74, v2
	s_waitcnt lgkmcnt(0)
	v_add_f32_e32 v2, v2, v3
	s_and_saveexec_b64 s[8:9], vcc
; %bb.22:
	ds_write_b32 v4, v2 offset:776
; %bb.23:
	s_or_b64 exec, exec, s[8:9]
	s_waitcnt lgkmcnt(0)
	s_barrier
	s_and_saveexec_b64 s[8:9], s[0:1]
; %bb.24:
	ds_read_b32 v2, v5 offset:776
; %bb.25:
	s_or_b64 exec, exec, s[8:9]
	s_waitcnt lgkmcnt(0)
	ds_bpermute_b32 v3, v74, v2
	v_lshlrev_b32_e32 v4, 2, v54
	s_waitcnt lgkmcnt(0)
	v_add_f32_e32 v2, v2, v3
	v_and_b32_e32 v3, 0xffffff00, v4
	ds_bpermute_b32 v2, v3, v2
	s_and_saveexec_b64 s[0:1], s[2:3]
	s_cbranch_execz .LBB34_38
; %bb.26:
	s_waitcnt lgkmcnt(0)
	v_add_f32_e32 v2, 0x358637bd, v2
	v_div_scale_f32 v3, s[2:3], v2, v2, 1.0
	v_rcp_f32_e32 v4, v3
	v_div_scale_f32 v5, vcc, 1.0, v2, 1.0
	s_movk_i32 s2, 0x7f
	v_fma_f32 v6, -v3, v4, 1.0
	v_fmac_f32_e32 v4, v6, v4
	v_mul_f32_e32 v6, v5, v4
	v_fma_f32 v7, -v3, v6, v5
	v_fmac_f32_e32 v6, v7, v4
	v_fma_f32 v3, -v3, v6, v5
	v_div_fmas_f32 v3, v3, v4, v6
	v_xad_u32 v4, v0, -1, s15
	v_div_fixup_f32 v2, v3, v2, 1.0
	v_cmp_lt_u32_e32 vcc, s2, v4
	s_mov_b64 s[8:9], -1
	v_mov_b32_e32 v3, v0
	s_and_saveexec_b64 s[2:3], vcc
	s_cbranch_execz .LBB34_35
; %bb.27:
	v_lshrrev_b32_e32 v4, 7, v4
	v_add_u32_e32 v6, -1, v4
	v_lshrrev_b32_e32 v5, 1, v6
	v_mov_b32_e32 v3, v2
	v_add_u32_e32 v5, 1, v5
	v_cmp_lt_u32_e32 vcc, 13, v6
	v_mov_b32_e32 v8, 0
	s_and_saveexec_b64 s[8:9], vcc
	s_cbranch_execz .LBB34_31
; %bb.28:
	v_mov_b32_e32 v7, 0x310
	v_and_b32_e32 v6, -8, v5
	v_lshl_add_u32 v7, v0, 2, v7
	s_mov_b32 s17, 0
	s_mov_b64 s[26:27], 0
.LBB34_29:                              ; =>This Inner Loop Header: Depth=1
	ds_read2st64_b32 v[8:9], v7 offset1:2
	ds_read2st64_b32 v[10:11], v7 offset0:4 offset1:6
	ds_read2st64_b32 v[12:13], v7 offset0:8 offset1:10
	ds_read2st64_b32 v[14:15], v7 offset0:12 offset1:14
	v_add_u32_e32 v6, -8, v6
	s_waitcnt lgkmcnt(3)
	v_pk_mul_f32 v[8:9], v[2:3], v[8:9]
	s_waitcnt lgkmcnt(2)
	v_pk_mul_f32 v[10:11], v[2:3], v[10:11]
	ds_write2st64_b32 v7, v8, v9 offset1:2
	ds_write2st64_b32 v7, v10, v11 offset0:4 offset1:6
	ds_read2st64_b32 v[10:11], v7 offset0:16 offset1:18
	s_waitcnt lgkmcnt(4)
	v_pk_mul_f32 v[8:9], v[2:3], v[12:13]
	ds_write2st64_b32 v7, v8, v9 offset0:8 offset1:10
	s_waitcnt lgkmcnt(4)
	v_pk_mul_f32 v[8:9], v[2:3], v[14:15]
	ds_write2st64_b32 v7, v8, v9 offset0:12 offset1:14
	ds_read2st64_b32 v[8:9], v7 offset0:20 offset1:22
	s_waitcnt lgkmcnt(3)
	v_pk_mul_f32 v[10:11], v[2:3], v[10:11]
	ds_read2st64_b32 v[12:13], v7 offset0:24 offset1:26
	ds_write2st64_b32 v7, v10, v11 offset0:16 offset1:18
	ds_read2st64_b32 v[10:11], v7 offset0:28 offset1:30
	s_waitcnt lgkmcnt(3)
	v_pk_mul_f32 v[8:9], v[2:3], v[8:9]
	ds_write2st64_b32 v7, v8, v9 offset0:20 offset1:22
	s_waitcnt lgkmcnt(3)
	v_pk_mul_f32 v[8:9], v[2:3], v[12:13]
	ds_write2st64_b32 v7, v8, v9 offset0:24 offset1:26
	s_waitcnt lgkmcnt(2)
	v_pk_mul_f32 v[8:9], v[2:3], v[10:11]
	s_add_i32 s17, s17, 16
	v_cmp_eq_u32_e32 vcc, 0, v6
	ds_write2st64_b32 v7, v8, v9 offset0:28 offset1:30
	v_add_u32_e32 v7, 0x2000, v7
	s_or_b64 s[26:27], vcc, s[26:27]
	v_mov_b32_e32 v8, s17
	s_andn2_b64 exec, exec, s[26:27]
	s_cbranch_execnz .LBB34_29
; %bb.30:
	s_or_b64 exec, exec, s[26:27]
.LBB34_31:
	s_or_b64 exec, exec, s[8:9]
	v_and_b32_e32 v5, 7, v5
	v_cmp_ne_u32_e32 vcc, 0, v5
	s_and_saveexec_b64 s[8:9], vcc
	s_cbranch_execz .LBB34_34
; %bb.32:
	v_lshlrev_b32_e32 v6, 9, v8
	s_movk_i32 s17, 0x310
	v_add3_u32 v6, v6, v66, s17
	s_mov_b64 s[26:27], 0
.LBB34_33:                              ; =>This Inner Loop Header: Depth=1
	ds_read2st64_b32 v[8:9], v6 offset1:2
	v_add_u32_e32 v5, -1, v5
	v_cmp_eq_u32_e32 vcc, 0, v5
	s_or_b64 s[26:27], vcc, s[26:27]
	s_waitcnt lgkmcnt(0)
	v_pk_mul_f32 v[8:9], v[2:3], v[8:9]
	ds_write2st64_b32 v6, v8, v9 offset1:2
	v_add_u32_e32 v6, 0x400, v6
	s_andn2_b64 exec, exec, s[26:27]
	s_cbranch_execnz .LBB34_33
.LBB34_34:
	s_or_b64 exec, exec, s[8:9]
	v_add_u32_e32 v4, 1, v4
	v_and_b32_e32 v5, 0x3fffffe, v4
	v_cmp_ne_u32_e32 vcc, v4, v5
	v_lshl_add_u32 v3, v5, 7, v0
	s_orn2_b64 s[8:9], vcc, exec
.LBB34_35:
	s_or_b64 exec, exec, s[2:3]
	s_and_b64 exec, exec, s[8:9]
	s_cbranch_execz .LBB34_38
; %bb.36:
	v_mov_b32_e32 v4, 0x310
	v_lshl_add_u32 v4, v3, 2, v4
	s_mov_b64 s[2:3], 0
.LBB34_37:                              ; =>This Inner Loop Header: Depth=1
	ds_read_b32 v5, v4
	v_add_u32_e32 v3, 0x80, v3
	v_cmp_le_i32_e32 vcc, s15, v3
	s_or_b64 s[2:3], vcc, s[2:3]
	s_waitcnt lgkmcnt(0)
	v_mul_f32_e32 v5, v2, v5
	ds_write_b32 v4, v5
	v_add_u32_e32 v4, 0x200, v4
	s_andn2_b64 exec, exec, s[2:3]
	s_cbranch_execnz .LBB34_37
.LBB34_38:
	s_or_b64 exec, exec, s[0:1]
	v_mov_b32_e32 v55, 0
	v_mov_b32_e32 v54, 0
	;; [unrolled: 1-line block ×12, first 2 shown]
	s_waitcnt lgkmcnt(0)
	s_barrier
	s_and_saveexec_b64 s[2:3], s[6:7]
	s_cbranch_execz .LBB34_66
; %bb.39:
	s_ashr_i32 s15, s14, 31
	s_lshl_b64 s[0:1], s[14:15], 2
	s_add_u32 s0, s24, s0
	v_lshlrev_b32_e32 v3, 4, v0
	s_addc_u32 s1, s25, s1
	v_and_b32_e32 v54, 0x3f0, v3
	v_mov_b32_e32 v55, 0
	v_and_b32_e32 v2, 12, v66
	s_add_i32 s14, s12, -1
	v_lshl_add_u64 v[66:67], s[0:1], 0, v[54:55]
	s_lshl_b64 s[0:1], s[22:23], 2
	v_lshl_or_b32 v76, v72, 4, v2
	v_lshlrev_b32_e32 v2, 4, v71
	s_add_u32 s0, s20, s0
	v_lshl_or_b32 v2, v72, 6, v2
	v_and_b32_e32 v54, 60, v68
	s_addc_u32 s1, s21, s1
	s_mov_b32 s15, s33
	v_add_u32_e32 v77, 0x310, v2
	v_lshl_add_u64 v[68:69], s[0:1], 0, v[54:55]
	s_mov_b64 s[6:7], 0
	v_mov_b32_e32 v54, v55
	v_mov_b32_e32 v57, v55
	;; [unrolled: 1-line block ×11, first 2 shown]
	s_branch .LBB34_41
.LBB34_40:                              ;   in Loop: Header=BB34_41 Depth=1
	s_or_b64 exec, exec, s[8:9]
	s_waitcnt vmcnt(1) lgkmcnt(0)
	v_mul_f32_e32 v50, v2, v50
	v_mul_f32_e32 v42, v2, v42
	;; [unrolled: 1-line block ×11, first 2 shown]
	v_fmac_f32_e32 v50, v3, v51
	v_fmac_f32_e32 v42, v3, v43
	;; [unrolled: 1-line block ×22, first 2 shown]
	s_waitcnt vmcnt(0)
	v_pk_mul_f32 v[2:3], v[2:3], v[46:47]
	v_fmac_f32_e32 v50, v5, v53
	v_fmac_f32_e32 v42, v5, v45
	;; [unrolled: 1-line block ×11, first 2 shown]
	v_pk_mul_f32 v[4:5], v[4:5], v[48:49]
	v_add_f32_e32 v2, v3, v2
	v_add_f32_e32 v2, v4, v2
	v_add_u32_e32 v72, 2, v72
	v_add_f32_e32 v2, v5, v2
	v_cmp_le_i32_e32 vcc, s12, v72
	v_add_f32_e32 v54, v54, v50
	v_add_f32_e32 v57, v57, v42
	;; [unrolled: 1-line block ×12, first 2 shown]
	v_add_u32_e32 v76, 32, v76
	v_add_u32_e32 v77, 0x80, v77
	s_or_b64 s[6:7], vcc, s[6:7]
	v_lshl_add_u64 v[68:69], v[68:69], 0, 8
	s_andn2_b64 exec, exec, s[6:7]
	s_cbranch_execz .LBB34_65
.LBB34_41:                              ; =>This Inner Loop Header: Depth=1
	global_load_dword v2, v[68:69], off
	v_add_u32_e32 v80, 1, v76
	v_or_b32_e32 v79, 3, v76
	v_or_b32_e32 v78, 2, v76
	s_waitcnt vmcnt(0)
	v_mad_i64_i32 v[2:3], s[0:1], v2, s13, 0
	v_lshl_add_u64 v[46:47], v[2:3], 2, v[66:67]
	global_load_dwordx4 v[6:9], v[46:47], off
	ds_read_b128 v[2:5], v77
	v_cmp_eq_u32_e64 s[0:1], s14, v72
	s_and_saveexec_b64 s[8:9], s[0:1]
	s_cbranch_execnz .LBB34_62
; %bb.42:                               ;   in Loop: Header=BB34_41 Depth=1
	s_or_b64 exec, exec, s[8:9]
	global_load_dwordx4 v[10:13], v[46:47], off offset:1024
	s_and_saveexec_b64 s[8:9], s[0:1]
	s_cbranch_execnz .LBB34_63
.LBB34_43:                              ;   in Loop: Header=BB34_41 Depth=1
	s_or_b64 exec, exec, s[8:9]
	global_load_dwordx4 v[14:17], v[46:47], off offset:2048
	s_and_saveexec_b64 s[8:9], s[0:1]
	s_cbranch_execnz .LBB34_64
.LBB34_44:                              ;   in Loop: Header=BB34_41 Depth=1
	s_or_b64 exec, exec, s[8:9]
	global_load_dwordx4 v[18:21], v[46:47], off offset:3072
	s_and_saveexec_b64 s[8:9], s[0:1]
	s_cbranch_execz .LBB34_46
.LBB34_45:                              ;   in Loop: Header=BB34_41 Depth=1
	v_cmp_gt_i32_e32 vcc, s15, v80
	s_waitcnt vmcnt(0)
	s_nop 0
	v_cndmask_b32_e32 v19, 0, v19, vcc
	v_cmp_gt_i32_e32 vcc, s33, v76
	s_nop 1
	v_cndmask_b32_e32 v18, 0, v18, vcc
	v_cmp_gt_i32_e32 vcc, s15, v79
	;; [unrolled: 3-line block ×3, first 2 shown]
	s_nop 1
	v_cndmask_b32_e32 v20, 0, v20, vcc
.LBB34_46:                              ;   in Loop: Header=BB34_41 Depth=1
	s_or_b64 exec, exec, s[8:9]
	v_add_co_u32_e32 v22, vcc, 0x1000, v46
	s_nop 1
	v_addc_co_u32_e32 v23, vcc, 0, v47, vcc
	global_load_dwordx4 v[22:25], v[22:23], off
	s_and_saveexec_b64 s[8:9], s[0:1]
	s_cbranch_execz .LBB34_48
; %bb.47:                               ;   in Loop: Header=BB34_41 Depth=1
	v_cmp_gt_i32_e32 vcc, s15, v80
	s_waitcnt vmcnt(0)
	s_nop 0
	v_cndmask_b32_e32 v23, 0, v23, vcc
	v_cmp_gt_i32_e32 vcc, s33, v76
	s_nop 1
	v_cndmask_b32_e32 v22, 0, v22, vcc
	v_cmp_gt_i32_e32 vcc, s15, v79
	s_nop 1
	v_cndmask_b32_e32 v25, 0, v25, vcc
	v_cmp_gt_i32_e32 vcc, s33, v78
	s_nop 1
	v_cndmask_b32_e32 v24, 0, v24, vcc
.LBB34_48:                              ;   in Loop: Header=BB34_41 Depth=1
	s_or_b64 exec, exec, s[8:9]
	v_add_co_u32_e32 v26, vcc, 0x1000, v46
	s_nop 1
	v_addc_co_u32_e32 v27, vcc, 0, v47, vcc
	global_load_dwordx4 v[26:29], v[26:27], off offset:1024
	s_and_saveexec_b64 s[8:9], s[0:1]
	s_cbranch_execz .LBB34_50
; %bb.49:                               ;   in Loop: Header=BB34_41 Depth=1
	v_cmp_gt_i32_e32 vcc, s15, v80
	s_waitcnt vmcnt(0)
	s_nop 0
	v_cndmask_b32_e32 v27, 0, v27, vcc
	v_cmp_gt_i32_e32 vcc, s33, v76
	s_nop 1
	v_cndmask_b32_e32 v26, 0, v26, vcc
	v_cmp_gt_i32_e32 vcc, s15, v79
	s_nop 1
	v_cndmask_b32_e32 v29, 0, v29, vcc
	v_cmp_gt_i32_e32 vcc, s33, v78
	s_nop 1
	v_cndmask_b32_e32 v28, 0, v28, vcc
.LBB34_50:                              ;   in Loop: Header=BB34_41 Depth=1
	s_or_b64 exec, exec, s[8:9]
	v_add_co_u32_e32 v30, vcc, 0x1000, v46
	s_nop 1
	v_addc_co_u32_e32 v31, vcc, 0, v47, vcc
	global_load_dwordx4 v[30:33], v[30:31], off offset:2048
	;; [unrolled: 22-line block ×3, first 2 shown]
	s_and_saveexec_b64 s[8:9], s[0:1]
	s_cbranch_execz .LBB34_54
; %bb.53:                               ;   in Loop: Header=BB34_41 Depth=1
	v_cmp_gt_i32_e32 vcc, s15, v80
	s_waitcnt vmcnt(0)
	s_nop 0
	v_cndmask_b32_e32 v35, 0, v35, vcc
	v_cmp_gt_i32_e32 vcc, s33, v76
	s_nop 1
	v_cndmask_b32_e32 v34, 0, v34, vcc
	v_cmp_gt_i32_e32 vcc, s15, v79
	;; [unrolled: 3-line block ×3, first 2 shown]
	s_nop 1
	v_cndmask_b32_e32 v36, 0, v36, vcc
.LBB34_54:                              ;   in Loop: Header=BB34_41 Depth=1
	s_or_b64 exec, exec, s[8:9]
	v_add_co_u32_e32 v38, vcc, 0x2000, v46
	s_nop 1
	v_addc_co_u32_e32 v39, vcc, 0, v47, vcc
	global_load_dwordx4 v[38:41], v[38:39], off
	s_and_saveexec_b64 s[8:9], s[0:1]
	s_cbranch_execz .LBB34_56
; %bb.55:                               ;   in Loop: Header=BB34_41 Depth=1
	v_cmp_gt_i32_e32 vcc, s15, v80
	s_waitcnt vmcnt(0)
	s_nop 0
	v_cndmask_b32_e32 v39, 0, v39, vcc
	v_cmp_gt_i32_e32 vcc, s33, v76
	s_nop 1
	v_cndmask_b32_e32 v38, 0, v38, vcc
	v_cmp_gt_i32_e32 vcc, s15, v79
	s_nop 1
	v_cndmask_b32_e32 v41, 0, v41, vcc
	v_cmp_gt_i32_e32 vcc, s33, v78
	s_nop 1
	v_cndmask_b32_e32 v40, 0, v40, vcc
.LBB34_56:                              ;   in Loop: Header=BB34_41 Depth=1
	s_or_b64 exec, exec, s[8:9]
	v_add_co_u32_e32 v42, vcc, 0x2000, v46
	s_nop 1
	v_addc_co_u32_e32 v43, vcc, 0, v47, vcc
	global_load_dwordx4 v[42:45], v[42:43], off offset:1024
	s_and_saveexec_b64 s[8:9], s[0:1]
	s_cbranch_execz .LBB34_58
; %bb.57:                               ;   in Loop: Header=BB34_41 Depth=1
	v_cmp_gt_i32_e32 vcc, s15, v80
	s_waitcnt vmcnt(0)
	s_nop 0
	v_cndmask_b32_e32 v43, 0, v43, vcc
	v_cmp_gt_i32_e32 vcc, s33, v76
	s_nop 1
	v_cndmask_b32_e32 v42, 0, v42, vcc
	v_cmp_gt_i32_e32 vcc, s15, v79
	s_nop 1
	v_cndmask_b32_e32 v45, 0, v45, vcc
	v_cmp_gt_i32_e32 vcc, s33, v78
	s_nop 1
	v_cndmask_b32_e32 v44, 0, v44, vcc
.LBB34_58:                              ;   in Loop: Header=BB34_41 Depth=1
	s_or_b64 exec, exec, s[8:9]
	v_add_co_u32_e32 v48, vcc, 0x2000, v46
	s_nop 1
	v_addc_co_u32_e32 v49, vcc, 0, v47, vcc
	global_load_dwordx4 v[50:53], v[48:49], off offset:2048
	;; [unrolled: 22-line block ×3, first 2 shown]
	s_and_saveexec_b64 s[8:9], s[0:1]
	s_cbranch_execz .LBB34_40
; %bb.61:                               ;   in Loop: Header=BB34_41 Depth=1
	v_cmp_gt_i32_e32 vcc, s15, v80
	s_waitcnt vmcnt(0)
	s_nop 0
	v_cndmask_b32_e32 v47, 0, v47, vcc
	v_cmp_gt_i32_e32 vcc, s33, v76
	s_nop 1
	v_cndmask_b32_e32 v46, 0, v46, vcc
	v_cmp_gt_i32_e32 vcc, s15, v79
	;; [unrolled: 3-line block ×3, first 2 shown]
	s_nop 1
	v_cndmask_b32_e32 v48, 0, v48, vcc
	s_branch .LBB34_40
.LBB34_62:                              ;   in Loop: Header=BB34_41 Depth=1
	v_cmp_gt_i32_e32 vcc, s15, v80
	s_waitcnt vmcnt(0)
	s_nop 0
	v_cndmask_b32_e32 v7, 0, v7, vcc
	v_cmp_gt_i32_e32 vcc, s33, v76
	s_nop 1
	v_cndmask_b32_e32 v6, 0, v6, vcc
	v_cmp_gt_i32_e32 vcc, s15, v79
	;; [unrolled: 3-line block ×3, first 2 shown]
	s_nop 1
	v_cndmask_b32_e32 v8, 0, v8, vcc
	s_or_b64 exec, exec, s[8:9]
	global_load_dwordx4 v[10:13], v[46:47], off offset:1024
	s_and_saveexec_b64 s[8:9], s[0:1]
	s_cbranch_execz .LBB34_43
.LBB34_63:                              ;   in Loop: Header=BB34_41 Depth=1
	v_cmp_gt_i32_e32 vcc, s15, v80
	s_waitcnt vmcnt(0)
	s_nop 0
	v_cndmask_b32_e32 v11, 0, v11, vcc
	v_cmp_gt_i32_e32 vcc, s33, v76
	s_nop 1
	v_cndmask_b32_e32 v10, 0, v10, vcc
	v_cmp_gt_i32_e32 vcc, s15, v79
	;; [unrolled: 3-line block ×3, first 2 shown]
	s_nop 1
	v_cndmask_b32_e32 v12, 0, v12, vcc
	s_or_b64 exec, exec, s[8:9]
	global_load_dwordx4 v[14:17], v[46:47], off offset:2048
	s_and_saveexec_b64 s[8:9], s[0:1]
	s_cbranch_execz .LBB34_44
.LBB34_64:                              ;   in Loop: Header=BB34_41 Depth=1
	v_cmp_gt_i32_e32 vcc, s15, v80
	s_waitcnt vmcnt(0)
	s_nop 0
	v_cndmask_b32_e32 v15, 0, v15, vcc
	v_cmp_gt_i32_e32 vcc, s33, v76
	s_nop 1
	v_cndmask_b32_e32 v14, 0, v14, vcc
	v_cmp_gt_i32_e32 vcc, s15, v79
	;; [unrolled: 3-line block ×3, first 2 shown]
	s_nop 1
	v_cndmask_b32_e32 v16, 0, v16, vcc
	s_or_b64 exec, exec, s[8:9]
	global_load_dwordx4 v[18:21], v[46:47], off offset:3072
	s_and_saveexec_b64 s[8:9], s[0:1]
	s_cbranch_execnz .LBB34_45
	s_branch .LBB34_46
.LBB34_65:
	s_or_b64 exec, exec, s[6:7]
.LBB34_66:
	s_or_b64 exec, exec, s[2:3]
	ds_bpermute_b32 v2, v75, v64
	ds_bpermute_b32 v3, v75, v65
	;; [unrolled: 1-line block ×6, first 2 shown]
	s_waitcnt lgkmcnt(4)
	v_pk_add_f32 v[2:3], v[64:65], v[2:3]
	ds_bpermute_b32 v6, v74, v2
	ds_bpermute_b32 v7, v74, v3
	;; [unrolled: 1-line block ×4, first 2 shown]
	s_waitcnt lgkmcnt(4)
	v_pk_add_f32 v[4:5], v[62:63], v[4:5]
	ds_bpermute_b32 v22, v75, v54
	s_waitcnt lgkmcnt(3)
	v_pk_add_f32 v[2:3], v[2:3], v[6:7]
	v_pk_add_f32 v[6:7], v[60:61], v[8:9]
	ds_bpermute_b32 v8, v75, v58
	ds_bpermute_b32 v9, v75, v59
	;; [unrolled: 1-line block ×4, first 2 shown]
	s_waitcnt lgkmcnt(5)
	v_pk_add_f32 v[14:15], v[56:57], v[14:15]
	ds_bpermute_b32 v23, v75, v55
	ds_bpermute_b32 v10, v74, v4
	;; [unrolled: 1-line block ×5, first 2 shown]
	s_waitcnt lgkmcnt(7)
	v_pk_add_f32 v[16:17], v[58:59], v[8:9]
	ds_bpermute_b32 v18, v74, v16
	ds_bpermute_b32 v19, v74, v17
	s_waitcnt lgkmcnt(7)
	v_pk_add_f32 v[8:9], v[6:7], v[12:13]
	s_waitcnt lgkmcnt(6)
	v_pk_add_f32 v[12:13], v[54:55], v[22:23]
	;; [unrolled: 2-line block ×4, first 2 shown]
	ds_bpermute_b32 v14, v74, v12
	ds_bpermute_b32 v15, v74, v13
	s_waitcnt lgkmcnt(2)
	v_pk_add_f32 v[6:7], v[16:17], v[18:19]
	v_and_b32_e32 v16, 0x3c3, v0
	v_cmp_ne_u32_e32 vcc, 64, v16
	s_waitcnt lgkmcnt(0)
	s_barrier
	s_and_saveexec_b64 s[0:1], vcc
	s_xor_b64 s[0:1], exec, s[0:1]
; %bb.67:
                                        ; implicit-def: $vgpr73
; %bb.68:
	s_or_saveexec_b64 s[0:1], s[0:1]
	v_pk_add_f32 v[12:13], v[12:13], v[14:15]
	s_xor_b64 exec, exec, s[0:1]
	s_cbranch_execz .LBB34_70
; %bb.69:
	v_add_u32_e32 v14, 0x310, v73
	ds_write2_b32 v14, v2, v3 offset1:16
	ds_write2_b32 v14, v10, v11 offset0:32 offset1:48
	ds_write2_b32 v14, v8, v9 offset0:64 offset1:80
	;; [unrolled: 1-line block ×5, first 2 shown]
.LBB34_70:
	s_or_b64 exec, exec, s[0:1]
	v_cmp_gt_u32_e32 vcc, 64, v0
	s_waitcnt lgkmcnt(0)
	s_barrier
	s_and_saveexec_b64 s[0:1], vcc
	s_cbranch_execz .LBB34_85
; %bb.71:
	v_mov_b32_e32 v0, 0x310
	v_cmp_eq_u32_e32 vcc, 0, v71
	v_lshl_add_u32 v0, v70, 2, v0
	s_and_saveexec_b64 s[2:3], vcc
	s_cbranch_execnz .LBB34_88
; %bb.72:
	s_or_b64 exec, exec, s[2:3]
	s_and_saveexec_b64 s[2:3], vcc
	s_cbranch_execnz .LBB34_89
.LBB34_73:
	s_or_b64 exec, exec, s[2:3]
	s_and_saveexec_b64 s[2:3], vcc
	s_cbranch_execnz .LBB34_90
.LBB34_74:
	s_or_b64 exec, exec, s[2:3]
	s_and_saveexec_b64 s[2:3], vcc
	s_cbranch_execnz .LBB34_91
.LBB34_75:
	s_or_b64 exec, exec, s[2:3]
	s_and_saveexec_b64 s[2:3], vcc
	s_cbranch_execnz .LBB34_92
.LBB34_76:
	s_or_b64 exec, exec, s[2:3]
	s_and_saveexec_b64 s[2:3], vcc
	s_cbranch_execnz .LBB34_93
.LBB34_77:
	s_or_b64 exec, exec, s[2:3]
	s_and_saveexec_b64 s[2:3], vcc
	s_cbranch_execnz .LBB34_94
.LBB34_78:
	s_or_b64 exec, exec, s[2:3]
	s_and_saveexec_b64 s[2:3], vcc
	s_cbranch_execnz .LBB34_95
.LBB34_79:
	s_or_b64 exec, exec, s[2:3]
	s_and_saveexec_b64 s[2:3], vcc
	s_cbranch_execnz .LBB34_96
.LBB34_80:
	s_or_b64 exec, exec, s[2:3]
	s_and_saveexec_b64 s[2:3], vcc
	s_cbranch_execnz .LBB34_97
.LBB34_81:
	s_or_b64 exec, exec, s[2:3]
	s_and_saveexec_b64 s[2:3], vcc
	s_cbranch_execnz .LBB34_98
.LBB34_82:
	s_or_b64 exec, exec, s[2:3]
	s_and_saveexec_b64 s[2:3], vcc
	s_cbranch_execz .LBB34_84
.LBB34_83:
	ds_read_b32 v0, v0 offset:704
	s_waitcnt lgkmcnt(0)
	v_add_f32_e32 v13, v13, v0
.LBB34_84:
	s_or_b64 exec, exec, s[2:3]
.LBB34_85:
	s_or_b64 exec, exec, s[0:1]
	v_cmp_eq_u32_e32 vcc, 0, v16
	s_barrier
	s_and_saveexec_b64 s[0:1], vcc
	s_cbranch_execz .LBB34_87
; %bb.86:
	s_mul_i32 s0, s10, s11
	s_mul_i32 s0, s0, s5
	s_mulk_i32 s0, 0xc0
	s_ashr_i32 s1, s0, 31
	s_lshl_b64 s[0:1], s[0:1], 2
	s_add_u32 s2, s18, s0
	s_mul_i32 s0, s11, s16
	s_addc_u32 s3, s19, s1
	s_ashr_i32 s1, s0, 31
	s_lshl_b64 s[0:1], s[0:1], 2
	s_add_u32 s2, s2, s0
	s_mul_i32 s0, s4, 0xc0
	s_addc_u32 s3, s3, s1
	s_ashr_i32 s1, s0, 31
	s_lshl_b64 s[0:1], s[0:1], 2
	s_add_u32 s0, s2, s0
	s_addc_u32 s1, s3, s1
	global_store_dword v1, v2, s[0:1]
	global_store_dword v1, v3, s[0:1] offset:64
	global_store_dword v1, v10, s[0:1] offset:128
	;; [unrolled: 1-line block ×11, first 2 shown]
.LBB34_87:
	s_endpgm
.LBB34_88:
	ds_read_b32 v14, v0
	s_waitcnt lgkmcnt(0)
	v_add_f32_e32 v2, v2, v14
	s_or_b64 exec, exec, s[2:3]
	s_and_saveexec_b64 s[2:3], vcc
	s_cbranch_execz .LBB34_73
.LBB34_89:
	ds_read_b32 v14, v0 offset:64
	s_waitcnt lgkmcnt(0)
	v_add_f32_e32 v3, v3, v14
	s_or_b64 exec, exec, s[2:3]
	s_and_saveexec_b64 s[2:3], vcc
	s_cbranch_execz .LBB34_74
.LBB34_90:
	ds_read_b32 v14, v0 offset:128
	s_waitcnt lgkmcnt(0)
	v_add_f32_e32 v10, v10, v14
	s_or_b64 exec, exec, s[2:3]
	s_and_saveexec_b64 s[2:3], vcc
	s_cbranch_execz .LBB34_75
.LBB34_91:
	ds_read_b32 v14, v0 offset:192
	s_waitcnt lgkmcnt(0)
	v_add_f32_e32 v11, v11, v14
	s_or_b64 exec, exec, s[2:3]
	s_and_saveexec_b64 s[2:3], vcc
	s_cbranch_execz .LBB34_76
.LBB34_92:
	ds_read_b32 v14, v0 offset:256
	s_waitcnt lgkmcnt(0)
	v_add_f32_e32 v8, v8, v14
	s_or_b64 exec, exec, s[2:3]
	s_and_saveexec_b64 s[2:3], vcc
	s_cbranch_execz .LBB34_77
.LBB34_93:
	ds_read_b32 v14, v0 offset:320
	s_waitcnt lgkmcnt(0)
	v_add_f32_e32 v9, v9, v14
	s_or_b64 exec, exec, s[2:3]
	s_and_saveexec_b64 s[2:3], vcc
	s_cbranch_execz .LBB34_78
.LBB34_94:
	ds_read_b32 v14, v0 offset:384
	s_waitcnt lgkmcnt(0)
	v_add_f32_e32 v6, v6, v14
	s_or_b64 exec, exec, s[2:3]
	s_and_saveexec_b64 s[2:3], vcc
	s_cbranch_execz .LBB34_79
.LBB34_95:
	ds_read_b32 v14, v0 offset:448
	s_waitcnt lgkmcnt(0)
	v_add_f32_e32 v7, v7, v14
	s_or_b64 exec, exec, s[2:3]
	s_and_saveexec_b64 s[2:3], vcc
	s_cbranch_execz .LBB34_80
.LBB34_96:
	ds_read_b32 v14, v0 offset:512
	s_waitcnt lgkmcnt(0)
	v_add_f32_e32 v4, v4, v14
	s_or_b64 exec, exec, s[2:3]
	s_and_saveexec_b64 s[2:3], vcc
	s_cbranch_execz .LBB34_81
.LBB34_97:
	ds_read_b32 v14, v0 offset:576
	s_waitcnt lgkmcnt(0)
	v_add_f32_e32 v5, v5, v14
	s_or_b64 exec, exec, s[2:3]
	s_and_saveexec_b64 s[2:3], vcc
	s_cbranch_execz .LBB34_82
.LBB34_98:
	ds_read_b32 v14, v0 offset:640
	s_waitcnt lgkmcnt(0)
	v_add_f32_e32 v12, v12, v14
	s_or_b64 exec, exec, s[2:3]
	s_and_saveexec_b64 s[2:3], vcc
	s_cbranch_execnz .LBB34_83
	s_branch .LBB34_84
	.section	.rodata,"a",@progbits
	.p2align	6, 0x0
	.amdhsa_kernel _ZN4vllm25paged_attention_v1_kernelIffLi192ELi16ELi128ELNS_18Fp8KVCacheDataTypeE0ELb0EEEvPT_PKS2_PKT0_S8_ifPKiSA_iPKfiiiSC_SC_iiiii
		.amdhsa_group_segment_fixed_size 784
		.amdhsa_private_segment_fixed_size 0
		.amdhsa_kernarg_size 384
		.amdhsa_user_sgpr_count 2
		.amdhsa_user_sgpr_dispatch_ptr 0
		.amdhsa_user_sgpr_queue_ptr 0
		.amdhsa_user_sgpr_kernarg_segment_ptr 1
		.amdhsa_user_sgpr_dispatch_id 0
		.amdhsa_user_sgpr_kernarg_preload_length 0
		.amdhsa_user_sgpr_kernarg_preload_offset 0
		.amdhsa_user_sgpr_private_segment_size 0
		.amdhsa_uses_dynamic_stack 0
		.amdhsa_enable_private_segment 0
		.amdhsa_system_sgpr_workgroup_id_x 1
		.amdhsa_system_sgpr_workgroup_id_y 1
		.amdhsa_system_sgpr_workgroup_id_z 1
		.amdhsa_system_sgpr_workgroup_info 0
		.amdhsa_system_vgpr_workitem_id 0
		.amdhsa_next_free_vgpr 117
		.amdhsa_next_free_sgpr 36
		.amdhsa_accum_offset 120
		.amdhsa_reserve_vcc 1
		.amdhsa_float_round_mode_32 0
		.amdhsa_float_round_mode_16_64 0
		.amdhsa_float_denorm_mode_32 3
		.amdhsa_float_denorm_mode_16_64 3
		.amdhsa_dx10_clamp 1
		.amdhsa_ieee_mode 1
		.amdhsa_fp16_overflow 0
		.amdhsa_tg_split 0
		.amdhsa_exception_fp_ieee_invalid_op 0
		.amdhsa_exception_fp_denorm_src 0
		.amdhsa_exception_fp_ieee_div_zero 0
		.amdhsa_exception_fp_ieee_overflow 0
		.amdhsa_exception_fp_ieee_underflow 0
		.amdhsa_exception_fp_ieee_inexact 0
		.amdhsa_exception_int_div_zero 0
	.end_amdhsa_kernel
	.section	.text._ZN4vllm25paged_attention_v1_kernelIffLi192ELi16ELi128ELNS_18Fp8KVCacheDataTypeE0ELb0EEEvPT_PKS2_PKT0_S8_ifPKiSA_iPKfiiiSC_SC_iiiii,"axG",@progbits,_ZN4vllm25paged_attention_v1_kernelIffLi192ELi16ELi128ELNS_18Fp8KVCacheDataTypeE0ELb0EEEvPT_PKS2_PKT0_S8_ifPKiSA_iPKfiiiSC_SC_iiiii,comdat
.Lfunc_end34:
	.size	_ZN4vllm25paged_attention_v1_kernelIffLi192ELi16ELi128ELNS_18Fp8KVCacheDataTypeE0ELb0EEEvPT_PKS2_PKT0_S8_ifPKiSA_iPKfiiiSC_SC_iiiii, .Lfunc_end34-_ZN4vllm25paged_attention_v1_kernelIffLi192ELi16ELi128ELNS_18Fp8KVCacheDataTypeE0ELb0EEEvPT_PKS2_PKT0_S8_ifPKiSA_iPKfiiiSC_SC_iiiii
                                        ; -- End function
	.set _ZN4vllm25paged_attention_v1_kernelIffLi192ELi16ELi128ELNS_18Fp8KVCacheDataTypeE0ELb0EEEvPT_PKS2_PKT0_S8_ifPKiSA_iPKfiiiSC_SC_iiiii.num_vgpr, 117
	.set _ZN4vllm25paged_attention_v1_kernelIffLi192ELi16ELi128ELNS_18Fp8KVCacheDataTypeE0ELb0EEEvPT_PKS2_PKT0_S8_ifPKiSA_iPKfiiiSC_SC_iiiii.num_agpr, 0
	.set _ZN4vllm25paged_attention_v1_kernelIffLi192ELi16ELi128ELNS_18Fp8KVCacheDataTypeE0ELb0EEEvPT_PKS2_PKT0_S8_ifPKiSA_iPKfiiiSC_SC_iiiii.numbered_sgpr, 36
	.set _ZN4vllm25paged_attention_v1_kernelIffLi192ELi16ELi128ELNS_18Fp8KVCacheDataTypeE0ELb0EEEvPT_PKS2_PKT0_S8_ifPKiSA_iPKfiiiSC_SC_iiiii.num_named_barrier, 0
	.set _ZN4vllm25paged_attention_v1_kernelIffLi192ELi16ELi128ELNS_18Fp8KVCacheDataTypeE0ELb0EEEvPT_PKS2_PKT0_S8_ifPKiSA_iPKfiiiSC_SC_iiiii.private_seg_size, 0
	.set _ZN4vllm25paged_attention_v1_kernelIffLi192ELi16ELi128ELNS_18Fp8KVCacheDataTypeE0ELb0EEEvPT_PKS2_PKT0_S8_ifPKiSA_iPKfiiiSC_SC_iiiii.uses_vcc, 1
	.set _ZN4vllm25paged_attention_v1_kernelIffLi192ELi16ELi128ELNS_18Fp8KVCacheDataTypeE0ELb0EEEvPT_PKS2_PKT0_S8_ifPKiSA_iPKfiiiSC_SC_iiiii.uses_flat_scratch, 0
	.set _ZN4vllm25paged_attention_v1_kernelIffLi192ELi16ELi128ELNS_18Fp8KVCacheDataTypeE0ELb0EEEvPT_PKS2_PKT0_S8_ifPKiSA_iPKfiiiSC_SC_iiiii.has_dyn_sized_stack, 0
	.set _ZN4vllm25paged_attention_v1_kernelIffLi192ELi16ELi128ELNS_18Fp8KVCacheDataTypeE0ELb0EEEvPT_PKS2_PKT0_S8_ifPKiSA_iPKfiiiSC_SC_iiiii.has_recursion, 0
	.set _ZN4vllm25paged_attention_v1_kernelIffLi192ELi16ELi128ELNS_18Fp8KVCacheDataTypeE0ELb0EEEvPT_PKS2_PKT0_S8_ifPKiSA_iPKfiiiSC_SC_iiiii.has_indirect_call, 0
	.section	.AMDGPU.csdata,"",@progbits
; Kernel info:
; codeLenInByte = 6076
; TotalNumSgprs: 42
; NumVgprs: 117
; NumAgprs: 0
; TotalNumVgprs: 117
; ScratchSize: 0
; MemoryBound: 0
; FloatMode: 240
; IeeeMode: 1
; LDSByteSize: 784 bytes/workgroup (compile time only)
; SGPRBlocks: 5
; VGPRBlocks: 14
; NumSGPRsForWavesPerEU: 42
; NumVGPRsForWavesPerEU: 117
; AccumOffset: 120
; Occupancy: 4
; WaveLimiterHint : 1
; COMPUTE_PGM_RSRC2:SCRATCH_EN: 0
; COMPUTE_PGM_RSRC2:USER_SGPR: 2
; COMPUTE_PGM_RSRC2:TRAP_HANDLER: 0
; COMPUTE_PGM_RSRC2:TGID_X_EN: 1
; COMPUTE_PGM_RSRC2:TGID_Y_EN: 1
; COMPUTE_PGM_RSRC2:TGID_Z_EN: 1
; COMPUTE_PGM_RSRC2:TIDIG_COMP_CNT: 0
; COMPUTE_PGM_RSRC3_GFX90A:ACCUM_OFFSET: 29
; COMPUTE_PGM_RSRC3_GFX90A:TG_SPLIT: 0
	.section	.text._ZN4vllm25paged_attention_v1_kernelIffLi256ELi16ELi128ELNS_18Fp8KVCacheDataTypeE0ELb0EEEvPT_PKS2_PKT0_S8_ifPKiSA_iPKfiiiSC_SC_iiiii,"axG",@progbits,_ZN4vllm25paged_attention_v1_kernelIffLi256ELi16ELi128ELNS_18Fp8KVCacheDataTypeE0ELb0EEEvPT_PKS2_PKT0_S8_ifPKiSA_iPKfiiiSC_SC_iiiii,comdat
	.protected	_ZN4vllm25paged_attention_v1_kernelIffLi256ELi16ELi128ELNS_18Fp8KVCacheDataTypeE0ELb0EEEvPT_PKS2_PKT0_S8_ifPKiSA_iPKfiiiSC_SC_iiiii ; -- Begin function _ZN4vllm25paged_attention_v1_kernelIffLi256ELi16ELi128ELNS_18Fp8KVCacheDataTypeE0ELb0EEEvPT_PKS2_PKT0_S8_ifPKiSA_iPKfiiiSC_SC_iiiii
	.globl	_ZN4vllm25paged_attention_v1_kernelIffLi256ELi16ELi128ELNS_18Fp8KVCacheDataTypeE0ELb0EEEvPT_PKS2_PKT0_S8_ifPKiSA_iPKfiiiSC_SC_iiiii
	.p2align	8
	.type	_ZN4vllm25paged_attention_v1_kernelIffLi256ELi16ELi128ELNS_18Fp8KVCacheDataTypeE0ELb0EEEvPT_PKS2_PKT0_S8_ifPKiSA_iPKfiiiSC_SC_iiiii,@function
_ZN4vllm25paged_attention_v1_kernelIffLi256ELi16ELi128ELNS_18Fp8KVCacheDataTypeE0ELb0EEEvPT_PKS2_PKT0_S8_ifPKiSA_iPKfiiiSC_SC_iiiii: ; @_ZN4vllm25paged_attention_v1_kernelIffLi256ELi16ELi128ELNS_18Fp8KVCacheDataTypeE0ELb0EEEvPT_PKS2_PKT0_S8_ifPKiSA_iPKfiiiSC_SC_iiiii
; %bb.0:
	s_load_dword s5, s[0:1], 0x80
	s_load_dwordx2 s[6:7], s[0:1], 0x30
	s_load_dwordx2 s[8:9], s[0:1], 0x20
	s_mov_b32 s10, s3
	s_ashr_i32 s11, s3, 31
	s_lshl_b64 s[12:13], s[10:11], 2
	s_waitcnt lgkmcnt(0)
	s_add_u32 s6, s6, s12
	s_addc_u32 s7, s7, s13
	s_abs_i32 s3, s8
	v_cvt_f32_u32_e32 v1, s3
	s_sub_i32 s12, 0, s3
	s_abs_i32 s11, s5
	s_xor_b32 s8, s5, s8
	v_rcp_iflag_f32_e32 v1, v1
	s_ashr_i32 s8, s8, 31
	v_mov_b32_e32 v93, v0
	v_mul_f32_e32 v1, 0x4f7ffffe, v1
	v_cvt_u32_f32_e32 v1, v1
	s_nop 0
	v_readfirstlane_b32 s13, v1
	s_mul_i32 s12, s12, s13
	s_mul_hi_u32 s12, s13, s12
	s_add_i32 s13, s13, s12
	s_mul_hi_u32 s12, s11, s13
	s_mul_i32 s13, s12, s3
	s_sub_i32 s11, s11, s13
	s_add_i32 s13, s12, 1
	s_sub_i32 s14, s11, s3
	s_cmp_ge_u32 s11, s3
	s_cselect_b32 s12, s13, s12
	s_cselect_b32 s11, s14, s11
	s_add_i32 s13, s12, 1
	s_cmp_ge_u32 s11, s3
	s_cselect_b32 s3, s13, s12
	s_xor_b32 s3, s3, s8
	s_sub_i32 s11, s3, s8
	s_abs_i32 s18, s11
	v_cvt_f32_u32_e32 v1, s18
	s_load_dwordx2 s[12:13], s[0:1], 0x40
	s_sub_i32 s3, 0, s18
	s_abs_i32 s19, s2
	v_rcp_iflag_f32_e32 v1, v1
	s_mov_b32 s8, 0
	v_mul_f32_e32 v1, 0x4f7ffffe, v1
	v_cvt_u32_f32_e32 v1, v1
	s_nop 0
	v_readfirstlane_b32 s14, v1
	s_mul_i32 s3, s3, s14
	s_mul_hi_u32 s3, s14, s3
	s_add_i32 s14, s14, s3
	s_waitcnt lgkmcnt(0)
	s_cmp_eq_u64 s[12:13], 0
	s_mul_hi_u32 s22, s19, s14
	s_cbranch_scc1 .LBB35_2
; %bb.1:
	s_ashr_i32 s3, s2, 31
	s_lshl_b64 s[14:15], s[2:3], 2
	s_add_u32 s12, s12, s14
	s_addc_u32 s13, s13, s15
	s_load_dword s8, s[12:13], 0x0
.LBB35_2:
	s_load_dword s33, s[6:7], 0x0
	s_ashr_i32 s24, s11, 31
	s_load_dword s11, s[0:1], 0x88
	s_load_dwordx4 s[12:15], s[0:1], 0x48
	s_ashr_i32 s23, s2, 31
	v_lshrrev_b32_e32 v94, 2, v93
	s_lshl_b32 s16, s2, 8
	s_movk_i32 s2, 0x100
	v_and_b32_e32 v103, 3, v93
	v_cmp_gt_u32_e32 vcc, s2, v93
	v_lshlrev_b32_e32 v16, 2, v93
	v_lshlrev_b32_e32 v92, 2, v94
	s_and_saveexec_b64 s[2:3], vcc
	s_cbranch_execz .LBB35_5
; %bb.3:
	s_load_dwordx2 s[6:7], s[0:1], 0x8
	s_waitcnt lgkmcnt(0)
	s_mul_i32 s20, s12, s10
	s_ashr_i32 s21, s20, 31
	s_lshl_b64 s[20:21], s[20:21], 2
	v_lshl_add_u32 v2, v103, 8, v92
	s_add_u32 s12, s6, s20
	s_addc_u32 s15, s7, s21
	s_ashr_i32 s17, s16, 31
	s_lshl_b64 s[6:7], s[16:17], 2
	s_add_u32 s6, s12, s6
	s_addc_u32 s7, s15, s7
	global_load_dword v3, v16, s[6:7]
	s_movk_i32 s12, 0x80
	v_cmp_gt_u32_e32 vcc, s12, v93
	s_waitcnt vmcnt(0)
	ds_write_b32 v2, v3
	s_and_b64 exec, exec, vcc
	s_cbranch_execz .LBB35_5
; %bb.4:
	v_lshlrev_b32_e32 v3, 4, v94
	v_lshlrev_b32_e32 v4, 2, v103
	s_movk_i32 s12, 0x200
	v_or3_b32 v3, v3, v4, s12
	global_load_dword v3, v3, s[6:7]
	s_waitcnt vmcnt(0)
	ds_write_b32 v2, v3 offset:128
.LBB35_5:
	s_or_b64 exec, exec, s[2:3]
	s_waitcnt lgkmcnt(0)
	s_add_i32 s3, s33, 15
	s_ashr_i32 s6, s3, 31
	s_lshr_b32 s6, s6, 28
	s_add_i32 s3, s3, s6
	s_mul_i32 s6, s22, s18
	s_sub_i32 s6, s19, s6
	s_ashr_i32 s17, s3, 4
	s_xor_b32 s3, s23, s24
	s_add_i32 s7, s22, 1
	s_sub_i32 s12, s6, s18
	s_load_dwordx2 s[20:21], s[0:1], 0x28
	s_load_dword s2, s[0:1], 0x38
	s_cmp_ge_u32 s6, s18
	s_cselect_b32 s7, s7, s22
	s_cselect_b32 s6, s12, s6
	s_add_i32 s12, s7, 1
	s_cmp_ge_u32 s6, s18
	s_cselect_b32 s6, s12, s7
	v_lshrrev_b32_e32 v104, 6, v93
	s_xor_b32 s6, s6, s3
	s_waitcnt lgkmcnt(0)
	s_mul_i32 s22, s2, s10
	s_sub_i32 s12, s6, s3
	s_ashr_i32 s23, s22, 31
	v_cmp_gt_i32_e64 s[6:7], s17, v104
	v_cmp_le_i32_e32 vcc, s17, v104
	v_mbcnt_lo_u32_b32 v42, -1, 0
	s_barrier
                                        ; implicit-def: $vgpr12
                                        ; implicit-def: $vgpr10
                                        ; implicit-def: $vgpr13
	s_and_saveexec_b64 s[2:3], vcc
	s_xor_b64 s[2:3], exec, s[2:3]
; %bb.6:
	v_mbcnt_hi_u32_b32 v12, -1, v42
	v_and_b32_e32 v10, 64, v12
	v_add_u32_e32 v13, 64, v10
                                        ; implicit-def: $vgpr42
; %bb.7:
	s_or_saveexec_b64 s[26:27], s[2:3]
	s_load_dwordx2 s[18:19], s[0:1], 0x0
	s_load_dwordx2 s[24:25], s[0:1], 0x18
	v_mov_b32_e32 v9, 0xff7fffff
	s_mul_i32 s14, s12, s14
	v_lshrrev_b32_e32 v47, 4, v93
	s_xor_b64 exec, exec, s[26:27]
	s_cbranch_execz .LBB35_13
; %bb.8:
	s_load_dwordx2 s[0:1], s[0:1], 0x10
	s_ashr_i32 s15, s14, 31
	s_lshl_b64 s[2:3], s[14:15], 2
	v_bfe_u32 v43, v93, 2, 4
	v_lshlrev_b32_e32 v44, 4, v43
	s_waitcnt lgkmcnt(0)
	s_add_u32 s0, s0, s2
	s_addc_u32 s1, s1, s3
	v_mov_b32_e32 v45, 0
	v_lshl_add_u64 v[2:3], s[0:1], 0, v[44:45]
	v_lshlrev_b32_e32 v44, 2, v103
	scratch_store_dword off, v16, off offset:80 ; 4-byte Folded Spill
	scratch_store_dword off, v94, off offset:72 ; 4-byte Folded Spill
	v_lshl_add_u64 v[0:1], v[2:3], 0, v[44:45]
	v_lshlrev_b32_e32 v62, 8, v103
	scratch_store_dwordx2 off, v[0:1], off offset:4 ; 8-byte Folded Spill
	ds_read_b128 v[0:3], v62
	scratch_store_dword off, v93, off offset:68 ; 4-byte Folded Spill
	s_sub_i32 s15, 1, s33
	s_lshl_b64 s[0:1], s[22:23], 2
	v_lshlrev_b32_e32 v46, 2, v43
	s_waitcnt lgkmcnt(0)
	scratch_store_dwordx4 off, v[0:3], off offset:12 ; 16-byte Folded Spill
	ds_read_b128 v[0:3], v62 offset:16
	s_add_u32 s0, s20, s0
	v_and_b32_e32 v44, 60, v47
	s_addc_u32 s1, s21, s1
	v_lshl_or_b32 v76, v104, 4, v43
	s_waitcnt lgkmcnt(0)
	scratch_store_dwordx4 off, v[0:3], off offset:28 ; 16-byte Folded Spill
	ds_read_b128 v[0:3], v62 offset:32
	v_lshl_add_u64 v[68:69], s[0:1], 0, v[44:45]
	s_mov_b32 s12, s13
	v_cmp_neq_f32_e64 s[2:3], s8, 0
	v_mov_b32_e32 v9, 0xff7fffff
	s_waitcnt lgkmcnt(0)
	scratch_store_dwordx4 off, v[0:3], off offset:44 ; 16-byte Folded Spill
	ds_read_b128 v[14:17], v62 offset:48
	ds_read_b128 v[18:21], v62 offset:64
	;; [unrolled: 1-line block ×7, first 2 shown]
	v_mbcnt_hi_u32_b32 v0, -1, v42
	v_and_b32_e32 v1, 64, v0
	scratch_store_dword off, v1, off offset:92 ; 4-byte Folded Spill
	v_add_u32_e32 v1, 64, v1
	v_xor_b32_e32 v42, 2, v0
	v_cmp_lt_i32_e32 vcc, v42, v1
	scratch_store_dword off, v0, off offset:88 ; 4-byte Folded Spill
	s_mov_b64 s[28:29], 0
	v_cndmask_b32_e32 v42, v0, v42, vcc
	v_lshlrev_b32_e32 v2, 2, v42
	v_xor_b32_e32 v42, 1, v0
	v_cmp_lt_i32_e32 vcc, v42, v1
	scratch_store_dword off, v2, off offset:60 ; 4-byte Folded Spill
	s_movk_i32 s34, 0x1000
	v_cndmask_b32_e32 v42, v0, v42, vcc
	v_lshlrev_b32_e32 v0, 2, v42
	scratch_store_dword off, v0, off offset:64 ; 4-byte Folded Spill
	scratch_store_dword off, v103, off offset:76 ; 4-byte Folded Spill
	v_lshl_or_b32 v42, v104, 6, v46
	scratch_store_dword off, v47, off offset:84 ; 4-byte Folded Spill
	v_add_u32_e32 v77, 0x410, v42
	ds_read_b128 v[42:45], v62 offset:160
	ds_read_b128 v[46:49], v62 offset:176
	;; [unrolled: 1-line block ×6, first 2 shown]
	v_cmp_eq_u32_e32 vcc, 0, v103
	s_movk_i32 s35, 0x2000
	s_movk_i32 s36, 0x3000
	v_mov_b32_e32 v78, v104
	scratch_store_dword off, v104, off offset:96 ; 4-byte Folded Spill
	s_branch .LBB35_10
.LBB35_9:                               ;   in Loop: Header=BB35_10 Depth=1
	s_or_b64 exec, exec, s[30:31]
	v_add_u32_e32 v78, 2, v78
	v_cmp_le_i32_e64 s[0:1], s17, v78
	v_add_u32_e32 v76, 32, v76
	v_add_u32_e32 v77, 0x80, v77
	s_or_b64 s[28:29], s[0:1], s[28:29]
	v_lshl_add_u64 v[68:69], v[68:69], 0, 8
	s_andn2_b64 exec, exec, s[28:29]
	s_cbranch_execz .LBB35_12
.LBB35_10:                              ; =>This Inner Loop Header: Depth=1
	global_load_dword v79, v[68:69], off
	scratch_load_dwordx2 v[0:1], off, off offset:4 ; 8-byte Folded Reload
	s_waitcnt vmcnt(1) lgkmcnt(0)
	v_mad_i64_i32 v[80:81], s[0:1], v79, s12, 0
	s_waitcnt vmcnt(0)
	v_lshl_add_u64 v[80:81], v[80:81], 2, v[0:1]
	v_add_co_u32_e64 v82, s[0:1], s34, v80
	global_load_dword v79, v[80:81], off
	global_load_dword v87, v[80:81], off offset:256
	global_load_dword v89, v[80:81], off offset:512
	;; [unrolled: 1-line block ×15, first 2 shown]
	v_addc_co_u32_e64 v83, s[0:1], 0, v81, s[0:1]
	v_add_co_u32_e64 v84, s[0:1], s35, v80
	s_nop 1
	v_addc_co_u32_e64 v85, s[0:1], 0, v81, s[0:1]
	global_load_dword v106, v[84:85], off offset:-4096
	global_load_dword v107, v[82:83], off offset:256
	global_load_dword v108, v[82:83], off offset:512
	;; [unrolled: 1-line block ×14, first 2 shown]
	s_nop 0
	global_load_dword v82, v[82:83], off offset:3840
	s_nop 0
	global_load_dword v83, v[84:85], off
	global_load_dword v121, v[84:85], off offset:256
	global_load_dword v122, v[84:85], off offset:512
	;; [unrolled: 1-line block ×14, first 2 shown]
	v_add_co_u32_e64 v80, s[0:1], s36, v80
	global_load_dword v84, v[84:85], off offset:3840
	s_nop 0
	v_addc_co_u32_e64 v81, s[0:1], 0, v81, s[0:1]
	s_waitcnt vmcnt(1)
	scratch_store_dword off, v0, off        ; 4-byte Folded Spill
	global_load_dword v85, v[80:81], off
	s_nop 0
	global_load_dword v0, v[80:81], off offset:256
	global_load_dword v70, v[80:81], off offset:512
	;; [unrolled: 1-line block ×15, first 2 shown]
	scratch_load_dwordx4 v[10:13], off, off offset:12 ; 16-byte Folded Reload
	s_waitcnt vmcnt(0)
	v_mul_f32_e32 v8, v11, v87
	v_fmac_f32_e32 v8, v10, v79
	v_fmac_f32_e32 v8, v12, v89
	;; [unrolled: 1-line block ×3, first 2 shown]
	scratch_load_dwordx4 v[10:13], off, off offset:28 ; 16-byte Folded Reload
	s_waitcnt vmcnt(0)
	v_fmac_f32_e32 v8, v10, v91
	v_fmac_f32_e32 v8, v11, v95
	;; [unrolled: 1-line block ×4, first 2 shown]
	scratch_load_dwordx4 v[10:13], off, off offset:44 ; 16-byte Folded Reload
	s_waitcnt vmcnt(0)
	v_fmac_f32_e32 v8, v10, v98
	scratch_load_dword v10, off, off        ; 4-byte Folded Reload
	v_fmac_f32_e32 v8, v11, v99
	v_fmac_f32_e32 v8, v12, v100
	v_fmac_f32_e32 v8, v13, v101
	s_waitcnt lgkmcnt(12)
	v_fmac_f32_e32 v8, v14, v102
	v_fmac_f32_e32 v8, v15, v103
	v_fmac_f32_e32 v8, v16, v104
	v_fmac_f32_e32 v8, v17, v105
	s_waitcnt lgkmcnt(11)
	v_fmac_f32_e32 v8, v18, v106
	v_fmac_f32_e32 v8, v19, v107
	v_fmac_f32_e32 v8, v20, v108
	v_fmac_f32_e32 v8, v21, v109
	s_waitcnt lgkmcnt(10)
	v_fmac_f32_e32 v8, v22, v110
	v_fmac_f32_e32 v8, v23, v111
	v_fmac_f32_e32 v8, v24, v112
	v_fmac_f32_e32 v8, v25, v113
	s_waitcnt lgkmcnt(9)
	v_fmac_f32_e32 v8, v26, v114
	v_fmac_f32_e32 v8, v27, v115
	v_fmac_f32_e32 v8, v28, v116
	v_fmac_f32_e32 v8, v29, v117
	s_waitcnt lgkmcnt(8)
	v_fmac_f32_e32 v8, v30, v118
	v_fmac_f32_e32 v8, v31, v119
	v_fmac_f32_e32 v8, v32, v120
	v_fmac_f32_e32 v8, v33, v82
	s_waitcnt lgkmcnt(7)
	v_fmac_f32_e32 v8, v34, v83
	v_fmac_f32_e32 v8, v35, v121
	v_fmac_f32_e32 v8, v36, v122
	v_fmac_f32_e32 v8, v37, v123
	s_waitcnt lgkmcnt(6)
	v_fmac_f32_e32 v8, v38, v124
	v_fmac_f32_e32 v8, v39, v125
	v_fmac_f32_e32 v8, v40, v126
	v_fmac_f32_e32 v8, v41, v127
	s_waitcnt lgkmcnt(5)
	v_fmac_f32_e32 v8, v42, v88
	v_fmac_f32_e32 v8, v43, v92
	v_fmac_f32_e32 v8, v44, v86
	v_fmac_f32_e32 v8, v45, v93
	s_waitcnt lgkmcnt(4)
	v_fmac_f32_e32 v8, v46, v71
	v_fmac_f32_e32 v8, v47, v72
	s_waitcnt vmcnt(0)
	v_fmac_f32_e32 v8, v48, v10
	v_fmac_f32_e32 v8, v49, v84
	s_waitcnt lgkmcnt(3)
	v_fmac_f32_e32 v8, v50, v85
	v_fmac_f32_e32 v8, v51, v0
	scratch_load_dword v0, off, off offset:60 ; 4-byte Folded Reload
	v_fmac_f32_e32 v8, v52, v70
	v_fmac_f32_e32 v8, v53, v66
	s_waitcnt lgkmcnt(2)
	v_fmac_f32_e32 v8, v54, v67
	v_fmac_f32_e32 v8, v55, v74
	v_fmac_f32_e32 v8, v56, v75
	v_fmac_f32_e32 v8, v57, v73
	s_waitcnt lgkmcnt(1)
	v_fmac_f32_e32 v8, v58, v94
	v_fmac_f32_e32 v8, v59, v1
	;; [unrolled: 5-line block ×3, first 2 shown]
	v_fmac_f32_e32 v8, v64, v6
	v_fmac_f32_e32 v8, v65, v7
	s_waitcnt vmcnt(0)
	ds_bpermute_b32 v0, v0, v8
	s_waitcnt lgkmcnt(0)
	v_add_f32_e32 v79, v8, v0
	scratch_load_dword v0, off, off offset:64 ; 4-byte Folded Reload
	s_waitcnt vmcnt(0)
	ds_bpermute_b32 v80, v0, v79
	s_and_saveexec_b64 s[30:31], vcc
	s_cbranch_execz .LBB35_9
; %bb.11:                               ;   in Loop: Header=BB35_10 Depth=1
	v_add_u32_e32 v0, s15, v76
	v_cvt_f32_i32_e32 v0, v0
	s_waitcnt lgkmcnt(0)
	v_add_f32_e32 v1, v79, v80
	v_max_f32_e32 v2, v9, v9
	v_cmp_gt_i32_e64 s[0:1], s33, v76
	v_mul_f32_e32 v0, s8, v0
	v_cndmask_b32_e64 v0, 0, v0, s[2:3]
	v_fmac_f32_e32 v0, s9, v1
	v_cndmask_b32_e64 v1, 0, v0, s[0:1]
	v_max_f32_e32 v0, v2, v0
	v_cndmask_b32_e64 v9, v9, v0, s[0:1]
	ds_write_b32 v77, v1
	s_branch .LBB35_9
.LBB35_12:
	s_or_b64 exec, exec, s[28:29]
	scratch_load_dword v94, off, off offset:72 ; 4-byte Folded Reload
	scratch_load_dword v93, off, off offset:68 ; 4-byte Folded Reload
	;; [unrolled: 1-line block ×8, first 2 shown]
	s_waitcnt vmcnt(7)
	v_lshlrev_b32_e32 v92, 2, v94
	s_waitcnt vmcnt(0)
	v_add_u32_e32 v13, 64, v10
.LBB35_13:
	s_or_b64 exec, exec, s[26:27]
	v_xor_b32_e32 v2, 32, v12
	v_cmp_lt_i32_e32 vcc, v2, v13
	v_xor_b32_e32 v5, 16, v12
	v_max_f32_e32 v4, v9, v9
	v_cndmask_b32_e32 v2, v12, v2, vcc
	v_lshlrev_b32_e32 v2, 2, v2
	ds_bpermute_b32 v3, v2, v9
	v_cmp_lt_i32_e32 vcc, v5, v13
	v_xor_b32_e32 v6, 8, v12
	v_xor_b32_e32 v7, 4, v12
	v_and_b32_e32 v95, 63, v93
	s_waitcnt lgkmcnt(0)
	v_max_f32_e32 v3, v3, v3
	v_max_f32_e32 v4, v4, v3
	v_cndmask_b32_e32 v3, v12, v5, vcc
	v_lshlrev_b32_e32 v3, 2, v3
	ds_bpermute_b32 v5, v3, v4
	v_cmp_lt_i32_e32 vcc, v6, v13
	s_waitcnt lgkmcnt(0)
	v_max_f32_e32 v5, v5, v5
	v_max_f32_e32 v4, v4, v5
	v_cndmask_b32_e32 v5, v12, v6, vcc
	v_lshlrev_b32_e32 v6, 2, v5
	ds_bpermute_b32 v5, v6, v4
	v_cmp_lt_i32_e32 vcc, v7, v13
	s_waitcnt lgkmcnt(0)
	v_max_f32_e32 v5, v5, v5
	v_max_f32_e32 v5, v4, v5
	v_cndmask_b32_e32 v4, v12, v7, vcc
	v_lshlrev_b32_e32 v7, 2, v4
	ds_bpermute_b32 v8, v7, v5
	v_cmp_eq_u32_e32 vcc, 0, v95
	v_lshlrev_b32_e32 v4, 2, v104
	s_and_saveexec_b64 s[0:1], vcc
	s_cbranch_execz .LBB35_15
; %bb.14:
	s_waitcnt lgkmcnt(0)
	v_max_f32_e32 v0, v8, v8
	v_max_f32_e32 v1, v5, v5
	;; [unrolled: 1-line block ×3, first 2 shown]
	ds_write_b32 v4, v0 offset:1024
.LBB35_15:
	s_or_b64 exec, exec, s[0:1]
	v_cmp_gt_u32_e64 s[0:1], 2, v95
	s_waitcnt lgkmcnt(0)
	v_mov_b32_e32 v8, 0xff7fffff
	v_lshlrev_b32_e32 v5, 2, v95
	s_barrier
	s_and_saveexec_b64 s[2:3], s[0:1]
; %bb.16:
	ds_read_b32 v8, v5 offset:1024
; %bb.17:
	s_or_b64 exec, exec, s[2:3]
	v_xor_b32_e32 v0, 1, v12
	v_cmp_lt_i32_e64 s[2:3], v0, v13
	s_waitcnt lgkmcnt(0)
	v_max_f32_e32 v1, v8, v8
	v_cndmask_b32_e64 v0, v12, v0, s[2:3]
	v_lshlrev_b32_e32 v96, 2, v0
	ds_bpermute_b32 v0, v96, v8
	s_lshl_b32 s2, s17, 4
	s_min_i32 s12, s2, s33
	v_cmp_gt_i32_e64 s[2:3], s12, v93
	v_mov_b32_e32 v8, 0
	s_waitcnt lgkmcnt(0)
	v_max_f32_e32 v0, v0, v0
	v_max_f32_e32 v0, v1, v0
	v_lshlrev_b32_e32 v1, 2, v10
	ds_bpermute_b32 v9, v1, v0
	s_and_saveexec_b64 s[26:27], s[2:3]
	s_cbranch_execz .LBB35_21
; %bb.18:
	v_mov_b32_e32 v0, 0x410
	v_lshl_add_u32 v10, v93, 2, v0
	v_mov_b32_e32 v8, 0
	s_mov_b64 s[28:29], 0
	v_mov_b32_e32 v11, v93
.LBB35_19:                              ; =>This Inner Loop Header: Depth=1
	ds_read_b32 v0, v10
	v_add_u32_e32 v11, 0x80, v11
	v_cmp_le_i32_e64 s[8:9], s12, v11
	s_or_b64 s[28:29], s[8:9], s[28:29]
	s_waitcnt lgkmcnt(0)
	v_sub_f32_e32 v0, v0, v9
	v_mul_f32_e32 v0, 0x3fb8aa3b, v0
	v_exp_f32_e32 v0, v0
	ds_write_b32 v10, v0
	v_add_f32_e32 v8, v8, v0
	v_add_u32_e32 v10, 0x200, v10
	s_andn2_b64 exec, exec, s[28:29]
	s_cbranch_execnz .LBB35_19
; %bb.20:
	s_or_b64 exec, exec, s[28:29]
.LBB35_21:
	s_or_b64 exec, exec, s[26:27]
	ds_bpermute_b32 v0, v2, v8
	v_xor_b32_e32 v2, 2, v12
	v_cmp_lt_i32_e64 s[8:9], v2, v13
	s_waitcnt lgkmcnt(0)
	v_add_f32_e32 v0, v8, v0
	ds_bpermute_b32 v1, v3, v0
	v_cndmask_b32_e64 v2, v12, v2, s[8:9]
	v_lshlrev_b32_e32 v97, 2, v2
	s_waitcnt lgkmcnt(0)
	v_add_f32_e32 v0, v0, v1
	ds_bpermute_b32 v1, v6, v0
	s_waitcnt lgkmcnt(0)
	v_add_f32_e32 v0, v0, v1
	ds_bpermute_b32 v1, v7, v0
	;; [unrolled: 3-line block ×4, first 2 shown]
	s_waitcnt lgkmcnt(0)
	v_add_f32_e32 v2, v0, v1
	s_and_saveexec_b64 s[8:9], vcc
; %bb.22:
	ds_write_b32 v4, v2 offset:1032
; %bb.23:
	s_or_b64 exec, exec, s[8:9]
	s_waitcnt lgkmcnt(0)
	s_barrier
	s_and_saveexec_b64 s[8:9], s[0:1]
; %bb.24:
	ds_read_b32 v2, v5 offset:1032
; %bb.25:
	s_or_b64 exec, exec, s[8:9]
	s_waitcnt lgkmcnt(0)
	ds_bpermute_b32 v0, v96, v2
	v_lshlrev_b32_e32 v1, 2, v12
	v_and_b32_e32 v1, 0xffffff00, v1
	s_waitcnt lgkmcnt(0)
	v_add_f32_e32 v0, v2, v0
	ds_bpermute_b32 v2, v1, v0
	s_and_saveexec_b64 s[0:1], s[2:3]
	s_cbranch_execz .LBB35_38
; %bb.26:
	s_waitcnt lgkmcnt(0)
	v_add_f32_e32 v0, 0x358637bd, v2
	v_div_scale_f32 v1, s[2:3], v0, v0, 1.0
	v_rcp_f32_e32 v2, v1
	v_div_scale_f32 v3, vcc, 1.0, v0, 1.0
	s_movk_i32 s2, 0x7f
	v_fma_f32 v4, -v1, v2, 1.0
	v_fmac_f32_e32 v2, v4, v2
	v_mul_f32_e32 v4, v3, v2
	v_fma_f32 v5, -v1, v4, v3
	v_fmac_f32_e32 v4, v5, v2
	v_fma_f32 v1, -v1, v4, v3
	v_div_fmas_f32 v1, v1, v2, v4
	v_xad_u32 v4, v93, -1, s12
	v_div_fixup_f32 v2, v1, v0, 1.0
	v_cmp_lt_u32_e32 vcc, s2, v4
	s_mov_b64 s[8:9], -1
	v_mov_b32_e32 v3, v93
	s_and_saveexec_b64 s[2:3], vcc
	s_cbranch_execz .LBB35_35
; %bb.27:
	v_lshrrev_b32_e32 v4, 7, v4
	v_add_u32_e32 v0, -1, v4
	v_lshrrev_b32_e32 v1, 1, v0
	v_mov_b32_e32 v3, v2
	v_add_u32_e32 v5, 1, v1
	v_cmp_lt_u32_e32 vcc, 13, v0
	v_mov_b32_e32 v8, 0
	s_and_saveexec_b64 s[8:9], vcc
	s_cbranch_execz .LBB35_31
; %bb.28:
	v_mov_b32_e32 v0, 0x410
	v_and_b32_e32 v6, -8, v5
	v_lshl_add_u32 v7, v93, 2, v0
	s_mov_b32 s15, 0
	s_mov_b64 s[26:27], 0
.LBB35_29:                              ; =>This Inner Loop Header: Depth=1
	ds_read2st64_b32 v[8:9], v7 offset1:2
	ds_read2st64_b32 v[10:11], v7 offset0:4 offset1:6
	ds_read2st64_b32 v[12:13], v7 offset0:8 offset1:10
	;; [unrolled: 1-line block ×3, first 2 shown]
	v_add_u32_e32 v6, -8, v6
	s_waitcnt lgkmcnt(3)
	v_pk_mul_f32 v[8:9], v[2:3], v[8:9]
	s_waitcnt lgkmcnt(2)
	v_pk_mul_f32 v[10:11], v[2:3], v[10:11]
	ds_write2st64_b32 v7, v8, v9 offset1:2
	ds_write2st64_b32 v7, v10, v11 offset0:4 offset1:6
	ds_read2st64_b32 v[10:11], v7 offset0:16 offset1:18
	s_waitcnt lgkmcnt(4)
	v_pk_mul_f32 v[8:9], v[2:3], v[12:13]
	ds_write2st64_b32 v7, v8, v9 offset0:8 offset1:10
	s_waitcnt lgkmcnt(4)
	v_pk_mul_f32 v[8:9], v[2:3], v[14:15]
	ds_write2st64_b32 v7, v8, v9 offset0:12 offset1:14
	ds_read2st64_b32 v[8:9], v7 offset0:20 offset1:22
	s_waitcnt lgkmcnt(3)
	v_pk_mul_f32 v[10:11], v[2:3], v[10:11]
	ds_read2st64_b32 v[12:13], v7 offset0:24 offset1:26
	ds_write2st64_b32 v7, v10, v11 offset0:16 offset1:18
	ds_read2st64_b32 v[10:11], v7 offset0:28 offset1:30
	s_waitcnt lgkmcnt(3)
	v_pk_mul_f32 v[8:9], v[2:3], v[8:9]
	ds_write2st64_b32 v7, v8, v9 offset0:20 offset1:22
	s_waitcnt lgkmcnt(3)
	v_pk_mul_f32 v[8:9], v[2:3], v[12:13]
	ds_write2st64_b32 v7, v8, v9 offset0:24 offset1:26
	s_waitcnt lgkmcnt(2)
	v_pk_mul_f32 v[8:9], v[2:3], v[10:11]
	s_add_i32 s15, s15, 16
	v_cmp_eq_u32_e32 vcc, 0, v6
	ds_write2st64_b32 v7, v8, v9 offset0:28 offset1:30
	v_add_u32_e32 v7, 0x2000, v7
	s_or_b64 s[26:27], vcc, s[26:27]
	v_mov_b32_e32 v8, s15
	s_andn2_b64 exec, exec, s[26:27]
	s_cbranch_execnz .LBB35_29
; %bb.30:
	s_or_b64 exec, exec, s[26:27]
.LBB35_31:
	s_or_b64 exec, exec, s[8:9]
	v_and_b32_e32 v5, 7, v5
	v_cmp_ne_u32_e32 vcc, 0, v5
	s_and_saveexec_b64 s[8:9], vcc
	s_cbranch_execz .LBB35_34
; %bb.32:
	v_lshlrev_b32_e32 v0, 9, v8
	s_movk_i32 s15, 0x410
	v_add3_u32 v6, v0, v16, s15
	s_mov_b64 s[26:27], 0
.LBB35_33:                              ; =>This Inner Loop Header: Depth=1
	ds_read2st64_b32 v[8:9], v6 offset1:2
	v_add_u32_e32 v5, -1, v5
	v_cmp_eq_u32_e32 vcc, 0, v5
	s_or_b64 s[26:27], vcc, s[26:27]
	s_waitcnt lgkmcnt(0)
	v_pk_mul_f32 v[8:9], v[2:3], v[8:9]
	ds_write2st64_b32 v6, v8, v9 offset1:2
	v_add_u32_e32 v6, 0x400, v6
	s_andn2_b64 exec, exec, s[26:27]
	s_cbranch_execnz .LBB35_33
.LBB35_34:
	s_or_b64 exec, exec, s[8:9]
	v_add_u32_e32 v0, 1, v4
	v_and_b32_e32 v1, 0x3fffffe, v0
	v_cmp_ne_u32_e32 vcc, v0, v1
	v_lshl_add_u32 v3, v1, 7, v93
	s_orn2_b64 s[8:9], vcc, exec
.LBB35_35:
	s_or_b64 exec, exec, s[2:3]
	s_and_b64 exec, exec, s[8:9]
	s_cbranch_execz .LBB35_38
; %bb.36:
	v_mov_b32_e32 v0, 0x410
	v_lshl_add_u32 v4, v3, 2, v0
	s_mov_b64 s[2:3], 0
.LBB35_37:                              ; =>This Inner Loop Header: Depth=1
	ds_read_b32 v0, v4
	v_add_u32_e32 v3, 0x80, v3
	v_cmp_le_i32_e32 vcc, s12, v3
	s_or_b64 s[2:3], vcc, s[2:3]
	s_waitcnt lgkmcnt(0)
	v_mul_f32_e32 v0, v2, v0
	ds_write_b32 v4, v0
	v_add_u32_e32 v4, 0x200, v4
	s_andn2_b64 exec, exec, s[2:3]
	s_cbranch_execnz .LBB35_37
.LBB35_38:
	s_or_b64 exec, exec, s[0:1]
	v_mov_b32_e32 v71, 0
	v_mov_b32_e32 v70, 0
	v_mov_b32_e32 v73, 0
	v_mov_b32_e32 v72, 0
	v_mov_b32_e32 v75, 0
	v_mov_b32_e32 v74, 0
	v_mov_b32_e32 v77, 0
	v_mov_b32_e32 v76, 0
	v_mov_b32_e32 v79, 0
	v_mov_b32_e32 v78, 0
	v_mov_b32_e32 v81, 0
	v_mov_b32_e32 v80, 0
	v_mov_b32_e32 v83, 0
	v_mov_b32_e32 v82, 0
	v_mov_b32_e32 v85, 0
	v_mov_b32_e32 v84, 0
	s_waitcnt lgkmcnt(0)
	s_barrier
	s_and_saveexec_b64 s[2:3], s[6:7]
	s_cbranch_execz .LBB35_74
; %bb.39:
	s_ashr_i32 s15, s14, 31
	s_lshl_b64 s[0:1], s[14:15], 2
	s_add_u32 s6, s24, s0
	v_and_b32_e32 v0, 12, v16
	s_addc_u32 s7, s25, s1
	s_add_i32 s14, s17, -1
	s_lshl_b64 s[0:1], s[22:23], 2
	v_lshl_or_b32 v98, v104, 4, v0
	v_lshlrev_b32_e32 v0, 4, v103
	s_add_u32 s0, s20, s0
	v_and_b32_e32 v2, 0xfc, v16
	v_mov_b32_e32 v87, 0
	v_or_b32_e32 v4, 0xf00, v16
	v_lshl_or_b32 v0, v104, 6, v0
	v_and_b32_e32 v86, 60, v47
	s_addc_u32 s1, s21, s1
	s_mov_b32 s26, s13
	s_mov_b32 s15, s33
	v_add_u32_e32 v99, 0x410, v0
	v_lshl_add_u64 v[88:89], s[0:1], 0, v[86:87]
	s_mov_b64 s[8:9], 0
	v_lshlrev_b32_e32 v90, 2, v2
	v_mov_b32_e32 v91, v87
	v_lshlrev_b32_e32 v86, 2, v4
	v_mov_b32_e32 v71, v87
	v_mov_b32_e32 v70, v87
	;; [unrolled: 1-line block ×16, first 2 shown]
	s_branch .LBB35_41
.LBB35_40:                              ;   in Loop: Header=BB35_41 Depth=1
	s_or_b64 exec, exec, s[12:13]
	s_waitcnt vmcnt(1) lgkmcnt(0)
	v_mul_f32_e32 v0, v2, v66
	v_fmac_f32_e32 v0, v3, v67
	v_fmac_f32_e32 v0, v4, v68
	v_fmac_f32_e32 v0, v5, v69
	v_add_f32_e32 v70, v70, v0
	v_mul_f32_e32 v0, v2, v62
	v_fmac_f32_e32 v0, v3, v63
	v_fmac_f32_e32 v0, v4, v64
	v_fmac_f32_e32 v0, v5, v65
	v_add_f32_e32 v73, v73, v0
	;; [unrolled: 5-line block ×14, first 2 shown]
	v_mul_f32_e32 v0, v2, v6
	v_fmac_f32_e32 v0, v3, v7
	v_fmac_f32_e32 v0, v4, v8
	;; [unrolled: 1-line block ×3, first 2 shown]
	s_waitcnt vmcnt(0)
	v_pk_mul_f32 v[2:3], v[2:3], v[58:59]
	v_add_f32_e32 v84, v84, v0
	v_pk_mul_f32 v[4:5], v[4:5], v[60:61]
	v_add_f32_e32 v0, v3, v2
	v_add_f32_e32 v0, v4, v0
	v_add_u32_e32 v104, 2, v104
	v_add_f32_e32 v0, v5, v0
	v_cmp_le_i32_e32 vcc, s17, v104
	v_add_f32_e32 v71, v71, v0
	v_add_u32_e32 v98, 32, v98
	v_add_u32_e32 v99, 0x80, v99
	s_or_b64 s[8:9], vcc, s[8:9]
	v_lshl_add_u64 v[88:89], v[88:89], 0, 8
	s_andn2_b64 exec, exec, s[8:9]
	s_cbranch_execz .LBB35_73
.LBB35_41:                              ; =>This Inner Loop Header: Depth=1
	global_load_dword v0, v[88:89], off
	v_add_u32_e32 v102, 1, v98
	v_or_b32_e32 v101, 3, v98
	v_or_b32_e32 v100, 2, v98
	s_waitcnt vmcnt(0)
	v_mad_i64_i32 v[2:3], s[0:1], v0, s26, 0
	v_lshl_add_u64 v[58:59], v[2:3], 2, s[6:7]
	v_lshl_add_u64 v[60:61], v[58:59], 0, v[90:91]
	global_load_dwordx4 v[6:9], v[60:61], off
	ds_read_b128 v[2:5], v99
	v_cmp_eq_u32_e64 s[0:1], s14, v104
	s_and_saveexec_b64 s[12:13], s[0:1]
	s_cbranch_execnz .LBB35_70
; %bb.42:                               ;   in Loop: Header=BB35_41 Depth=1
	s_or_b64 exec, exec, s[12:13]
	global_load_dwordx4 v[10:13], v[60:61], off offset:1024
	s_and_saveexec_b64 s[12:13], s[0:1]
	s_cbranch_execnz .LBB35_71
.LBB35_43:                              ;   in Loop: Header=BB35_41 Depth=1
	s_or_b64 exec, exec, s[12:13]
	global_load_dwordx4 v[14:17], v[60:61], off offset:2048
	s_and_saveexec_b64 s[12:13], s[0:1]
	s_cbranch_execnz .LBB35_72
.LBB35_44:                              ;   in Loop: Header=BB35_41 Depth=1
	s_or_b64 exec, exec, s[12:13]
	global_load_dwordx4 v[18:21], v[60:61], off offset:3072
	s_and_saveexec_b64 s[12:13], s[0:1]
	s_cbranch_execz .LBB35_46
.LBB35_45:                              ;   in Loop: Header=BB35_41 Depth=1
	v_cmp_gt_i32_e32 vcc, s15, v102
	s_waitcnt vmcnt(0)
	s_nop 0
	v_cndmask_b32_e32 v19, 0, v19, vcc
	v_cmp_gt_i32_e32 vcc, s33, v98
	s_nop 1
	v_cndmask_b32_e32 v18, 0, v18, vcc
	v_cmp_gt_i32_e32 vcc, s15, v101
	;; [unrolled: 3-line block ×3, first 2 shown]
	s_nop 1
	v_cndmask_b32_e32 v20, 0, v20, vcc
.LBB35_46:                              ;   in Loop: Header=BB35_41 Depth=1
	s_or_b64 exec, exec, s[12:13]
	v_add_co_u32_e32 v22, vcc, 0x1000, v60
	s_nop 1
	v_addc_co_u32_e32 v23, vcc, 0, v61, vcc
	global_load_dwordx4 v[22:25], v[22:23], off
	s_and_saveexec_b64 s[12:13], s[0:1]
	s_cbranch_execz .LBB35_48
; %bb.47:                               ;   in Loop: Header=BB35_41 Depth=1
	v_cmp_gt_i32_e32 vcc, s15, v102
	s_waitcnt vmcnt(0)
	s_nop 0
	v_cndmask_b32_e32 v23, 0, v23, vcc
	v_cmp_gt_i32_e32 vcc, s33, v98
	s_nop 1
	v_cndmask_b32_e32 v22, 0, v22, vcc
	v_cmp_gt_i32_e32 vcc, s15, v101
	s_nop 1
	v_cndmask_b32_e32 v25, 0, v25, vcc
	v_cmp_gt_i32_e32 vcc, s33, v100
	s_nop 1
	v_cndmask_b32_e32 v24, 0, v24, vcc
.LBB35_48:                              ;   in Loop: Header=BB35_41 Depth=1
	s_or_b64 exec, exec, s[12:13]
	v_add_co_u32_e32 v26, vcc, 0x1000, v60
	s_nop 1
	v_addc_co_u32_e32 v27, vcc, 0, v61, vcc
	global_load_dwordx4 v[26:29], v[26:27], off offset:1024
	s_and_saveexec_b64 s[12:13], s[0:1]
	s_cbranch_execz .LBB35_50
; %bb.49:                               ;   in Loop: Header=BB35_41 Depth=1
	v_cmp_gt_i32_e32 vcc, s15, v102
	s_waitcnt vmcnt(0)
	s_nop 0
	v_cndmask_b32_e32 v27, 0, v27, vcc
	v_cmp_gt_i32_e32 vcc, s33, v98
	s_nop 1
	v_cndmask_b32_e32 v26, 0, v26, vcc
	v_cmp_gt_i32_e32 vcc, s15, v101
	s_nop 1
	v_cndmask_b32_e32 v29, 0, v29, vcc
	v_cmp_gt_i32_e32 vcc, s33, v100
	s_nop 1
	v_cndmask_b32_e32 v28, 0, v28, vcc
.LBB35_50:                              ;   in Loop: Header=BB35_41 Depth=1
	s_or_b64 exec, exec, s[12:13]
	v_add_co_u32_e32 v30, vcc, 0x1000, v60
	s_nop 1
	v_addc_co_u32_e32 v31, vcc, 0, v61, vcc
	global_load_dwordx4 v[30:33], v[30:31], off offset:2048
	;; [unrolled: 22-line block ×3, first 2 shown]
	s_and_saveexec_b64 s[12:13], s[0:1]
	s_cbranch_execz .LBB35_54
; %bb.53:                               ;   in Loop: Header=BB35_41 Depth=1
	v_cmp_gt_i32_e32 vcc, s15, v102
	s_waitcnt vmcnt(0)
	s_nop 0
	v_cndmask_b32_e32 v35, 0, v35, vcc
	v_cmp_gt_i32_e32 vcc, s33, v98
	s_nop 1
	v_cndmask_b32_e32 v34, 0, v34, vcc
	v_cmp_gt_i32_e32 vcc, s15, v101
	;; [unrolled: 3-line block ×3, first 2 shown]
	s_nop 1
	v_cndmask_b32_e32 v36, 0, v36, vcc
.LBB35_54:                              ;   in Loop: Header=BB35_41 Depth=1
	s_or_b64 exec, exec, s[12:13]
	v_add_co_u32_e32 v38, vcc, 0x2000, v60
	s_nop 1
	v_addc_co_u32_e32 v39, vcc, 0, v61, vcc
	global_load_dwordx4 v[38:41], v[38:39], off
	s_and_saveexec_b64 s[12:13], s[0:1]
	s_cbranch_execz .LBB35_56
; %bb.55:                               ;   in Loop: Header=BB35_41 Depth=1
	v_cmp_gt_i32_e32 vcc, s15, v102
	s_waitcnt vmcnt(0)
	s_nop 0
	v_cndmask_b32_e32 v39, 0, v39, vcc
	v_cmp_gt_i32_e32 vcc, s33, v98
	s_nop 1
	v_cndmask_b32_e32 v38, 0, v38, vcc
	v_cmp_gt_i32_e32 vcc, s15, v101
	s_nop 1
	v_cndmask_b32_e32 v41, 0, v41, vcc
	v_cmp_gt_i32_e32 vcc, s33, v100
	s_nop 1
	v_cndmask_b32_e32 v40, 0, v40, vcc
.LBB35_56:                              ;   in Loop: Header=BB35_41 Depth=1
	s_or_b64 exec, exec, s[12:13]
	v_add_co_u32_e32 v42, vcc, 0x2000, v60
	s_nop 1
	v_addc_co_u32_e32 v43, vcc, 0, v61, vcc
	global_load_dwordx4 v[42:45], v[42:43], off offset:1024
	s_and_saveexec_b64 s[12:13], s[0:1]
	s_cbranch_execz .LBB35_58
; %bb.57:                               ;   in Loop: Header=BB35_41 Depth=1
	v_cmp_gt_i32_e32 vcc, s15, v102
	s_waitcnt vmcnt(0)
	s_nop 0
	v_cndmask_b32_e32 v43, 0, v43, vcc
	v_cmp_gt_i32_e32 vcc, s33, v98
	s_nop 1
	v_cndmask_b32_e32 v42, 0, v42, vcc
	v_cmp_gt_i32_e32 vcc, s15, v101
	s_nop 1
	v_cndmask_b32_e32 v45, 0, v45, vcc
	v_cmp_gt_i32_e32 vcc, s33, v100
	s_nop 1
	v_cndmask_b32_e32 v44, 0, v44, vcc
.LBB35_58:                              ;   in Loop: Header=BB35_41 Depth=1
	s_or_b64 exec, exec, s[12:13]
	v_add_co_u32_e32 v46, vcc, 0x2000, v60
	s_nop 1
	v_addc_co_u32_e32 v47, vcc, 0, v61, vcc
	global_load_dwordx4 v[46:49], v[46:47], off offset:2048
	;; [unrolled: 22-line block ×3, first 2 shown]
	s_and_saveexec_b64 s[12:13], s[0:1]
	s_cbranch_execz .LBB35_62
; %bb.61:                               ;   in Loop: Header=BB35_41 Depth=1
	v_cmp_gt_i32_e32 vcc, s15, v102
	s_waitcnt vmcnt(0)
	s_nop 0
	v_cndmask_b32_e32 v51, 0, v51, vcc
	v_cmp_gt_i32_e32 vcc, s33, v98
	s_nop 1
	v_cndmask_b32_e32 v50, 0, v50, vcc
	v_cmp_gt_i32_e32 vcc, s15, v101
	;; [unrolled: 3-line block ×3, first 2 shown]
	s_nop 1
	v_cndmask_b32_e32 v52, 0, v52, vcc
.LBB35_62:                              ;   in Loop: Header=BB35_41 Depth=1
	s_or_b64 exec, exec, s[12:13]
	v_add_co_u32_e32 v54, vcc, 0x3000, v60
	s_nop 1
	v_addc_co_u32_e32 v55, vcc, 0, v61, vcc
	global_load_dwordx4 v[54:57], v[54:55], off
	s_and_saveexec_b64 s[12:13], s[0:1]
	s_cbranch_execz .LBB35_64
; %bb.63:                               ;   in Loop: Header=BB35_41 Depth=1
	v_cmp_gt_i32_e32 vcc, s15, v102
	s_waitcnt vmcnt(0)
	s_nop 0
	v_cndmask_b32_e32 v55, 0, v55, vcc
	v_cmp_gt_i32_e32 vcc, s33, v98
	s_nop 1
	v_cndmask_b32_e32 v54, 0, v54, vcc
	v_cmp_gt_i32_e32 vcc, s15, v101
	;; [unrolled: 3-line block ×3, first 2 shown]
	s_nop 1
	v_cndmask_b32_e32 v56, 0, v56, vcc
.LBB35_64:                              ;   in Loop: Header=BB35_41 Depth=1
	s_or_b64 exec, exec, s[12:13]
	v_add_co_u32_e32 v62, vcc, 0x3000, v60
	s_nop 1
	v_addc_co_u32_e32 v63, vcc, 0, v61, vcc
	global_load_dwordx4 v[62:65], v[62:63], off offset:1024
	s_and_saveexec_b64 s[12:13], s[0:1]
	s_cbranch_execz .LBB35_66
; %bb.65:                               ;   in Loop: Header=BB35_41 Depth=1
	v_cmp_gt_i32_e32 vcc, s15, v102
	s_waitcnt vmcnt(0)
	s_nop 0
	v_cndmask_b32_e32 v63, 0, v63, vcc
	v_cmp_gt_i32_e32 vcc, s33, v98
	s_nop 1
	v_cndmask_b32_e32 v62, 0, v62, vcc
	v_cmp_gt_i32_e32 vcc, s15, v101
	;; [unrolled: 3-line block ×3, first 2 shown]
	s_nop 1
	v_cndmask_b32_e32 v64, 0, v64, vcc
.LBB35_66:                              ;   in Loop: Header=BB35_41 Depth=1
	s_or_b64 exec, exec, s[12:13]
	v_add_co_u32_e32 v60, vcc, 0x3000, v60
	s_nop 1
	v_addc_co_u32_e32 v61, vcc, 0, v61, vcc
	global_load_dwordx4 v[66:69], v[60:61], off offset:2048
	s_and_saveexec_b64 s[12:13], s[0:1]
	s_cbranch_execz .LBB35_68
; %bb.67:                               ;   in Loop: Header=BB35_41 Depth=1
	v_cmp_gt_i32_e32 vcc, s15, v102
	s_waitcnt vmcnt(0)
	s_nop 0
	v_cndmask_b32_e32 v67, 0, v67, vcc
	v_cmp_gt_i32_e32 vcc, s33, v98
	s_nop 1
	v_cndmask_b32_e32 v66, 0, v66, vcc
	v_cmp_gt_i32_e32 vcc, s15, v101
	s_nop 1
	v_cndmask_b32_e32 v69, 0, v69, vcc
	v_cmp_gt_i32_e32 vcc, s33, v100
	s_nop 1
	v_cndmask_b32_e32 v68, 0, v68, vcc
.LBB35_68:                              ;   in Loop: Header=BB35_41 Depth=1
	s_or_b64 exec, exec, s[12:13]
	v_lshl_add_u64 v[58:59], v[58:59], 0, v[86:87]
	global_load_dwordx4 v[58:61], v[58:59], off
	s_and_saveexec_b64 s[12:13], s[0:1]
	s_cbranch_execz .LBB35_40
; %bb.69:                               ;   in Loop: Header=BB35_41 Depth=1
	v_cmp_gt_i32_e32 vcc, s15, v102
	s_waitcnt vmcnt(0)
	s_nop 0
	v_cndmask_b32_e32 v59, 0, v59, vcc
	v_cmp_gt_i32_e32 vcc, s33, v98
	s_nop 1
	v_cndmask_b32_e32 v58, 0, v58, vcc
	v_cmp_gt_i32_e32 vcc, s15, v101
	;; [unrolled: 3-line block ×3, first 2 shown]
	s_nop 1
	v_cndmask_b32_e32 v60, 0, v60, vcc
	s_branch .LBB35_40
.LBB35_70:                              ;   in Loop: Header=BB35_41 Depth=1
	v_cmp_gt_i32_e32 vcc, s15, v102
	s_waitcnt vmcnt(0)
	s_nop 0
	v_cndmask_b32_e32 v7, 0, v7, vcc
	v_cmp_gt_i32_e32 vcc, s33, v98
	s_nop 1
	v_cndmask_b32_e32 v6, 0, v6, vcc
	v_cmp_gt_i32_e32 vcc, s15, v101
	;; [unrolled: 3-line block ×3, first 2 shown]
	s_nop 1
	v_cndmask_b32_e32 v8, 0, v8, vcc
	s_or_b64 exec, exec, s[12:13]
	global_load_dwordx4 v[10:13], v[60:61], off offset:1024
	s_and_saveexec_b64 s[12:13], s[0:1]
	s_cbranch_execz .LBB35_43
.LBB35_71:                              ;   in Loop: Header=BB35_41 Depth=1
	v_cmp_gt_i32_e32 vcc, s15, v102
	s_waitcnt vmcnt(0)
	s_nop 0
	v_cndmask_b32_e32 v11, 0, v11, vcc
	v_cmp_gt_i32_e32 vcc, s33, v98
	s_nop 1
	v_cndmask_b32_e32 v10, 0, v10, vcc
	v_cmp_gt_i32_e32 vcc, s15, v101
	;; [unrolled: 3-line block ×3, first 2 shown]
	s_nop 1
	v_cndmask_b32_e32 v12, 0, v12, vcc
	s_or_b64 exec, exec, s[12:13]
	global_load_dwordx4 v[14:17], v[60:61], off offset:2048
	s_and_saveexec_b64 s[12:13], s[0:1]
	s_cbranch_execz .LBB35_44
.LBB35_72:                              ;   in Loop: Header=BB35_41 Depth=1
	v_cmp_gt_i32_e32 vcc, s15, v102
	s_waitcnt vmcnt(0)
	s_nop 0
	v_cndmask_b32_e32 v15, 0, v15, vcc
	v_cmp_gt_i32_e32 vcc, s33, v98
	s_nop 1
	v_cndmask_b32_e32 v14, 0, v14, vcc
	v_cmp_gt_i32_e32 vcc, s15, v101
	;; [unrolled: 3-line block ×3, first 2 shown]
	s_nop 1
	v_cndmask_b32_e32 v16, 0, v16, vcc
	s_or_b64 exec, exec, s[12:13]
	global_load_dwordx4 v[18:21], v[60:61], off offset:3072
	s_and_saveexec_b64 s[12:13], s[0:1]
	s_cbranch_execnz .LBB35_45
	s_branch .LBB35_46
.LBB35_73:
	s_or_b64 exec, exec, s[8:9]
.LBB35_74:
	s_or_b64 exec, exec, s[2:3]
	ds_bpermute_b32 v2, v97, v84
	ds_bpermute_b32 v3, v97, v85
	;; [unrolled: 1-line block ×6, first 2 shown]
	s_waitcnt lgkmcnt(4)
	v_pk_add_f32 v[2:3], v[84:85], v[2:3]
	ds_bpermute_b32 v6, v96, v2
	ds_bpermute_b32 v7, v96, v3
	s_waitcnt lgkmcnt(4)
	v_pk_add_f32 v[4:5], v[82:83], v[4:5]
	ds_bpermute_b32 v10, v96, v4
	ds_bpermute_b32 v11, v96, v5
	;; [unrolled: 1-line block ×3, first 2 shown]
	s_waitcnt lgkmcnt(3)
	v_pk_add_f32 v[2:3], v[2:3], v[6:7]
	v_pk_add_f32 v[6:7], v[80:81], v[8:9]
	ds_bpermute_b32 v8, v96, v6
	ds_bpermute_b32 v9, v96, v7
	;; [unrolled: 1-line block ×3, first 2 shown]
	s_waitcnt lgkmcnt(4)
	v_pk_add_f32 v[4:5], v[4:5], v[10:11]
	ds_bpermute_b32 v10, v97, v76
	ds_bpermute_b32 v11, v97, v77
	;; [unrolled: 1-line block ×6, first 2 shown]
	s_waitcnt lgkmcnt(7)
	v_pk_add_f32 v[6:7], v[6:7], v[8:9]
	s_waitcnt lgkmcnt(6)
	v_pk_add_f32 v[8:9], v[78:79], v[12:13]
	;; [unrolled: 2-line block ×3, first 2 shown]
	ds_bpermute_b32 v12, v96, v8
	ds_bpermute_b32 v13, v96, v9
	ds_bpermute_b32 v16, v96, v10
	ds_bpermute_b32 v17, v96, v11
	s_waitcnt lgkmcnt(6)
	v_pk_add_f32 v[18:19], v[72:73], v[18:19]
	ds_bpermute_b32 v26, v97, v70
	ds_bpermute_b32 v27, v97, v71
	;; [unrolled: 1-line block ×4, first 2 shown]
	s_waitcnt lgkmcnt(8)
	v_pk_add_f32 v[20:21], v[74:75], v[14:15]
	ds_bpermute_b32 v22, v96, v20
	ds_bpermute_b32 v23, v96, v21
	s_waitcnt lgkmcnt(8)
	v_pk_add_f32 v[14:15], v[8:9], v[12:13]
	s_waitcnt lgkmcnt(6)
	v_pk_add_f32 v[12:13], v[10:11], v[16:17]
	;; [unrolled: 2-line block ×4, first 2 shown]
	ds_bpermute_b32 v18, v96, v16
	ds_bpermute_b32 v19, v96, v17
	s_waitcnt lgkmcnt(2)
	v_pk_add_f32 v[10:11], v[20:21], v[22:23]
	v_and_b32_e32 v20, 0x3c3, v93
	v_cmp_ne_u32_e32 vcc, 64, v20
	s_waitcnt lgkmcnt(0)
	s_barrier
	s_and_saveexec_b64 s[0:1], vcc
	s_xor_b64 s[0:1], exec, s[0:1]
; %bb.75:
                                        ; implicit-def: $vgpr95
; %bb.76:
	s_or_saveexec_b64 s[0:1], s[0:1]
	v_pk_add_f32 v[16:17], v[16:17], v[18:19]
	s_xor_b64 exec, exec, s[0:1]
	s_cbranch_execz .LBB35_78
; %bb.77:
	v_add_u32_e32 v0, 0x410, v95
	ds_write2_b32 v0, v2, v3 offset1:16
	ds_write2_b32 v0, v4, v5 offset0:32 offset1:48
	ds_write2_b32 v0, v6, v7 offset0:64 offset1:80
	;; [unrolled: 1-line block ×7, first 2 shown]
.LBB35_78:
	s_or_b64 exec, exec, s[0:1]
	v_cmp_gt_u32_e32 vcc, 64, v93
	s_waitcnt lgkmcnt(0)
	s_barrier
	s_and_saveexec_b64 s[0:1], vcc
	s_cbranch_execz .LBB35_97
; %bb.79:
	v_mov_b32_e32 v0, 0x410
	v_cmp_eq_u32_e32 vcc, 0, v103
	v_lshl_add_u32 v0, v94, 2, v0
	s_and_saveexec_b64 s[2:3], vcc
	s_cbranch_execnz .LBB35_100
; %bb.80:
	s_or_b64 exec, exec, s[2:3]
	s_and_saveexec_b64 s[2:3], vcc
	s_cbranch_execnz .LBB35_101
.LBB35_81:
	s_or_b64 exec, exec, s[2:3]
	s_and_saveexec_b64 s[2:3], vcc
	s_cbranch_execnz .LBB35_102
.LBB35_82:
	s_or_b64 exec, exec, s[2:3]
	s_and_saveexec_b64 s[2:3], vcc
	s_cbranch_execnz .LBB35_103
.LBB35_83:
	s_or_b64 exec, exec, s[2:3]
	s_and_saveexec_b64 s[2:3], vcc
	s_cbranch_execnz .LBB35_104
.LBB35_84:
	s_or_b64 exec, exec, s[2:3]
	s_and_saveexec_b64 s[2:3], vcc
	s_cbranch_execnz .LBB35_105
.LBB35_85:
	s_or_b64 exec, exec, s[2:3]
	s_and_saveexec_b64 s[2:3], vcc
	s_cbranch_execnz .LBB35_106
.LBB35_86:
	s_or_b64 exec, exec, s[2:3]
	s_and_saveexec_b64 s[2:3], vcc
	s_cbranch_execnz .LBB35_107
.LBB35_87:
	s_or_b64 exec, exec, s[2:3]
	s_and_saveexec_b64 s[2:3], vcc
	s_cbranch_execnz .LBB35_108
.LBB35_88:
	s_or_b64 exec, exec, s[2:3]
	s_and_saveexec_b64 s[2:3], vcc
	s_cbranch_execnz .LBB35_109
.LBB35_89:
	s_or_b64 exec, exec, s[2:3]
	s_and_saveexec_b64 s[2:3], vcc
	s_cbranch_execnz .LBB35_110
.LBB35_90:
	s_or_b64 exec, exec, s[2:3]
	s_and_saveexec_b64 s[2:3], vcc
	s_cbranch_execnz .LBB35_111
.LBB35_91:
	s_or_b64 exec, exec, s[2:3]
	s_and_saveexec_b64 s[2:3], vcc
	s_cbranch_execnz .LBB35_112
.LBB35_92:
	s_or_b64 exec, exec, s[2:3]
	s_and_saveexec_b64 s[2:3], vcc
	s_cbranch_execnz .LBB35_113
.LBB35_93:
	s_or_b64 exec, exec, s[2:3]
	s_and_saveexec_b64 s[2:3], vcc
	s_cbranch_execnz .LBB35_114
.LBB35_94:
	s_or_b64 exec, exec, s[2:3]
	s_and_saveexec_b64 s[2:3], vcc
	s_cbranch_execz .LBB35_96
.LBB35_95:
	ds_read_b32 v0, v0 offset:960
	s_waitcnt lgkmcnt(0)
	v_add_f32_e32 v17, v17, v0
.LBB35_96:
	s_or_b64 exec, exec, s[2:3]
.LBB35_97:
	s_or_b64 exec, exec, s[0:1]
	v_cmp_eq_u32_e32 vcc, 0, v20
	s_barrier
	s_and_saveexec_b64 s[0:1], vcc
	s_cbranch_execz .LBB35_99
; %bb.98:
	s_mul_i32 s0, s10, s11
	s_mul_i32 s0, s0, s5
	s_lshl_b32 s0, s0, 8
	s_ashr_i32 s1, s0, 31
	s_lshl_b64 s[0:1], s[0:1], 2
	s_add_u32 s2, s18, s0
	s_mul_i32 s0, s11, s16
	s_addc_u32 s3, s19, s1
	s_ashr_i32 s1, s0, 31
	s_lshl_b64 s[0:1], s[0:1], 2
	s_add_u32 s2, s2, s0
	s_addc_u32 s3, s3, s1
	s_lshl_b32 s0, s4, 8
	s_ashr_i32 s1, s0, 31
	s_lshl_b64 s[0:1], s[0:1], 2
	s_add_u32 s0, s2, s0
	s_addc_u32 s1, s3, s1
	global_store_dword v92, v2, s[0:1]
	global_store_dword v92, v3, s[0:1] offset:64
	global_store_dword v92, v4, s[0:1] offset:128
	;; [unrolled: 1-line block ×15, first 2 shown]
.LBB35_99:
	s_endpgm
.LBB35_100:
	ds_read_b32 v1, v0
	s_waitcnt lgkmcnt(0)
	v_add_f32_e32 v2, v2, v1
	s_or_b64 exec, exec, s[2:3]
	s_and_saveexec_b64 s[2:3], vcc
	s_cbranch_execz .LBB35_81
.LBB35_101:
	ds_read_b32 v1, v0 offset:64
	s_waitcnt lgkmcnt(0)
	v_add_f32_e32 v3, v3, v1
	s_or_b64 exec, exec, s[2:3]
	s_and_saveexec_b64 s[2:3], vcc
	s_cbranch_execz .LBB35_82
.LBB35_102:
	ds_read_b32 v1, v0 offset:128
	s_waitcnt lgkmcnt(0)
	v_add_f32_e32 v4, v4, v1
	s_or_b64 exec, exec, s[2:3]
	s_and_saveexec_b64 s[2:3], vcc
	s_cbranch_execz .LBB35_83
.LBB35_103:
	ds_read_b32 v1, v0 offset:192
	s_waitcnt lgkmcnt(0)
	v_add_f32_e32 v5, v5, v1
	s_or_b64 exec, exec, s[2:3]
	s_and_saveexec_b64 s[2:3], vcc
	s_cbranch_execz .LBB35_84
.LBB35_104:
	ds_read_b32 v1, v0 offset:256
	s_waitcnt lgkmcnt(0)
	v_add_f32_e32 v6, v6, v1
	s_or_b64 exec, exec, s[2:3]
	s_and_saveexec_b64 s[2:3], vcc
	s_cbranch_execz .LBB35_85
.LBB35_105:
	ds_read_b32 v1, v0 offset:320
	s_waitcnt lgkmcnt(0)
	v_add_f32_e32 v7, v7, v1
	s_or_b64 exec, exec, s[2:3]
	s_and_saveexec_b64 s[2:3], vcc
	s_cbranch_execz .LBB35_86
.LBB35_106:
	ds_read_b32 v1, v0 offset:384
	s_waitcnt lgkmcnt(0)
	v_add_f32_e32 v14, v14, v1
	s_or_b64 exec, exec, s[2:3]
	s_and_saveexec_b64 s[2:3], vcc
	s_cbranch_execz .LBB35_87
.LBB35_107:
	ds_read_b32 v1, v0 offset:448
	s_waitcnt lgkmcnt(0)
	v_add_f32_e32 v15, v15, v1
	s_or_b64 exec, exec, s[2:3]
	s_and_saveexec_b64 s[2:3], vcc
	s_cbranch_execz .LBB35_88
.LBB35_108:
	ds_read_b32 v1, v0 offset:512
	s_waitcnt lgkmcnt(0)
	v_add_f32_e32 v12, v12, v1
	s_or_b64 exec, exec, s[2:3]
	s_and_saveexec_b64 s[2:3], vcc
	s_cbranch_execz .LBB35_89
.LBB35_109:
	ds_read_b32 v1, v0 offset:576
	s_waitcnt lgkmcnt(0)
	v_add_f32_e32 v13, v13, v1
	s_or_b64 exec, exec, s[2:3]
	s_and_saveexec_b64 s[2:3], vcc
	s_cbranch_execz .LBB35_90
.LBB35_110:
	ds_read_b32 v1, v0 offset:640
	s_waitcnt lgkmcnt(0)
	v_add_f32_e32 v10, v10, v1
	s_or_b64 exec, exec, s[2:3]
	s_and_saveexec_b64 s[2:3], vcc
	s_cbranch_execz .LBB35_91
.LBB35_111:
	ds_read_b32 v1, v0 offset:704
	s_waitcnt lgkmcnt(0)
	v_add_f32_e32 v11, v11, v1
	s_or_b64 exec, exec, s[2:3]
	s_and_saveexec_b64 s[2:3], vcc
	s_cbranch_execz .LBB35_92
.LBB35_112:
	ds_read_b32 v1, v0 offset:768
	s_waitcnt lgkmcnt(0)
	v_add_f32_e32 v8, v8, v1
	s_or_b64 exec, exec, s[2:3]
	s_and_saveexec_b64 s[2:3], vcc
	s_cbranch_execz .LBB35_93
.LBB35_113:
	ds_read_b32 v1, v0 offset:832
	s_waitcnt lgkmcnt(0)
	v_add_f32_e32 v9, v9, v1
	s_or_b64 exec, exec, s[2:3]
	s_and_saveexec_b64 s[2:3], vcc
	s_cbranch_execz .LBB35_94
.LBB35_114:
	ds_read_b32 v1, v0 offset:896
	s_waitcnt lgkmcnt(0)
	v_add_f32_e32 v16, v16, v1
	s_or_b64 exec, exec, s[2:3]
	s_and_saveexec_b64 s[2:3], vcc
	s_cbranch_execnz .LBB35_95
	s_branch .LBB35_96
	.section	.rodata,"a",@progbits
	.p2align	6, 0x0
	.amdhsa_kernel _ZN4vllm25paged_attention_v1_kernelIffLi256ELi16ELi128ELNS_18Fp8KVCacheDataTypeE0ELb0EEEvPT_PKS2_PKT0_S8_ifPKiSA_iPKfiiiSC_SC_iiiii
		.amdhsa_group_segment_fixed_size 1040
		.amdhsa_private_segment_fixed_size 104
		.amdhsa_kernarg_size 384
		.amdhsa_user_sgpr_count 2
		.amdhsa_user_sgpr_dispatch_ptr 0
		.amdhsa_user_sgpr_queue_ptr 0
		.amdhsa_user_sgpr_kernarg_segment_ptr 1
		.amdhsa_user_sgpr_dispatch_id 0
		.amdhsa_user_sgpr_kernarg_preload_length 0
		.amdhsa_user_sgpr_kernarg_preload_offset 0
		.amdhsa_user_sgpr_private_segment_size 0
		.amdhsa_uses_dynamic_stack 0
		.amdhsa_enable_private_segment 1
		.amdhsa_system_sgpr_workgroup_id_x 1
		.amdhsa_system_sgpr_workgroup_id_y 1
		.amdhsa_system_sgpr_workgroup_id_z 1
		.amdhsa_system_sgpr_workgroup_info 0
		.amdhsa_system_vgpr_workitem_id 0
		.amdhsa_next_free_vgpr 128
		.amdhsa_next_free_sgpr 37
		.amdhsa_accum_offset 128
		.amdhsa_reserve_vcc 1
		.amdhsa_float_round_mode_32 0
		.amdhsa_float_round_mode_16_64 0
		.amdhsa_float_denorm_mode_32 3
		.amdhsa_float_denorm_mode_16_64 3
		.amdhsa_dx10_clamp 1
		.amdhsa_ieee_mode 1
		.amdhsa_fp16_overflow 0
		.amdhsa_tg_split 0
		.amdhsa_exception_fp_ieee_invalid_op 0
		.amdhsa_exception_fp_denorm_src 0
		.amdhsa_exception_fp_ieee_div_zero 0
		.amdhsa_exception_fp_ieee_overflow 0
		.amdhsa_exception_fp_ieee_underflow 0
		.amdhsa_exception_fp_ieee_inexact 0
		.amdhsa_exception_int_div_zero 0
	.end_amdhsa_kernel
	.section	.text._ZN4vllm25paged_attention_v1_kernelIffLi256ELi16ELi128ELNS_18Fp8KVCacheDataTypeE0ELb0EEEvPT_PKS2_PKT0_S8_ifPKiSA_iPKfiiiSC_SC_iiiii,"axG",@progbits,_ZN4vllm25paged_attention_v1_kernelIffLi256ELi16ELi128ELNS_18Fp8KVCacheDataTypeE0ELb0EEEvPT_PKS2_PKT0_S8_ifPKiSA_iPKfiiiSC_SC_iiiii,comdat
.Lfunc_end35:
	.size	_ZN4vllm25paged_attention_v1_kernelIffLi256ELi16ELi128ELNS_18Fp8KVCacheDataTypeE0ELb0EEEvPT_PKS2_PKT0_S8_ifPKiSA_iPKfiiiSC_SC_iiiii, .Lfunc_end35-_ZN4vllm25paged_attention_v1_kernelIffLi256ELi16ELi128ELNS_18Fp8KVCacheDataTypeE0ELb0EEEvPT_PKS2_PKT0_S8_ifPKiSA_iPKfiiiSC_SC_iiiii
                                        ; -- End function
	.set _ZN4vllm25paged_attention_v1_kernelIffLi256ELi16ELi128ELNS_18Fp8KVCacheDataTypeE0ELb0EEEvPT_PKS2_PKT0_S8_ifPKiSA_iPKfiiiSC_SC_iiiii.num_vgpr, 128
	.set _ZN4vllm25paged_attention_v1_kernelIffLi256ELi16ELi128ELNS_18Fp8KVCacheDataTypeE0ELb0EEEvPT_PKS2_PKT0_S8_ifPKiSA_iPKfiiiSC_SC_iiiii.num_agpr, 0
	.set _ZN4vllm25paged_attention_v1_kernelIffLi256ELi16ELi128ELNS_18Fp8KVCacheDataTypeE0ELb0EEEvPT_PKS2_PKT0_S8_ifPKiSA_iPKfiiiSC_SC_iiiii.numbered_sgpr, 37
	.set _ZN4vllm25paged_attention_v1_kernelIffLi256ELi16ELi128ELNS_18Fp8KVCacheDataTypeE0ELb0EEEvPT_PKS2_PKT0_S8_ifPKiSA_iPKfiiiSC_SC_iiiii.num_named_barrier, 0
	.set _ZN4vllm25paged_attention_v1_kernelIffLi256ELi16ELi128ELNS_18Fp8KVCacheDataTypeE0ELb0EEEvPT_PKS2_PKT0_S8_ifPKiSA_iPKfiiiSC_SC_iiiii.private_seg_size, 104
	.set _ZN4vllm25paged_attention_v1_kernelIffLi256ELi16ELi128ELNS_18Fp8KVCacheDataTypeE0ELb0EEEvPT_PKS2_PKT0_S8_ifPKiSA_iPKfiiiSC_SC_iiiii.uses_vcc, 1
	.set _ZN4vllm25paged_attention_v1_kernelIffLi256ELi16ELi128ELNS_18Fp8KVCacheDataTypeE0ELb0EEEvPT_PKS2_PKT0_S8_ifPKiSA_iPKfiiiSC_SC_iiiii.uses_flat_scratch, 0
	.set _ZN4vllm25paged_attention_v1_kernelIffLi256ELi16ELi128ELNS_18Fp8KVCacheDataTypeE0ELb0EEEvPT_PKS2_PKT0_S8_ifPKiSA_iPKfiiiSC_SC_iiiii.has_dyn_sized_stack, 0
	.set _ZN4vllm25paged_attention_v1_kernelIffLi256ELi16ELi128ELNS_18Fp8KVCacheDataTypeE0ELb0EEEvPT_PKS2_PKT0_S8_ifPKiSA_iPKfiiiSC_SC_iiiii.has_recursion, 0
	.set _ZN4vllm25paged_attention_v1_kernelIffLi256ELi16ELi128ELNS_18Fp8KVCacheDataTypeE0ELb0EEEvPT_PKS2_PKT0_S8_ifPKiSA_iPKfiiiSC_SC_iiiii.has_indirect_call, 0
	.section	.AMDGPU.csdata,"",@progbits
; Kernel info:
; codeLenInByte = 7276
; TotalNumSgprs: 43
; NumVgprs: 128
; NumAgprs: 0
; TotalNumVgprs: 128
; ScratchSize: 104
; MemoryBound: 0
; FloatMode: 240
; IeeeMode: 1
; LDSByteSize: 1040 bytes/workgroup (compile time only)
; SGPRBlocks: 5
; VGPRBlocks: 15
; NumSGPRsForWavesPerEU: 43
; NumVGPRsForWavesPerEU: 128
; AccumOffset: 128
; Occupancy: 4
; WaveLimiterHint : 1
; COMPUTE_PGM_RSRC2:SCRATCH_EN: 1
; COMPUTE_PGM_RSRC2:USER_SGPR: 2
; COMPUTE_PGM_RSRC2:TRAP_HANDLER: 0
; COMPUTE_PGM_RSRC2:TGID_X_EN: 1
; COMPUTE_PGM_RSRC2:TGID_Y_EN: 1
; COMPUTE_PGM_RSRC2:TGID_Z_EN: 1
; COMPUTE_PGM_RSRC2:TIDIG_COMP_CNT: 0
; COMPUTE_PGM_RSRC3_GFX90A:ACCUM_OFFSET: 31
; COMPUTE_PGM_RSRC3_GFX90A:TG_SPLIT: 0
	.section	.text._ZN4vllm25paged_attention_v1_kernelIffLi32ELi32ELi128ELNS_18Fp8KVCacheDataTypeE0ELb1EEEvPT_PKS2_PKT0_S8_ifPKiSA_iPKfiiiSC_SC_iiiii,"axG",@progbits,_ZN4vllm25paged_attention_v1_kernelIffLi32ELi32ELi128ELNS_18Fp8KVCacheDataTypeE0ELb1EEEvPT_PKS2_PKT0_S8_ifPKiSA_iPKfiiiSC_SC_iiiii,comdat
	.protected	_ZN4vllm25paged_attention_v1_kernelIffLi32ELi32ELi128ELNS_18Fp8KVCacheDataTypeE0ELb1EEEvPT_PKS2_PKT0_S8_ifPKiSA_iPKfiiiSC_SC_iiiii ; -- Begin function _ZN4vllm25paged_attention_v1_kernelIffLi32ELi32ELi128ELNS_18Fp8KVCacheDataTypeE0ELb1EEEvPT_PKS2_PKT0_S8_ifPKiSA_iPKfiiiSC_SC_iiiii
	.globl	_ZN4vllm25paged_attention_v1_kernelIffLi32ELi32ELi128ELNS_18Fp8KVCacheDataTypeE0ELb1EEEvPT_PKS2_PKT0_S8_ifPKiSA_iPKfiiiSC_SC_iiiii
	.p2align	8
	.type	_ZN4vllm25paged_attention_v1_kernelIffLi32ELi32ELi128ELNS_18Fp8KVCacheDataTypeE0ELb1EEEvPT_PKS2_PKT0_S8_ifPKiSA_iPKfiiiSC_SC_iiiii,@function
_ZN4vllm25paged_attention_v1_kernelIffLi32ELi32ELi128ELNS_18Fp8KVCacheDataTypeE0ELb1EEEvPT_PKS2_PKT0_S8_ifPKiSA_iPKfiiiSC_SC_iiiii: ; @_ZN4vllm25paged_attention_v1_kernelIffLi32ELi32ELi128ELNS_18Fp8KVCacheDataTypeE0ELb1EEEvPT_PKS2_PKT0_S8_ifPKiSA_iPKfiiiSC_SC_iiiii
; %bb.0:
	s_load_dword s5, s[0:1], 0x80
	s_load_dwordx2 s[6:7], s[0:1], 0x30
	s_load_dwordx2 s[30:31], s[0:1], 0x20
	s_mov_b32 s10, s3
	s_ashr_i32 s11, s3, 31
	s_lshl_b64 s[8:9], s[10:11], 2
	s_waitcnt lgkmcnt(0)
	s_add_u32 s6, s6, s8
	s_addc_u32 s7, s7, s9
	s_abs_i32 s3, s30
	v_cvt_f32_u32_e32 v1, s3
	s_sub_i32 s11, 0, s3
	s_abs_i32 s9, s5
	s_xor_b32 s8, s5, s30
	v_rcp_iflag_f32_e32 v1, v1
	s_ashr_i32 s8, s8, 31
	s_mov_b32 s42, 0
	v_mul_f32_e32 v1, 0x4f7ffffe, v1
	v_cvt_u32_f32_e32 v1, v1
	s_nop 0
	v_readfirstlane_b32 s12, v1
	s_mul_i32 s11, s11, s12
	s_mul_hi_u32 s11, s12, s11
	s_add_i32 s12, s12, s11
	s_mul_hi_u32 s11, s9, s12
	s_mul_i32 s12, s11, s3
	s_sub_i32 s9, s9, s12
	s_add_i32 s12, s11, 1
	s_sub_i32 s13, s9, s3
	s_cmp_ge_u32 s9, s3
	s_cselect_b32 s11, s12, s11
	s_cselect_b32 s9, s13, s9
	s_add_i32 s12, s11, 1
	s_cmp_ge_u32 s9, s3
	s_cselect_b32 s3, s12, s11
	s_xor_b32 s3, s3, s8
	s_sub_i32 s12, s3, s8
	s_abs_i32 s11, s12
	v_cvt_f32_u32_e32 v1, s11
	s_load_dwordx2 s[8:9], s[0:1], 0x40
	s_sub_i32 s3, 0, s11
	s_abs_i32 s22, s2
	v_rcp_iflag_f32_e32 v1, v1
	s_nop 0
	v_mul_f32_e32 v1, 0x4f7ffffe, v1
	v_cvt_u32_f32_e32 v1, v1
	s_nop 0
	v_readfirstlane_b32 s13, v1
	s_mul_i32 s3, s3, s13
	s_mul_hi_u32 s3, s13, s3
	s_add_i32 s13, s13, s3
	s_waitcnt lgkmcnt(0)
	s_cmp_eq_u64 s[8:9], 0
	s_mul_hi_u32 s23, s22, s13
	s_cbranch_scc1 .LBB36_2
; %bb.1:
	s_ashr_i32 s3, s2, 31
	s_lshl_b64 s[14:15], s[2:3], 2
	s_add_u32 s8, s8, s14
	s_addc_u32 s9, s9, s15
	s_load_dword s42, s[8:9], 0x0
.LBB36_2:
	s_load_dword s33, s[6:7], 0x0
	s_ashr_i32 s9, s12, 31
	s_load_dwordx4 s[12:15], s[0:1], 0x48
	s_ashr_i32 s8, s2, 31
	v_and_b32_e32 v4, 1, v0
	s_lshl_b32 s20, s2, 5
	v_cmp_gt_u32_e32 vcc, 16, v0
	v_lshlrev_b32_e32 v2, 3, v0
	v_lshlrev_b32_e32 v6, 2, v0
	s_and_saveexec_b64 s[6:7], vcc
	s_cbranch_execz .LBB36_4
; %bb.3:
	s_load_dwordx2 s[16:17], s[0:1], 0x8
	s_waitcnt lgkmcnt(0)
	s_mul_i32 s18, s12, s10
	s_ashr_i32 s19, s18, 31
	s_lshl_b64 s[18:19], s[18:19], 2
	v_and_b32_e32 v1, 0xff8, v6
	s_add_u32 s3, s16, s18
	s_addc_u32 s12, s17, s19
	s_ashr_i32 s21, s20, 31
	s_lshl_b64 s[16:17], s[20:21], 2
	s_add_u32 s16, s3, s16
	s_addc_u32 s17, s12, s17
	global_load_dwordx2 v[8:9], v2, s[16:17]
	v_lshl_add_u32 v1, v4, 6, v1
	s_waitcnt vmcnt(0)
	ds_write_b64 v1, v[8:9]
.LBB36_4:
	s_or_b64 exec, exec, s[6:7]
	s_mul_i32 s7, s23, s11
	s_sub_i32 s7, s22, s7
	s_xor_b32 s6, s8, s9
	s_add_i32 s8, s23, 1
	s_sub_i32 s9, s7, s11
	s_load_dwordx4 s[16:19], s[0:1], 0x68
	s_load_dword s3, s[0:1], 0x78
	s_cmp_ge_u32 s7, s11
	s_cselect_b32 s8, s8, s23
	s_cselect_b32 s7, s9, s7
	s_add_i32 s9, s8, 1
	s_cmp_ge_u32 s7, s11
	s_cselect_b32 s7, s9, s8
	s_waitcnt lgkmcnt(0)
	s_abs_i32 s21, s19
	v_cvt_f32_u32_e32 v1, s21
	s_xor_b32 s7, s7, s6
	s_sub_i32 s8, s7, s6
	s_sub_i32 s6, 0, s21
	v_rcp_iflag_f32_e32 v1, v1
	s_add_i32 s11, s33, -1
	s_abs_i32 s9, s11
	v_mul_f32_e32 v1, 0x4f7ffffe, v1
	v_cvt_u32_f32_e32 v1, v1
	s_barrier
	v_readfirstlane_b32 s40, v1
	s_mul_i32 s6, s6, s40
	s_mul_hi_u32 s6, s40, s6
	s_add_i32 s40, s40, s6
	s_cmp_lt_i32 s3, 0
	s_mul_hi_u32 s12, s9, s40
	s_cbranch_scc0 .LBB36_6
; %bb.5:
	s_mul_i32 s6, s16, s30
	s_add_i32 s6, s8, s6
	s_mul_i32 s6, s6, s3
	s_sub_i32 s41, 1, s6
	s_mov_b64 s[6:7], 0
	s_branch .LBB36_7
.LBB36_6:
	s_mov_b64 s[6:7], -1
                                        ; implicit-def: $sgpr41
.LBB36_7:
	s_load_dwordx2 s[24:25], s[0:1], 0x28
	s_ashr_i32 s15, s11, 31
	s_andn2_b64 vcc, exec, s[6:7]
	s_ashr_i32 s19, s19, 31
	s_cbranch_vccnz .LBB36_9
; %bb.8:
	s_mul_i32 s6, s5, s16
	s_add_i32 s2, s6, s2
	s_mul_i32 s2, s2, s3
	s_add_i32 s41, s2, 1
.LBB36_9:
	s_load_dword s2, s[0:1], 0x38
	s_load_dwordx2 s[22:23], s[0:1], 0x0
	s_load_dwordx2 s[28:29], s[0:1], 0x18
	s_load_dword s11, s[0:1], 0x88
	s_xor_b32 s3, s15, s19
	s_waitcnt lgkmcnt(0)
	s_mul_i32 s26, s2, s10
	s_mul_i32 s2, s12, s21
	s_sub_i32 s2, s9, s2
	s_ashr_i32 s27, s26, 31
	s_add_i32 s6, s12, 1
	s_sub_i32 s7, s2, s21
	s_cmp_ge_u32 s2, s21
	s_cselect_b32 s6, s6, s12
	s_cselect_b32 s2, s7, s2
	s_add_i32 s7, s6, 1
	s_cmp_ge_u32 s2, s21
	s_cselect_b32 s2, s7, s6
	s_xor_b32 s2, s2, s3
	s_sub_i32 s12, s2, s3
	s_add_i32 s2, s33, 31
	s_ashr_i32 s3, s2, 31
	s_lshr_b32 s3, s3, 27
	s_add_i32 s2, s2, s3
	s_ashr_i32 s16, s2, 5
	v_lshrrev_b32_e32 v1, 6, v0
	v_cmp_gt_i32_e64 s[2:3], s16, v1
	v_mov_b32_e32 v10, 0xff7fffff
	s_mul_i32 s14, s8, s14
	v_lshrrev_b32_e32 v7, 4, v0
	v_lshlrev_b32_e32 v30, 5, v1
	v_mbcnt_lo_u32_b32 v8, -1, 0
	s_and_saveexec_b64 s[34:35], s[2:3]
	s_cbranch_execz .LBB36_21
; %bb.10:
	s_load_dwordx2 s[0:1], s[0:1], 0x10
	s_ashr_i32 s15, s14, 31
	s_sub_i32 s30, s12, s17
	s_lshl_b64 s[6:7], s[14:15], 2
	v_bfe_u32 v9, v0, 1, 5
	s_waitcnt lgkmcnt(0)
	s_add_u32 s0, s0, s6
	s_addc_u32 s1, s1, s7
	s_abs_i32 s15, s18
	v_cvt_f32_u32_e32 v3, s15
	v_lshlrev_b32_e32 v14, 4, v9
	v_mov_b32_e32 v15, 0
	v_lshl_add_u64 v[10:11], s[0:1], 0, v[14:15]
	v_rcp_iflag_f32_e32 v5, v3
	v_and_b32_e32 v14, 8, v2
	s_sub_i32 s6, 0, s15
	v_cmp_eq_u32_e32 vcc, 0, v4
	v_mul_f32_e32 v5, 0x4f7ffffe, v5
	v_cvt_u32_f32_e32 v5, v5
	v_lshl_add_u64 v[2:3], v[10:11], 0, v[14:15]
	v_lshlrev_b32_e32 v11, 6, v4
	v_lshlrev_b32_e32 v16, 2, v9
	v_mul_lo_u32 v4, s6, v5
	s_lshl_b64 s[6:7], s[26:27], 2
	s_add_u32 s6, s24, s6
	v_mul_hi_u32 v4, v5, v4
	v_and_b32_e32 v14, 60, v7
	s_addc_u32 s7, s25, s7
	v_subrev_u32_e32 v10, s33, v9
	v_add_u32_e32 v12, v5, v4
	v_lshl_add_u64 v[4:5], s[6:7], 0, v[14:15]
	v_add_u32_e32 v14, 1, v10
	v_lshl_or_b32 v10, v1, 7, v16
	v_mbcnt_hi_u32_b32 v17, -1, v8
	v_add_u32_e32 v15, 0x90, v10
	v_and_b32_e32 v10, 64, v17
	s_mov_b32 s43, s13
	v_cmp_neq_f32_e64 s[0:1], s42, 0
	v_lshlrev_b32_e32 v13, 5, v1
	v_mov_b32_e32 v16, 0xff7fffff
	s_mov_b64 s[36:37], 0
	v_xor_b32_e32 v18, 1, v17
	v_add_u32_e32 v19, 64, v10
	v_mov_b32_e32 v10, 0xff7fffff
	v_mov_b32_e32 v20, v1
	s_branch .LBB36_13
.LBB36_11:                              ;   in Loop: Header=BB36_13 Depth=1
	s_or_b64 exec, exec, s[38:39]
.LBB36_12:                              ;   in Loop: Header=BB36_13 Depth=1
	s_or_b64 exec, exec, s[8:9]
	v_add_u32_e32 v20, 2, v20
	v_cmp_le_i32_e64 s[6:7], s16, v20
	v_lshl_add_u64 v[4:5], v[4:5], 0, 8
	v_add_u32_e32 v13, 64, v13
	s_or_b64 s[36:37], s[6:7], s[36:37]
	v_add_u32_e32 v15, 0x100, v15
	s_andn2_b64 exec, exec, s[36:37]
	s_cbranch_execz .LBB36_20
.LBB36_13:                              ; =>This Inner Loop Header: Depth=1
	v_mul_hi_u32 v21, v13, s40
	s_waitcnt lgkmcnt(0)
	v_mul_lo_u32 v22, v21, s21
	v_sub_u32_e32 v22, v13, v22
	v_add_u32_e32 v23, 1, v21
	v_cmp_le_u32_e64 s[6:7], s21, v22
	s_nop 1
	v_cndmask_b32_e64 v21, v21, v23, s[6:7]
	v_subrev_u32_e32 v23, s21, v22
	v_cndmask_b32_e64 v22, v22, v23, s[6:7]
	v_add_u32_e32 v23, 1, v21
	v_cmp_le_u32_e64 s[6:7], s21, v22
	s_nop 1
	v_cndmask_b32_e64 v21, v21, v23, s[6:7]
	v_xor_b32_e32 v21, s19, v21
	v_subrev_u32_e32 v21, s19, v21
	v_add_u32_e32 v22, s41, v21
	v_sub_u32_e32 v24, 0, v22
	v_ashrrev_i32_e32 v23, 31, v22
	v_max_i32_e32 v22, v22, v24
	v_mul_hi_u32 v24, v22, v12
	v_mul_lo_u32 v24, v24, s15
	v_sub_u32_e32 v22, v22, v24
	v_subrev_u32_e32 v24, s15, v22
	v_cmp_le_u32_e64 s[6:7], s15, v22
	v_cmp_ge_i32_e64 s[8:9], s30, v21
	s_nop 0
	v_cndmask_b32_e64 v22, v22, v24, s[6:7]
	v_subrev_u32_e32 v24, s15, v22
	v_cmp_le_u32_e64 s[6:7], s15, v22
	s_nop 1
	v_cndmask_b32_e64 v22, v22, v24, s[6:7]
	v_xor_b32_e32 v22, v22, v23
	v_sub_u32_e32 v22, v22, v23
	v_cmp_ne_u32_e64 s[6:7], 0, v22
	s_and_b64 s[6:7], s[6:7], s[8:9]
	s_and_saveexec_b64 s[8:9], s[6:7]
	s_xor_b64 s[6:7], exec, s[8:9]
	s_cbranch_execz .LBB36_17
; %bb.14:                               ;   in Loop: Header=BB36_13 Depth=1
	s_and_saveexec_b64 s[8:9], vcc
; %bb.15:                               ;   in Loop: Header=BB36_13 Depth=1
	ds_write_b32 v15, v16
; %bb.16:                               ;   in Loop: Header=BB36_13 Depth=1
	s_or_b64 exec, exec, s[8:9]
.LBB36_17:                              ;   in Loop: Header=BB36_13 Depth=1
	s_andn2_saveexec_b64 s[8:9], s[6:7]
	s_cbranch_execz .LBB36_12
; %bb.18:                               ;   in Loop: Header=BB36_13 Depth=1
	global_load_dword v21, v[4:5], off
	s_waitcnt vmcnt(0)
	v_mad_i64_i32 v[22:23], s[6:7], v21, s43, 0
	v_lshl_add_u64 v[22:23], v[22:23], 2, v[2:3]
	global_load_dwordx2 v[40:41], v[22:23], off offset:512
	global_load_dwordx2 v[42:43], v[22:23], off
	global_load_dwordx2 v[44:45], v[22:23], off offset:1024
	global_load_dwordx2 v[46:47], v[22:23], off offset:1536
	;; [unrolled: 1-line block ×6, first 2 shown]
	ds_read_b128 v[22:25], v11
	ds_read_b128 v[26:29], v11 offset:16
	ds_read_b128 v[32:35], v11 offset:32
	;; [unrolled: 1-line block ×3, first 2 shown]
	v_cmp_lt_i32_e64 s[6:7], v18, v19
	s_nop 1
	v_cndmask_b32_e64 v21, v17, v18, s[6:7]
	v_lshlrev_b32_e32 v31, 2, v21
	s_waitcnt vmcnt(7) lgkmcnt(3)
	v_mul_f32_e32 v21, v24, v40
	v_mul_f32_e32 v24, v25, v41
	s_waitcnt vmcnt(6)
	v_fmac_f32_e32 v21, v22, v42
	v_fmac_f32_e32 v24, v23, v43
	s_waitcnt vmcnt(5) lgkmcnt(2)
	v_fmac_f32_e32 v21, v26, v44
	v_fmac_f32_e32 v24, v27, v45
	s_waitcnt vmcnt(4)
	v_fmac_f32_e32 v21, v28, v46
	v_fmac_f32_e32 v24, v29, v47
	s_waitcnt vmcnt(3) lgkmcnt(1)
	v_fmac_f32_e32 v21, v32, v48
	v_fmac_f32_e32 v24, v33, v49
	;; [unrolled: 6-line block ×3, first 2 shown]
	s_waitcnt vmcnt(0)
	v_fmac_f32_e32 v21, v38, v54
	v_fmac_f32_e32 v24, v39, v55
	v_add_f32_e32 v21, v21, v24
	ds_bpermute_b32 v22, v31, v21
	s_and_saveexec_b64 s[38:39], vcc
	s_cbranch_execz .LBB36_11
; %bb.19:                               ;   in Loop: Header=BB36_13 Depth=1
	v_add_u32_e32 v23, v14, v13
	v_cvt_f32_i32_e32 v23, v23
	s_waitcnt lgkmcnt(0)
	v_add_f32_e32 v21, v21, v22
	v_add_u32_e32 v24, v9, v13
	v_cmp_gt_i32_e64 s[6:7], s33, v24
	v_mul_f32_e32 v22, s42, v23
	v_cndmask_b32_e64 v22, 0, v22, s[0:1]
	v_fmac_f32_e32 v22, s31, v21
	v_cndmask_b32_e64 v21, 0, v22, s[6:7]
	ds_write_b32 v15, v21
	v_max_f32_e32 v21, v10, v10
	v_max_f32_e32 v21, v21, v22
	v_cndmask_b32_e64 v10, v10, v21, s[6:7]
	s_branch .LBB36_11
.LBB36_20:
	s_or_b64 exec, exec, s[36:37]
.LBB36_21:
	s_or_b64 exec, exec, s[34:35]
	v_mbcnt_hi_u32_b32 v2, -1, v8
	v_and_b32_e32 v11, 64, v2
	v_add_u32_e32 v12, 64, v11
	v_xor_b32_e32 v3, 32, v2
	v_cmp_lt_i32_e32 vcc, v3, v12
	v_xor_b32_e32 v8, 16, v2
	v_max_f32_e32 v5, v10, v10
	v_cndmask_b32_e32 v3, v2, v3, vcc
	v_lshlrev_b32_e32 v3, 2, v3
	ds_bpermute_b32 v4, v3, v10
	v_cmp_lt_i32_e32 vcc, v8, v12
	v_xor_b32_e32 v9, 8, v2
	v_xor_b32_e32 v10, 4, v2
	v_and_b32_e32 v31, 63, v0
	s_waitcnt lgkmcnt(0)
	v_max_f32_e32 v4, v4, v4
	v_max_f32_e32 v5, v5, v4
	v_cndmask_b32_e32 v4, v2, v8, vcc
	v_lshlrev_b32_e32 v4, 2, v4
	ds_bpermute_b32 v8, v4, v5
	v_cmp_lt_i32_e32 vcc, v9, v12
	s_waitcnt lgkmcnt(0)
	v_max_f32_e32 v8, v8, v8
	v_max_f32_e32 v8, v5, v8
	v_cndmask_b32_e32 v5, v2, v9, vcc
	v_lshlrev_b32_e32 v5, 2, v5
	ds_bpermute_b32 v9, v5, v8
	v_cmp_lt_i32_e32 vcc, v10, v12
	s_waitcnt lgkmcnt(0)
	v_max_f32_e32 v9, v9, v9
	v_max_f32_e32 v8, v8, v9
	v_cndmask_b32_e32 v9, v2, v10, vcc
	v_lshlrev_b32_e32 v32, 2, v9
	ds_bpermute_b32 v9, v32, v8
	v_xor_b32_e32 v10, 2, v2
	v_cmp_lt_i32_e32 vcc, v10, v12
	s_waitcnt lgkmcnt(0)
	v_max_f32_e32 v9, v9, v9
	v_max_f32_e32 v9, v8, v9
	v_cndmask_b32_e32 v8, v2, v10, vcc
	v_lshlrev_b32_e32 v33, 2, v8
	ds_bpermute_b32 v10, v33, v9
	v_cmp_eq_u32_e32 vcc, 0, v31
	v_lshlrev_b32_e32 v8, 2, v1
	s_and_saveexec_b64 s[0:1], vcc
	s_cbranch_execz .LBB36_23
; %bb.22:
	s_waitcnt lgkmcnt(0)
	v_max_f32_e32 v10, v10, v10
	v_max_f32_e32 v9, v9, v9
	v_max_f32_e32 v9, v9, v10
	ds_write_b32 v8, v9 offset:128
.LBB36_23:
	s_or_b64 exec, exec, s[0:1]
	v_cmp_gt_u32_e64 s[0:1], 2, v31
	s_waitcnt lgkmcnt(0)
	v_mov_b32_e32 v10, 0xff7fffff
	v_lshlrev_b32_e32 v9, 2, v31
	s_barrier
	s_and_saveexec_b64 s[6:7], s[0:1]
; %bb.24:
	ds_read_b32 v10, v9 offset:128
; %bb.25:
	s_or_b64 exec, exec, s[6:7]
	v_xor_b32_e32 v13, 1, v2
	v_cmp_lt_i32_e64 s[6:7], v13, v12
	v_lshlrev_b32_e32 v11, 2, v11
	s_nop 0
	v_cndmask_b32_e64 v12, v2, v13, s[6:7]
	v_lshlrev_b32_e32 v34, 2, v12
	s_waitcnt lgkmcnt(0)
	ds_bpermute_b32 v12, v34, v10
	v_max_f32_e32 v10, v10, v10
	s_lshl_b32 s6, s16, 5
	s_min_i32 s15, s6, s33
	v_cmp_gt_i32_e64 s[6:7], s15, v0
	s_waitcnt lgkmcnt(0)
	v_max_f32_e32 v12, v12, v12
	v_max_f32_e32 v10, v10, v12
	ds_bpermute_b32 v11, v11, v10
	v_mov_b32_e32 v10, 0
	s_and_saveexec_b64 s[30:31], s[6:7]
	s_cbranch_execz .LBB36_29
; %bb.26:
	v_mov_b32_e32 v10, 0x90
	v_lshl_add_u32 v12, v0, 2, v10
	v_mov_b32_e32 v10, 0
	s_mov_b64 s[34:35], 0
	v_mov_b32_e32 v13, v0
.LBB36_27:                              ; =>This Inner Loop Header: Depth=1
	ds_read_b32 v14, v12
	v_add_u32_e32 v13, 0x80, v13
	v_cmp_le_i32_e64 s[8:9], s15, v13
	s_or_b64 s[34:35], s[8:9], s[34:35]
	s_waitcnt lgkmcnt(0)
	v_sub_f32_e32 v14, v14, v11
	v_mul_f32_e32 v14, 0x3fb8aa3b, v14
	v_exp_f32_e32 v14, v14
	ds_write_b32 v12, v14
	v_add_f32_e32 v10, v10, v14
	v_add_u32_e32 v12, 0x200, v12
	s_andn2_b64 exec, exec, s[34:35]
	s_cbranch_execnz .LBB36_27
; %bb.28:
	s_or_b64 exec, exec, s[34:35]
.LBB36_29:
	s_or_b64 exec, exec, s[30:31]
	ds_bpermute_b32 v3, v3, v10
	s_waitcnt lgkmcnt(0)
	v_add_f32_e32 v3, v10, v3
	ds_bpermute_b32 v4, v4, v3
	s_waitcnt lgkmcnt(0)
	v_add_f32_e32 v3, v3, v4
	;; [unrolled: 3-line block ×6, first 2 shown]
	s_and_saveexec_b64 s[8:9], vcc
; %bb.30:
	ds_write_b32 v8, v3 offset:136
; %bb.31:
	s_or_b64 exec, exec, s[8:9]
	s_waitcnt lgkmcnt(0)
	s_barrier
	s_and_saveexec_b64 s[8:9], s[0:1]
; %bb.32:
	ds_read_b32 v3, v9 offset:136
; %bb.33:
	s_or_b64 exec, exec, s[8:9]
	s_waitcnt lgkmcnt(0)
	ds_bpermute_b32 v4, v34, v3
	v_lshlrev_b32_e32 v2, 2, v2
	v_and_b32_e32 v2, 0x100, v2
	s_waitcnt lgkmcnt(0)
	v_add_f32_e32 v3, v3, v4
	ds_bpermute_b32 v2, v2, v3
	s_and_saveexec_b64 s[0:1], s[6:7]
	s_cbranch_execz .LBB36_46
; %bb.34:
	s_waitcnt lgkmcnt(0)
	v_add_f32_e32 v2, 0x358637bd, v2
	v_div_scale_f32 v3, s[6:7], v2, v2, 1.0
	v_rcp_f32_e32 v4, v3
	v_div_scale_f32 v5, vcc, 1.0, v2, 1.0
	s_movk_i32 s6, 0x7f
	v_fma_f32 v8, -v3, v4, 1.0
	v_fmac_f32_e32 v4, v8, v4
	v_mul_f32_e32 v8, v5, v4
	v_fma_f32 v9, -v3, v8, v5
	v_fmac_f32_e32 v8, v9, v4
	v_fma_f32 v3, -v3, v8, v5
	v_div_fmas_f32 v3, v3, v4, v8
	v_xad_u32 v4, v0, -1, s15
	v_div_fixup_f32 v2, v3, v2, 1.0
	v_cmp_lt_u32_e32 vcc, s6, v4
	s_mov_b64 s[8:9], -1
	v_mov_b32_e32 v3, v0
	s_and_saveexec_b64 s[6:7], vcc
	s_cbranch_execz .LBB36_43
; %bb.35:
	v_lshrrev_b32_e32 v4, 7, v4
	v_add_u32_e32 v8, -1, v4
	v_lshrrev_b32_e32 v5, 1, v8
	v_mov_b32_e32 v3, v2
	v_add_u32_e32 v5, 1, v5
	v_cmp_lt_u32_e32 vcc, 13, v8
	v_mov_b32_e32 v10, 0
	s_and_saveexec_b64 s[8:9], vcc
	s_cbranch_execz .LBB36_39
; %bb.36:
	v_mov_b32_e32 v9, 0x90
	v_and_b32_e32 v8, -8, v5
	v_lshl_add_u32 v9, v0, 2, v9
	s_mov_b32 s34, 0
	s_mov_b64 s[30:31], 0
.LBB36_37:                              ; =>This Inner Loop Header: Depth=1
	ds_read2st64_b32 v[10:11], v9 offset1:2
	ds_read2st64_b32 v[12:13], v9 offset0:4 offset1:6
	ds_read2st64_b32 v[14:15], v9 offset0:8 offset1:10
	;; [unrolled: 1-line block ×3, first 2 shown]
	v_add_u32_e32 v8, -8, v8
	s_waitcnt lgkmcnt(3)
	v_pk_mul_f32 v[10:11], v[2:3], v[10:11]
	s_waitcnt lgkmcnt(2)
	v_pk_mul_f32 v[12:13], v[2:3], v[12:13]
	ds_write2st64_b32 v9, v10, v11 offset1:2
	ds_write2st64_b32 v9, v12, v13 offset0:4 offset1:6
	ds_read2st64_b32 v[12:13], v9 offset0:16 offset1:18
	s_waitcnt lgkmcnt(4)
	v_pk_mul_f32 v[10:11], v[2:3], v[14:15]
	ds_write2st64_b32 v9, v10, v11 offset0:8 offset1:10
	s_waitcnt lgkmcnt(4)
	v_pk_mul_f32 v[10:11], v[2:3], v[16:17]
	ds_write2st64_b32 v9, v10, v11 offset0:12 offset1:14
	ds_read2st64_b32 v[10:11], v9 offset0:20 offset1:22
	s_waitcnt lgkmcnt(3)
	v_pk_mul_f32 v[12:13], v[2:3], v[12:13]
	ds_read2st64_b32 v[14:15], v9 offset0:24 offset1:26
	ds_write2st64_b32 v9, v12, v13 offset0:16 offset1:18
	ds_read2st64_b32 v[12:13], v9 offset0:28 offset1:30
	s_waitcnt lgkmcnt(3)
	v_pk_mul_f32 v[10:11], v[2:3], v[10:11]
	ds_write2st64_b32 v9, v10, v11 offset0:20 offset1:22
	s_waitcnt lgkmcnt(3)
	v_pk_mul_f32 v[10:11], v[2:3], v[14:15]
	ds_write2st64_b32 v9, v10, v11 offset0:24 offset1:26
	s_waitcnt lgkmcnt(2)
	v_pk_mul_f32 v[10:11], v[2:3], v[12:13]
	s_add_i32 s34, s34, 16
	v_cmp_eq_u32_e32 vcc, 0, v8
	ds_write2st64_b32 v9, v10, v11 offset0:28 offset1:30
	v_add_u32_e32 v9, 0x2000, v9
	s_or_b64 s[30:31], vcc, s[30:31]
	v_mov_b32_e32 v10, s34
	s_andn2_b64 exec, exec, s[30:31]
	s_cbranch_execnz .LBB36_37
; %bb.38:
	s_or_b64 exec, exec, s[30:31]
.LBB36_39:
	s_or_b64 exec, exec, s[8:9]
	v_and_b32_e32 v5, 7, v5
	v_cmp_ne_u32_e32 vcc, 0, v5
	s_and_saveexec_b64 s[8:9], vcc
	s_cbranch_execz .LBB36_42
; %bb.40:
	v_lshlrev_b32_e32 v8, 9, v10
	s_movk_i32 s30, 0x90
	v_add3_u32 v8, v8, v6, s30
	s_mov_b64 s[30:31], 0
.LBB36_41:                              ; =>This Inner Loop Header: Depth=1
	ds_read2st64_b32 v[10:11], v8 offset1:2
	v_add_u32_e32 v5, -1, v5
	v_cmp_eq_u32_e32 vcc, 0, v5
	s_or_b64 s[30:31], vcc, s[30:31]
	s_waitcnt lgkmcnt(0)
	v_pk_mul_f32 v[10:11], v[2:3], v[10:11]
	ds_write2st64_b32 v8, v10, v11 offset1:2
	v_add_u32_e32 v8, 0x400, v8
	s_andn2_b64 exec, exec, s[30:31]
	s_cbranch_execnz .LBB36_41
.LBB36_42:
	s_or_b64 exec, exec, s[8:9]
	v_add_u32_e32 v4, 1, v4
	v_and_b32_e32 v5, 0x3fffffe, v4
	v_cmp_ne_u32_e32 vcc, v4, v5
	v_lshl_add_u32 v3, v5, 7, v0
	s_orn2_b64 s[8:9], vcc, exec
.LBB36_43:
	s_or_b64 exec, exec, s[6:7]
	s_and_b64 exec, exec, s[8:9]
	s_cbranch_execz .LBB36_46
; %bb.44:
	v_mov_b32_e32 v4, 0x90
	v_lshl_add_u32 v4, v3, 2, v4
	s_mov_b64 s[6:7], 0
.LBB36_45:                              ; =>This Inner Loop Header: Depth=1
	ds_read_b32 v5, v4
	v_add_u32_e32 v3, 0x80, v3
	v_cmp_le_i32_e32 vcc, s15, v3
	s_or_b64 s[6:7], vcc, s[6:7]
	s_waitcnt lgkmcnt(0)
	v_mul_f32_e32 v5, v2, v5
	ds_write_b32 v4, v5
	v_add_u32_e32 v4, 0x200, v4
	s_andn2_b64 exec, exec, s[6:7]
	s_cbranch_execnz .LBB36_45
.LBB36_46:
	s_or_b64 exec, exec, s[0:1]
	v_mov_b32_e32 v25, 0
	v_and_b32_e32 v35, 7, v0
	v_mov_b32_e32 v24, 0
	v_mov_b32_e32 v23, 0
	;; [unrolled: 1-line block ×3, first 2 shown]
	s_waitcnt lgkmcnt(0)
	s_barrier
	s_and_saveexec_b64 s[6:7], s[2:3]
	s_cbranch_execz .LBB36_60
; %bb.47:
	s_ashr_i32 s15, s14, 31
	s_sub_i32 s17, s12, s17
	s_lshl_b64 s[0:1], s[14:15], 2
	s_add_u32 s0, s28, s0
	s_addc_u32 s1, s29, s1
	s_abs_i32 s14, s18
	v_cvt_f32_u32_e32 v2, s14
	v_lshlrev_b32_e32 v3, 4, v0
	v_and_b32_e32 v22, 0x3f0, v3
	v_mov_b32_e32 v23, 0
	v_rcp_iflag_f32_e32 v2, v2
	v_lshl_add_u64 v[26:27], s[0:1], 0, v[22:23]
	s_sub_i32 s0, 0, s14
	s_add_i32 s18, s16, -1
	v_mul_f32_e32 v2, 0x4f7ffffe, v2
	v_cvt_u32_f32_e32 v2, v2
	v_and_b32_e32 v22, 60, v7
	v_and_b32_e32 v36, 28, v6
	s_mov_b32 s15, s13
	v_mul_lo_u32 v3, s0, v2
	v_mul_hi_u32 v3, v2, v3
	s_lshl_b64 s[0:1], s[26:27], 2
	v_add_u32_e32 v37, v2, v3
	s_add_u32 s0, s24, s0
	v_lshlrev_b32_e32 v2, 4, v35
	s_addc_u32 s1, s25, s1
	v_lshl_or_b32 v2, v1, 7, v2
	s_mov_b32 s28, s33
	v_lshl_add_u64 v[28:29], s[0:1], 0, v[22:23]
	v_add_u32_e32 v38, 0x90, v2
	s_mov_b64 s[2:3], 0
	v_mov_b32_e32 v22, v23
	v_mov_b32_e32 v24, v23
	v_mov_b32_e32 v25, v23
	s_branch .LBB36_50
.LBB36_48:                              ;   in Loop: Header=BB36_50 Depth=1
	s_or_b64 exec, exec, s[0:1]
	s_waitcnt vmcnt(1) lgkmcnt(0)
	v_mul_f32_e32 v14, v2, v14
	v_mul_f32_e32 v10, v2, v10
	;; [unrolled: 1-line block ×3, first 2 shown]
	v_fmac_f32_e32 v14, v3, v15
	v_fmac_f32_e32 v10, v3, v11
	;; [unrolled: 1-line block ×6, first 2 shown]
	s_waitcnt vmcnt(0)
	v_pk_mul_f32 v[2:3], v[2:3], v[18:19]
	v_fmac_f32_e32 v14, v5, v17
	v_fmac_f32_e32 v10, v5, v13
	;; [unrolled: 1-line block ×3, first 2 shown]
	v_pk_mul_f32 v[4:5], v[4:5], v[20:21]
	v_add_f32_e32 v2, v3, v2
	v_add_f32_e32 v2, v4, v2
	;; [unrolled: 1-line block ×7, first 2 shown]
.LBB36_49:                              ;   in Loop: Header=BB36_50 Depth=1
	s_or_b64 exec, exec, s[8:9]
	v_add_u32_e32 v1, 2, v1
	v_cmp_le_i32_e32 vcc, s16, v1
	v_lshl_add_u64 v[28:29], v[28:29], 0, 8
	v_add_u32_e32 v30, 64, v30
	s_or_b64 s[2:3], vcc, s[2:3]
	v_add_u32_e32 v38, 0x100, v38
	s_andn2_b64 exec, exec, s[2:3]
	s_cbranch_execz .LBB36_59
.LBB36_50:                              ; =>This Inner Loop Header: Depth=1
	v_mul_hi_u32 v2, v30, s40
	v_mul_lo_u32 v3, v2, s21
	v_sub_u32_e32 v3, v30, v3
	v_add_u32_e32 v4, 1, v2
	v_cmp_le_u32_e32 vcc, s21, v3
	s_nop 1
	v_cndmask_b32_e32 v2, v2, v4, vcc
	v_subrev_u32_e32 v4, s21, v3
	v_cndmask_b32_e32 v3, v3, v4, vcc
	v_add_u32_e32 v4, 1, v2
	v_cmp_le_u32_e32 vcc, s21, v3
	s_nop 1
	v_cndmask_b32_e32 v2, v2, v4, vcc
	v_xor_b32_e32 v2, s19, v2
	v_subrev_u32_e32 v2, s19, v2
	v_add_u32_e32 v3, s41, v2
	v_sub_u32_e32 v5, 0, v3
	v_ashrrev_i32_e32 v4, 31, v3
	v_max_i32_e32 v3, v3, v5
	v_mul_hi_u32 v5, v3, v37
	v_mul_lo_u32 v5, v5, s14
	v_sub_u32_e32 v3, v3, v5
	v_subrev_u32_e32 v5, s14, v3
	v_cmp_le_u32_e32 vcc, s14, v3
	v_cmp_lt_i32_e64 s[0:1], s17, v2
	s_nop 0
	v_cndmask_b32_e32 v3, v3, v5, vcc
	v_subrev_u32_e32 v5, s14, v3
	v_cmp_le_u32_e32 vcc, s14, v3
	s_nop 1
	v_cndmask_b32_e32 v3, v3, v5, vcc
	v_xor_b32_e32 v3, v3, v4
	v_sub_u32_e32 v3, v3, v4
	v_cmp_eq_u32_e32 vcc, 0, v3
	s_or_b64 s[0:1], vcc, s[0:1]
	s_and_saveexec_b64 s[8:9], s[0:1]
	s_cbranch_execz .LBB36_49
; %bb.51:                               ;   in Loop: Header=BB36_50 Depth=1
	global_load_dword v2, v[28:29], off
	v_add_u32_e32 v39, v36, v30
	v_cmp_eq_u32_e32 vcc, s18, v1
	v_add_u32_e32 v42, 1, v39
	v_or_b32_e32 v41, 3, v39
	v_or_b32_e32 v40, 2, v39
	s_waitcnt vmcnt(0)
	v_mad_i64_i32 v[2:3], s[0:1], v2, s15, 0
	v_lshl_add_u64 v[18:19], v[2:3], 2, v[26:27]
	global_load_dwordx4 v[6:9], v[18:19], off
	ds_read_b128 v[2:5], v38
	s_and_saveexec_b64 s[12:13], vcc
	s_cbranch_execnz .LBB36_55
; %bb.52:                               ;   in Loop: Header=BB36_50 Depth=1
	s_or_b64 exec, exec, s[12:13]
	global_load_dwordx4 v[10:13], v[18:19], off offset:1024
	s_and_saveexec_b64 s[12:13], vcc
	s_cbranch_execnz .LBB36_56
.LBB36_53:                              ;   in Loop: Header=BB36_50 Depth=1
	s_or_b64 exec, exec, s[12:13]
	global_load_dwordx4 v[14:17], v[18:19], off offset:2048
	s_and_saveexec_b64 s[12:13], vcc
	s_cbranch_execnz .LBB36_57
.LBB36_54:                              ;   in Loop: Header=BB36_50 Depth=1
	s_or_b64 exec, exec, s[12:13]
	global_load_dwordx4 v[18:21], v[18:19], off offset:3072
	s_and_saveexec_b64 s[0:1], vcc
	s_cbranch_execz .LBB36_48
	s_branch .LBB36_58
.LBB36_55:                              ;   in Loop: Header=BB36_50 Depth=1
	v_cmp_gt_i32_e64 s[0:1], s28, v42
	s_waitcnt vmcnt(0)
	s_nop 0
	v_cndmask_b32_e64 v7, 0, v7, s[0:1]
	v_cmp_gt_i32_e64 s[0:1], s33, v39
	s_nop 1
	v_cndmask_b32_e64 v6, 0, v6, s[0:1]
	v_cmp_gt_i32_e64 s[0:1], s28, v41
	;; [unrolled: 3-line block ×3, first 2 shown]
	s_nop 1
	v_cndmask_b32_e64 v8, 0, v8, s[0:1]
	s_or_b64 exec, exec, s[12:13]
	global_load_dwordx4 v[10:13], v[18:19], off offset:1024
	s_and_saveexec_b64 s[12:13], vcc
	s_cbranch_execz .LBB36_53
.LBB36_56:                              ;   in Loop: Header=BB36_50 Depth=1
	v_cmp_gt_i32_e64 s[0:1], s28, v42
	s_waitcnt vmcnt(0)
	s_nop 0
	v_cndmask_b32_e64 v11, 0, v11, s[0:1]
	v_cmp_gt_i32_e64 s[0:1], s33, v39
	s_nop 1
	v_cndmask_b32_e64 v10, 0, v10, s[0:1]
	v_cmp_gt_i32_e64 s[0:1], s28, v41
	;; [unrolled: 3-line block ×3, first 2 shown]
	s_nop 1
	v_cndmask_b32_e64 v12, 0, v12, s[0:1]
	s_or_b64 exec, exec, s[12:13]
	global_load_dwordx4 v[14:17], v[18:19], off offset:2048
	s_and_saveexec_b64 s[12:13], vcc
	s_cbranch_execz .LBB36_54
.LBB36_57:                              ;   in Loop: Header=BB36_50 Depth=1
	v_cmp_gt_i32_e64 s[0:1], s28, v42
	s_waitcnt vmcnt(0)
	s_nop 0
	v_cndmask_b32_e64 v15, 0, v15, s[0:1]
	v_cmp_gt_i32_e64 s[0:1], s33, v39
	s_nop 1
	v_cndmask_b32_e64 v14, 0, v14, s[0:1]
	v_cmp_gt_i32_e64 s[0:1], s28, v41
	;; [unrolled: 3-line block ×3, first 2 shown]
	s_nop 1
	v_cndmask_b32_e64 v16, 0, v16, s[0:1]
	s_or_b64 exec, exec, s[12:13]
	global_load_dwordx4 v[18:21], v[18:19], off offset:3072
	s_and_saveexec_b64 s[0:1], vcc
	s_cbranch_execz .LBB36_48
.LBB36_58:                              ;   in Loop: Header=BB36_50 Depth=1
	v_cmp_gt_i32_e32 vcc, s28, v42
	s_waitcnt vmcnt(0)
	s_nop 0
	v_cndmask_b32_e32 v19, 0, v19, vcc
	v_cmp_gt_i32_e32 vcc, s33, v39
	s_nop 1
	v_cndmask_b32_e32 v18, 0, v18, vcc
	v_cmp_gt_i32_e32 vcc, s28, v41
	;; [unrolled: 3-line block ×3, first 2 shown]
	s_nop 1
	v_cndmask_b32_e32 v20, 0, v20, vcc
	s_branch .LBB36_48
.LBB36_59:
	s_or_b64 exec, exec, s[2:3]
.LBB36_60:
	s_or_b64 exec, exec, s[6:7]
	ds_bpermute_b32 v2, v32, v22
	ds_bpermute_b32 v3, v32, v23
	;; [unrolled: 1-line block ×4, first 2 shown]
	v_and_b32_e32 v1, 0x3c7, v0
	v_cmp_ne_u32_e32 vcc, 64, v1
	s_waitcnt lgkmcnt(2)
	v_pk_add_f32 v[2:3], v[22:23], v[2:3]
	ds_bpermute_b32 v6, v33, v2
	ds_bpermute_b32 v7, v33, v3
	s_waitcnt lgkmcnt(2)
	v_pk_add_f32 v[4:5], v[24:25], v[4:5]
	ds_bpermute_b32 v8, v33, v4
	ds_bpermute_b32 v9, v33, v5
	;; [unrolled: 4-line block ×3, first 2 shown]
	v_pk_add_f32 v[4:5], v[4:5], v[8:9]
	ds_bpermute_b32 v6, v34, v4
	ds_bpermute_b32 v7, v34, v5
	s_barrier
	s_waitcnt lgkmcnt(2)
	v_pk_add_f32 v[2:3], v[2:3], v[10:11]
	s_waitcnt lgkmcnt(0)
	s_and_saveexec_b64 s[0:1], vcc
	s_xor_b64 s[0:1], exec, s[0:1]
; %bb.61:
                                        ; implicit-def: $vgpr31
; %bb.62:
	s_or_saveexec_b64 s[0:1], s[0:1]
	v_pk_add_f32 v[4:5], v[4:5], v[6:7]
	s_xor_b64 exec, exec, s[0:1]
	s_cbranch_execz .LBB36_64
; %bb.63:
	v_lshrrev_b32_e32 v6, 1, v31
	v_add_u32_e32 v6, 0x90, v6
	ds_write2_b32 v6, v2, v3 offset1:8
	ds_write2_b32 v6, v4, v5 offset0:16 offset1:24
.LBB36_64:
	s_or_b64 exec, exec, s[0:1]
	v_cmp_gt_u32_e32 vcc, 64, v0
	v_lshrrev_b32_e32 v0, 3, v0
	s_waitcnt lgkmcnt(0)
	s_barrier
	s_and_saveexec_b64 s[0:1], vcc
	s_cbranch_execz .LBB36_71
; %bb.65:
	v_mov_b32_e32 v6, 0x90
	v_cmp_eq_u32_e32 vcc, 0, v35
	v_lshl_add_u32 v6, v0, 2, v6
	s_and_saveexec_b64 s[2:3], vcc
	s_cbranch_execnz .LBB36_74
; %bb.66:
	s_or_b64 exec, exec, s[2:3]
	s_and_saveexec_b64 s[2:3], vcc
	s_cbranch_execnz .LBB36_75
.LBB36_67:
	s_or_b64 exec, exec, s[2:3]
	s_and_saveexec_b64 s[2:3], vcc
	s_cbranch_execnz .LBB36_76
.LBB36_68:
	s_or_b64 exec, exec, s[2:3]
	s_and_saveexec_b64 s[2:3], vcc
	s_cbranch_execz .LBB36_70
.LBB36_69:
	ds_read_b32 v6, v6 offset:96
	s_waitcnt lgkmcnt(0)
	v_add_f32_e32 v5, v5, v6
.LBB36_70:
	s_or_b64 exec, exec, s[2:3]
.LBB36_71:
	s_or_b64 exec, exec, s[0:1]
	v_cmp_eq_u32_e32 vcc, 0, v1
	s_barrier
	s_and_saveexec_b64 s[0:1], vcc
	s_cbranch_execz .LBB36_73
; %bb.72:
	s_mul_i32 s0, s10, s11
	s_mul_i32 s0, s0, s5
	s_lshl_b32 s0, s0, 5
	s_ashr_i32 s1, s0, 31
	s_lshl_b64 s[0:1], s[0:1], 2
	s_add_u32 s2, s22, s0
	s_mul_i32 s0, s11, s20
	s_addc_u32 s3, s23, s1
	s_ashr_i32 s1, s0, 31
	s_lshl_b64 s[0:1], s[0:1], 2
	s_add_u32 s2, s2, s0
	s_addc_u32 s3, s3, s1
	s_lshl_b32 s0, s4, 5
	s_ashr_i32 s1, s0, 31
	s_lshl_b64 s[0:1], s[0:1], 2
	s_add_u32 s0, s2, s0
	s_addc_u32 s1, s3, s1
	v_lshlrev_b32_e32 v0, 2, v0
	global_store_dword v0, v2, s[0:1]
	global_store_dword v0, v3, s[0:1] offset:32
	global_store_dword v0, v4, s[0:1] offset:64
	;; [unrolled: 1-line block ×3, first 2 shown]
.LBB36_73:
	s_endpgm
.LBB36_74:
	ds_read_b32 v7, v6
	s_waitcnt lgkmcnt(0)
	v_add_f32_e32 v2, v2, v7
	s_or_b64 exec, exec, s[2:3]
	s_and_saveexec_b64 s[2:3], vcc
	s_cbranch_execz .LBB36_67
.LBB36_75:
	ds_read_b32 v7, v6 offset:32
	s_waitcnt lgkmcnt(0)
	v_add_f32_e32 v3, v3, v7
	s_or_b64 exec, exec, s[2:3]
	s_and_saveexec_b64 s[2:3], vcc
	s_cbranch_execz .LBB36_68
.LBB36_76:
	ds_read_b32 v7, v6 offset:64
	s_waitcnt lgkmcnt(0)
	v_add_f32_e32 v4, v4, v7
	s_or_b64 exec, exec, s[2:3]
	s_and_saveexec_b64 s[2:3], vcc
	s_cbranch_execnz .LBB36_69
	s_branch .LBB36_70
	.section	.rodata,"a",@progbits
	.p2align	6, 0x0
	.amdhsa_kernel _ZN4vllm25paged_attention_v1_kernelIffLi32ELi32ELi128ELNS_18Fp8KVCacheDataTypeE0ELb1EEEvPT_PKS2_PKT0_S8_ifPKiSA_iPKfiiiSC_SC_iiiii
		.amdhsa_group_segment_fixed_size 144
		.amdhsa_private_segment_fixed_size 0
		.amdhsa_kernarg_size 384
		.amdhsa_user_sgpr_count 2
		.amdhsa_user_sgpr_dispatch_ptr 0
		.amdhsa_user_sgpr_queue_ptr 0
		.amdhsa_user_sgpr_kernarg_segment_ptr 1
		.amdhsa_user_sgpr_dispatch_id 0
		.amdhsa_user_sgpr_kernarg_preload_length 0
		.amdhsa_user_sgpr_kernarg_preload_offset 0
		.amdhsa_user_sgpr_private_segment_size 0
		.amdhsa_uses_dynamic_stack 0
		.amdhsa_enable_private_segment 0
		.amdhsa_system_sgpr_workgroup_id_x 1
		.amdhsa_system_sgpr_workgroup_id_y 1
		.amdhsa_system_sgpr_workgroup_id_z 1
		.amdhsa_system_sgpr_workgroup_info 0
		.amdhsa_system_vgpr_workitem_id 0
		.amdhsa_next_free_vgpr 56
		.amdhsa_next_free_sgpr 44
		.amdhsa_accum_offset 56
		.amdhsa_reserve_vcc 1
		.amdhsa_float_round_mode_32 0
		.amdhsa_float_round_mode_16_64 0
		.amdhsa_float_denorm_mode_32 3
		.amdhsa_float_denorm_mode_16_64 3
		.amdhsa_dx10_clamp 1
		.amdhsa_ieee_mode 1
		.amdhsa_fp16_overflow 0
		.amdhsa_tg_split 0
		.amdhsa_exception_fp_ieee_invalid_op 0
		.amdhsa_exception_fp_denorm_src 0
		.amdhsa_exception_fp_ieee_div_zero 0
		.amdhsa_exception_fp_ieee_overflow 0
		.amdhsa_exception_fp_ieee_underflow 0
		.amdhsa_exception_fp_ieee_inexact 0
		.amdhsa_exception_int_div_zero 0
	.end_amdhsa_kernel
	.section	.text._ZN4vllm25paged_attention_v1_kernelIffLi32ELi32ELi128ELNS_18Fp8KVCacheDataTypeE0ELb1EEEvPT_PKS2_PKT0_S8_ifPKiSA_iPKfiiiSC_SC_iiiii,"axG",@progbits,_ZN4vllm25paged_attention_v1_kernelIffLi32ELi32ELi128ELNS_18Fp8KVCacheDataTypeE0ELb1EEEvPT_PKS2_PKT0_S8_ifPKiSA_iPKfiiiSC_SC_iiiii,comdat
.Lfunc_end36:
	.size	_ZN4vllm25paged_attention_v1_kernelIffLi32ELi32ELi128ELNS_18Fp8KVCacheDataTypeE0ELb1EEEvPT_PKS2_PKT0_S8_ifPKiSA_iPKfiiiSC_SC_iiiii, .Lfunc_end36-_ZN4vllm25paged_attention_v1_kernelIffLi32ELi32ELi128ELNS_18Fp8KVCacheDataTypeE0ELb1EEEvPT_PKS2_PKT0_S8_ifPKiSA_iPKfiiiSC_SC_iiiii
                                        ; -- End function
	.set _ZN4vllm25paged_attention_v1_kernelIffLi32ELi32ELi128ELNS_18Fp8KVCacheDataTypeE0ELb1EEEvPT_PKS2_PKT0_S8_ifPKiSA_iPKfiiiSC_SC_iiiii.num_vgpr, 56
	.set _ZN4vllm25paged_attention_v1_kernelIffLi32ELi32ELi128ELNS_18Fp8KVCacheDataTypeE0ELb1EEEvPT_PKS2_PKT0_S8_ifPKiSA_iPKfiiiSC_SC_iiiii.num_agpr, 0
	.set _ZN4vllm25paged_attention_v1_kernelIffLi32ELi32ELi128ELNS_18Fp8KVCacheDataTypeE0ELb1EEEvPT_PKS2_PKT0_S8_ifPKiSA_iPKfiiiSC_SC_iiiii.numbered_sgpr, 44
	.set _ZN4vllm25paged_attention_v1_kernelIffLi32ELi32ELi128ELNS_18Fp8KVCacheDataTypeE0ELb1EEEvPT_PKS2_PKT0_S8_ifPKiSA_iPKfiiiSC_SC_iiiii.num_named_barrier, 0
	.set _ZN4vllm25paged_attention_v1_kernelIffLi32ELi32ELi128ELNS_18Fp8KVCacheDataTypeE0ELb1EEEvPT_PKS2_PKT0_S8_ifPKiSA_iPKfiiiSC_SC_iiiii.private_seg_size, 0
	.set _ZN4vllm25paged_attention_v1_kernelIffLi32ELi32ELi128ELNS_18Fp8KVCacheDataTypeE0ELb1EEEvPT_PKS2_PKT0_S8_ifPKiSA_iPKfiiiSC_SC_iiiii.uses_vcc, 1
	.set _ZN4vllm25paged_attention_v1_kernelIffLi32ELi32ELi128ELNS_18Fp8KVCacheDataTypeE0ELb1EEEvPT_PKS2_PKT0_S8_ifPKiSA_iPKfiiiSC_SC_iiiii.uses_flat_scratch, 0
	.set _ZN4vllm25paged_attention_v1_kernelIffLi32ELi32ELi128ELNS_18Fp8KVCacheDataTypeE0ELb1EEEvPT_PKS2_PKT0_S8_ifPKiSA_iPKfiiiSC_SC_iiiii.has_dyn_sized_stack, 0
	.set _ZN4vllm25paged_attention_v1_kernelIffLi32ELi32ELi128ELNS_18Fp8KVCacheDataTypeE0ELb1EEEvPT_PKS2_PKT0_S8_ifPKiSA_iPKfiiiSC_SC_iiiii.has_recursion, 0
	.set _ZN4vllm25paged_attention_v1_kernelIffLi32ELi32ELi128ELNS_18Fp8KVCacheDataTypeE0ELb1EEEvPT_PKS2_PKT0_S8_ifPKiSA_iPKfiiiSC_SC_iiiii.has_indirect_call, 0
	.section	.AMDGPU.csdata,"",@progbits
; Kernel info:
; codeLenInByte = 4592
; TotalNumSgprs: 50
; NumVgprs: 56
; NumAgprs: 0
; TotalNumVgprs: 56
; ScratchSize: 0
; MemoryBound: 0
; FloatMode: 240
; IeeeMode: 1
; LDSByteSize: 144 bytes/workgroup (compile time only)
; SGPRBlocks: 6
; VGPRBlocks: 6
; NumSGPRsForWavesPerEU: 50
; NumVGPRsForWavesPerEU: 56
; AccumOffset: 56
; Occupancy: 8
; WaveLimiterHint : 1
; COMPUTE_PGM_RSRC2:SCRATCH_EN: 0
; COMPUTE_PGM_RSRC2:USER_SGPR: 2
; COMPUTE_PGM_RSRC2:TRAP_HANDLER: 0
; COMPUTE_PGM_RSRC2:TGID_X_EN: 1
; COMPUTE_PGM_RSRC2:TGID_Y_EN: 1
; COMPUTE_PGM_RSRC2:TGID_Z_EN: 1
; COMPUTE_PGM_RSRC2:TIDIG_COMP_CNT: 0
; COMPUTE_PGM_RSRC3_GFX90A:ACCUM_OFFSET: 13
; COMPUTE_PGM_RSRC3_GFX90A:TG_SPLIT: 0
	.section	.text._ZN4vllm25paged_attention_v1_kernelIffLi64ELi32ELi128ELNS_18Fp8KVCacheDataTypeE0ELb1EEEvPT_PKS2_PKT0_S8_ifPKiSA_iPKfiiiSC_SC_iiiii,"axG",@progbits,_ZN4vllm25paged_attention_v1_kernelIffLi64ELi32ELi128ELNS_18Fp8KVCacheDataTypeE0ELb1EEEvPT_PKS2_PKT0_S8_ifPKiSA_iPKfiiiSC_SC_iiiii,comdat
	.protected	_ZN4vllm25paged_attention_v1_kernelIffLi64ELi32ELi128ELNS_18Fp8KVCacheDataTypeE0ELb1EEEvPT_PKS2_PKT0_S8_ifPKiSA_iPKfiiiSC_SC_iiiii ; -- Begin function _ZN4vllm25paged_attention_v1_kernelIffLi64ELi32ELi128ELNS_18Fp8KVCacheDataTypeE0ELb1EEEvPT_PKS2_PKT0_S8_ifPKiSA_iPKfiiiSC_SC_iiiii
	.globl	_ZN4vllm25paged_attention_v1_kernelIffLi64ELi32ELi128ELNS_18Fp8KVCacheDataTypeE0ELb1EEEvPT_PKS2_PKT0_S8_ifPKiSA_iPKfiiiSC_SC_iiiii
	.p2align	8
	.type	_ZN4vllm25paged_attention_v1_kernelIffLi64ELi32ELi128ELNS_18Fp8KVCacheDataTypeE0ELb1EEEvPT_PKS2_PKT0_S8_ifPKiSA_iPKfiiiSC_SC_iiiii,@function
_ZN4vllm25paged_attention_v1_kernelIffLi64ELi32ELi128ELNS_18Fp8KVCacheDataTypeE0ELb1EEEvPT_PKS2_PKT0_S8_ifPKiSA_iPKfiiiSC_SC_iiiii: ; @_ZN4vllm25paged_attention_v1_kernelIffLi64ELi32ELi128ELNS_18Fp8KVCacheDataTypeE0ELb1EEEvPT_PKS2_PKT0_S8_ifPKiSA_iPKfiiiSC_SC_iiiii
; %bb.0:
	s_load_dword s5, s[0:1], 0x80
	s_load_dwordx2 s[6:7], s[0:1], 0x30
	s_load_dwordx2 s[30:31], s[0:1], 0x20
	s_mov_b32 s10, s3
	s_ashr_i32 s11, s3, 31
	s_lshl_b64 s[8:9], s[10:11], 2
	s_waitcnt lgkmcnt(0)
	s_add_u32 s6, s6, s8
	s_addc_u32 s7, s7, s9
	s_abs_i32 s3, s30
	v_cvt_f32_u32_e32 v1, s3
	s_sub_i32 s11, 0, s3
	s_abs_i32 s9, s5
	s_xor_b32 s8, s5, s30
	v_rcp_iflag_f32_e32 v1, v1
	s_ashr_i32 s8, s8, 31
	s_mov_b32 s42, 0
	v_mul_f32_e32 v1, 0x4f7ffffe, v1
	v_cvt_u32_f32_e32 v1, v1
	s_nop 0
	v_readfirstlane_b32 s12, v1
	s_mul_i32 s11, s11, s12
	s_mul_hi_u32 s11, s12, s11
	s_add_i32 s12, s12, s11
	s_mul_hi_u32 s11, s9, s12
	s_mul_i32 s12, s11, s3
	s_sub_i32 s9, s9, s12
	s_add_i32 s12, s11, 1
	s_sub_i32 s13, s9, s3
	s_cmp_ge_u32 s9, s3
	s_cselect_b32 s11, s12, s11
	s_cselect_b32 s9, s13, s9
	s_add_i32 s12, s11, 1
	s_cmp_ge_u32 s9, s3
	s_cselect_b32 s3, s12, s11
	s_xor_b32 s3, s3, s8
	s_sub_i32 s12, s3, s8
	s_abs_i32 s11, s12
	v_cvt_f32_u32_e32 v1, s11
	s_load_dwordx2 s[8:9], s[0:1], 0x40
	s_sub_i32 s3, 0, s11
	s_abs_i32 s22, s2
	v_rcp_iflag_f32_e32 v1, v1
	s_nop 0
	v_mul_f32_e32 v1, 0x4f7ffffe, v1
	v_cvt_u32_f32_e32 v1, v1
	s_nop 0
	v_readfirstlane_b32 s13, v1
	s_mul_i32 s3, s3, s13
	s_mul_hi_u32 s3, s13, s3
	s_add_i32 s13, s13, s3
	s_waitcnt lgkmcnt(0)
	s_cmp_eq_u64 s[8:9], 0
	s_mul_hi_u32 s23, s22, s13
	s_cbranch_scc1 .LBB37_2
; %bb.1:
	s_ashr_i32 s3, s2, 31
	s_lshl_b64 s[14:15], s[2:3], 2
	s_add_u32 s8, s8, s14
	s_addc_u32 s9, s9, s15
	s_load_dword s42, s[8:9], 0x0
.LBB37_2:
	s_load_dword s33, s[6:7], 0x0
	s_ashr_i32 s9, s12, 31
	s_load_dwordx4 s[12:15], s[0:1], 0x48
	s_ashr_i32 s3, s2, 31
	v_and_b32_e32 v4, 1, v0
	s_lshl_b32 s20, s2, 6
	v_cmp_gt_u32_e32 vcc, 32, v0
	v_lshlrev_b32_e32 v2, 3, v0
	v_lshlrev_b32_e32 v6, 2, v0
	s_and_saveexec_b64 s[6:7], vcc
	s_cbranch_execz .LBB37_4
; %bb.3:
	s_load_dwordx2 s[16:17], s[0:1], 0x8
	s_waitcnt lgkmcnt(0)
	s_mul_i32 s18, s12, s10
	s_ashr_i32 s19, s18, 31
	s_lshl_b64 s[18:19], s[18:19], 2
	v_and_b32_e32 v1, 0xff8, v6
	s_add_u32 s8, s16, s18
	s_addc_u32 s12, s17, s19
	s_ashr_i32 s21, s20, 31
	s_lshl_b64 s[16:17], s[20:21], 2
	s_add_u32 s16, s8, s16
	s_addc_u32 s17, s12, s17
	global_load_dwordx2 v[8:9], v2, s[16:17]
	v_lshl_add_u32 v1, v4, 7, v1
	s_waitcnt vmcnt(0)
	ds_write_b64 v1, v[8:9]
.LBB37_4:
	s_or_b64 exec, exec, s[6:7]
	s_mul_i32 s6, s23, s11
	s_sub_i32 s6, s22, s6
	s_xor_b32 s3, s3, s9
	s_add_i32 s7, s23, 1
	s_sub_i32 s9, s6, s11
	s_load_dwordx4 s[16:19], s[0:1], 0x68
	s_load_dword s8, s[0:1], 0x78
	s_cmp_ge_u32 s6, s11
	s_cselect_b32 s7, s7, s23
	s_cselect_b32 s6, s9, s6
	s_add_i32 s9, s7, 1
	s_cmp_ge_u32 s6, s11
	s_cselect_b32 s6, s9, s7
	s_waitcnt lgkmcnt(0)
	s_abs_i32 s21, s19
	v_cvt_f32_u32_e32 v1, s21
	s_xor_b32 s6, s6, s3
	s_sub_i32 s3, s6, s3
	s_sub_i32 s6, 0, s21
	v_rcp_iflag_f32_e32 v1, v1
	s_add_i32 s11, s33, -1
	s_abs_i32 s9, s11
	v_mul_f32_e32 v1, 0x4f7ffffe, v1
	v_cvt_u32_f32_e32 v1, v1
	s_barrier
	v_readfirstlane_b32 s40, v1
	s_mul_i32 s6, s6, s40
	s_mul_hi_u32 s6, s40, s6
	s_add_i32 s40, s40, s6
	s_cmp_lt_i32 s8, 0
	s_mul_hi_u32 s12, s9, s40
	s_cbranch_scc0 .LBB37_6
; %bb.5:
	s_mul_i32 s6, s16, s30
	s_add_i32 s6, s3, s6
	s_mul_i32 s6, s6, s8
	s_sub_i32 s41, 1, s6
	s_mov_b64 s[6:7], 0
	s_branch .LBB37_7
.LBB37_6:
	s_mov_b64 s[6:7], -1
                                        ; implicit-def: $sgpr41
.LBB37_7:
	s_load_dwordx2 s[24:25], s[0:1], 0x28
	s_ashr_i32 s15, s11, 31
	s_andn2_b64 vcc, exec, s[6:7]
	s_ashr_i32 s19, s19, 31
	s_cbranch_vccnz .LBB37_9
; %bb.8:
	s_mul_i32 s6, s5, s16
	s_add_i32 s2, s6, s2
	s_mul_i32 s2, s2, s8
	s_add_i32 s41, s2, 1
.LBB37_9:
	s_load_dword s2, s[0:1], 0x38
	s_load_dwordx2 s[22:23], s[0:1], 0x0
	s_load_dwordx2 s[28:29], s[0:1], 0x18
	s_load_dword s11, s[0:1], 0x88
	s_xor_b32 s6, s15, s19
	s_waitcnt lgkmcnt(0)
	s_mul_i32 s26, s2, s10
	s_mul_i32 s2, s12, s21
	s_sub_i32 s2, s9, s2
	s_ashr_i32 s27, s26, 31
	s_add_i32 s7, s12, 1
	s_sub_i32 s8, s2, s21
	s_cmp_ge_u32 s2, s21
	s_cselect_b32 s7, s7, s12
	s_cselect_b32 s2, s8, s2
	s_add_i32 s8, s7, 1
	s_cmp_ge_u32 s2, s21
	s_cselect_b32 s2, s8, s7
	s_xor_b32 s2, s2, s6
	s_sub_i32 s12, s2, s6
	s_add_i32 s2, s33, 31
	s_ashr_i32 s6, s2, 31
	s_lshr_b32 s6, s6, 27
	s_add_i32 s2, s2, s6
	s_ashr_i32 s16, s2, 5
	v_lshrrev_b32_e32 v1, 6, v0
	v_cmp_gt_i32_e64 s[6:7], s16, v1
	v_mov_b32_e32 v11, 0xff7fffff
	s_mul_i32 s14, s3, s14
	v_lshrrev_b32_e32 v7, 4, v0
	v_lshlrev_b32_e32 v50, 5, v1
	v_mbcnt_lo_u32_b32 v8, -1, 0
	s_and_saveexec_b64 s[34:35], s[6:7]
	s_cbranch_execz .LBB37_21
; %bb.10:
	s_load_dwordx2 s[0:1], s[0:1], 0x10
	s_ashr_i32 s15, s14, 31
	s_sub_i32 s30, s12, s17
	s_lshl_b64 s[2:3], s[14:15], 2
	v_bfe_u32 v9, v0, 1, 5
	s_waitcnt lgkmcnt(0)
	s_add_u32 s0, s0, s2
	s_addc_u32 s1, s1, s3
	s_abs_i32 s15, s18
	v_cvt_f32_u32_e32 v3, s15
	v_lshlrev_b32_e32 v14, 4, v9
	v_mov_b32_e32 v15, 0
	v_lshl_add_u64 v[10:11], s[0:1], 0, v[14:15]
	v_rcp_iflag_f32_e32 v5, v3
	v_and_b32_e32 v14, 8, v2
	s_sub_i32 s0, 0, s15
	v_cmp_eq_u32_e32 vcc, 0, v4
	v_mul_f32_e32 v5, 0x4f7ffffe, v5
	v_cvt_u32_f32_e32 v5, v5
	v_lshl_add_u64 v[2:3], v[10:11], 0, v[14:15]
	v_lshlrev_b32_e32 v10, 7, v4
	v_lshlrev_b32_e32 v16, 2, v9
	v_mul_lo_u32 v4, s0, v5
	s_lshl_b64 s[0:1], s[26:27], 2
	s_add_u32 s0, s24, s0
	v_mul_hi_u32 v4, v5, v4
	v_and_b32_e32 v14, 60, v7
	s_addc_u32 s1, s25, s1
	v_subrev_u32_e32 v11, s33, v9
	v_add_u32_e32 v12, v5, v4
	v_lshl_add_u64 v[4:5], s[0:1], 0, v[14:15]
	v_add_u32_e32 v14, 1, v11
	v_lshl_or_b32 v11, v1, 7, v16
	v_mbcnt_hi_u32_b32 v17, -1, v8
	v_add_u32_e32 v15, 0x110, v11
	v_and_b32_e32 v11, 64, v17
	s_mov_b32 s43, s13
	v_cmp_neq_f32_e64 s[2:3], s42, 0
	v_lshlrev_b32_e32 v13, 5, v1
	v_mov_b32_e32 v16, 0xff7fffff
	s_mov_b64 s[36:37], 0
	s_movk_i32 s44, 0x1000
	v_xor_b32_e32 v18, 1, v17
	v_add_u32_e32 v19, 64, v11
	v_mov_b32_e32 v11, 0xff7fffff
	v_mov_b32_e32 v20, v1
	s_branch .LBB37_13
.LBB37_11:                              ;   in Loop: Header=BB37_13 Depth=1
	s_or_b64 exec, exec, s[38:39]
.LBB37_12:                              ;   in Loop: Header=BB37_13 Depth=1
	s_or_b64 exec, exec, s[8:9]
	v_add_u32_e32 v20, 2, v20
	v_cmp_le_i32_e64 s[0:1], s16, v20
	v_lshl_add_u64 v[4:5], v[4:5], 0, 8
	v_add_u32_e32 v13, 64, v13
	s_or_b64 s[36:37], s[0:1], s[36:37]
	v_add_u32_e32 v15, 0x100, v15
	s_andn2_b64 exec, exec, s[36:37]
	s_cbranch_execz .LBB37_20
.LBB37_13:                              ; =>This Inner Loop Header: Depth=1
	v_mul_hi_u32 v21, v13, s40
	s_waitcnt lgkmcnt(0)
	v_mul_lo_u32 v22, v21, s21
	v_sub_u32_e32 v22, v13, v22
	v_add_u32_e32 v23, 1, v21
	v_cmp_le_u32_e64 s[0:1], s21, v22
	s_nop 1
	v_cndmask_b32_e64 v21, v21, v23, s[0:1]
	v_subrev_u32_e32 v23, s21, v22
	v_cndmask_b32_e64 v22, v22, v23, s[0:1]
	v_add_u32_e32 v23, 1, v21
	v_cmp_le_u32_e64 s[0:1], s21, v22
	s_nop 1
	v_cndmask_b32_e64 v21, v21, v23, s[0:1]
	v_xor_b32_e32 v21, s19, v21
	v_subrev_u32_e32 v21, s19, v21
	v_add_u32_e32 v22, s41, v21
	v_sub_u32_e32 v24, 0, v22
	v_ashrrev_i32_e32 v23, 31, v22
	v_max_i32_e32 v22, v22, v24
	v_mul_hi_u32 v24, v22, v12
	v_mul_lo_u32 v24, v24, s15
	v_sub_u32_e32 v22, v22, v24
	v_subrev_u32_e32 v24, s15, v22
	v_cmp_le_u32_e64 s[0:1], s15, v22
	v_cmp_ge_i32_e64 s[8:9], s30, v21
	s_nop 0
	v_cndmask_b32_e64 v22, v22, v24, s[0:1]
	v_subrev_u32_e32 v24, s15, v22
	v_cmp_le_u32_e64 s[0:1], s15, v22
	s_nop 1
	v_cndmask_b32_e64 v22, v22, v24, s[0:1]
	v_xor_b32_e32 v22, v22, v23
	v_sub_u32_e32 v22, v22, v23
	v_cmp_ne_u32_e64 s[0:1], 0, v22
	s_and_b64 s[0:1], s[0:1], s[8:9]
	s_and_saveexec_b64 s[8:9], s[0:1]
	s_xor_b64 s[0:1], exec, s[8:9]
	s_cbranch_execz .LBB37_17
; %bb.14:                               ;   in Loop: Header=BB37_13 Depth=1
	s_and_saveexec_b64 s[8:9], vcc
; %bb.15:                               ;   in Loop: Header=BB37_13 Depth=1
	ds_write_b32 v15, v16
; %bb.16:                               ;   in Loop: Header=BB37_13 Depth=1
	s_or_b64 exec, exec, s[8:9]
.LBB37_17:                              ;   in Loop: Header=BB37_13 Depth=1
	s_andn2_saveexec_b64 s[8:9], s[0:1]
	s_cbranch_execz .LBB37_12
; %bb.18:                               ;   in Loop: Header=BB37_13 Depth=1
	global_load_dword v21, v[4:5], off
	s_waitcnt vmcnt(0)
	v_mad_i64_i32 v[22:23], s[0:1], v21, s43, 0
	v_lshl_add_u64 v[22:23], v[22:23], 2, v[2:3]
	global_load_dwordx2 v[56:57], v[22:23], off offset:512
	global_load_dwordx2 v[58:59], v[22:23], off offset:1024
	global_load_dwordx2 v[60:61], v[22:23], off offset:1536
	global_load_dwordx2 v[62:63], v[22:23], off
	global_load_dwordx2 v[64:65], v[22:23], off offset:2048
	global_load_dwordx2 v[66:67], v[22:23], off offset:2560
	;; [unrolled: 1-line block ×4, first 2 shown]
	v_add_co_u32_e64 v22, s[0:1], s44, v22
	s_nop 1
	v_addc_co_u32_e64 v23, s[0:1], 0, v23, s[0:1]
	global_load_dwordx2 v[72:73], v[22:23], off
	global_load_dwordx2 v[74:75], v[22:23], off offset:512
	global_load_dwordx2 v[76:77], v[22:23], off offset:1024
	;; [unrolled: 1-line block ×7, first 2 shown]
	v_cmp_lt_i32_e64 s[0:1], v18, v19
	ds_read_b128 v[22:25], v10
	ds_read_b128 v[26:29], v10 offset:16
	ds_read_b128 v[30:33], v10 offset:32
	;; [unrolled: 1-line block ×7, first 2 shown]
	v_cndmask_b32_e64 v21, v17, v18, s[0:1]
	v_lshlrev_b32_e32 v51, 2, v21
	s_waitcnt vmcnt(15) lgkmcnt(7)
	v_mul_f32_e32 v21, v24, v56
	v_mul_f32_e32 v24, v25, v57
	s_waitcnt vmcnt(12)
	v_fmac_f32_e32 v21, v22, v62
	v_fmac_f32_e32 v24, v23, v63
	s_waitcnt lgkmcnt(6)
	v_fmac_f32_e32 v21, v26, v58
	v_fmac_f32_e32 v24, v27, v59
	;; [unrolled: 1-line block ×4, first 2 shown]
	s_waitcnt vmcnt(11) lgkmcnt(5)
	v_fmac_f32_e32 v21, v30, v64
	v_fmac_f32_e32 v24, v31, v65
	s_waitcnt vmcnt(10)
	v_fmac_f32_e32 v21, v32, v66
	v_fmac_f32_e32 v24, v33, v67
	s_waitcnt vmcnt(9) lgkmcnt(4)
	v_fmac_f32_e32 v21, v34, v68
	v_fmac_f32_e32 v24, v35, v69
	s_waitcnt vmcnt(8)
	v_fmac_f32_e32 v21, v36, v70
	v_fmac_f32_e32 v24, v37, v71
	s_waitcnt vmcnt(7) lgkmcnt(3)
	v_fmac_f32_e32 v21, v38, v72
	v_fmac_f32_e32 v24, v39, v73
	s_waitcnt vmcnt(6)
	v_fmac_f32_e32 v21, v40, v74
	v_fmac_f32_e32 v24, v41, v75
	s_waitcnt vmcnt(5) lgkmcnt(2)
	v_fmac_f32_e32 v21, v42, v76
	v_fmac_f32_e32 v24, v43, v77
	s_waitcnt vmcnt(4)
	v_fmac_f32_e32 v21, v44, v78
	v_fmac_f32_e32 v24, v45, v79
	s_waitcnt vmcnt(3) lgkmcnt(1)
	v_fmac_f32_e32 v21, v46, v80
	v_fmac_f32_e32 v24, v47, v81
	s_waitcnt vmcnt(2)
	v_fmac_f32_e32 v21, v48, v82
	v_fmac_f32_e32 v24, v49, v83
	s_waitcnt vmcnt(1) lgkmcnt(0)
	v_fmac_f32_e32 v21, v52, v84
	v_fmac_f32_e32 v24, v53, v85
	s_waitcnt vmcnt(0)
	v_fmac_f32_e32 v21, v54, v86
	v_fmac_f32_e32 v24, v55, v87
	v_add_f32_e32 v21, v21, v24
	ds_bpermute_b32 v22, v51, v21
	s_and_saveexec_b64 s[38:39], vcc
	s_cbranch_execz .LBB37_11
; %bb.19:                               ;   in Loop: Header=BB37_13 Depth=1
	v_add_u32_e32 v23, v14, v13
	v_cvt_f32_i32_e32 v23, v23
	s_waitcnt lgkmcnt(0)
	v_add_f32_e32 v21, v21, v22
	v_add_u32_e32 v24, v9, v13
	v_cmp_gt_i32_e64 s[0:1], s33, v24
	v_mul_f32_e32 v22, s42, v23
	v_cndmask_b32_e64 v22, 0, v22, s[2:3]
	v_fmac_f32_e32 v22, s31, v21
	v_cndmask_b32_e64 v21, 0, v22, s[0:1]
	ds_write_b32 v15, v21
	v_max_f32_e32 v21, v11, v11
	v_max_f32_e32 v21, v21, v22
	v_cndmask_b32_e64 v11, v11, v21, s[0:1]
	s_branch .LBB37_11
.LBB37_20:
	s_or_b64 exec, exec, s[36:37]
.LBB37_21:
	s_or_b64 exec, exec, s[34:35]
	v_mbcnt_hi_u32_b32 v2, -1, v8
	v_and_b32_e32 v10, 64, v2
	v_add_u32_e32 v12, 64, v10
	v_xor_b32_e32 v3, 32, v2
	v_cmp_lt_i32_e32 vcc, v3, v12
	v_xor_b32_e32 v8, 16, v2
	v_max_f32_e32 v5, v11, v11
	v_cndmask_b32_e32 v3, v2, v3, vcc
	v_lshlrev_b32_e32 v3, 2, v3
	ds_bpermute_b32 v4, v3, v11
	v_cmp_lt_i32_e32 vcc, v8, v12
	v_xor_b32_e32 v9, 8, v2
	v_xor_b32_e32 v11, 4, v2
	v_and_b32_e32 v51, 63, v0
	s_waitcnt lgkmcnt(0)
	v_max_f32_e32 v4, v4, v4
	v_max_f32_e32 v5, v5, v4
	v_cndmask_b32_e32 v4, v2, v8, vcc
	v_lshlrev_b32_e32 v4, 2, v4
	ds_bpermute_b32 v8, v4, v5
	v_cmp_lt_i32_e32 vcc, v9, v12
	s_waitcnt lgkmcnt(0)
	v_max_f32_e32 v8, v8, v8
	v_max_f32_e32 v8, v5, v8
	v_cndmask_b32_e32 v5, v2, v9, vcc
	v_lshlrev_b32_e32 v5, 2, v5
	ds_bpermute_b32 v9, v5, v8
	v_cmp_lt_i32_e32 vcc, v11, v12
	s_waitcnt lgkmcnt(0)
	v_max_f32_e32 v9, v9, v9
	v_max_f32_e32 v8, v8, v9
	v_cndmask_b32_e32 v9, v2, v11, vcc
	v_lshlrev_b32_e32 v52, 2, v9
	ds_bpermute_b32 v9, v52, v8
	v_xor_b32_e32 v11, 2, v2
	v_cmp_lt_i32_e32 vcc, v11, v12
	s_waitcnt lgkmcnt(0)
	v_max_f32_e32 v9, v9, v9
	v_max_f32_e32 v9, v8, v9
	v_cndmask_b32_e32 v8, v2, v11, vcc
	v_lshlrev_b32_e32 v53, 2, v8
	ds_bpermute_b32 v11, v53, v9
	v_cmp_eq_u32_e32 vcc, 0, v51
	v_lshlrev_b32_e32 v8, 2, v1
	s_and_saveexec_b64 s[0:1], vcc
	s_cbranch_execz .LBB37_23
; %bb.22:
	s_waitcnt lgkmcnt(0)
	v_max_f32_e32 v11, v11, v11
	v_max_f32_e32 v9, v9, v9
	;; [unrolled: 1-line block ×3, first 2 shown]
	ds_write_b32 v8, v9 offset:256
.LBB37_23:
	s_or_b64 exec, exec, s[0:1]
	v_cmp_gt_u32_e64 s[0:1], 2, v51
	s_waitcnt lgkmcnt(0)
	v_mov_b32_e32 v11, 0xff7fffff
	v_lshlrev_b32_e32 v9, 2, v51
	s_barrier
	s_and_saveexec_b64 s[2:3], s[0:1]
; %bb.24:
	ds_read_b32 v11, v9 offset:256
; %bb.25:
	s_or_b64 exec, exec, s[2:3]
	v_xor_b32_e32 v13, 1, v2
	v_cmp_lt_i32_e64 s[2:3], v13, v12
	v_lshlrev_b32_e32 v10, 2, v10
	s_nop 0
	v_cndmask_b32_e64 v12, v2, v13, s[2:3]
	v_lshlrev_b32_e32 v54, 2, v12
	s_waitcnt lgkmcnt(0)
	ds_bpermute_b32 v12, v54, v11
	v_max_f32_e32 v11, v11, v11
	s_lshl_b32 s2, s16, 5
	s_min_i32 s15, s2, s33
	v_cmp_gt_i32_e64 s[2:3], s15, v0
	s_waitcnt lgkmcnt(0)
	v_max_f32_e32 v12, v12, v12
	v_max_f32_e32 v11, v11, v12
	ds_bpermute_b32 v11, v10, v11
	v_mov_b32_e32 v10, 0
	s_and_saveexec_b64 s[30:31], s[2:3]
	s_cbranch_execz .LBB37_29
; %bb.26:
	v_mov_b32_e32 v10, 0x110
	v_lshl_add_u32 v12, v0, 2, v10
	v_mov_b32_e32 v10, 0
	s_mov_b64 s[34:35], 0
	v_mov_b32_e32 v13, v0
.LBB37_27:                              ; =>This Inner Loop Header: Depth=1
	ds_read_b32 v14, v12
	v_add_u32_e32 v13, 0x80, v13
	v_cmp_le_i32_e64 s[8:9], s15, v13
	s_or_b64 s[34:35], s[8:9], s[34:35]
	s_waitcnt lgkmcnt(0)
	v_sub_f32_e32 v14, v14, v11
	v_mul_f32_e32 v14, 0x3fb8aa3b, v14
	v_exp_f32_e32 v14, v14
	ds_write_b32 v12, v14
	v_add_f32_e32 v10, v10, v14
	v_add_u32_e32 v12, 0x200, v12
	s_andn2_b64 exec, exec, s[34:35]
	s_cbranch_execnz .LBB37_27
; %bb.28:
	s_or_b64 exec, exec, s[34:35]
.LBB37_29:
	s_or_b64 exec, exec, s[30:31]
	ds_bpermute_b32 v3, v3, v10
	s_waitcnt lgkmcnt(0)
	v_add_f32_e32 v3, v10, v3
	ds_bpermute_b32 v4, v4, v3
	s_waitcnt lgkmcnt(0)
	v_add_f32_e32 v3, v3, v4
	;; [unrolled: 3-line block ×6, first 2 shown]
	s_and_saveexec_b64 s[8:9], vcc
; %bb.30:
	ds_write_b32 v8, v3 offset:264
; %bb.31:
	s_or_b64 exec, exec, s[8:9]
	s_waitcnt lgkmcnt(0)
	s_barrier
	s_and_saveexec_b64 s[8:9], s[0:1]
; %bb.32:
	ds_read_b32 v3, v9 offset:264
; %bb.33:
	s_or_b64 exec, exec, s[8:9]
	s_waitcnt lgkmcnt(0)
	ds_bpermute_b32 v4, v54, v3
	v_lshlrev_b32_e32 v2, 2, v2
	v_and_b32_e32 v2, 0x100, v2
	s_waitcnt lgkmcnt(0)
	v_add_f32_e32 v3, v3, v4
	ds_bpermute_b32 v2, v2, v3
	s_and_saveexec_b64 s[0:1], s[2:3]
	s_cbranch_execz .LBB37_46
; %bb.34:
	s_waitcnt lgkmcnt(0)
	v_add_f32_e32 v2, 0x358637bd, v2
	v_div_scale_f32 v3, s[2:3], v2, v2, 1.0
	v_rcp_f32_e32 v4, v3
	v_div_scale_f32 v5, vcc, 1.0, v2, 1.0
	s_movk_i32 s2, 0x7f
	v_fma_f32 v8, -v3, v4, 1.0
	v_fmac_f32_e32 v4, v8, v4
	v_mul_f32_e32 v8, v5, v4
	v_fma_f32 v9, -v3, v8, v5
	v_fmac_f32_e32 v8, v9, v4
	v_fma_f32 v3, -v3, v8, v5
	v_div_fmas_f32 v3, v3, v4, v8
	v_xad_u32 v4, v0, -1, s15
	v_div_fixup_f32 v2, v3, v2, 1.0
	v_cmp_lt_u32_e32 vcc, s2, v4
	s_mov_b64 s[8:9], -1
	v_mov_b32_e32 v3, v0
	s_and_saveexec_b64 s[2:3], vcc
	s_cbranch_execz .LBB37_43
; %bb.35:
	v_lshrrev_b32_e32 v4, 7, v4
	v_add_u32_e32 v8, -1, v4
	v_lshrrev_b32_e32 v5, 1, v8
	v_mov_b32_e32 v3, v2
	v_add_u32_e32 v5, 1, v5
	v_cmp_lt_u32_e32 vcc, 13, v8
	v_mov_b32_e32 v10, 0
	s_and_saveexec_b64 s[8:9], vcc
	s_cbranch_execz .LBB37_39
; %bb.36:
	v_mov_b32_e32 v9, 0x110
	v_and_b32_e32 v8, -8, v5
	v_lshl_add_u32 v9, v0, 2, v9
	s_mov_b32 s34, 0
	s_mov_b64 s[30:31], 0
.LBB37_37:                              ; =>This Inner Loop Header: Depth=1
	ds_read2st64_b32 v[10:11], v9 offset1:2
	ds_read2st64_b32 v[12:13], v9 offset0:4 offset1:6
	ds_read2st64_b32 v[14:15], v9 offset0:8 offset1:10
	;; [unrolled: 1-line block ×3, first 2 shown]
	v_add_u32_e32 v8, -8, v8
	s_waitcnt lgkmcnt(3)
	v_pk_mul_f32 v[10:11], v[2:3], v[10:11]
	s_waitcnt lgkmcnt(2)
	v_pk_mul_f32 v[12:13], v[2:3], v[12:13]
	ds_write2st64_b32 v9, v10, v11 offset1:2
	ds_write2st64_b32 v9, v12, v13 offset0:4 offset1:6
	ds_read2st64_b32 v[12:13], v9 offset0:16 offset1:18
	s_waitcnt lgkmcnt(4)
	v_pk_mul_f32 v[10:11], v[2:3], v[14:15]
	ds_write2st64_b32 v9, v10, v11 offset0:8 offset1:10
	s_waitcnt lgkmcnt(4)
	v_pk_mul_f32 v[10:11], v[2:3], v[16:17]
	ds_write2st64_b32 v9, v10, v11 offset0:12 offset1:14
	ds_read2st64_b32 v[10:11], v9 offset0:20 offset1:22
	s_waitcnt lgkmcnt(3)
	v_pk_mul_f32 v[12:13], v[2:3], v[12:13]
	ds_read2st64_b32 v[14:15], v9 offset0:24 offset1:26
	ds_write2st64_b32 v9, v12, v13 offset0:16 offset1:18
	ds_read2st64_b32 v[12:13], v9 offset0:28 offset1:30
	s_waitcnt lgkmcnt(3)
	v_pk_mul_f32 v[10:11], v[2:3], v[10:11]
	ds_write2st64_b32 v9, v10, v11 offset0:20 offset1:22
	s_waitcnt lgkmcnt(3)
	v_pk_mul_f32 v[10:11], v[2:3], v[14:15]
	ds_write2st64_b32 v9, v10, v11 offset0:24 offset1:26
	s_waitcnt lgkmcnt(2)
	v_pk_mul_f32 v[10:11], v[2:3], v[12:13]
	s_add_i32 s34, s34, 16
	v_cmp_eq_u32_e32 vcc, 0, v8
	ds_write2st64_b32 v9, v10, v11 offset0:28 offset1:30
	v_add_u32_e32 v9, 0x2000, v9
	s_or_b64 s[30:31], vcc, s[30:31]
	v_mov_b32_e32 v10, s34
	s_andn2_b64 exec, exec, s[30:31]
	s_cbranch_execnz .LBB37_37
; %bb.38:
	s_or_b64 exec, exec, s[30:31]
.LBB37_39:
	s_or_b64 exec, exec, s[8:9]
	v_and_b32_e32 v5, 7, v5
	v_cmp_ne_u32_e32 vcc, 0, v5
	s_and_saveexec_b64 s[8:9], vcc
	s_cbranch_execz .LBB37_42
; %bb.40:
	v_lshlrev_b32_e32 v8, 9, v10
	s_movk_i32 s30, 0x110
	v_add3_u32 v8, v8, v6, s30
	s_mov_b64 s[30:31], 0
.LBB37_41:                              ; =>This Inner Loop Header: Depth=1
	ds_read2st64_b32 v[10:11], v8 offset1:2
	v_add_u32_e32 v5, -1, v5
	v_cmp_eq_u32_e32 vcc, 0, v5
	s_or_b64 s[30:31], vcc, s[30:31]
	s_waitcnt lgkmcnt(0)
	v_pk_mul_f32 v[10:11], v[2:3], v[10:11]
	ds_write2st64_b32 v8, v10, v11 offset1:2
	v_add_u32_e32 v8, 0x400, v8
	s_andn2_b64 exec, exec, s[30:31]
	s_cbranch_execnz .LBB37_41
.LBB37_42:
	s_or_b64 exec, exec, s[8:9]
	v_add_u32_e32 v4, 1, v4
	v_and_b32_e32 v5, 0x3fffffe, v4
	v_cmp_ne_u32_e32 vcc, v4, v5
	v_lshl_add_u32 v3, v5, 7, v0
	s_orn2_b64 s[8:9], vcc, exec
.LBB37_43:
	s_or_b64 exec, exec, s[2:3]
	s_and_b64 exec, exec, s[8:9]
	s_cbranch_execz .LBB37_46
; %bb.44:
	v_mov_b32_e32 v4, 0x110
	v_lshl_add_u32 v4, v3, 2, v4
	s_mov_b64 s[2:3], 0
.LBB37_45:                              ; =>This Inner Loop Header: Depth=1
	ds_read_b32 v5, v4
	v_add_u32_e32 v3, 0x80, v3
	v_cmp_le_i32_e32 vcc, s15, v3
	s_or_b64 s[2:3], vcc, s[2:3]
	s_waitcnt lgkmcnt(0)
	v_mul_f32_e32 v5, v2, v5
	ds_write_b32 v4, v5
	v_add_u32_e32 v4, 0x200, v4
	s_andn2_b64 exec, exec, s[2:3]
	s_cbranch_execnz .LBB37_45
.LBB37_46:
	s_or_b64 exec, exec, s[0:1]
	v_mov_b32_e32 v39, 0
	v_and_b32_e32 v55, 7, v0
	v_mov_b32_e32 v38, 0
	v_mov_b32_e32 v43, 0
	;; [unrolled: 1-line block ×7, first 2 shown]
	s_waitcnt lgkmcnt(0)
	s_barrier
	s_and_saveexec_b64 s[2:3], s[6:7]
	s_cbranch_execz .LBB37_68
; %bb.47:
	s_ashr_i32 s15, s14, 31
	s_sub_i32 s17, s12, s17
	s_lshl_b64 s[0:1], s[14:15], 2
	s_add_u32 s0, s28, s0
	s_addc_u32 s1, s29, s1
	s_abs_i32 s14, s18
	v_cvt_f32_u32_e32 v2, s14
	v_lshlrev_b32_e32 v3, 4, v0
	v_and_b32_e32 v40, 0x3f0, v3
	v_mov_b32_e32 v41, 0
	v_rcp_iflag_f32_e32 v2, v2
	v_lshl_add_u64 v[46:47], s[0:1], 0, v[40:41]
	s_sub_i32 s0, 0, s14
	s_add_i32 s18, s16, -1
	v_mul_f32_e32 v2, 0x4f7ffffe, v2
	v_cvt_u32_f32_e32 v2, v2
	v_and_b32_e32 v40, 60, v7
	v_and_b32_e32 v56, 28, v6
	s_mov_b32 s15, s13
	v_mul_lo_u32 v3, s0, v2
	v_mul_hi_u32 v3, v2, v3
	s_lshl_b64 s[0:1], s[26:27], 2
	v_add_u32_e32 v57, v2, v3
	s_add_u32 s0, s24, s0
	v_lshlrev_b32_e32 v2, 4, v55
	s_addc_u32 s1, s25, s1
	v_lshl_or_b32 v2, v1, 7, v2
	s_mov_b32 s28, s33
	v_lshl_add_u64 v[48:49], s[0:1], 0, v[40:41]
	v_add_u32_e32 v58, 0x110, v2
	s_mov_b64 s[6:7], 0
	v_mov_b32_e32 v40, v41
	v_mov_b32_e32 v44, v41
	;; [unrolled: 1-line block ×7, first 2 shown]
	s_branch .LBB37_50
.LBB37_48:                              ;   in Loop: Header=BB37_50 Depth=1
	s_or_b64 exec, exec, s[12:13]
	s_waitcnt vmcnt(1) lgkmcnt(0)
	v_mul_f32_e32 v34, v2, v34
	v_mul_f32_e32 v26, v2, v26
	;; [unrolled: 1-line block ×7, first 2 shown]
	v_fmac_f32_e32 v34, v3, v35
	v_fmac_f32_e32 v26, v3, v27
	;; [unrolled: 1-line block ×14, first 2 shown]
	s_waitcnt vmcnt(0)
	v_pk_mul_f32 v[2:3], v[2:3], v[30:31]
	v_fmac_f32_e32 v34, v5, v37
	v_fmac_f32_e32 v26, v5, v29
	;; [unrolled: 1-line block ×7, first 2 shown]
	v_pk_mul_f32 v[4:5], v[4:5], v[32:33]
	v_add_f32_e32 v2, v3, v2
	v_add_f32_e32 v2, v4, v2
	;; [unrolled: 1-line block ×11, first 2 shown]
.LBB37_49:                              ;   in Loop: Header=BB37_50 Depth=1
	s_or_b64 exec, exec, s[8:9]
	v_add_u32_e32 v1, 2, v1
	v_cmp_le_i32_e32 vcc, s16, v1
	v_lshl_add_u64 v[48:49], v[48:49], 0, 8
	v_add_u32_e32 v50, 64, v50
	s_or_b64 s[6:7], vcc, s[6:7]
	v_add_u32_e32 v58, 0x100, v58
	s_andn2_b64 exec, exec, s[6:7]
	s_cbranch_execz .LBB37_67
.LBB37_50:                              ; =>This Inner Loop Header: Depth=1
	v_mul_hi_u32 v2, v50, s40
	v_mul_lo_u32 v3, v2, s21
	v_sub_u32_e32 v3, v50, v3
	v_add_u32_e32 v4, 1, v2
	v_cmp_le_u32_e32 vcc, s21, v3
	s_nop 1
	v_cndmask_b32_e32 v2, v2, v4, vcc
	v_subrev_u32_e32 v4, s21, v3
	v_cndmask_b32_e32 v3, v3, v4, vcc
	v_add_u32_e32 v4, 1, v2
	v_cmp_le_u32_e32 vcc, s21, v3
	s_nop 1
	v_cndmask_b32_e32 v2, v2, v4, vcc
	v_xor_b32_e32 v2, s19, v2
	v_subrev_u32_e32 v2, s19, v2
	v_add_u32_e32 v3, s41, v2
	v_sub_u32_e32 v5, 0, v3
	v_ashrrev_i32_e32 v4, 31, v3
	v_max_i32_e32 v3, v3, v5
	v_mul_hi_u32 v5, v3, v57
	v_mul_lo_u32 v5, v5, s14
	v_sub_u32_e32 v3, v3, v5
	v_subrev_u32_e32 v5, s14, v3
	v_cmp_le_u32_e32 vcc, s14, v3
	v_cmp_lt_i32_e64 s[0:1], s17, v2
	s_nop 0
	v_cndmask_b32_e32 v3, v3, v5, vcc
	v_subrev_u32_e32 v5, s14, v3
	v_cmp_le_u32_e32 vcc, s14, v3
	s_nop 1
	v_cndmask_b32_e32 v3, v3, v5, vcc
	v_xor_b32_e32 v3, v3, v4
	v_sub_u32_e32 v3, v3, v4
	v_cmp_eq_u32_e32 vcc, 0, v3
	s_or_b64 s[0:1], vcc, s[0:1]
	s_and_saveexec_b64 s[8:9], s[0:1]
	s_cbranch_execz .LBB37_49
; %bb.51:                               ;   in Loop: Header=BB37_50 Depth=1
	global_load_dword v2, v[48:49], off
	v_add_u32_e32 v59, v56, v50
	v_add_u32_e32 v62, 1, v59
	v_or_b32_e32 v61, 3, v59
	v_or_b32_e32 v60, 2, v59
	s_waitcnt vmcnt(0)
	v_mad_i64_i32 v[2:3], s[0:1], v2, s15, 0
	v_lshl_add_u64 v[30:31], v[2:3], 2, v[46:47]
	global_load_dwordx4 v[6:9], v[30:31], off
	ds_read_b128 v[2:5], v58
	v_cmp_eq_u32_e64 s[0:1], s18, v1
	s_and_saveexec_b64 s[12:13], s[0:1]
	s_cbranch_execnz .LBB37_64
; %bb.52:                               ;   in Loop: Header=BB37_50 Depth=1
	s_or_b64 exec, exec, s[12:13]
	global_load_dwordx4 v[10:13], v[30:31], off offset:1024
	s_and_saveexec_b64 s[12:13], s[0:1]
	s_cbranch_execnz .LBB37_65
.LBB37_53:                              ;   in Loop: Header=BB37_50 Depth=1
	s_or_b64 exec, exec, s[12:13]
	global_load_dwordx4 v[14:17], v[30:31], off offset:2048
	s_and_saveexec_b64 s[12:13], s[0:1]
	s_cbranch_execnz .LBB37_66
.LBB37_54:                              ;   in Loop: Header=BB37_50 Depth=1
	s_or_b64 exec, exec, s[12:13]
	global_load_dwordx4 v[18:21], v[30:31], off offset:3072
	s_and_saveexec_b64 s[12:13], s[0:1]
	s_cbranch_execz .LBB37_56
.LBB37_55:                              ;   in Loop: Header=BB37_50 Depth=1
	v_cmp_gt_i32_e32 vcc, s28, v62
	s_waitcnt vmcnt(0)
	s_nop 0
	v_cndmask_b32_e32 v19, 0, v19, vcc
	v_cmp_gt_i32_e32 vcc, s33, v59
	s_nop 1
	v_cndmask_b32_e32 v18, 0, v18, vcc
	v_cmp_gt_i32_e32 vcc, s28, v61
	;; [unrolled: 3-line block ×3, first 2 shown]
	s_nop 1
	v_cndmask_b32_e32 v20, 0, v20, vcc
.LBB37_56:                              ;   in Loop: Header=BB37_50 Depth=1
	s_or_b64 exec, exec, s[12:13]
	v_add_co_u32_e32 v22, vcc, 0x1000, v30
	s_nop 1
	v_addc_co_u32_e32 v23, vcc, 0, v31, vcc
	global_load_dwordx4 v[22:25], v[22:23], off
	s_and_saveexec_b64 s[12:13], s[0:1]
	s_cbranch_execz .LBB37_58
; %bb.57:                               ;   in Loop: Header=BB37_50 Depth=1
	v_cmp_gt_i32_e32 vcc, s28, v62
	s_waitcnt vmcnt(0)
	s_nop 0
	v_cndmask_b32_e32 v23, 0, v23, vcc
	v_cmp_gt_i32_e32 vcc, s33, v59
	s_nop 1
	v_cndmask_b32_e32 v22, 0, v22, vcc
	v_cmp_gt_i32_e32 vcc, s28, v61
	s_nop 1
	v_cndmask_b32_e32 v25, 0, v25, vcc
	v_cmp_gt_i32_e32 vcc, s33, v60
	s_nop 1
	v_cndmask_b32_e32 v24, 0, v24, vcc
.LBB37_58:                              ;   in Loop: Header=BB37_50 Depth=1
	s_or_b64 exec, exec, s[12:13]
	v_add_co_u32_e32 v26, vcc, 0x1000, v30
	s_nop 1
	v_addc_co_u32_e32 v27, vcc, 0, v31, vcc
	global_load_dwordx4 v[26:29], v[26:27], off offset:1024
	s_and_saveexec_b64 s[12:13], s[0:1]
	s_cbranch_execz .LBB37_60
; %bb.59:                               ;   in Loop: Header=BB37_50 Depth=1
	v_cmp_gt_i32_e32 vcc, s28, v62
	s_waitcnt vmcnt(0)
	s_nop 0
	v_cndmask_b32_e32 v27, 0, v27, vcc
	v_cmp_gt_i32_e32 vcc, s33, v59
	s_nop 1
	v_cndmask_b32_e32 v26, 0, v26, vcc
	v_cmp_gt_i32_e32 vcc, s28, v61
	s_nop 1
	v_cndmask_b32_e32 v29, 0, v29, vcc
	v_cmp_gt_i32_e32 vcc, s33, v60
	s_nop 1
	v_cndmask_b32_e32 v28, 0, v28, vcc
.LBB37_60:                              ;   in Loop: Header=BB37_50 Depth=1
	s_or_b64 exec, exec, s[12:13]
	v_add_co_u32_e32 v32, vcc, 0x1000, v30
	s_nop 1
	v_addc_co_u32_e32 v33, vcc, 0, v31, vcc
	global_load_dwordx4 v[34:37], v[32:33], off offset:2048
	;; [unrolled: 22-line block ×3, first 2 shown]
	s_and_saveexec_b64 s[12:13], s[0:1]
	s_cbranch_execz .LBB37_48
; %bb.63:                               ;   in Loop: Header=BB37_50 Depth=1
	v_cmp_gt_i32_e32 vcc, s28, v62
	s_waitcnt vmcnt(0)
	s_nop 0
	v_cndmask_b32_e32 v31, 0, v31, vcc
	v_cmp_gt_i32_e32 vcc, s33, v59
	s_nop 1
	v_cndmask_b32_e32 v30, 0, v30, vcc
	v_cmp_gt_i32_e32 vcc, s28, v61
	;; [unrolled: 3-line block ×3, first 2 shown]
	s_nop 1
	v_cndmask_b32_e32 v32, 0, v32, vcc
	s_branch .LBB37_48
.LBB37_64:                              ;   in Loop: Header=BB37_50 Depth=1
	v_cmp_gt_i32_e32 vcc, s28, v62
	s_waitcnt vmcnt(0)
	s_nop 0
	v_cndmask_b32_e32 v7, 0, v7, vcc
	v_cmp_gt_i32_e32 vcc, s33, v59
	s_nop 1
	v_cndmask_b32_e32 v6, 0, v6, vcc
	v_cmp_gt_i32_e32 vcc, s28, v61
	s_nop 1
	v_cndmask_b32_e32 v9, 0, v9, vcc
	v_cmp_gt_i32_e32 vcc, s33, v60
	s_nop 1
	v_cndmask_b32_e32 v8, 0, v8, vcc
	s_or_b64 exec, exec, s[12:13]
	global_load_dwordx4 v[10:13], v[30:31], off offset:1024
	s_and_saveexec_b64 s[12:13], s[0:1]
	s_cbranch_execz .LBB37_53
.LBB37_65:                              ;   in Loop: Header=BB37_50 Depth=1
	v_cmp_gt_i32_e32 vcc, s28, v62
	s_waitcnt vmcnt(0)
	s_nop 0
	v_cndmask_b32_e32 v11, 0, v11, vcc
	v_cmp_gt_i32_e32 vcc, s33, v59
	s_nop 1
	v_cndmask_b32_e32 v10, 0, v10, vcc
	v_cmp_gt_i32_e32 vcc, s28, v61
	;; [unrolled: 3-line block ×3, first 2 shown]
	s_nop 1
	v_cndmask_b32_e32 v12, 0, v12, vcc
	s_or_b64 exec, exec, s[12:13]
	global_load_dwordx4 v[14:17], v[30:31], off offset:2048
	s_and_saveexec_b64 s[12:13], s[0:1]
	s_cbranch_execz .LBB37_54
.LBB37_66:                              ;   in Loop: Header=BB37_50 Depth=1
	v_cmp_gt_i32_e32 vcc, s28, v62
	s_waitcnt vmcnt(0)
	s_nop 0
	v_cndmask_b32_e32 v15, 0, v15, vcc
	v_cmp_gt_i32_e32 vcc, s33, v59
	s_nop 1
	v_cndmask_b32_e32 v14, 0, v14, vcc
	v_cmp_gt_i32_e32 vcc, s28, v61
	;; [unrolled: 3-line block ×3, first 2 shown]
	s_nop 1
	v_cndmask_b32_e32 v16, 0, v16, vcc
	s_or_b64 exec, exec, s[12:13]
	global_load_dwordx4 v[18:21], v[30:31], off offset:3072
	s_and_saveexec_b64 s[12:13], s[0:1]
	s_cbranch_execnz .LBB37_55
	s_branch .LBB37_56
.LBB37_67:
	s_or_b64 exec, exec, s[6:7]
.LBB37_68:
	s_or_b64 exec, exec, s[2:3]
	ds_bpermute_b32 v4, v52, v44
	ds_bpermute_b32 v5, v52, v45
	;; [unrolled: 1-line block ×6, first 2 shown]
	s_waitcnt lgkmcnt(4)
	v_pk_add_f32 v[4:5], v[44:45], v[4:5]
	ds_bpermute_b32 v8, v53, v4
	ds_bpermute_b32 v9, v53, v5
	s_waitcnt lgkmcnt(4)
	v_pk_add_f32 v[2:3], v[40:41], v[2:3]
	ds_bpermute_b32 v6, v53, v2
	ds_bpermute_b32 v7, v53, v3
	;; [unrolled: 1-line block ×3, first 2 shown]
	s_waitcnt lgkmcnt(3)
	v_pk_add_f32 v[4:5], v[4:5], v[8:9]
	v_pk_add_f32 v[8:9], v[42:43], v[10:11]
	ds_bpermute_b32 v10, v53, v8
	ds_bpermute_b32 v11, v53, v9
	;; [unrolled: 1-line block ×3, first 2 shown]
	s_waitcnt lgkmcnt(4)
	v_pk_add_f32 v[2:3], v[2:3], v[6:7]
	ds_bpermute_b32 v6, v54, v2
	ds_bpermute_b32 v7, v54, v3
	s_waitcnt lgkmcnt(3)
	v_pk_add_f32 v[8:9], v[8:9], v[10:11]
	s_waitcnt lgkmcnt(2)
	v_pk_add_f32 v[14:15], v[38:39], v[14:15]
	ds_bpermute_b32 v10, v54, v8
	ds_bpermute_b32 v11, v54, v9
	;; [unrolled: 1-line block ×6, first 2 shown]
	s_waitcnt lgkmcnt(6)
	v_pk_add_f32 v[6:7], v[2:3], v[6:7]
	s_waitcnt lgkmcnt(4)
	v_pk_add_f32 v[2:3], v[8:9], v[10:11]
	;; [unrolled: 2-line block ×3, first 2 shown]
	ds_bpermute_b32 v10, v54, v8
	ds_bpermute_b32 v11, v54, v9
	v_and_b32_e32 v1, 0x3c7, v0
	s_waitcnt lgkmcnt(2)
	v_pk_add_f32 v[4:5], v[4:5], v[12:13]
	v_cmp_ne_u32_e32 vcc, 64, v1
	s_waitcnt lgkmcnt(0)
	s_barrier
	s_and_saveexec_b64 s[0:1], vcc
	s_xor_b64 s[0:1], exec, s[0:1]
; %bb.69:
                                        ; implicit-def: $vgpr51
; %bb.70:
	s_or_saveexec_b64 s[0:1], s[0:1]
	v_pk_add_f32 v[8:9], v[8:9], v[10:11]
	s_xor_b64 exec, exec, s[0:1]
	s_cbranch_execz .LBB37_72
; %bb.71:
	v_lshrrev_b32_e32 v10, 1, v51
	v_add_u32_e32 v10, 0x110, v10
	ds_write2_b32 v10, v6, v7 offset1:8
	ds_write2_b32 v10, v4, v5 offset0:16 offset1:24
	ds_write2_b32 v10, v2, v3 offset0:32 offset1:40
	;; [unrolled: 1-line block ×3, first 2 shown]
.LBB37_72:
	s_or_b64 exec, exec, s[0:1]
	v_cmp_gt_u32_e32 vcc, 64, v0
	v_lshrrev_b32_e32 v0, 3, v0
	s_waitcnt lgkmcnt(0)
	s_barrier
	s_and_saveexec_b64 s[0:1], vcc
	s_cbranch_execz .LBB37_83
; %bb.73:
	v_mov_b32_e32 v10, 0x110
	v_cmp_eq_u32_e32 vcc, 0, v55
	v_lshl_add_u32 v10, v0, 2, v10
	s_and_saveexec_b64 s[2:3], vcc
	s_cbranch_execnz .LBB37_86
; %bb.74:
	s_or_b64 exec, exec, s[2:3]
	s_and_saveexec_b64 s[2:3], vcc
	s_cbranch_execnz .LBB37_87
.LBB37_75:
	s_or_b64 exec, exec, s[2:3]
	s_and_saveexec_b64 s[2:3], vcc
	s_cbranch_execnz .LBB37_88
.LBB37_76:
	s_or_b64 exec, exec, s[2:3]
	s_and_saveexec_b64 s[2:3], vcc
	s_cbranch_execnz .LBB37_89
.LBB37_77:
	s_or_b64 exec, exec, s[2:3]
	s_and_saveexec_b64 s[2:3], vcc
	s_cbranch_execnz .LBB37_90
.LBB37_78:
	s_or_b64 exec, exec, s[2:3]
	s_and_saveexec_b64 s[2:3], vcc
	s_cbranch_execnz .LBB37_91
.LBB37_79:
	s_or_b64 exec, exec, s[2:3]
	s_and_saveexec_b64 s[2:3], vcc
	s_cbranch_execnz .LBB37_92
.LBB37_80:
	s_or_b64 exec, exec, s[2:3]
	s_and_saveexec_b64 s[2:3], vcc
	s_cbranch_execz .LBB37_82
.LBB37_81:
	ds_read_b32 v10, v10 offset:224
	s_waitcnt lgkmcnt(0)
	v_add_f32_e32 v9, v9, v10
.LBB37_82:
	s_or_b64 exec, exec, s[2:3]
.LBB37_83:
	s_or_b64 exec, exec, s[0:1]
	v_cmp_eq_u32_e32 vcc, 0, v1
	s_barrier
	s_and_saveexec_b64 s[0:1], vcc
	s_cbranch_execz .LBB37_85
; %bb.84:
	s_mul_i32 s0, s10, s11
	s_mul_i32 s0, s0, s5
	s_lshl_b32 s0, s0, 6
	s_ashr_i32 s1, s0, 31
	s_lshl_b64 s[0:1], s[0:1], 2
	s_add_u32 s2, s22, s0
	s_mul_i32 s0, s11, s20
	s_addc_u32 s3, s23, s1
	s_ashr_i32 s1, s0, 31
	s_lshl_b64 s[0:1], s[0:1], 2
	s_add_u32 s2, s2, s0
	s_addc_u32 s3, s3, s1
	s_lshl_b32 s0, s4, 6
	s_ashr_i32 s1, s0, 31
	s_lshl_b64 s[0:1], s[0:1], 2
	s_add_u32 s0, s2, s0
	s_addc_u32 s1, s3, s1
	v_lshlrev_b32_e32 v0, 2, v0
	global_store_dword v0, v6, s[0:1]
	global_store_dword v0, v7, s[0:1] offset:32
	global_store_dword v0, v4, s[0:1] offset:64
	;; [unrolled: 1-line block ×7, first 2 shown]
.LBB37_85:
	s_endpgm
.LBB37_86:
	ds_read_b32 v11, v10
	s_waitcnt lgkmcnt(0)
	v_add_f32_e32 v6, v6, v11
	s_or_b64 exec, exec, s[2:3]
	s_and_saveexec_b64 s[2:3], vcc
	s_cbranch_execz .LBB37_75
.LBB37_87:
	ds_read_b32 v11, v10 offset:32
	s_waitcnt lgkmcnt(0)
	v_add_f32_e32 v7, v7, v11
	s_or_b64 exec, exec, s[2:3]
	s_and_saveexec_b64 s[2:3], vcc
	s_cbranch_execz .LBB37_76
.LBB37_88:
	ds_read_b32 v11, v10 offset:64
	s_waitcnt lgkmcnt(0)
	v_add_f32_e32 v4, v4, v11
	s_or_b64 exec, exec, s[2:3]
	s_and_saveexec_b64 s[2:3], vcc
	s_cbranch_execz .LBB37_77
.LBB37_89:
	ds_read_b32 v11, v10 offset:96
	s_waitcnt lgkmcnt(0)
	v_add_f32_e32 v5, v5, v11
	s_or_b64 exec, exec, s[2:3]
	s_and_saveexec_b64 s[2:3], vcc
	s_cbranch_execz .LBB37_78
.LBB37_90:
	ds_read_b32 v11, v10 offset:128
	s_waitcnt lgkmcnt(0)
	v_add_f32_e32 v2, v2, v11
	s_or_b64 exec, exec, s[2:3]
	s_and_saveexec_b64 s[2:3], vcc
	s_cbranch_execz .LBB37_79
.LBB37_91:
	ds_read_b32 v11, v10 offset:160
	s_waitcnt lgkmcnt(0)
	v_add_f32_e32 v3, v3, v11
	s_or_b64 exec, exec, s[2:3]
	s_and_saveexec_b64 s[2:3], vcc
	s_cbranch_execz .LBB37_80
.LBB37_92:
	ds_read_b32 v11, v10 offset:192
	s_waitcnt lgkmcnt(0)
	v_add_f32_e32 v8, v8, v11
	s_or_b64 exec, exec, s[2:3]
	s_and_saveexec_b64 s[2:3], vcc
	s_cbranch_execnz .LBB37_81
	s_branch .LBB37_82
	.section	.rodata,"a",@progbits
	.p2align	6, 0x0
	.amdhsa_kernel _ZN4vllm25paged_attention_v1_kernelIffLi64ELi32ELi128ELNS_18Fp8KVCacheDataTypeE0ELb1EEEvPT_PKS2_PKT0_S8_ifPKiSA_iPKfiiiSC_SC_iiiii
		.amdhsa_group_segment_fixed_size 272
		.amdhsa_private_segment_fixed_size 0
		.amdhsa_kernarg_size 384
		.amdhsa_user_sgpr_count 2
		.amdhsa_user_sgpr_dispatch_ptr 0
		.amdhsa_user_sgpr_queue_ptr 0
		.amdhsa_user_sgpr_kernarg_segment_ptr 1
		.amdhsa_user_sgpr_dispatch_id 0
		.amdhsa_user_sgpr_kernarg_preload_length 0
		.amdhsa_user_sgpr_kernarg_preload_offset 0
		.amdhsa_user_sgpr_private_segment_size 0
		.amdhsa_uses_dynamic_stack 0
		.amdhsa_enable_private_segment 0
		.amdhsa_system_sgpr_workgroup_id_x 1
		.amdhsa_system_sgpr_workgroup_id_y 1
		.amdhsa_system_sgpr_workgroup_id_z 1
		.amdhsa_system_sgpr_workgroup_info 0
		.amdhsa_system_vgpr_workitem_id 0
		.amdhsa_next_free_vgpr 88
		.amdhsa_next_free_sgpr 45
		.amdhsa_accum_offset 88
		.amdhsa_reserve_vcc 1
		.amdhsa_float_round_mode_32 0
		.amdhsa_float_round_mode_16_64 0
		.amdhsa_float_denorm_mode_32 3
		.amdhsa_float_denorm_mode_16_64 3
		.amdhsa_dx10_clamp 1
		.amdhsa_ieee_mode 1
		.amdhsa_fp16_overflow 0
		.amdhsa_tg_split 0
		.amdhsa_exception_fp_ieee_invalid_op 0
		.amdhsa_exception_fp_denorm_src 0
		.amdhsa_exception_fp_ieee_div_zero 0
		.amdhsa_exception_fp_ieee_overflow 0
		.amdhsa_exception_fp_ieee_underflow 0
		.amdhsa_exception_fp_ieee_inexact 0
		.amdhsa_exception_int_div_zero 0
	.end_amdhsa_kernel
	.section	.text._ZN4vllm25paged_attention_v1_kernelIffLi64ELi32ELi128ELNS_18Fp8KVCacheDataTypeE0ELb1EEEvPT_PKS2_PKT0_S8_ifPKiSA_iPKfiiiSC_SC_iiiii,"axG",@progbits,_ZN4vllm25paged_attention_v1_kernelIffLi64ELi32ELi128ELNS_18Fp8KVCacheDataTypeE0ELb1EEEvPT_PKS2_PKT0_S8_ifPKiSA_iPKfiiiSC_SC_iiiii,comdat
.Lfunc_end37:
	.size	_ZN4vllm25paged_attention_v1_kernelIffLi64ELi32ELi128ELNS_18Fp8KVCacheDataTypeE0ELb1EEEvPT_PKS2_PKT0_S8_ifPKiSA_iPKfiiiSC_SC_iiiii, .Lfunc_end37-_ZN4vllm25paged_attention_v1_kernelIffLi64ELi32ELi128ELNS_18Fp8KVCacheDataTypeE0ELb1EEEvPT_PKS2_PKT0_S8_ifPKiSA_iPKfiiiSC_SC_iiiii
                                        ; -- End function
	.set _ZN4vllm25paged_attention_v1_kernelIffLi64ELi32ELi128ELNS_18Fp8KVCacheDataTypeE0ELb1EEEvPT_PKS2_PKT0_S8_ifPKiSA_iPKfiiiSC_SC_iiiii.num_vgpr, 88
	.set _ZN4vllm25paged_attention_v1_kernelIffLi64ELi32ELi128ELNS_18Fp8KVCacheDataTypeE0ELb1EEEvPT_PKS2_PKT0_S8_ifPKiSA_iPKfiiiSC_SC_iiiii.num_agpr, 0
	.set _ZN4vllm25paged_attention_v1_kernelIffLi64ELi32ELi128ELNS_18Fp8KVCacheDataTypeE0ELb1EEEvPT_PKS2_PKT0_S8_ifPKiSA_iPKfiiiSC_SC_iiiii.numbered_sgpr, 45
	.set _ZN4vllm25paged_attention_v1_kernelIffLi64ELi32ELi128ELNS_18Fp8KVCacheDataTypeE0ELb1EEEvPT_PKS2_PKT0_S8_ifPKiSA_iPKfiiiSC_SC_iiiii.num_named_barrier, 0
	.set _ZN4vllm25paged_attention_v1_kernelIffLi64ELi32ELi128ELNS_18Fp8KVCacheDataTypeE0ELb1EEEvPT_PKS2_PKT0_S8_ifPKiSA_iPKfiiiSC_SC_iiiii.private_seg_size, 0
	.set _ZN4vllm25paged_attention_v1_kernelIffLi64ELi32ELi128ELNS_18Fp8KVCacheDataTypeE0ELb1EEEvPT_PKS2_PKT0_S8_ifPKiSA_iPKfiiiSC_SC_iiiii.uses_vcc, 1
	.set _ZN4vllm25paged_attention_v1_kernelIffLi64ELi32ELi128ELNS_18Fp8KVCacheDataTypeE0ELb1EEEvPT_PKS2_PKT0_S8_ifPKiSA_iPKfiiiSC_SC_iiiii.uses_flat_scratch, 0
	.set _ZN4vllm25paged_attention_v1_kernelIffLi64ELi32ELi128ELNS_18Fp8KVCacheDataTypeE0ELb1EEEvPT_PKS2_PKT0_S8_ifPKiSA_iPKfiiiSC_SC_iiiii.has_dyn_sized_stack, 0
	.set _ZN4vllm25paged_attention_v1_kernelIffLi64ELi32ELi128ELNS_18Fp8KVCacheDataTypeE0ELb1EEEvPT_PKS2_PKT0_S8_ifPKiSA_iPKfiiiSC_SC_iiiii.has_recursion, 0
	.set _ZN4vllm25paged_attention_v1_kernelIffLi64ELi32ELi128ELNS_18Fp8KVCacheDataTypeE0ELb1EEEvPT_PKS2_PKT0_S8_ifPKiSA_iPKfiiiSC_SC_iiiii.has_indirect_call, 0
	.section	.AMDGPU.csdata,"",@progbits
; Kernel info:
; codeLenInByte = 5548
; TotalNumSgprs: 51
; NumVgprs: 88
; NumAgprs: 0
; TotalNumVgprs: 88
; ScratchSize: 0
; MemoryBound: 0
; FloatMode: 240
; IeeeMode: 1
; LDSByteSize: 272 bytes/workgroup (compile time only)
; SGPRBlocks: 6
; VGPRBlocks: 10
; NumSGPRsForWavesPerEU: 51
; NumVGPRsForWavesPerEU: 88
; AccumOffset: 88
; Occupancy: 5
; WaveLimiterHint : 1
; COMPUTE_PGM_RSRC2:SCRATCH_EN: 0
; COMPUTE_PGM_RSRC2:USER_SGPR: 2
; COMPUTE_PGM_RSRC2:TRAP_HANDLER: 0
; COMPUTE_PGM_RSRC2:TGID_X_EN: 1
; COMPUTE_PGM_RSRC2:TGID_Y_EN: 1
; COMPUTE_PGM_RSRC2:TGID_Z_EN: 1
; COMPUTE_PGM_RSRC2:TIDIG_COMP_CNT: 0
; COMPUTE_PGM_RSRC3_GFX90A:ACCUM_OFFSET: 21
; COMPUTE_PGM_RSRC3_GFX90A:TG_SPLIT: 0
	.section	.text._ZN4vllm25paged_attention_v1_kernelIffLi80ELi32ELi128ELNS_18Fp8KVCacheDataTypeE0ELb1EEEvPT_PKS2_PKT0_S8_ifPKiSA_iPKfiiiSC_SC_iiiii,"axG",@progbits,_ZN4vllm25paged_attention_v1_kernelIffLi80ELi32ELi128ELNS_18Fp8KVCacheDataTypeE0ELb1EEEvPT_PKS2_PKT0_S8_ifPKiSA_iPKfiiiSC_SC_iiiii,comdat
	.protected	_ZN4vllm25paged_attention_v1_kernelIffLi80ELi32ELi128ELNS_18Fp8KVCacheDataTypeE0ELb1EEEvPT_PKS2_PKT0_S8_ifPKiSA_iPKfiiiSC_SC_iiiii ; -- Begin function _ZN4vllm25paged_attention_v1_kernelIffLi80ELi32ELi128ELNS_18Fp8KVCacheDataTypeE0ELb1EEEvPT_PKS2_PKT0_S8_ifPKiSA_iPKfiiiSC_SC_iiiii
	.globl	_ZN4vllm25paged_attention_v1_kernelIffLi80ELi32ELi128ELNS_18Fp8KVCacheDataTypeE0ELb1EEEvPT_PKS2_PKT0_S8_ifPKiSA_iPKfiiiSC_SC_iiiii
	.p2align	8
	.type	_ZN4vllm25paged_attention_v1_kernelIffLi80ELi32ELi128ELNS_18Fp8KVCacheDataTypeE0ELb1EEEvPT_PKS2_PKT0_S8_ifPKiSA_iPKfiiiSC_SC_iiiii,@function
_ZN4vllm25paged_attention_v1_kernelIffLi80ELi32ELi128ELNS_18Fp8KVCacheDataTypeE0ELb1EEEvPT_PKS2_PKT0_S8_ifPKiSA_iPKfiiiSC_SC_iiiii: ; @_ZN4vllm25paged_attention_v1_kernelIffLi80ELi32ELi128ELNS_18Fp8KVCacheDataTypeE0ELb1EEEvPT_PKS2_PKT0_S8_ifPKiSA_iPKfiiiSC_SC_iiiii
; %bb.0:
	s_load_dword s5, s[0:1], 0x80
	s_load_dwordx2 s[6:7], s[0:1], 0x30
	s_load_dwordx2 s[30:31], s[0:1], 0x20
	s_mov_b32 s10, s3
	s_ashr_i32 s11, s3, 31
	s_lshl_b64 s[8:9], s[10:11], 2
	s_waitcnt lgkmcnt(0)
	s_add_u32 s6, s6, s8
	s_addc_u32 s7, s7, s9
	s_abs_i32 s3, s30
	v_cvt_f32_u32_e32 v1, s3
	s_sub_i32 s11, 0, s3
	s_abs_i32 s9, s5
	s_xor_b32 s8, s5, s30
	v_rcp_iflag_f32_e32 v1, v1
	s_ashr_i32 s8, s8, 31
	s_mov_b32 s42, 0
	v_mul_f32_e32 v1, 0x4f7ffffe, v1
	v_cvt_u32_f32_e32 v1, v1
	s_nop 0
	v_readfirstlane_b32 s12, v1
	s_mul_i32 s11, s11, s12
	s_mul_hi_u32 s11, s12, s11
	s_add_i32 s12, s12, s11
	s_mul_hi_u32 s11, s9, s12
	s_mul_i32 s12, s11, s3
	s_sub_i32 s9, s9, s12
	s_add_i32 s12, s11, 1
	s_sub_i32 s13, s9, s3
	s_cmp_ge_u32 s9, s3
	s_cselect_b32 s11, s12, s11
	s_cselect_b32 s9, s13, s9
	s_add_i32 s12, s11, 1
	s_cmp_ge_u32 s9, s3
	s_cselect_b32 s3, s12, s11
	s_xor_b32 s3, s3, s8
	s_sub_i32 s12, s3, s8
	s_abs_i32 s11, s12
	v_cvt_f32_u32_e32 v1, s11
	s_load_dwordx2 s[8:9], s[0:1], 0x40
	s_sub_i32 s3, 0, s11
	s_abs_i32 s22, s2
	v_rcp_iflag_f32_e32 v1, v1
	s_nop 0
	v_mul_f32_e32 v1, 0x4f7ffffe, v1
	v_cvt_u32_f32_e32 v1, v1
	s_nop 0
	v_readfirstlane_b32 s13, v1
	s_mul_i32 s3, s3, s13
	s_mul_hi_u32 s3, s13, s3
	s_add_i32 s13, s13, s3
	s_waitcnt lgkmcnt(0)
	s_cmp_eq_u64 s[8:9], 0
	s_mul_hi_u32 s23, s22, s13
	s_cbranch_scc1 .LBB38_2
; %bb.1:
	s_ashr_i32 s3, s2, 31
	s_lshl_b64 s[14:15], s[2:3], 2
	s_add_u32 s8, s8, s14
	s_addc_u32 s9, s9, s15
	s_load_dword s42, s[8:9], 0x0
.LBB38_2:
	s_load_dword s33, s[6:7], 0x0
	s_ashr_i32 s9, s12, 31
	s_load_dwordx4 s[12:15], s[0:1], 0x48
	s_ashr_i32 s3, s2, 31
	v_and_b32_e32 v4, 1, v0
	s_mul_i32 s20, s2, 0x50
	v_cmp_gt_u32_e32 vcc, 40, v0
	v_lshlrev_b32_e32 v2, 3, v0
	v_lshlrev_b32_e32 v6, 2, v0
	s_and_saveexec_b64 s[6:7], vcc
	s_cbranch_execz .LBB38_4
; %bb.3:
	s_load_dwordx2 s[16:17], s[0:1], 0x8
	s_waitcnt lgkmcnt(0)
	s_mul_i32 s18, s12, s10
	s_ashr_i32 s19, s18, 31
	s_lshl_b64 s[18:19], s[18:19], 2
	v_and_b32_e32 v1, 0xff8, v6
	s_add_u32 s8, s16, s18
	s_addc_u32 s12, s17, s19
	s_ashr_i32 s21, s20, 31
	s_lshl_b64 s[16:17], s[20:21], 2
	s_add_u32 s16, s8, s16
	s_addc_u32 s17, s12, s17
	global_load_dwordx2 v[8:9], v2, s[16:17]
	s_movk_i32 s8, 0xa0
	v_mad_u32_u24 v1, v4, s8, v1
	s_waitcnt vmcnt(0)
	ds_write_b64 v1, v[8:9]
.LBB38_4:
	s_or_b64 exec, exec, s[6:7]
	s_mul_i32 s6, s23, s11
	s_sub_i32 s6, s22, s6
	s_xor_b32 s3, s3, s9
	s_add_i32 s7, s23, 1
	s_sub_i32 s9, s6, s11
	s_load_dwordx4 s[16:19], s[0:1], 0x68
	s_load_dword s8, s[0:1], 0x78
	s_cmp_ge_u32 s6, s11
	s_cselect_b32 s7, s7, s23
	s_cselect_b32 s6, s9, s6
	s_add_i32 s9, s7, 1
	s_cmp_ge_u32 s6, s11
	s_cselect_b32 s6, s9, s7
	s_waitcnt lgkmcnt(0)
	s_abs_i32 s21, s19
	v_cvt_f32_u32_e32 v1, s21
	s_xor_b32 s6, s6, s3
	s_sub_i32 s3, s6, s3
	s_sub_i32 s6, 0, s21
	v_rcp_iflag_f32_e32 v1, v1
	s_add_i32 s11, s33, -1
	s_abs_i32 s9, s11
	v_mul_f32_e32 v1, 0x4f7ffffe, v1
	v_cvt_u32_f32_e32 v1, v1
	s_barrier
	v_readfirstlane_b32 s40, v1
	s_mul_i32 s6, s6, s40
	s_mul_hi_u32 s6, s40, s6
	s_add_i32 s40, s40, s6
	s_cmp_lt_i32 s8, 0
	s_mul_hi_u32 s12, s9, s40
	s_cbranch_scc0 .LBB38_6
; %bb.5:
	s_mul_i32 s6, s16, s30
	s_add_i32 s6, s3, s6
	s_mul_i32 s6, s6, s8
	s_sub_i32 s41, 1, s6
	s_mov_b64 s[6:7], 0
	s_branch .LBB38_7
.LBB38_6:
	s_mov_b64 s[6:7], -1
                                        ; implicit-def: $sgpr41
.LBB38_7:
	s_load_dwordx2 s[24:25], s[0:1], 0x28
	s_ashr_i32 s15, s11, 31
	s_andn2_b64 vcc, exec, s[6:7]
	s_ashr_i32 s19, s19, 31
	s_cbranch_vccnz .LBB38_9
; %bb.8:
	s_mul_i32 s6, s5, s16
	s_add_i32 s2, s6, s2
	s_mul_i32 s2, s2, s8
	s_add_i32 s41, s2, 1
.LBB38_9:
	s_load_dword s2, s[0:1], 0x38
	s_load_dwordx2 s[22:23], s[0:1], 0x0
	s_load_dwordx2 s[28:29], s[0:1], 0x18
	s_load_dword s11, s[0:1], 0x88
	s_xor_b32 s6, s15, s19
	s_waitcnt lgkmcnt(0)
	s_mul_i32 s26, s2, s10
	s_mul_i32 s2, s12, s21
	s_sub_i32 s2, s9, s2
	s_ashr_i32 s27, s26, 31
	s_add_i32 s7, s12, 1
	s_sub_i32 s8, s2, s21
	s_cmp_ge_u32 s2, s21
	s_cselect_b32 s7, s7, s12
	s_cselect_b32 s2, s8, s2
	s_add_i32 s8, s7, 1
	s_cmp_ge_u32 s2, s21
	s_cselect_b32 s2, s8, s7
	s_xor_b32 s2, s2, s6
	s_sub_i32 s12, s2, s6
	s_add_i32 s2, s33, 31
	s_ashr_i32 s6, s2, 31
	s_lshr_b32 s6, s6, 27
	s_add_i32 s2, s2, s6
	s_ashr_i32 s16, s2, 5
	v_lshrrev_b32_e32 v1, 6, v0
	v_cmp_gt_i32_e64 s[6:7], s16, v1
	v_mov_b32_e32 v11, 0xff7fffff
	s_mul_i32 s14, s3, s14
	v_lshrrev_b32_e32 v7, 4, v0
	v_lshlrev_b32_e32 v60, 5, v1
	v_mbcnt_lo_u32_b32 v8, -1, 0
	s_and_saveexec_b64 s[34:35], s[6:7]
	s_cbranch_execz .LBB38_21
; %bb.10:
	s_load_dwordx2 s[0:1], s[0:1], 0x10
	s_ashr_i32 s15, s14, 31
	s_sub_i32 s30, s12, s17
	s_lshl_b64 s[2:3], s[14:15], 2
	v_bfe_u32 v9, v0, 1, 5
	s_waitcnt lgkmcnt(0)
	s_add_u32 s0, s0, s2
	s_addc_u32 s1, s1, s3
	s_abs_i32 s15, s18
	v_cvt_f32_u32_e32 v3, s15
	v_lshlrev_b32_e32 v14, 4, v9
	v_mov_b32_e32 v15, 0
	v_lshl_add_u64 v[10:11], s[0:1], 0, v[14:15]
	v_rcp_iflag_f32_e32 v5, v3
	v_and_b32_e32 v14, 8, v2
	s_sub_i32 s0, 0, s15
	v_cmp_eq_u32_e32 vcc, 0, v4
	v_mul_f32_e32 v5, 0x4f7ffffe, v5
	v_cvt_u32_f32_e32 v5, v5
	v_lshl_add_u64 v[2:3], v[10:11], 0, v[14:15]
	v_mul_u32_u24_e32 v10, 0xa0, v4
	v_lshlrev_b32_e32 v16, 2, v9
	v_mul_lo_u32 v4, s0, v5
	s_lshl_b64 s[0:1], s[26:27], 2
	s_add_u32 s0, s24, s0
	v_mul_hi_u32 v4, v5, v4
	v_and_b32_e32 v14, 60, v7
	s_addc_u32 s1, s25, s1
	v_subrev_u32_e32 v11, s33, v9
	v_add_u32_e32 v12, v5, v4
	v_lshl_add_u64 v[4:5], s[0:1], 0, v[14:15]
	v_add_u32_e32 v14, 1, v11
	v_lshl_or_b32 v11, v1, 7, v16
	v_mbcnt_hi_u32_b32 v17, -1, v8
	v_add_u32_e32 v15, 0x150, v11
	v_and_b32_e32 v11, 64, v17
	s_mov_b32 s43, s13
	v_cmp_neq_f32_e64 s[2:3], s42, 0
	v_lshlrev_b32_e32 v13, 5, v1
	v_mov_b32_e32 v16, 0xff7fffff
	s_mov_b64 s[36:37], 0
	s_movk_i32 s44, 0x1000
	s_movk_i32 s45, 0x2000
	v_xor_b32_e32 v18, 1, v17
	v_add_u32_e32 v19, 64, v11
	v_mov_b32_e32 v11, 0xff7fffff
	v_mov_b32_e32 v20, v1
	s_branch .LBB38_13
.LBB38_11:                              ;   in Loop: Header=BB38_13 Depth=1
	s_or_b64 exec, exec, s[38:39]
.LBB38_12:                              ;   in Loop: Header=BB38_13 Depth=1
	s_or_b64 exec, exec, s[8:9]
	v_add_u32_e32 v20, 2, v20
	v_cmp_le_i32_e64 s[0:1], s16, v20
	v_lshl_add_u64 v[4:5], v[4:5], 0, 8
	v_add_u32_e32 v13, 64, v13
	s_or_b64 s[36:37], s[0:1], s[36:37]
	v_add_u32_e32 v15, 0x100, v15
	s_andn2_b64 exec, exec, s[36:37]
	s_cbranch_execz .LBB38_20
.LBB38_13:                              ; =>This Inner Loop Header: Depth=1
	v_mul_hi_u32 v21, v13, s40
	s_waitcnt lgkmcnt(0)
	v_mul_lo_u32 v22, v21, s21
	v_sub_u32_e32 v22, v13, v22
	v_add_u32_e32 v23, 1, v21
	v_cmp_le_u32_e64 s[0:1], s21, v22
	s_nop 1
	v_cndmask_b32_e64 v21, v21, v23, s[0:1]
	v_subrev_u32_e32 v23, s21, v22
	v_cndmask_b32_e64 v22, v22, v23, s[0:1]
	v_add_u32_e32 v23, 1, v21
	v_cmp_le_u32_e64 s[0:1], s21, v22
	s_nop 1
	v_cndmask_b32_e64 v21, v21, v23, s[0:1]
	v_xor_b32_e32 v21, s19, v21
	v_subrev_u32_e32 v21, s19, v21
	v_add_u32_e32 v22, s41, v21
	v_sub_u32_e32 v24, 0, v22
	v_ashrrev_i32_e32 v23, 31, v22
	v_max_i32_e32 v22, v22, v24
	v_mul_hi_u32 v24, v22, v12
	v_mul_lo_u32 v24, v24, s15
	v_sub_u32_e32 v22, v22, v24
	v_subrev_u32_e32 v24, s15, v22
	v_cmp_le_u32_e64 s[0:1], s15, v22
	v_cmp_ge_i32_e64 s[8:9], s30, v21
	s_nop 0
	v_cndmask_b32_e64 v22, v22, v24, s[0:1]
	v_subrev_u32_e32 v24, s15, v22
	v_cmp_le_u32_e64 s[0:1], s15, v22
	s_nop 1
	v_cndmask_b32_e64 v22, v22, v24, s[0:1]
	v_xor_b32_e32 v22, v22, v23
	v_sub_u32_e32 v22, v22, v23
	v_cmp_ne_u32_e64 s[0:1], 0, v22
	s_and_b64 s[0:1], s[0:1], s[8:9]
	s_and_saveexec_b64 s[8:9], s[0:1]
	s_xor_b64 s[0:1], exec, s[8:9]
	s_cbranch_execz .LBB38_17
; %bb.14:                               ;   in Loop: Header=BB38_13 Depth=1
	s_and_saveexec_b64 s[8:9], vcc
; %bb.15:                               ;   in Loop: Header=BB38_13 Depth=1
	ds_write_b32 v15, v16
; %bb.16:                               ;   in Loop: Header=BB38_13 Depth=1
	s_or_b64 exec, exec, s[8:9]
.LBB38_17:                              ;   in Loop: Header=BB38_13 Depth=1
	s_andn2_saveexec_b64 s[8:9], s[0:1]
	s_cbranch_execz .LBB38_12
; %bb.18:                               ;   in Loop: Header=BB38_13 Depth=1
	global_load_dword v21, v[4:5], off
	s_waitcnt vmcnt(0)
	v_mad_i64_i32 v[22:23], s[0:1], v21, s43, 0
	v_lshl_add_u64 v[22:23], v[22:23], 2, v[2:3]
	global_load_dwordx2 v[46:47], v[22:23], off offset:512
	global_load_dwordx2 v[50:51], v[22:23], off offset:1024
	;; [unrolled: 1-line block ×3, first 2 shown]
	global_load_dwordx2 v[48:49], v[22:23], off
	global_load_dwordx2 v[54:55], v[22:23], off offset:2048
	global_load_dwordx2 v[56:57], v[22:23], off offset:2560
	global_load_dwordx2 v[58:59], v[22:23], off offset:3072
	global_load_dwordx2 v[62:63], v[22:23], off offset:3584
	v_add_co_u32_e64 v24, s[0:1], s45, v22
	s_nop 1
	v_addc_co_u32_e64 v25, s[0:1], 0, v23, s[0:1]
	global_load_dwordx2 v[64:65], v[24:25], off offset:-4096
	v_add_co_u32_e64 v22, s[0:1], s44, v22
	s_nop 1
	v_addc_co_u32_e64 v23, s[0:1], 0, v23, s[0:1]
	global_load_dwordx2 v[66:67], v[22:23], off offset:512
	global_load_dwordx2 v[68:69], v[22:23], off offset:1024
	;; [unrolled: 1-line block ×7, first 2 shown]
	global_load_dwordx2 v[80:81], v[24:25], off
	global_load_dwordx2 v[82:83], v[24:25], off offset:512
	global_load_dwordx2 v[84:85], v[24:25], off offset:1024
                                        ; kill: killed $vgpr22 killed $vgpr23
	global_load_dwordx2 v[86:87], v[24:25], off offset:1536
	ds_read_b128 v[22:25], v10
	ds_read_b128 v[26:29], v10 offset:16
	ds_read_b128 v[30:33], v10 offset:32
	;; [unrolled: 1-line block ×5, first 2 shown]
	v_cmp_lt_i32_e64 s[0:1], v18, v19
	s_waitcnt vmcnt(19) lgkmcnt(5)
	v_mul_f32_e32 v21, v24, v46
	v_mul_f32_e32 v61, v25, v47
	v_cndmask_b32_e64 v88, v17, v18, s[0:1]
	s_waitcnt vmcnt(16)
	v_fmac_f32_e32 v21, v22, v48
	v_fmac_f32_e32 v61, v23, v49
	s_waitcnt lgkmcnt(4)
	v_fmac_f32_e32 v21, v26, v50
	v_fmac_f32_e32 v61, v27, v51
	;; [unrolled: 1-line block ×4, first 2 shown]
	s_waitcnt vmcnt(15) lgkmcnt(3)
	v_fmac_f32_e32 v21, v30, v54
	v_fmac_f32_e32 v61, v31, v55
	s_waitcnt vmcnt(14)
	v_fmac_f32_e32 v21, v32, v56
	v_fmac_f32_e32 v61, v33, v57
	s_waitcnt vmcnt(13) lgkmcnt(2)
	v_fmac_f32_e32 v21, v34, v58
	v_fmac_f32_e32 v61, v35, v59
	s_waitcnt vmcnt(12)
	v_fmac_f32_e32 v21, v36, v62
	v_fmac_f32_e32 v61, v37, v63
	ds_read_b128 v[22:25], v10 offset:96
	ds_read_b128 v[46:49], v10 offset:112
	s_waitcnt vmcnt(11) lgkmcnt(3)
	v_fmac_f32_e32 v21, v38, v64
	v_fmac_f32_e32 v61, v39, v65
	s_waitcnt vmcnt(10)
	v_fmac_f32_e32 v21, v40, v66
	v_fmac_f32_e32 v61, v41, v67
	s_waitcnt vmcnt(9) lgkmcnt(2)
	v_fmac_f32_e32 v21, v42, v68
	v_fmac_f32_e32 v61, v43, v69
	s_waitcnt vmcnt(8)
	v_fmac_f32_e32 v21, v44, v70
	v_fmac_f32_e32 v61, v45, v71
	ds_read_b128 v[26:29], v10 offset:128
	ds_read_b128 v[50:53], v10 offset:144
	s_waitcnt vmcnt(7) lgkmcnt(3)
	v_fmac_f32_e32 v21, v22, v72
	v_fmac_f32_e32 v61, v23, v73
	s_waitcnt vmcnt(6)
	v_fmac_f32_e32 v21, v24, v74
	v_fmac_f32_e32 v61, v25, v75
	s_waitcnt vmcnt(5) lgkmcnt(2)
	v_fmac_f32_e32 v21, v46, v76
	v_fmac_f32_e32 v61, v47, v77
	s_waitcnt vmcnt(4)
	v_fmac_f32_e32 v21, v48, v78
	v_fmac_f32_e32 v61, v49, v79
	;; [unrolled: 6-line block ×4, first 2 shown]
	v_lshlrev_b32_e32 v88, 2, v88
	v_add_f32_e32 v21, v21, v61
	ds_bpermute_b32 v22, v88, v21
	s_and_saveexec_b64 s[38:39], vcc
	s_cbranch_execz .LBB38_11
; %bb.19:                               ;   in Loop: Header=BB38_13 Depth=1
	v_add_u32_e32 v23, v14, v13
	v_cvt_f32_i32_e32 v23, v23
	s_waitcnt lgkmcnt(0)
	v_add_f32_e32 v21, v21, v22
	v_add_u32_e32 v24, v9, v13
	v_cmp_gt_i32_e64 s[0:1], s33, v24
	v_mul_f32_e32 v22, s42, v23
	v_cndmask_b32_e64 v22, 0, v22, s[2:3]
	v_fmac_f32_e32 v22, s31, v21
	v_cndmask_b32_e64 v21, 0, v22, s[0:1]
	ds_write_b32 v15, v21
	v_max_f32_e32 v21, v11, v11
	v_max_f32_e32 v21, v21, v22
	v_cndmask_b32_e64 v11, v11, v21, s[0:1]
	s_branch .LBB38_11
.LBB38_20:
	s_or_b64 exec, exec, s[36:37]
.LBB38_21:
	s_or_b64 exec, exec, s[34:35]
	v_mbcnt_hi_u32_b32 v2, -1, v8
	v_and_b32_e32 v10, 64, v2
	v_add_u32_e32 v12, 64, v10
	v_xor_b32_e32 v3, 32, v2
	v_cmp_lt_i32_e32 vcc, v3, v12
	v_xor_b32_e32 v8, 16, v2
	v_max_f32_e32 v5, v11, v11
	v_cndmask_b32_e32 v3, v2, v3, vcc
	v_lshlrev_b32_e32 v3, 2, v3
	ds_bpermute_b32 v4, v3, v11
	v_cmp_lt_i32_e32 vcc, v8, v12
	v_xor_b32_e32 v9, 8, v2
	v_xor_b32_e32 v11, 4, v2
	v_and_b32_e32 v61, 63, v0
	s_waitcnt lgkmcnt(0)
	v_max_f32_e32 v4, v4, v4
	v_max_f32_e32 v5, v5, v4
	v_cndmask_b32_e32 v4, v2, v8, vcc
	v_lshlrev_b32_e32 v4, 2, v4
	ds_bpermute_b32 v8, v4, v5
	v_cmp_lt_i32_e32 vcc, v9, v12
	s_waitcnt lgkmcnt(0)
	v_max_f32_e32 v8, v8, v8
	v_max_f32_e32 v8, v5, v8
	v_cndmask_b32_e32 v5, v2, v9, vcc
	v_lshlrev_b32_e32 v5, 2, v5
	ds_bpermute_b32 v9, v5, v8
	v_cmp_lt_i32_e32 vcc, v11, v12
	s_waitcnt lgkmcnt(0)
	v_max_f32_e32 v9, v9, v9
	v_max_f32_e32 v8, v8, v9
	v_cndmask_b32_e32 v9, v2, v11, vcc
	v_lshlrev_b32_e32 v62, 2, v9
	ds_bpermute_b32 v9, v62, v8
	v_xor_b32_e32 v11, 2, v2
	v_cmp_lt_i32_e32 vcc, v11, v12
	s_waitcnt lgkmcnt(0)
	v_max_f32_e32 v9, v9, v9
	v_max_f32_e32 v9, v8, v9
	v_cndmask_b32_e32 v8, v2, v11, vcc
	v_lshlrev_b32_e32 v63, 2, v8
	ds_bpermute_b32 v11, v63, v9
	v_cmp_eq_u32_e32 vcc, 0, v61
	v_lshlrev_b32_e32 v8, 2, v1
	s_and_saveexec_b64 s[0:1], vcc
	s_cbranch_execz .LBB38_23
; %bb.22:
	s_waitcnt lgkmcnt(0)
	v_max_f32_e32 v11, v11, v11
	v_max_f32_e32 v9, v9, v9
	;; [unrolled: 1-line block ×3, first 2 shown]
	ds_write_b32 v8, v9 offset:320
.LBB38_23:
	s_or_b64 exec, exec, s[0:1]
	v_cmp_gt_u32_e64 s[0:1], 2, v61
	s_waitcnt lgkmcnt(0)
	v_mov_b32_e32 v11, 0xff7fffff
	v_lshlrev_b32_e32 v9, 2, v61
	s_barrier
	s_and_saveexec_b64 s[2:3], s[0:1]
; %bb.24:
	ds_read_b32 v11, v9 offset:320
; %bb.25:
	s_or_b64 exec, exec, s[2:3]
	v_xor_b32_e32 v13, 1, v2
	v_cmp_lt_i32_e64 s[2:3], v13, v12
	v_lshlrev_b32_e32 v10, 2, v10
	s_nop 0
	v_cndmask_b32_e64 v12, v2, v13, s[2:3]
	v_lshlrev_b32_e32 v64, 2, v12
	s_waitcnt lgkmcnt(0)
	ds_bpermute_b32 v12, v64, v11
	v_max_f32_e32 v11, v11, v11
	s_lshl_b32 s2, s16, 5
	s_min_i32 s15, s2, s33
	v_cmp_gt_i32_e64 s[2:3], s15, v0
	s_waitcnt lgkmcnt(0)
	v_max_f32_e32 v12, v12, v12
	v_max_f32_e32 v11, v11, v12
	ds_bpermute_b32 v11, v10, v11
	v_mov_b32_e32 v10, 0
	s_and_saveexec_b64 s[30:31], s[2:3]
	s_cbranch_execz .LBB38_29
; %bb.26:
	v_mov_b32_e32 v10, 0x150
	v_lshl_add_u32 v12, v0, 2, v10
	v_mov_b32_e32 v10, 0
	s_mov_b64 s[34:35], 0
	v_mov_b32_e32 v13, v0
.LBB38_27:                              ; =>This Inner Loop Header: Depth=1
	ds_read_b32 v14, v12
	v_add_u32_e32 v13, 0x80, v13
	v_cmp_le_i32_e64 s[8:9], s15, v13
	s_or_b64 s[34:35], s[8:9], s[34:35]
	s_waitcnt lgkmcnt(0)
	v_sub_f32_e32 v14, v14, v11
	v_mul_f32_e32 v14, 0x3fb8aa3b, v14
	v_exp_f32_e32 v14, v14
	ds_write_b32 v12, v14
	v_add_f32_e32 v10, v10, v14
	v_add_u32_e32 v12, 0x200, v12
	s_andn2_b64 exec, exec, s[34:35]
	s_cbranch_execnz .LBB38_27
; %bb.28:
	s_or_b64 exec, exec, s[34:35]
.LBB38_29:
	s_or_b64 exec, exec, s[30:31]
	ds_bpermute_b32 v3, v3, v10
	s_waitcnt lgkmcnt(0)
	v_add_f32_e32 v3, v10, v3
	ds_bpermute_b32 v4, v4, v3
	s_waitcnt lgkmcnt(0)
	v_add_f32_e32 v3, v3, v4
	;; [unrolled: 3-line block ×6, first 2 shown]
	s_and_saveexec_b64 s[8:9], vcc
; %bb.30:
	ds_write_b32 v8, v3 offset:328
; %bb.31:
	s_or_b64 exec, exec, s[8:9]
	s_waitcnt lgkmcnt(0)
	s_barrier
	s_and_saveexec_b64 s[8:9], s[0:1]
; %bb.32:
	ds_read_b32 v3, v9 offset:328
; %bb.33:
	s_or_b64 exec, exec, s[8:9]
	s_waitcnt lgkmcnt(0)
	ds_bpermute_b32 v4, v64, v3
	v_lshlrev_b32_e32 v2, 2, v2
	v_and_b32_e32 v2, 0x100, v2
	s_waitcnt lgkmcnt(0)
	v_add_f32_e32 v3, v3, v4
	ds_bpermute_b32 v2, v2, v3
	s_and_saveexec_b64 s[0:1], s[2:3]
	s_cbranch_execz .LBB38_46
; %bb.34:
	s_waitcnt lgkmcnt(0)
	v_add_f32_e32 v2, 0x358637bd, v2
	v_div_scale_f32 v3, s[2:3], v2, v2, 1.0
	v_rcp_f32_e32 v4, v3
	v_div_scale_f32 v5, vcc, 1.0, v2, 1.0
	s_movk_i32 s2, 0x7f
	v_fma_f32 v8, -v3, v4, 1.0
	v_fmac_f32_e32 v4, v8, v4
	v_mul_f32_e32 v8, v5, v4
	v_fma_f32 v9, -v3, v8, v5
	v_fmac_f32_e32 v8, v9, v4
	v_fma_f32 v3, -v3, v8, v5
	v_div_fmas_f32 v3, v3, v4, v8
	v_xad_u32 v4, v0, -1, s15
	v_div_fixup_f32 v2, v3, v2, 1.0
	v_cmp_lt_u32_e32 vcc, s2, v4
	s_mov_b64 s[8:9], -1
	v_mov_b32_e32 v3, v0
	s_and_saveexec_b64 s[2:3], vcc
	s_cbranch_execz .LBB38_43
; %bb.35:
	v_lshrrev_b32_e32 v4, 7, v4
	v_add_u32_e32 v8, -1, v4
	v_lshrrev_b32_e32 v5, 1, v8
	v_mov_b32_e32 v3, v2
	v_add_u32_e32 v5, 1, v5
	v_cmp_lt_u32_e32 vcc, 13, v8
	v_mov_b32_e32 v10, 0
	s_and_saveexec_b64 s[8:9], vcc
	s_cbranch_execz .LBB38_39
; %bb.36:
	v_mov_b32_e32 v9, 0x150
	v_and_b32_e32 v8, -8, v5
	v_lshl_add_u32 v9, v0, 2, v9
	s_mov_b32 s34, 0
	s_mov_b64 s[30:31], 0
.LBB38_37:                              ; =>This Inner Loop Header: Depth=1
	ds_read2st64_b32 v[10:11], v9 offset1:2
	ds_read2st64_b32 v[12:13], v9 offset0:4 offset1:6
	ds_read2st64_b32 v[14:15], v9 offset0:8 offset1:10
	;; [unrolled: 1-line block ×3, first 2 shown]
	v_add_u32_e32 v8, -8, v8
	s_waitcnt lgkmcnt(3)
	v_pk_mul_f32 v[10:11], v[2:3], v[10:11]
	s_waitcnt lgkmcnt(2)
	v_pk_mul_f32 v[12:13], v[2:3], v[12:13]
	ds_write2st64_b32 v9, v10, v11 offset1:2
	ds_write2st64_b32 v9, v12, v13 offset0:4 offset1:6
	ds_read2st64_b32 v[12:13], v9 offset0:16 offset1:18
	s_waitcnt lgkmcnt(4)
	v_pk_mul_f32 v[10:11], v[2:3], v[14:15]
	ds_write2st64_b32 v9, v10, v11 offset0:8 offset1:10
	s_waitcnt lgkmcnt(4)
	v_pk_mul_f32 v[10:11], v[2:3], v[16:17]
	ds_write2st64_b32 v9, v10, v11 offset0:12 offset1:14
	ds_read2st64_b32 v[10:11], v9 offset0:20 offset1:22
	s_waitcnt lgkmcnt(3)
	v_pk_mul_f32 v[12:13], v[2:3], v[12:13]
	ds_read2st64_b32 v[14:15], v9 offset0:24 offset1:26
	ds_write2st64_b32 v9, v12, v13 offset0:16 offset1:18
	ds_read2st64_b32 v[12:13], v9 offset0:28 offset1:30
	s_waitcnt lgkmcnt(3)
	v_pk_mul_f32 v[10:11], v[2:3], v[10:11]
	ds_write2st64_b32 v9, v10, v11 offset0:20 offset1:22
	s_waitcnt lgkmcnt(3)
	v_pk_mul_f32 v[10:11], v[2:3], v[14:15]
	ds_write2st64_b32 v9, v10, v11 offset0:24 offset1:26
	s_waitcnt lgkmcnt(2)
	v_pk_mul_f32 v[10:11], v[2:3], v[12:13]
	s_add_i32 s34, s34, 16
	v_cmp_eq_u32_e32 vcc, 0, v8
	ds_write2st64_b32 v9, v10, v11 offset0:28 offset1:30
	v_add_u32_e32 v9, 0x2000, v9
	s_or_b64 s[30:31], vcc, s[30:31]
	v_mov_b32_e32 v10, s34
	s_andn2_b64 exec, exec, s[30:31]
	s_cbranch_execnz .LBB38_37
; %bb.38:
	s_or_b64 exec, exec, s[30:31]
.LBB38_39:
	s_or_b64 exec, exec, s[8:9]
	v_and_b32_e32 v5, 7, v5
	v_cmp_ne_u32_e32 vcc, 0, v5
	s_and_saveexec_b64 s[8:9], vcc
	s_cbranch_execz .LBB38_42
; %bb.40:
	v_lshlrev_b32_e32 v8, 9, v10
	s_movk_i32 s30, 0x150
	v_add3_u32 v8, v8, v6, s30
	s_mov_b64 s[30:31], 0
.LBB38_41:                              ; =>This Inner Loop Header: Depth=1
	ds_read2st64_b32 v[10:11], v8 offset1:2
	v_add_u32_e32 v5, -1, v5
	v_cmp_eq_u32_e32 vcc, 0, v5
	s_or_b64 s[30:31], vcc, s[30:31]
	s_waitcnt lgkmcnt(0)
	v_pk_mul_f32 v[10:11], v[2:3], v[10:11]
	ds_write2st64_b32 v8, v10, v11 offset1:2
	v_add_u32_e32 v8, 0x400, v8
	s_andn2_b64 exec, exec, s[30:31]
	s_cbranch_execnz .LBB38_41
.LBB38_42:
	s_or_b64 exec, exec, s[8:9]
	v_add_u32_e32 v4, 1, v4
	v_and_b32_e32 v5, 0x3fffffe, v4
	v_cmp_ne_u32_e32 vcc, v4, v5
	v_lshl_add_u32 v3, v5, 7, v0
	s_orn2_b64 s[8:9], vcc, exec
.LBB38_43:
	s_or_b64 exec, exec, s[2:3]
	s_and_b64 exec, exec, s[8:9]
	s_cbranch_execz .LBB38_46
; %bb.44:
	v_mov_b32_e32 v4, 0x150
	v_lshl_add_u32 v4, v3, 2, v4
	s_mov_b64 s[2:3], 0
.LBB38_45:                              ; =>This Inner Loop Header: Depth=1
	ds_read_b32 v5, v4
	v_add_u32_e32 v3, 0x80, v3
	v_cmp_le_i32_e32 vcc, s15, v3
	s_or_b64 s[2:3], vcc, s[2:3]
	s_waitcnt lgkmcnt(0)
	v_mul_f32_e32 v5, v2, v5
	ds_write_b32 v4, v5
	v_add_u32_e32 v4, 0x200, v4
	s_andn2_b64 exec, exec, s[2:3]
	s_cbranch_execnz .LBB38_45
.LBB38_46:
	s_or_b64 exec, exec, s[0:1]
	v_mov_b32_e32 v47, 0
	v_and_b32_e32 v65, 7, v0
	v_mov_b32_e32 v46, 0
	v_mov_b32_e32 v49, 0
	;; [unrolled: 1-line block ×9, first 2 shown]
	s_waitcnt lgkmcnt(0)
	s_barrier
	s_and_saveexec_b64 s[2:3], s[6:7]
	s_cbranch_execz .LBB38_72
; %bb.47:
	s_ashr_i32 s15, s14, 31
	s_sub_i32 s17, s12, s17
	s_lshl_b64 s[0:1], s[14:15], 2
	s_add_u32 s0, s28, s0
	s_addc_u32 s1, s29, s1
	s_abs_i32 s14, s18
	v_cvt_f32_u32_e32 v2, s14
	v_lshlrev_b32_e32 v3, 4, v0
	v_and_b32_e32 v50, 0x3f0, v3
	v_mov_b32_e32 v51, 0
	v_rcp_iflag_f32_e32 v2, v2
	v_lshl_add_u64 v[56:57], s[0:1], 0, v[50:51]
	s_sub_i32 s0, 0, s14
	s_add_i32 s18, s16, -1
	v_mul_f32_e32 v2, 0x4f7ffffe, v2
	v_cvt_u32_f32_e32 v2, v2
	v_and_b32_e32 v50, 60, v7
	v_and_b32_e32 v66, 28, v6
	s_mov_b32 s15, s13
	v_mul_lo_u32 v3, s0, v2
	v_mul_hi_u32 v3, v2, v3
	s_lshl_b64 s[0:1], s[26:27], 2
	v_add_u32_e32 v67, v2, v3
	s_add_u32 s0, s24, s0
	v_lshlrev_b32_e32 v2, 4, v65
	s_addc_u32 s1, s25, s1
	v_lshl_or_b32 v2, v1, 7, v2
	s_mov_b32 s28, s33
	v_lshl_add_u64 v[58:59], s[0:1], 0, v[50:51]
	v_add_u32_e32 v68, 0x150, v2
	s_mov_b64 s[6:7], 0
	v_mov_b32_e32 v50, v51
	v_mov_b32_e32 v54, v51
	;; [unrolled: 1-line block ×9, first 2 shown]
	s_branch .LBB38_50
.LBB38_48:                              ;   in Loop: Header=BB38_50 Depth=1
	s_or_b64 exec, exec, s[12:13]
	s_waitcnt vmcnt(1) lgkmcnt(0)
	v_mul_f32_e32 v42, v2, v42
	v_mul_f32_e32 v34, v2, v34
	;; [unrolled: 1-line block ×9, first 2 shown]
	v_fmac_f32_e32 v42, v3, v43
	v_fmac_f32_e32 v34, v3, v35
	;; [unrolled: 1-line block ×18, first 2 shown]
	s_waitcnt vmcnt(0)
	v_pk_mul_f32 v[2:3], v[2:3], v[38:39]
	v_fmac_f32_e32 v42, v5, v45
	v_fmac_f32_e32 v34, v5, v37
	;; [unrolled: 1-line block ×9, first 2 shown]
	v_pk_mul_f32 v[4:5], v[4:5], v[40:41]
	v_add_f32_e32 v2, v3, v2
	v_add_f32_e32 v2, v4, v2
	;; [unrolled: 1-line block ×13, first 2 shown]
.LBB38_49:                              ;   in Loop: Header=BB38_50 Depth=1
	s_or_b64 exec, exec, s[8:9]
	v_add_u32_e32 v1, 2, v1
	v_cmp_le_i32_e32 vcc, s16, v1
	v_lshl_add_u64 v[58:59], v[58:59], 0, 8
	v_add_u32_e32 v60, 64, v60
	s_or_b64 s[6:7], vcc, s[6:7]
	v_add_u32_e32 v68, 0x100, v68
	s_andn2_b64 exec, exec, s[6:7]
	s_cbranch_execz .LBB38_71
.LBB38_50:                              ; =>This Inner Loop Header: Depth=1
	v_mul_hi_u32 v2, v60, s40
	v_mul_lo_u32 v3, v2, s21
	v_sub_u32_e32 v3, v60, v3
	v_add_u32_e32 v4, 1, v2
	v_cmp_le_u32_e32 vcc, s21, v3
	s_nop 1
	v_cndmask_b32_e32 v2, v2, v4, vcc
	v_subrev_u32_e32 v4, s21, v3
	v_cndmask_b32_e32 v3, v3, v4, vcc
	v_add_u32_e32 v4, 1, v2
	v_cmp_le_u32_e32 vcc, s21, v3
	s_nop 1
	v_cndmask_b32_e32 v2, v2, v4, vcc
	v_xor_b32_e32 v2, s19, v2
	v_subrev_u32_e32 v2, s19, v2
	v_add_u32_e32 v3, s41, v2
	v_sub_u32_e32 v5, 0, v3
	v_ashrrev_i32_e32 v4, 31, v3
	v_max_i32_e32 v3, v3, v5
	v_mul_hi_u32 v5, v3, v67
	v_mul_lo_u32 v5, v5, s14
	v_sub_u32_e32 v3, v3, v5
	v_subrev_u32_e32 v5, s14, v3
	v_cmp_le_u32_e32 vcc, s14, v3
	v_cmp_lt_i32_e64 s[0:1], s17, v2
	s_nop 0
	v_cndmask_b32_e32 v3, v3, v5, vcc
	v_subrev_u32_e32 v5, s14, v3
	v_cmp_le_u32_e32 vcc, s14, v3
	s_nop 1
	v_cndmask_b32_e32 v3, v3, v5, vcc
	v_xor_b32_e32 v3, v3, v4
	v_sub_u32_e32 v3, v3, v4
	v_cmp_eq_u32_e32 vcc, 0, v3
	s_or_b64 s[0:1], vcc, s[0:1]
	s_and_saveexec_b64 s[8:9], s[0:1]
	s_cbranch_execz .LBB38_49
; %bb.51:                               ;   in Loop: Header=BB38_50 Depth=1
	global_load_dword v2, v[58:59], off
	v_add_u32_e32 v69, v66, v60
	v_add_u32_e32 v72, 1, v69
	v_or_b32_e32 v71, 3, v69
	v_or_b32_e32 v70, 2, v69
	s_waitcnt vmcnt(0)
	v_mad_i64_i32 v[2:3], s[0:1], v2, s15, 0
	v_lshl_add_u64 v[38:39], v[2:3], 2, v[56:57]
	global_load_dwordx4 v[6:9], v[38:39], off
	ds_read_b128 v[2:5], v68
	v_cmp_eq_u32_e64 s[0:1], s18, v1
	s_and_saveexec_b64 s[12:13], s[0:1]
	s_cbranch_execnz .LBB38_68
; %bb.52:                               ;   in Loop: Header=BB38_50 Depth=1
	s_or_b64 exec, exec, s[12:13]
	global_load_dwordx4 v[10:13], v[38:39], off offset:1024
	s_and_saveexec_b64 s[12:13], s[0:1]
	s_cbranch_execnz .LBB38_69
.LBB38_53:                              ;   in Loop: Header=BB38_50 Depth=1
	s_or_b64 exec, exec, s[12:13]
	global_load_dwordx4 v[14:17], v[38:39], off offset:2048
	s_and_saveexec_b64 s[12:13], s[0:1]
	s_cbranch_execnz .LBB38_70
.LBB38_54:                              ;   in Loop: Header=BB38_50 Depth=1
	s_or_b64 exec, exec, s[12:13]
	global_load_dwordx4 v[18:21], v[38:39], off offset:3072
	s_and_saveexec_b64 s[12:13], s[0:1]
	s_cbranch_execz .LBB38_56
.LBB38_55:                              ;   in Loop: Header=BB38_50 Depth=1
	v_cmp_gt_i32_e32 vcc, s28, v72
	s_waitcnt vmcnt(0)
	s_nop 0
	v_cndmask_b32_e32 v19, 0, v19, vcc
	v_cmp_gt_i32_e32 vcc, s33, v69
	s_nop 1
	v_cndmask_b32_e32 v18, 0, v18, vcc
	v_cmp_gt_i32_e32 vcc, s28, v71
	;; [unrolled: 3-line block ×3, first 2 shown]
	s_nop 1
	v_cndmask_b32_e32 v20, 0, v20, vcc
.LBB38_56:                              ;   in Loop: Header=BB38_50 Depth=1
	s_or_b64 exec, exec, s[12:13]
	v_add_co_u32_e32 v22, vcc, 0x1000, v38
	s_nop 1
	v_addc_co_u32_e32 v23, vcc, 0, v39, vcc
	global_load_dwordx4 v[22:25], v[22:23], off
	s_and_saveexec_b64 s[12:13], s[0:1]
	s_cbranch_execz .LBB38_58
; %bb.57:                               ;   in Loop: Header=BB38_50 Depth=1
	v_cmp_gt_i32_e32 vcc, s28, v72
	s_waitcnt vmcnt(0)
	s_nop 0
	v_cndmask_b32_e32 v23, 0, v23, vcc
	v_cmp_gt_i32_e32 vcc, s33, v69
	s_nop 1
	v_cndmask_b32_e32 v22, 0, v22, vcc
	v_cmp_gt_i32_e32 vcc, s28, v71
	s_nop 1
	v_cndmask_b32_e32 v25, 0, v25, vcc
	v_cmp_gt_i32_e32 vcc, s33, v70
	s_nop 1
	v_cndmask_b32_e32 v24, 0, v24, vcc
.LBB38_58:                              ;   in Loop: Header=BB38_50 Depth=1
	s_or_b64 exec, exec, s[12:13]
	v_add_co_u32_e32 v26, vcc, 0x1000, v38
	s_nop 1
	v_addc_co_u32_e32 v27, vcc, 0, v39, vcc
	global_load_dwordx4 v[26:29], v[26:27], off offset:1024
	s_and_saveexec_b64 s[12:13], s[0:1]
	s_cbranch_execz .LBB38_60
; %bb.59:                               ;   in Loop: Header=BB38_50 Depth=1
	v_cmp_gt_i32_e32 vcc, s28, v72
	s_waitcnt vmcnt(0)
	s_nop 0
	v_cndmask_b32_e32 v27, 0, v27, vcc
	v_cmp_gt_i32_e32 vcc, s33, v69
	s_nop 1
	v_cndmask_b32_e32 v26, 0, v26, vcc
	v_cmp_gt_i32_e32 vcc, s28, v71
	s_nop 1
	v_cndmask_b32_e32 v29, 0, v29, vcc
	v_cmp_gt_i32_e32 vcc, s33, v70
	s_nop 1
	v_cndmask_b32_e32 v28, 0, v28, vcc
.LBB38_60:                              ;   in Loop: Header=BB38_50 Depth=1
	s_or_b64 exec, exec, s[12:13]
	v_add_co_u32_e32 v30, vcc, 0x1000, v38
	s_nop 1
	v_addc_co_u32_e32 v31, vcc, 0, v39, vcc
	global_load_dwordx4 v[30:33], v[30:31], off offset:2048
	;; [unrolled: 22-line block ×3, first 2 shown]
	s_and_saveexec_b64 s[12:13], s[0:1]
	s_cbranch_execz .LBB38_64
; %bb.63:                               ;   in Loop: Header=BB38_50 Depth=1
	v_cmp_gt_i32_e32 vcc, s28, v72
	s_waitcnt vmcnt(0)
	s_nop 0
	v_cndmask_b32_e32 v35, 0, v35, vcc
	v_cmp_gt_i32_e32 vcc, s33, v69
	s_nop 1
	v_cndmask_b32_e32 v34, 0, v34, vcc
	v_cmp_gt_i32_e32 vcc, s28, v71
	;; [unrolled: 3-line block ×3, first 2 shown]
	s_nop 1
	v_cndmask_b32_e32 v36, 0, v36, vcc
.LBB38_64:                              ;   in Loop: Header=BB38_50 Depth=1
	s_or_b64 exec, exec, s[12:13]
	v_add_co_u32_e32 v40, vcc, 0x2000, v38
	s_nop 1
	v_addc_co_u32_e32 v41, vcc, 0, v39, vcc
	global_load_dwordx4 v[42:45], v[40:41], off
	s_and_saveexec_b64 s[12:13], s[0:1]
	s_cbranch_execz .LBB38_66
; %bb.65:                               ;   in Loop: Header=BB38_50 Depth=1
	v_cmp_gt_i32_e32 vcc, s28, v72
	s_waitcnt vmcnt(0)
	s_nop 0
	v_cndmask_b32_e32 v43, 0, v43, vcc
	v_cmp_gt_i32_e32 vcc, s33, v69
	s_nop 1
	v_cndmask_b32_e32 v42, 0, v42, vcc
	v_cmp_gt_i32_e32 vcc, s28, v71
	;; [unrolled: 3-line block ×3, first 2 shown]
	s_nop 1
	v_cndmask_b32_e32 v44, 0, v44, vcc
.LBB38_66:                              ;   in Loop: Header=BB38_50 Depth=1
	s_or_b64 exec, exec, s[12:13]
	v_add_co_u32_e32 v38, vcc, 0x2000, v38
	s_nop 1
	v_addc_co_u32_e32 v39, vcc, 0, v39, vcc
	global_load_dwordx4 v[38:41], v[38:39], off offset:1024
	s_and_saveexec_b64 s[12:13], s[0:1]
	s_cbranch_execz .LBB38_48
; %bb.67:                               ;   in Loop: Header=BB38_50 Depth=1
	v_cmp_gt_i32_e32 vcc, s28, v72
	s_waitcnt vmcnt(0)
	s_nop 0
	v_cndmask_b32_e32 v39, 0, v39, vcc
	v_cmp_gt_i32_e32 vcc, s33, v69
	s_nop 1
	v_cndmask_b32_e32 v38, 0, v38, vcc
	v_cmp_gt_i32_e32 vcc, s28, v71
	;; [unrolled: 3-line block ×3, first 2 shown]
	s_nop 1
	v_cndmask_b32_e32 v40, 0, v40, vcc
	s_branch .LBB38_48
.LBB38_68:                              ;   in Loop: Header=BB38_50 Depth=1
	v_cmp_gt_i32_e32 vcc, s28, v72
	s_waitcnt vmcnt(0)
	s_nop 0
	v_cndmask_b32_e32 v7, 0, v7, vcc
	v_cmp_gt_i32_e32 vcc, s33, v69
	s_nop 1
	v_cndmask_b32_e32 v6, 0, v6, vcc
	v_cmp_gt_i32_e32 vcc, s28, v71
	;; [unrolled: 3-line block ×3, first 2 shown]
	s_nop 1
	v_cndmask_b32_e32 v8, 0, v8, vcc
	s_or_b64 exec, exec, s[12:13]
	global_load_dwordx4 v[10:13], v[38:39], off offset:1024
	s_and_saveexec_b64 s[12:13], s[0:1]
	s_cbranch_execz .LBB38_53
.LBB38_69:                              ;   in Loop: Header=BB38_50 Depth=1
	v_cmp_gt_i32_e32 vcc, s28, v72
	s_waitcnt vmcnt(0)
	s_nop 0
	v_cndmask_b32_e32 v11, 0, v11, vcc
	v_cmp_gt_i32_e32 vcc, s33, v69
	s_nop 1
	v_cndmask_b32_e32 v10, 0, v10, vcc
	v_cmp_gt_i32_e32 vcc, s28, v71
	;; [unrolled: 3-line block ×3, first 2 shown]
	s_nop 1
	v_cndmask_b32_e32 v12, 0, v12, vcc
	s_or_b64 exec, exec, s[12:13]
	global_load_dwordx4 v[14:17], v[38:39], off offset:2048
	s_and_saveexec_b64 s[12:13], s[0:1]
	s_cbranch_execz .LBB38_54
.LBB38_70:                              ;   in Loop: Header=BB38_50 Depth=1
	v_cmp_gt_i32_e32 vcc, s28, v72
	s_waitcnt vmcnt(0)
	s_nop 0
	v_cndmask_b32_e32 v15, 0, v15, vcc
	v_cmp_gt_i32_e32 vcc, s33, v69
	s_nop 1
	v_cndmask_b32_e32 v14, 0, v14, vcc
	v_cmp_gt_i32_e32 vcc, s28, v71
	s_nop 1
	v_cndmask_b32_e32 v17, 0, v17, vcc
	v_cmp_gt_i32_e32 vcc, s33, v70
	s_nop 1
	v_cndmask_b32_e32 v16, 0, v16, vcc
	s_or_b64 exec, exec, s[12:13]
	global_load_dwordx4 v[18:21], v[38:39], off offset:3072
	s_and_saveexec_b64 s[12:13], s[0:1]
	s_cbranch_execnz .LBB38_55
	s_branch .LBB38_56
.LBB38_71:
	s_or_b64 exec, exec, s[6:7]
.LBB38_72:
	s_or_b64 exec, exec, s[2:3]
	ds_bpermute_b32 v8, v62, v52
	ds_bpermute_b32 v9, v62, v53
	;; [unrolled: 1-line block ×6, first 2 shown]
	s_waitcnt lgkmcnt(4)
	v_pk_add_f32 v[8:9], v[52:53], v[8:9]
	ds_bpermute_b32 v12, v63, v8
	s_waitcnt lgkmcnt(3)
	v_pk_add_f32 v[2:3], v[50:51], v[2:3]
	ds_bpermute_b32 v13, v63, v9
	;; [unrolled: 3-line block ×3, first 2 shown]
	ds_bpermute_b32 v15, v62, v49
	ds_bpermute_b32 v6, v63, v2
	;; [unrolled: 1-line block ×7, first 2 shown]
	s_waitcnt lgkmcnt(8)
	v_pk_add_f32 v[12:13], v[8:9], v[12:13]
	s_waitcnt lgkmcnt(6)
	v_pk_add_f32 v[8:9], v[48:49], v[14:15]
	;; [unrolled: 2-line block ×4, first 2 shown]
	ds_bpermute_b32 v14, v63, v8
	ds_bpermute_b32 v15, v63, v9
	s_waitcnt lgkmcnt(2)
	v_pk_add_f32 v[18:19], v[46:47], v[18:19]
	ds_bpermute_b32 v6, v64, v2
	ds_bpermute_b32 v7, v64, v3
	;; [unrolled: 1-line block ×8, first 2 shown]
	s_waitcnt lgkmcnt(8)
	v_pk_add_f32 v[14:15], v[8:9], v[14:15]
	ds_bpermute_b32 v20, v64, v14
	ds_bpermute_b32 v21, v64, v15
	s_waitcnt lgkmcnt(8)
	v_pk_add_f32 v[8:9], v[2:3], v[6:7]
	s_waitcnt lgkmcnt(6)
	v_pk_add_f32 v[6:7], v[4:5], v[10:11]
	;; [unrolled: 2-line block ×4, first 2 shown]
	ds_bpermute_b32 v12, v64, v10
	ds_bpermute_b32 v13, v64, v11
	v_and_b32_e32 v1, 0x3c7, v0
	s_waitcnt lgkmcnt(2)
	v_pk_add_f32 v[2:3], v[14:15], v[20:21]
	v_cmp_ne_u32_e32 vcc, 64, v1
	s_waitcnt lgkmcnt(0)
	s_barrier
	s_and_saveexec_b64 s[0:1], vcc
	s_xor_b64 s[0:1], exec, s[0:1]
; %bb.73:
                                        ; implicit-def: $vgpr61
; %bb.74:
	s_or_saveexec_b64 s[0:1], s[0:1]
	v_pk_add_f32 v[10:11], v[10:11], v[12:13]
	s_xor_b64 exec, exec, s[0:1]
	s_cbranch_execz .LBB38_76
; %bb.75:
	v_lshrrev_b32_e32 v12, 1, v61
	v_add_u32_e32 v12, 0x150, v12
	ds_write2_b32 v12, v8, v9 offset1:8
	ds_write2_b32 v12, v6, v7 offset0:16 offset1:24
	ds_write2_b32 v12, v4, v5 offset0:32 offset1:40
	;; [unrolled: 1-line block ×4, first 2 shown]
.LBB38_76:
	s_or_b64 exec, exec, s[0:1]
	v_cmp_gt_u32_e32 vcc, 64, v0
	v_lshrrev_b32_e32 v0, 3, v0
	s_waitcnt lgkmcnt(0)
	s_barrier
	s_and_saveexec_b64 s[0:1], vcc
	s_cbranch_execz .LBB38_89
; %bb.77:
	v_mov_b32_e32 v12, 0x150
	v_cmp_eq_u32_e32 vcc, 0, v65
	v_lshl_add_u32 v12, v0, 2, v12
	s_and_saveexec_b64 s[2:3], vcc
	s_cbranch_execnz .LBB38_92
; %bb.78:
	s_or_b64 exec, exec, s[2:3]
	s_and_saveexec_b64 s[2:3], vcc
	s_cbranch_execnz .LBB38_93
.LBB38_79:
	s_or_b64 exec, exec, s[2:3]
	s_and_saveexec_b64 s[2:3], vcc
	s_cbranch_execnz .LBB38_94
.LBB38_80:
	s_or_b64 exec, exec, s[2:3]
	s_and_saveexec_b64 s[2:3], vcc
	s_cbranch_execnz .LBB38_95
.LBB38_81:
	s_or_b64 exec, exec, s[2:3]
	s_and_saveexec_b64 s[2:3], vcc
	s_cbranch_execnz .LBB38_96
.LBB38_82:
	s_or_b64 exec, exec, s[2:3]
	s_and_saveexec_b64 s[2:3], vcc
	s_cbranch_execnz .LBB38_97
.LBB38_83:
	s_or_b64 exec, exec, s[2:3]
	s_and_saveexec_b64 s[2:3], vcc
	s_cbranch_execnz .LBB38_98
.LBB38_84:
	s_or_b64 exec, exec, s[2:3]
	s_and_saveexec_b64 s[2:3], vcc
	s_cbranch_execnz .LBB38_99
.LBB38_85:
	s_or_b64 exec, exec, s[2:3]
	s_and_saveexec_b64 s[2:3], vcc
	s_cbranch_execnz .LBB38_100
.LBB38_86:
	s_or_b64 exec, exec, s[2:3]
	s_and_saveexec_b64 s[2:3], vcc
	s_cbranch_execz .LBB38_88
.LBB38_87:
	ds_read_b32 v12, v12 offset:288
	s_waitcnt lgkmcnt(0)
	v_add_f32_e32 v11, v11, v12
.LBB38_88:
	s_or_b64 exec, exec, s[2:3]
.LBB38_89:
	s_or_b64 exec, exec, s[0:1]
	v_cmp_eq_u32_e32 vcc, 0, v1
	s_barrier
	s_and_saveexec_b64 s[0:1], vcc
	s_cbranch_execz .LBB38_91
; %bb.90:
	s_mul_i32 s0, s10, s11
	s_mul_i32 s0, s0, s5
	s_mulk_i32 s0, 0x50
	s_ashr_i32 s1, s0, 31
	s_lshl_b64 s[0:1], s[0:1], 2
	s_add_u32 s2, s22, s0
	s_mul_i32 s0, s11, s20
	s_addc_u32 s3, s23, s1
	s_ashr_i32 s1, s0, 31
	s_lshl_b64 s[0:1], s[0:1], 2
	s_add_u32 s2, s2, s0
	s_mul_i32 s0, s4, 0x50
	s_addc_u32 s3, s3, s1
	s_ashr_i32 s1, s0, 31
	s_lshl_b64 s[0:1], s[0:1], 2
	s_add_u32 s0, s2, s0
	s_addc_u32 s1, s3, s1
	v_lshlrev_b32_e32 v0, 2, v0
	global_store_dword v0, v8, s[0:1]
	global_store_dword v0, v9, s[0:1] offset:32
	global_store_dword v0, v6, s[0:1] offset:64
	global_store_dword v0, v7, s[0:1] offset:96
	global_store_dword v0, v4, s[0:1] offset:128
	global_store_dword v0, v5, s[0:1] offset:160
	global_store_dword v0, v2, s[0:1] offset:192
	global_store_dword v0, v3, s[0:1] offset:224
	global_store_dword v0, v10, s[0:1] offset:256
	global_store_dword v0, v11, s[0:1] offset:288
.LBB38_91:
	s_endpgm
.LBB38_92:
	ds_read_b32 v13, v12
	s_waitcnt lgkmcnt(0)
	v_add_f32_e32 v8, v8, v13
	s_or_b64 exec, exec, s[2:3]
	s_and_saveexec_b64 s[2:3], vcc
	s_cbranch_execz .LBB38_79
.LBB38_93:
	ds_read_b32 v13, v12 offset:32
	s_waitcnt lgkmcnt(0)
	v_add_f32_e32 v9, v9, v13
	s_or_b64 exec, exec, s[2:3]
	s_and_saveexec_b64 s[2:3], vcc
	s_cbranch_execz .LBB38_80
.LBB38_94:
	ds_read_b32 v13, v12 offset:64
	s_waitcnt lgkmcnt(0)
	v_add_f32_e32 v6, v6, v13
	s_or_b64 exec, exec, s[2:3]
	s_and_saveexec_b64 s[2:3], vcc
	s_cbranch_execz .LBB38_81
.LBB38_95:
	ds_read_b32 v13, v12 offset:96
	s_waitcnt lgkmcnt(0)
	v_add_f32_e32 v7, v7, v13
	s_or_b64 exec, exec, s[2:3]
	s_and_saveexec_b64 s[2:3], vcc
	s_cbranch_execz .LBB38_82
.LBB38_96:
	ds_read_b32 v13, v12 offset:128
	s_waitcnt lgkmcnt(0)
	v_add_f32_e32 v4, v4, v13
	s_or_b64 exec, exec, s[2:3]
	s_and_saveexec_b64 s[2:3], vcc
	s_cbranch_execz .LBB38_83
.LBB38_97:
	ds_read_b32 v13, v12 offset:160
	s_waitcnt lgkmcnt(0)
	v_add_f32_e32 v5, v5, v13
	s_or_b64 exec, exec, s[2:3]
	s_and_saveexec_b64 s[2:3], vcc
	s_cbranch_execz .LBB38_84
.LBB38_98:
	ds_read_b32 v13, v12 offset:192
	s_waitcnt lgkmcnt(0)
	v_add_f32_e32 v2, v2, v13
	s_or_b64 exec, exec, s[2:3]
	s_and_saveexec_b64 s[2:3], vcc
	s_cbranch_execz .LBB38_85
.LBB38_99:
	ds_read_b32 v13, v12 offset:224
	s_waitcnt lgkmcnt(0)
	v_add_f32_e32 v3, v3, v13
	s_or_b64 exec, exec, s[2:3]
	s_and_saveexec_b64 s[2:3], vcc
	s_cbranch_execz .LBB38_86
.LBB38_100:
	ds_read_b32 v13, v12 offset:256
	s_waitcnt lgkmcnt(0)
	v_add_f32_e32 v10, v10, v13
	s_or_b64 exec, exec, s[2:3]
	s_and_saveexec_b64 s[2:3], vcc
	s_cbranch_execnz .LBB38_87
	s_branch .LBB38_88
	.section	.rodata,"a",@progbits
	.p2align	6, 0x0
	.amdhsa_kernel _ZN4vllm25paged_attention_v1_kernelIffLi80ELi32ELi128ELNS_18Fp8KVCacheDataTypeE0ELb1EEEvPT_PKS2_PKT0_S8_ifPKiSA_iPKfiiiSC_SC_iiiii
		.amdhsa_group_segment_fixed_size 336
		.amdhsa_private_segment_fixed_size 0
		.amdhsa_kernarg_size 384
		.amdhsa_user_sgpr_count 2
		.amdhsa_user_sgpr_dispatch_ptr 0
		.amdhsa_user_sgpr_queue_ptr 0
		.amdhsa_user_sgpr_kernarg_segment_ptr 1
		.amdhsa_user_sgpr_dispatch_id 0
		.amdhsa_user_sgpr_kernarg_preload_length 0
		.amdhsa_user_sgpr_kernarg_preload_offset 0
		.amdhsa_user_sgpr_private_segment_size 0
		.amdhsa_uses_dynamic_stack 0
		.amdhsa_enable_private_segment 0
		.amdhsa_system_sgpr_workgroup_id_x 1
		.amdhsa_system_sgpr_workgroup_id_y 1
		.amdhsa_system_sgpr_workgroup_id_z 1
		.amdhsa_system_sgpr_workgroup_info 0
		.amdhsa_system_vgpr_workitem_id 0
		.amdhsa_next_free_vgpr 89
		.amdhsa_next_free_sgpr 46
		.amdhsa_accum_offset 92
		.amdhsa_reserve_vcc 1
		.amdhsa_float_round_mode_32 0
		.amdhsa_float_round_mode_16_64 0
		.amdhsa_float_denorm_mode_32 3
		.amdhsa_float_denorm_mode_16_64 3
		.amdhsa_dx10_clamp 1
		.amdhsa_ieee_mode 1
		.amdhsa_fp16_overflow 0
		.amdhsa_tg_split 0
		.amdhsa_exception_fp_ieee_invalid_op 0
		.amdhsa_exception_fp_denorm_src 0
		.amdhsa_exception_fp_ieee_div_zero 0
		.amdhsa_exception_fp_ieee_overflow 0
		.amdhsa_exception_fp_ieee_underflow 0
		.amdhsa_exception_fp_ieee_inexact 0
		.amdhsa_exception_int_div_zero 0
	.end_amdhsa_kernel
	.section	.text._ZN4vllm25paged_attention_v1_kernelIffLi80ELi32ELi128ELNS_18Fp8KVCacheDataTypeE0ELb1EEEvPT_PKS2_PKT0_S8_ifPKiSA_iPKfiiiSC_SC_iiiii,"axG",@progbits,_ZN4vllm25paged_attention_v1_kernelIffLi80ELi32ELi128ELNS_18Fp8KVCacheDataTypeE0ELb1EEEvPT_PKS2_PKT0_S8_ifPKiSA_iPKfiiiSC_SC_iiiii,comdat
.Lfunc_end38:
	.size	_ZN4vllm25paged_attention_v1_kernelIffLi80ELi32ELi128ELNS_18Fp8KVCacheDataTypeE0ELb1EEEvPT_PKS2_PKT0_S8_ifPKiSA_iPKfiiiSC_SC_iiiii, .Lfunc_end38-_ZN4vllm25paged_attention_v1_kernelIffLi80ELi32ELi128ELNS_18Fp8KVCacheDataTypeE0ELb1EEEvPT_PKS2_PKT0_S8_ifPKiSA_iPKfiiiSC_SC_iiiii
                                        ; -- End function
	.set _ZN4vllm25paged_attention_v1_kernelIffLi80ELi32ELi128ELNS_18Fp8KVCacheDataTypeE0ELb1EEEvPT_PKS2_PKT0_S8_ifPKiSA_iPKfiiiSC_SC_iiiii.num_vgpr, 89
	.set _ZN4vllm25paged_attention_v1_kernelIffLi80ELi32ELi128ELNS_18Fp8KVCacheDataTypeE0ELb1EEEvPT_PKS2_PKT0_S8_ifPKiSA_iPKfiiiSC_SC_iiiii.num_agpr, 0
	.set _ZN4vllm25paged_attention_v1_kernelIffLi80ELi32ELi128ELNS_18Fp8KVCacheDataTypeE0ELb1EEEvPT_PKS2_PKT0_S8_ifPKiSA_iPKfiiiSC_SC_iiiii.numbered_sgpr, 46
	.set _ZN4vllm25paged_attention_v1_kernelIffLi80ELi32ELi128ELNS_18Fp8KVCacheDataTypeE0ELb1EEEvPT_PKS2_PKT0_S8_ifPKiSA_iPKfiiiSC_SC_iiiii.num_named_barrier, 0
	.set _ZN4vllm25paged_attention_v1_kernelIffLi80ELi32ELi128ELNS_18Fp8KVCacheDataTypeE0ELb1EEEvPT_PKS2_PKT0_S8_ifPKiSA_iPKfiiiSC_SC_iiiii.private_seg_size, 0
	.set _ZN4vllm25paged_attention_v1_kernelIffLi80ELi32ELi128ELNS_18Fp8KVCacheDataTypeE0ELb1EEEvPT_PKS2_PKT0_S8_ifPKiSA_iPKfiiiSC_SC_iiiii.uses_vcc, 1
	.set _ZN4vllm25paged_attention_v1_kernelIffLi80ELi32ELi128ELNS_18Fp8KVCacheDataTypeE0ELb1EEEvPT_PKS2_PKT0_S8_ifPKiSA_iPKfiiiSC_SC_iiiii.uses_flat_scratch, 0
	.set _ZN4vllm25paged_attention_v1_kernelIffLi80ELi32ELi128ELNS_18Fp8KVCacheDataTypeE0ELb1EEEvPT_PKS2_PKT0_S8_ifPKiSA_iPKfiiiSC_SC_iiiii.has_dyn_sized_stack, 0
	.set _ZN4vllm25paged_attention_v1_kernelIffLi80ELi32ELi128ELNS_18Fp8KVCacheDataTypeE0ELb1EEEvPT_PKS2_PKT0_S8_ifPKiSA_iPKfiiiSC_SC_iiiii.has_recursion, 0
	.set _ZN4vllm25paged_attention_v1_kernelIffLi80ELi32ELi128ELNS_18Fp8KVCacheDataTypeE0ELb1EEEvPT_PKS2_PKT0_S8_ifPKiSA_iPKfiiiSC_SC_iiiii.has_indirect_call, 0
	.section	.AMDGPU.csdata,"",@progbits
; Kernel info:
; codeLenInByte = 6108
; TotalNumSgprs: 52
; NumVgprs: 89
; NumAgprs: 0
; TotalNumVgprs: 89
; ScratchSize: 0
; MemoryBound: 0
; FloatMode: 240
; IeeeMode: 1
; LDSByteSize: 336 bytes/workgroup (compile time only)
; SGPRBlocks: 6
; VGPRBlocks: 11
; NumSGPRsForWavesPerEU: 52
; NumVGPRsForWavesPerEU: 89
; AccumOffset: 92
; Occupancy: 5
; WaveLimiterHint : 1
; COMPUTE_PGM_RSRC2:SCRATCH_EN: 0
; COMPUTE_PGM_RSRC2:USER_SGPR: 2
; COMPUTE_PGM_RSRC2:TRAP_HANDLER: 0
; COMPUTE_PGM_RSRC2:TGID_X_EN: 1
; COMPUTE_PGM_RSRC2:TGID_Y_EN: 1
; COMPUTE_PGM_RSRC2:TGID_Z_EN: 1
; COMPUTE_PGM_RSRC2:TIDIG_COMP_CNT: 0
; COMPUTE_PGM_RSRC3_GFX90A:ACCUM_OFFSET: 22
; COMPUTE_PGM_RSRC3_GFX90A:TG_SPLIT: 0
	.section	.text._ZN4vllm25paged_attention_v1_kernelIffLi96ELi32ELi128ELNS_18Fp8KVCacheDataTypeE0ELb1EEEvPT_PKS2_PKT0_S8_ifPKiSA_iPKfiiiSC_SC_iiiii,"axG",@progbits,_ZN4vllm25paged_attention_v1_kernelIffLi96ELi32ELi128ELNS_18Fp8KVCacheDataTypeE0ELb1EEEvPT_PKS2_PKT0_S8_ifPKiSA_iPKfiiiSC_SC_iiiii,comdat
	.protected	_ZN4vllm25paged_attention_v1_kernelIffLi96ELi32ELi128ELNS_18Fp8KVCacheDataTypeE0ELb1EEEvPT_PKS2_PKT0_S8_ifPKiSA_iPKfiiiSC_SC_iiiii ; -- Begin function _ZN4vllm25paged_attention_v1_kernelIffLi96ELi32ELi128ELNS_18Fp8KVCacheDataTypeE0ELb1EEEvPT_PKS2_PKT0_S8_ifPKiSA_iPKfiiiSC_SC_iiiii
	.globl	_ZN4vllm25paged_attention_v1_kernelIffLi96ELi32ELi128ELNS_18Fp8KVCacheDataTypeE0ELb1EEEvPT_PKS2_PKT0_S8_ifPKiSA_iPKfiiiSC_SC_iiiii
	.p2align	8
	.type	_ZN4vllm25paged_attention_v1_kernelIffLi96ELi32ELi128ELNS_18Fp8KVCacheDataTypeE0ELb1EEEvPT_PKS2_PKT0_S8_ifPKiSA_iPKfiiiSC_SC_iiiii,@function
_ZN4vllm25paged_attention_v1_kernelIffLi96ELi32ELi128ELNS_18Fp8KVCacheDataTypeE0ELb1EEEvPT_PKS2_PKT0_S8_ifPKiSA_iPKfiiiSC_SC_iiiii: ; @_ZN4vllm25paged_attention_v1_kernelIffLi96ELi32ELi128ELNS_18Fp8KVCacheDataTypeE0ELb1EEEvPT_PKS2_PKT0_S8_ifPKiSA_iPKfiiiSC_SC_iiiii
; %bb.0:
	s_load_dword s5, s[0:1], 0x80
	s_load_dwordx2 s[6:7], s[0:1], 0x30
	s_load_dwordx2 s[30:31], s[0:1], 0x20
	s_mov_b32 s10, s3
	s_ashr_i32 s11, s3, 31
	s_lshl_b64 s[8:9], s[10:11], 2
	s_waitcnt lgkmcnt(0)
	s_add_u32 s6, s6, s8
	s_addc_u32 s7, s7, s9
	s_abs_i32 s3, s30
	v_cvt_f32_u32_e32 v1, s3
	s_sub_i32 s11, 0, s3
	s_abs_i32 s9, s5
	s_xor_b32 s8, s5, s30
	v_rcp_iflag_f32_e32 v1, v1
	s_ashr_i32 s8, s8, 31
	s_mov_b32 s42, 0
	v_mul_f32_e32 v1, 0x4f7ffffe, v1
	v_cvt_u32_f32_e32 v1, v1
	s_nop 0
	v_readfirstlane_b32 s12, v1
	s_mul_i32 s11, s11, s12
	s_mul_hi_u32 s11, s12, s11
	s_add_i32 s12, s12, s11
	s_mul_hi_u32 s11, s9, s12
	s_mul_i32 s12, s11, s3
	s_sub_i32 s9, s9, s12
	s_add_i32 s12, s11, 1
	s_sub_i32 s13, s9, s3
	s_cmp_ge_u32 s9, s3
	s_cselect_b32 s11, s12, s11
	s_cselect_b32 s9, s13, s9
	s_add_i32 s12, s11, 1
	s_cmp_ge_u32 s9, s3
	s_cselect_b32 s3, s12, s11
	s_xor_b32 s3, s3, s8
	s_sub_i32 s12, s3, s8
	s_abs_i32 s11, s12
	v_cvt_f32_u32_e32 v1, s11
	s_load_dwordx2 s[8:9], s[0:1], 0x40
	s_sub_i32 s3, 0, s11
	s_abs_i32 s22, s2
	v_rcp_iflag_f32_e32 v1, v1
	s_nop 0
	v_mul_f32_e32 v1, 0x4f7ffffe, v1
	v_cvt_u32_f32_e32 v1, v1
	s_nop 0
	v_readfirstlane_b32 s13, v1
	s_mul_i32 s3, s3, s13
	s_mul_hi_u32 s3, s13, s3
	s_add_i32 s13, s13, s3
	s_waitcnt lgkmcnt(0)
	s_cmp_eq_u64 s[8:9], 0
	s_mul_hi_u32 s23, s22, s13
	s_cbranch_scc1 .LBB39_2
; %bb.1:
	s_ashr_i32 s3, s2, 31
	s_lshl_b64 s[14:15], s[2:3], 2
	s_add_u32 s8, s8, s14
	s_addc_u32 s9, s9, s15
	s_load_dword s42, s[8:9], 0x0
.LBB39_2:
	s_load_dword s33, s[6:7], 0x0
	s_ashr_i32 s9, s12, 31
	s_load_dwordx4 s[12:15], s[0:1], 0x48
	s_ashr_i32 s3, s2, 31
	v_and_b32_e32 v4, 1, v0
	s_mul_i32 s20, s2, 0x60
	v_cmp_gt_u32_e32 vcc, 48, v0
	v_lshlrev_b32_e32 v2, 3, v0
	v_lshlrev_b32_e32 v6, 2, v0
	s_and_saveexec_b64 s[6:7], vcc
	s_cbranch_execz .LBB39_4
; %bb.3:
	s_load_dwordx2 s[16:17], s[0:1], 0x8
	s_waitcnt lgkmcnt(0)
	s_mul_i32 s18, s12, s10
	s_ashr_i32 s19, s18, 31
	s_lshl_b64 s[18:19], s[18:19], 2
	v_and_b32_e32 v1, 0xff8, v6
	s_add_u32 s8, s16, s18
	s_addc_u32 s12, s17, s19
	s_ashr_i32 s21, s20, 31
	s_lshl_b64 s[16:17], s[20:21], 2
	s_add_u32 s16, s8, s16
	s_addc_u32 s17, s12, s17
	global_load_dwordx2 v[8:9], v2, s[16:17]
	s_movk_i32 s8, 0xc0
	v_mad_u32_u24 v1, v4, s8, v1
	s_waitcnt vmcnt(0)
	ds_write_b64 v1, v[8:9]
.LBB39_4:
	s_or_b64 exec, exec, s[6:7]
	s_mul_i32 s6, s23, s11
	s_sub_i32 s6, s22, s6
	s_xor_b32 s3, s3, s9
	s_add_i32 s7, s23, 1
	s_sub_i32 s9, s6, s11
	s_load_dwordx4 s[16:19], s[0:1], 0x68
	s_load_dword s8, s[0:1], 0x78
	s_cmp_ge_u32 s6, s11
	s_cselect_b32 s7, s7, s23
	s_cselect_b32 s6, s9, s6
	s_add_i32 s9, s7, 1
	s_cmp_ge_u32 s6, s11
	s_cselect_b32 s6, s9, s7
	s_waitcnt lgkmcnt(0)
	s_abs_i32 s21, s19
	v_cvt_f32_u32_e32 v1, s21
	s_xor_b32 s6, s6, s3
	s_sub_i32 s3, s6, s3
	s_sub_i32 s6, 0, s21
	v_rcp_iflag_f32_e32 v1, v1
	s_add_i32 s11, s33, -1
	s_abs_i32 s9, s11
	v_mul_f32_e32 v1, 0x4f7ffffe, v1
	v_cvt_u32_f32_e32 v1, v1
	s_barrier
	v_readfirstlane_b32 s40, v1
	s_mul_i32 s6, s6, s40
	s_mul_hi_u32 s6, s40, s6
	s_add_i32 s40, s40, s6
	s_cmp_lt_i32 s8, 0
	s_mul_hi_u32 s12, s9, s40
	s_cbranch_scc0 .LBB39_6
; %bb.5:
	s_mul_i32 s6, s16, s30
	s_add_i32 s6, s3, s6
	s_mul_i32 s6, s6, s8
	s_sub_i32 s41, 1, s6
	s_mov_b64 s[6:7], 0
	s_branch .LBB39_7
.LBB39_6:
	s_mov_b64 s[6:7], -1
                                        ; implicit-def: $sgpr41
.LBB39_7:
	s_load_dwordx2 s[24:25], s[0:1], 0x28
	s_ashr_i32 s15, s11, 31
	s_andn2_b64 vcc, exec, s[6:7]
	s_ashr_i32 s19, s19, 31
	s_cbranch_vccnz .LBB39_9
; %bb.8:
	s_mul_i32 s6, s5, s16
	s_add_i32 s2, s6, s2
	s_mul_i32 s2, s2, s8
	s_add_i32 s41, s2, 1
.LBB39_9:
	s_load_dword s2, s[0:1], 0x38
	s_load_dwordx2 s[22:23], s[0:1], 0x0
	s_load_dwordx2 s[28:29], s[0:1], 0x18
	s_load_dword s11, s[0:1], 0x88
	s_xor_b32 s6, s15, s19
	s_waitcnt lgkmcnt(0)
	s_mul_i32 s26, s2, s10
	s_mul_i32 s2, s12, s21
	s_sub_i32 s2, s9, s2
	s_ashr_i32 s27, s26, 31
	s_add_i32 s7, s12, 1
	s_sub_i32 s8, s2, s21
	s_cmp_ge_u32 s2, s21
	s_cselect_b32 s7, s7, s12
	s_cselect_b32 s2, s8, s2
	s_add_i32 s8, s7, 1
	s_cmp_ge_u32 s2, s21
	s_cselect_b32 s2, s8, s7
	s_xor_b32 s2, s2, s6
	s_sub_i32 s12, s2, s6
	s_add_i32 s2, s33, 31
	s_ashr_i32 s6, s2, 31
	s_lshr_b32 s6, s6, 27
	s_add_i32 s2, s2, s6
	s_ashr_i32 s16, s2, 5
	v_lshrrev_b32_e32 v1, 6, v0
	v_cmp_gt_i32_e64 s[6:7], s16, v1
	v_mov_b32_e32 v11, 0xff7fffff
	s_mul_i32 s14, s3, s14
	v_lshrrev_b32_e32 v7, 4, v0
	v_lshlrev_b32_e32 v70, 5, v1
	v_mbcnt_lo_u32_b32 v8, -1, 0
	s_and_saveexec_b64 s[34:35], s[6:7]
	s_cbranch_execz .LBB39_21
; %bb.10:
	s_load_dwordx2 s[0:1], s[0:1], 0x10
	s_ashr_i32 s15, s14, 31
	s_sub_i32 s30, s12, s17
	s_lshl_b64 s[2:3], s[14:15], 2
	v_bfe_u32 v9, v0, 1, 5
	s_waitcnt lgkmcnt(0)
	s_add_u32 s0, s0, s2
	s_addc_u32 s1, s1, s3
	s_abs_i32 s15, s18
	v_cvt_f32_u32_e32 v3, s15
	v_lshlrev_b32_e32 v14, 4, v9
	v_mov_b32_e32 v15, 0
	v_lshl_add_u64 v[10:11], s[0:1], 0, v[14:15]
	v_rcp_iflag_f32_e32 v5, v3
	v_and_b32_e32 v14, 8, v2
	s_sub_i32 s0, 0, s15
	v_cmp_eq_u32_e32 vcc, 0, v4
	v_mul_f32_e32 v5, 0x4f7ffffe, v5
	v_cvt_u32_f32_e32 v5, v5
	v_lshl_add_u64 v[2:3], v[10:11], 0, v[14:15]
	v_mul_u32_u24_e32 v10, 0xc0, v4
	v_lshlrev_b32_e32 v16, 2, v9
	v_mul_lo_u32 v4, s0, v5
	s_lshl_b64 s[0:1], s[26:27], 2
	s_add_u32 s0, s24, s0
	v_mul_hi_u32 v4, v5, v4
	v_and_b32_e32 v14, 60, v7
	s_addc_u32 s1, s25, s1
	v_subrev_u32_e32 v11, s33, v9
	v_add_u32_e32 v12, v5, v4
	v_lshl_add_u64 v[4:5], s[0:1], 0, v[14:15]
	v_add_u32_e32 v14, 1, v11
	v_lshl_or_b32 v11, v1, 7, v16
	v_mbcnt_hi_u32_b32 v17, -1, v8
	v_add_u32_e32 v15, 0x190, v11
	v_and_b32_e32 v11, 64, v17
	s_mov_b32 s43, s13
	v_cmp_neq_f32_e64 s[2:3], s42, 0
	v_lshlrev_b32_e32 v13, 5, v1
	v_mov_b32_e32 v16, 0xff7fffff
	s_mov_b64 s[36:37], 0
	s_movk_i32 s44, 0x1000
	s_movk_i32 s45, 0x2000
	v_xor_b32_e32 v18, 1, v17
	v_add_u32_e32 v19, 64, v11
	v_mov_b32_e32 v11, 0xff7fffff
	v_mov_b32_e32 v20, v1
	s_branch .LBB39_13
.LBB39_11:                              ;   in Loop: Header=BB39_13 Depth=1
	s_or_b64 exec, exec, s[38:39]
.LBB39_12:                              ;   in Loop: Header=BB39_13 Depth=1
	s_or_b64 exec, exec, s[8:9]
	v_add_u32_e32 v20, 2, v20
	v_cmp_le_i32_e64 s[0:1], s16, v20
	v_lshl_add_u64 v[4:5], v[4:5], 0, 8
	v_add_u32_e32 v13, 64, v13
	s_or_b64 s[36:37], s[0:1], s[36:37]
	v_add_u32_e32 v15, 0x100, v15
	s_andn2_b64 exec, exec, s[36:37]
	s_cbranch_execz .LBB39_20
.LBB39_13:                              ; =>This Inner Loop Header: Depth=1
	v_mul_hi_u32 v21, v13, s40
	s_waitcnt lgkmcnt(0)
	v_mul_lo_u32 v22, v21, s21
	v_sub_u32_e32 v22, v13, v22
	v_add_u32_e32 v23, 1, v21
	v_cmp_le_u32_e64 s[0:1], s21, v22
	s_nop 1
	v_cndmask_b32_e64 v21, v21, v23, s[0:1]
	v_subrev_u32_e32 v23, s21, v22
	v_cndmask_b32_e64 v22, v22, v23, s[0:1]
	v_add_u32_e32 v23, 1, v21
	v_cmp_le_u32_e64 s[0:1], s21, v22
	s_nop 1
	v_cndmask_b32_e64 v21, v21, v23, s[0:1]
	v_xor_b32_e32 v21, s19, v21
	v_subrev_u32_e32 v21, s19, v21
	v_add_u32_e32 v22, s41, v21
	v_sub_u32_e32 v24, 0, v22
	v_ashrrev_i32_e32 v23, 31, v22
	v_max_i32_e32 v22, v22, v24
	v_mul_hi_u32 v24, v22, v12
	v_mul_lo_u32 v24, v24, s15
	v_sub_u32_e32 v22, v22, v24
	v_subrev_u32_e32 v24, s15, v22
	v_cmp_le_u32_e64 s[0:1], s15, v22
	v_cmp_ge_i32_e64 s[8:9], s30, v21
	s_nop 0
	v_cndmask_b32_e64 v22, v22, v24, s[0:1]
	v_subrev_u32_e32 v24, s15, v22
	v_cmp_le_u32_e64 s[0:1], s15, v22
	s_nop 1
	v_cndmask_b32_e64 v22, v22, v24, s[0:1]
	v_xor_b32_e32 v22, v22, v23
	v_sub_u32_e32 v22, v22, v23
	v_cmp_ne_u32_e64 s[0:1], 0, v22
	s_and_b64 s[0:1], s[0:1], s[8:9]
	s_and_saveexec_b64 s[8:9], s[0:1]
	s_xor_b64 s[0:1], exec, s[8:9]
	s_cbranch_execz .LBB39_17
; %bb.14:                               ;   in Loop: Header=BB39_13 Depth=1
	s_and_saveexec_b64 s[8:9], vcc
; %bb.15:                               ;   in Loop: Header=BB39_13 Depth=1
	ds_write_b32 v15, v16
; %bb.16:                               ;   in Loop: Header=BB39_13 Depth=1
	s_or_b64 exec, exec, s[8:9]
.LBB39_17:                              ;   in Loop: Header=BB39_13 Depth=1
	s_andn2_saveexec_b64 s[8:9], s[0:1]
	s_cbranch_execz .LBB39_12
; %bb.18:                               ;   in Loop: Header=BB39_13 Depth=1
	global_load_dword v21, v[4:5], off
	s_waitcnt vmcnt(0)
	v_mad_i64_i32 v[22:23], s[0:1], v21, s43, 0
	v_lshl_add_u64 v[22:23], v[22:23], 2, v[2:3]
	global_load_dwordx2 v[54:55], v[22:23], off offset:512
	global_load_dwordx2 v[58:59], v[22:23], off offset:1024
	;; [unrolled: 1-line block ×3, first 2 shown]
	global_load_dwordx2 v[56:57], v[22:23], off
	global_load_dwordx2 v[62:63], v[22:23], off offset:2048
	global_load_dwordx2 v[64:65], v[22:23], off offset:2560
	;; [unrolled: 1-line block ×4, first 2 shown]
	v_add_co_u32_e64 v24, s[0:1], s45, v22
	s_nop 1
	v_addc_co_u32_e64 v25, s[0:1], 0, v23, s[0:1]
	global_load_dwordx2 v[72:73], v[24:25], off offset:-4096
	v_add_co_u32_e64 v22, s[0:1], s44, v22
	s_nop 1
	v_addc_co_u32_e64 v23, s[0:1], 0, v23, s[0:1]
	global_load_dwordx2 v[74:75], v[22:23], off offset:512
	global_load_dwordx2 v[76:77], v[22:23], off offset:1024
	global_load_dwordx2 v[78:79], v[22:23], off offset:1536
	global_load_dwordx2 v[80:81], v[22:23], off offset:2048
	global_load_dwordx2 v[82:83], v[22:23], off offset:2560
	global_load_dwordx2 v[84:85], v[22:23], off offset:3072
	global_load_dwordx2 v[86:87], v[22:23], off offset:3584
	global_load_dwordx2 v[88:89], v[24:25], off
	global_load_dwordx2 v[90:91], v[24:25], off offset:512
	global_load_dwordx2 v[92:93], v[24:25], off offset:1024
                                        ; kill: killed $vgpr22 killed $vgpr23
	global_load_dwordx2 v[94:95], v[24:25], off offset:1536
	global_load_dwordx2 v[96:97], v[24:25], off offset:2048
	;; [unrolled: 1-line block ×5, first 2 shown]
	ds_read_b128 v[22:25], v10
	ds_read_b128 v[26:29], v10 offset:16
	ds_read_b128 v[30:33], v10 offset:32
	;; [unrolled: 1-line block ×7, first 2 shown]
	v_cmp_lt_i32_e64 s[0:1], v18, v19
	s_waitcnt vmcnt(23) lgkmcnt(7)
	v_mul_f32_e32 v21, v24, v54
	v_mul_f32_e32 v71, v25, v55
	v_cndmask_b32_e64 v104, v17, v18, s[0:1]
	s_waitcnt vmcnt(20)
	v_fmac_f32_e32 v21, v22, v56
	v_fmac_f32_e32 v71, v23, v57
	s_waitcnt lgkmcnt(6)
	v_fmac_f32_e32 v21, v26, v58
	v_fmac_f32_e32 v71, v27, v59
	;; [unrolled: 1-line block ×4, first 2 shown]
	s_waitcnt vmcnt(19) lgkmcnt(5)
	v_fmac_f32_e32 v21, v30, v62
	v_fmac_f32_e32 v71, v31, v63
	s_waitcnt vmcnt(18)
	v_fmac_f32_e32 v21, v32, v64
	v_fmac_f32_e32 v71, v33, v65
	s_waitcnt vmcnt(17) lgkmcnt(4)
	v_fmac_f32_e32 v21, v34, v66
	v_fmac_f32_e32 v71, v35, v67
	s_waitcnt vmcnt(16)
	v_fmac_f32_e32 v21, v36, v68
	v_fmac_f32_e32 v71, v37, v69
	;; [unrolled: 6-line block ×4, first 2 shown]
	ds_read_b128 v[22:25], v10 offset:128
	ds_read_b128 v[54:57], v10 offset:144
	s_waitcnt vmcnt(11) lgkmcnt(3)
	v_fmac_f32_e32 v21, v46, v80
	v_fmac_f32_e32 v71, v47, v81
	s_waitcnt vmcnt(10)
	v_fmac_f32_e32 v21, v48, v82
	v_fmac_f32_e32 v71, v49, v83
	s_waitcnt vmcnt(9) lgkmcnt(2)
	v_fmac_f32_e32 v21, v50, v84
	v_fmac_f32_e32 v71, v51, v85
	s_waitcnt vmcnt(8)
	v_fmac_f32_e32 v21, v52, v86
	v_fmac_f32_e32 v71, v53, v87
	ds_read_b128 v[26:29], v10 offset:160
	ds_read_b128 v[58:61], v10 offset:176
	s_waitcnt vmcnt(7) lgkmcnt(3)
	v_fmac_f32_e32 v21, v22, v88
	v_fmac_f32_e32 v71, v23, v89
	s_waitcnt vmcnt(6)
	v_fmac_f32_e32 v21, v24, v90
	v_fmac_f32_e32 v71, v25, v91
	s_waitcnt vmcnt(5) lgkmcnt(2)
	v_fmac_f32_e32 v21, v54, v92
	v_fmac_f32_e32 v71, v55, v93
	s_waitcnt vmcnt(4)
	v_fmac_f32_e32 v21, v56, v94
	v_fmac_f32_e32 v71, v57, v95
	;; [unrolled: 6-line block ×4, first 2 shown]
	v_lshlrev_b32_e32 v104, 2, v104
	v_add_f32_e32 v21, v21, v71
	ds_bpermute_b32 v22, v104, v21
	s_and_saveexec_b64 s[38:39], vcc
	s_cbranch_execz .LBB39_11
; %bb.19:                               ;   in Loop: Header=BB39_13 Depth=1
	v_add_u32_e32 v23, v14, v13
	v_cvt_f32_i32_e32 v23, v23
	s_waitcnt lgkmcnt(0)
	v_add_f32_e32 v21, v21, v22
	v_add_u32_e32 v24, v9, v13
	v_cmp_gt_i32_e64 s[0:1], s33, v24
	v_mul_f32_e32 v22, s42, v23
	v_cndmask_b32_e64 v22, 0, v22, s[2:3]
	v_fmac_f32_e32 v22, s31, v21
	v_cndmask_b32_e64 v21, 0, v22, s[0:1]
	ds_write_b32 v15, v21
	v_max_f32_e32 v21, v11, v11
	v_max_f32_e32 v21, v21, v22
	v_cndmask_b32_e64 v11, v11, v21, s[0:1]
	s_branch .LBB39_11
.LBB39_20:
	s_or_b64 exec, exec, s[36:37]
.LBB39_21:
	s_or_b64 exec, exec, s[34:35]
	v_mbcnt_hi_u32_b32 v2, -1, v8
	v_and_b32_e32 v10, 64, v2
	v_add_u32_e32 v12, 64, v10
	v_xor_b32_e32 v3, 32, v2
	v_cmp_lt_i32_e32 vcc, v3, v12
	v_xor_b32_e32 v8, 16, v2
	v_max_f32_e32 v5, v11, v11
	v_cndmask_b32_e32 v3, v2, v3, vcc
	v_lshlrev_b32_e32 v3, 2, v3
	ds_bpermute_b32 v4, v3, v11
	v_cmp_lt_i32_e32 vcc, v8, v12
	v_xor_b32_e32 v9, 8, v2
	v_xor_b32_e32 v11, 4, v2
	v_and_b32_e32 v71, 63, v0
	s_waitcnt lgkmcnt(0)
	v_max_f32_e32 v4, v4, v4
	v_max_f32_e32 v5, v5, v4
	v_cndmask_b32_e32 v4, v2, v8, vcc
	v_lshlrev_b32_e32 v4, 2, v4
	ds_bpermute_b32 v8, v4, v5
	v_cmp_lt_i32_e32 vcc, v9, v12
	s_waitcnt lgkmcnt(0)
	v_max_f32_e32 v8, v8, v8
	v_max_f32_e32 v8, v5, v8
	v_cndmask_b32_e32 v5, v2, v9, vcc
	v_lshlrev_b32_e32 v5, 2, v5
	ds_bpermute_b32 v9, v5, v8
	v_cmp_lt_i32_e32 vcc, v11, v12
	s_waitcnt lgkmcnt(0)
	v_max_f32_e32 v9, v9, v9
	v_max_f32_e32 v8, v8, v9
	v_cndmask_b32_e32 v9, v2, v11, vcc
	v_lshlrev_b32_e32 v72, 2, v9
	ds_bpermute_b32 v9, v72, v8
	v_xor_b32_e32 v11, 2, v2
	v_cmp_lt_i32_e32 vcc, v11, v12
	s_waitcnt lgkmcnt(0)
	v_max_f32_e32 v9, v9, v9
	v_max_f32_e32 v9, v8, v9
	v_cndmask_b32_e32 v8, v2, v11, vcc
	v_lshlrev_b32_e32 v73, 2, v8
	ds_bpermute_b32 v11, v73, v9
	v_cmp_eq_u32_e32 vcc, 0, v71
	v_lshlrev_b32_e32 v8, 2, v1
	s_and_saveexec_b64 s[0:1], vcc
	s_cbranch_execz .LBB39_23
; %bb.22:
	s_waitcnt lgkmcnt(0)
	v_max_f32_e32 v11, v11, v11
	v_max_f32_e32 v9, v9, v9
	;; [unrolled: 1-line block ×3, first 2 shown]
	ds_write_b32 v8, v9 offset:384
.LBB39_23:
	s_or_b64 exec, exec, s[0:1]
	v_cmp_gt_u32_e64 s[0:1], 2, v71
	s_waitcnt lgkmcnt(0)
	v_mov_b32_e32 v11, 0xff7fffff
	v_lshlrev_b32_e32 v9, 2, v71
	s_barrier
	s_and_saveexec_b64 s[2:3], s[0:1]
; %bb.24:
	ds_read_b32 v11, v9 offset:384
; %bb.25:
	s_or_b64 exec, exec, s[2:3]
	v_xor_b32_e32 v13, 1, v2
	v_cmp_lt_i32_e64 s[2:3], v13, v12
	v_lshlrev_b32_e32 v10, 2, v10
	s_nop 0
	v_cndmask_b32_e64 v12, v2, v13, s[2:3]
	v_lshlrev_b32_e32 v74, 2, v12
	s_waitcnt lgkmcnt(0)
	ds_bpermute_b32 v12, v74, v11
	v_max_f32_e32 v11, v11, v11
	s_lshl_b32 s2, s16, 5
	s_min_i32 s15, s2, s33
	v_cmp_gt_i32_e64 s[2:3], s15, v0
	s_waitcnt lgkmcnt(0)
	v_max_f32_e32 v12, v12, v12
	v_max_f32_e32 v11, v11, v12
	ds_bpermute_b32 v11, v10, v11
	v_mov_b32_e32 v10, 0
	s_and_saveexec_b64 s[30:31], s[2:3]
	s_cbranch_execz .LBB39_29
; %bb.26:
	v_mov_b32_e32 v10, 0x190
	v_lshl_add_u32 v12, v0, 2, v10
	v_mov_b32_e32 v10, 0
	s_mov_b64 s[34:35], 0
	v_mov_b32_e32 v13, v0
.LBB39_27:                              ; =>This Inner Loop Header: Depth=1
	ds_read_b32 v14, v12
	v_add_u32_e32 v13, 0x80, v13
	v_cmp_le_i32_e64 s[8:9], s15, v13
	s_or_b64 s[34:35], s[8:9], s[34:35]
	s_waitcnt lgkmcnt(0)
	v_sub_f32_e32 v14, v14, v11
	v_mul_f32_e32 v14, 0x3fb8aa3b, v14
	v_exp_f32_e32 v14, v14
	ds_write_b32 v12, v14
	v_add_f32_e32 v10, v10, v14
	v_add_u32_e32 v12, 0x200, v12
	s_andn2_b64 exec, exec, s[34:35]
	s_cbranch_execnz .LBB39_27
; %bb.28:
	s_or_b64 exec, exec, s[34:35]
.LBB39_29:
	s_or_b64 exec, exec, s[30:31]
	ds_bpermute_b32 v3, v3, v10
	s_waitcnt lgkmcnt(0)
	v_add_f32_e32 v3, v10, v3
	ds_bpermute_b32 v4, v4, v3
	s_waitcnt lgkmcnt(0)
	v_add_f32_e32 v3, v3, v4
	;; [unrolled: 3-line block ×6, first 2 shown]
	s_and_saveexec_b64 s[8:9], vcc
; %bb.30:
	ds_write_b32 v8, v3 offset:392
; %bb.31:
	s_or_b64 exec, exec, s[8:9]
	s_waitcnt lgkmcnt(0)
	s_barrier
	s_and_saveexec_b64 s[8:9], s[0:1]
; %bb.32:
	ds_read_b32 v3, v9 offset:392
; %bb.33:
	s_or_b64 exec, exec, s[8:9]
	s_waitcnt lgkmcnt(0)
	ds_bpermute_b32 v4, v74, v3
	v_lshlrev_b32_e32 v2, 2, v2
	v_and_b32_e32 v2, 0x100, v2
	s_waitcnt lgkmcnt(0)
	v_add_f32_e32 v3, v3, v4
	ds_bpermute_b32 v2, v2, v3
	s_and_saveexec_b64 s[0:1], s[2:3]
	s_cbranch_execz .LBB39_46
; %bb.34:
	s_waitcnt lgkmcnt(0)
	v_add_f32_e32 v2, 0x358637bd, v2
	v_div_scale_f32 v3, s[2:3], v2, v2, 1.0
	v_rcp_f32_e32 v4, v3
	v_div_scale_f32 v5, vcc, 1.0, v2, 1.0
	s_movk_i32 s2, 0x7f
	v_fma_f32 v8, -v3, v4, 1.0
	v_fmac_f32_e32 v4, v8, v4
	v_mul_f32_e32 v8, v5, v4
	v_fma_f32 v9, -v3, v8, v5
	v_fmac_f32_e32 v8, v9, v4
	v_fma_f32 v3, -v3, v8, v5
	v_div_fmas_f32 v3, v3, v4, v8
	v_xad_u32 v4, v0, -1, s15
	v_div_fixup_f32 v2, v3, v2, 1.0
	v_cmp_lt_u32_e32 vcc, s2, v4
	s_mov_b64 s[8:9], -1
	v_mov_b32_e32 v3, v0
	s_and_saveexec_b64 s[2:3], vcc
	s_cbranch_execz .LBB39_43
; %bb.35:
	v_lshrrev_b32_e32 v4, 7, v4
	v_add_u32_e32 v8, -1, v4
	v_lshrrev_b32_e32 v5, 1, v8
	v_mov_b32_e32 v3, v2
	v_add_u32_e32 v5, 1, v5
	v_cmp_lt_u32_e32 vcc, 13, v8
	v_mov_b32_e32 v10, 0
	s_and_saveexec_b64 s[8:9], vcc
	s_cbranch_execz .LBB39_39
; %bb.36:
	v_mov_b32_e32 v9, 0x190
	v_and_b32_e32 v8, -8, v5
	v_lshl_add_u32 v9, v0, 2, v9
	s_mov_b32 s34, 0
	s_mov_b64 s[30:31], 0
.LBB39_37:                              ; =>This Inner Loop Header: Depth=1
	ds_read2st64_b32 v[10:11], v9 offset1:2
	ds_read2st64_b32 v[12:13], v9 offset0:4 offset1:6
	ds_read2st64_b32 v[14:15], v9 offset0:8 offset1:10
	;; [unrolled: 1-line block ×3, first 2 shown]
	v_add_u32_e32 v8, -8, v8
	s_waitcnt lgkmcnt(3)
	v_pk_mul_f32 v[10:11], v[2:3], v[10:11]
	s_waitcnt lgkmcnt(2)
	v_pk_mul_f32 v[12:13], v[2:3], v[12:13]
	ds_write2st64_b32 v9, v10, v11 offset1:2
	ds_write2st64_b32 v9, v12, v13 offset0:4 offset1:6
	ds_read2st64_b32 v[12:13], v9 offset0:16 offset1:18
	s_waitcnt lgkmcnt(4)
	v_pk_mul_f32 v[10:11], v[2:3], v[14:15]
	ds_write2st64_b32 v9, v10, v11 offset0:8 offset1:10
	s_waitcnt lgkmcnt(4)
	v_pk_mul_f32 v[10:11], v[2:3], v[16:17]
	ds_write2st64_b32 v9, v10, v11 offset0:12 offset1:14
	ds_read2st64_b32 v[10:11], v9 offset0:20 offset1:22
	s_waitcnt lgkmcnt(3)
	v_pk_mul_f32 v[12:13], v[2:3], v[12:13]
	ds_read2st64_b32 v[14:15], v9 offset0:24 offset1:26
	ds_write2st64_b32 v9, v12, v13 offset0:16 offset1:18
	ds_read2st64_b32 v[12:13], v9 offset0:28 offset1:30
	s_waitcnt lgkmcnt(3)
	v_pk_mul_f32 v[10:11], v[2:3], v[10:11]
	ds_write2st64_b32 v9, v10, v11 offset0:20 offset1:22
	s_waitcnt lgkmcnt(3)
	v_pk_mul_f32 v[10:11], v[2:3], v[14:15]
	ds_write2st64_b32 v9, v10, v11 offset0:24 offset1:26
	s_waitcnt lgkmcnt(2)
	v_pk_mul_f32 v[10:11], v[2:3], v[12:13]
	s_add_i32 s34, s34, 16
	v_cmp_eq_u32_e32 vcc, 0, v8
	ds_write2st64_b32 v9, v10, v11 offset0:28 offset1:30
	v_add_u32_e32 v9, 0x2000, v9
	s_or_b64 s[30:31], vcc, s[30:31]
	v_mov_b32_e32 v10, s34
	s_andn2_b64 exec, exec, s[30:31]
	s_cbranch_execnz .LBB39_37
; %bb.38:
	s_or_b64 exec, exec, s[30:31]
.LBB39_39:
	s_or_b64 exec, exec, s[8:9]
	v_and_b32_e32 v5, 7, v5
	v_cmp_ne_u32_e32 vcc, 0, v5
	s_and_saveexec_b64 s[8:9], vcc
	s_cbranch_execz .LBB39_42
; %bb.40:
	v_lshlrev_b32_e32 v8, 9, v10
	s_movk_i32 s30, 0x190
	v_add3_u32 v8, v8, v6, s30
	s_mov_b64 s[30:31], 0
.LBB39_41:                              ; =>This Inner Loop Header: Depth=1
	ds_read2st64_b32 v[10:11], v8 offset1:2
	v_add_u32_e32 v5, -1, v5
	v_cmp_eq_u32_e32 vcc, 0, v5
	s_or_b64 s[30:31], vcc, s[30:31]
	s_waitcnt lgkmcnt(0)
	v_pk_mul_f32 v[10:11], v[2:3], v[10:11]
	ds_write2st64_b32 v8, v10, v11 offset1:2
	v_add_u32_e32 v8, 0x400, v8
	s_andn2_b64 exec, exec, s[30:31]
	s_cbranch_execnz .LBB39_41
.LBB39_42:
	s_or_b64 exec, exec, s[8:9]
	v_add_u32_e32 v4, 1, v4
	v_and_b32_e32 v5, 0x3fffffe, v4
	v_cmp_ne_u32_e32 vcc, v4, v5
	v_lshl_add_u32 v3, v5, 7, v0
	s_orn2_b64 s[8:9], vcc, exec
.LBB39_43:
	s_or_b64 exec, exec, s[2:3]
	s_and_b64 exec, exec, s[8:9]
	s_cbranch_execz .LBB39_46
; %bb.44:
	v_mov_b32_e32 v4, 0x190
	v_lshl_add_u32 v4, v3, 2, v4
	s_mov_b64 s[2:3], 0
.LBB39_45:                              ; =>This Inner Loop Header: Depth=1
	ds_read_b32 v5, v4
	v_add_u32_e32 v3, 0x80, v3
	v_cmp_le_i32_e32 vcc, s15, v3
	s_or_b64 s[2:3], vcc, s[2:3]
	s_waitcnt lgkmcnt(0)
	v_mul_f32_e32 v5, v2, v5
	ds_write_b32 v4, v5
	v_add_u32_e32 v4, 0x200, v4
	s_andn2_b64 exec, exec, s[2:3]
	s_cbranch_execnz .LBB39_45
.LBB39_46:
	s_or_b64 exec, exec, s[0:1]
	v_mov_b32_e32 v55, 0
	v_and_b32_e32 v75, 7, v0
	v_mov_b32_e32 v54, 0
	v_mov_b32_e32 v57, 0
	;; [unrolled: 1-line block ×11, first 2 shown]
	s_waitcnt lgkmcnt(0)
	s_barrier
	s_and_saveexec_b64 s[2:3], s[6:7]
	s_cbranch_execz .LBB39_76
; %bb.47:
	s_ashr_i32 s15, s14, 31
	s_sub_i32 s17, s12, s17
	s_lshl_b64 s[0:1], s[14:15], 2
	s_add_u32 s0, s28, s0
	s_addc_u32 s1, s29, s1
	s_abs_i32 s14, s18
	v_cvt_f32_u32_e32 v2, s14
	v_lshlrev_b32_e32 v3, 4, v0
	v_and_b32_e32 v62, 0x3f0, v3
	v_mov_b32_e32 v63, 0
	v_rcp_iflag_f32_e32 v2, v2
	v_lshl_add_u64 v[66:67], s[0:1], 0, v[62:63]
	s_sub_i32 s0, 0, s14
	s_add_i32 s18, s16, -1
	v_mul_f32_e32 v2, 0x4f7ffffe, v2
	v_cvt_u32_f32_e32 v2, v2
	v_and_b32_e32 v62, 60, v7
	v_and_b32_e32 v76, 28, v6
	s_mov_b32 s15, s13
	v_mul_lo_u32 v3, s0, v2
	v_mul_hi_u32 v3, v2, v3
	s_lshl_b64 s[0:1], s[26:27], 2
	v_add_u32_e32 v77, v2, v3
	s_add_u32 s0, s24, s0
	v_lshlrev_b32_e32 v2, 4, v75
	s_addc_u32 s1, s25, s1
	v_lshl_or_b32 v2, v1, 7, v2
	s_mov_b32 s28, s33
	v_lshl_add_u64 v[68:69], s[0:1], 0, v[62:63]
	v_add_u32_e32 v78, 0x190, v2
	s_mov_b64 s[6:7], 0
	v_mov_b32_e32 v62, v63
	v_mov_b32_e32 v64, v63
	;; [unrolled: 1-line block ×11, first 2 shown]
	s_branch .LBB39_50
.LBB39_48:                              ;   in Loop: Header=BB39_50 Depth=1
	s_or_b64 exec, exec, s[12:13]
	s_waitcnt vmcnt(1) lgkmcnt(0)
	v_mul_f32_e32 v50, v2, v50
	v_mul_f32_e32 v42, v2, v42
	;; [unrolled: 1-line block ×11, first 2 shown]
	v_fmac_f32_e32 v50, v3, v51
	v_fmac_f32_e32 v42, v3, v43
	;; [unrolled: 1-line block ×22, first 2 shown]
	s_waitcnt vmcnt(0)
	v_pk_mul_f32 v[2:3], v[2:3], v[46:47]
	v_fmac_f32_e32 v50, v5, v53
	v_fmac_f32_e32 v42, v5, v45
	;; [unrolled: 1-line block ×11, first 2 shown]
	v_pk_mul_f32 v[4:5], v[4:5], v[48:49]
	v_add_f32_e32 v2, v3, v2
	v_add_f32_e32 v2, v4, v2
	;; [unrolled: 1-line block ×15, first 2 shown]
.LBB39_49:                              ;   in Loop: Header=BB39_50 Depth=1
	s_or_b64 exec, exec, s[8:9]
	v_add_u32_e32 v1, 2, v1
	v_cmp_le_i32_e32 vcc, s16, v1
	v_lshl_add_u64 v[68:69], v[68:69], 0, 8
	v_add_u32_e32 v70, 64, v70
	s_or_b64 s[6:7], vcc, s[6:7]
	v_add_u32_e32 v78, 0x100, v78
	s_andn2_b64 exec, exec, s[6:7]
	s_cbranch_execz .LBB39_75
.LBB39_50:                              ; =>This Inner Loop Header: Depth=1
	v_mul_hi_u32 v2, v70, s40
	v_mul_lo_u32 v3, v2, s21
	v_sub_u32_e32 v3, v70, v3
	v_add_u32_e32 v4, 1, v2
	v_cmp_le_u32_e32 vcc, s21, v3
	s_nop 1
	v_cndmask_b32_e32 v2, v2, v4, vcc
	v_subrev_u32_e32 v4, s21, v3
	v_cndmask_b32_e32 v3, v3, v4, vcc
	v_add_u32_e32 v4, 1, v2
	v_cmp_le_u32_e32 vcc, s21, v3
	s_nop 1
	v_cndmask_b32_e32 v2, v2, v4, vcc
	v_xor_b32_e32 v2, s19, v2
	v_subrev_u32_e32 v2, s19, v2
	v_add_u32_e32 v3, s41, v2
	v_sub_u32_e32 v5, 0, v3
	v_ashrrev_i32_e32 v4, 31, v3
	v_max_i32_e32 v3, v3, v5
	v_mul_hi_u32 v5, v3, v77
	v_mul_lo_u32 v5, v5, s14
	v_sub_u32_e32 v3, v3, v5
	v_subrev_u32_e32 v5, s14, v3
	v_cmp_le_u32_e32 vcc, s14, v3
	v_cmp_lt_i32_e64 s[0:1], s17, v2
	s_nop 0
	v_cndmask_b32_e32 v3, v3, v5, vcc
	v_subrev_u32_e32 v5, s14, v3
	v_cmp_le_u32_e32 vcc, s14, v3
	s_nop 1
	v_cndmask_b32_e32 v3, v3, v5, vcc
	v_xor_b32_e32 v3, v3, v4
	v_sub_u32_e32 v3, v3, v4
	v_cmp_eq_u32_e32 vcc, 0, v3
	s_or_b64 s[0:1], vcc, s[0:1]
	s_and_saveexec_b64 s[8:9], s[0:1]
	s_cbranch_execz .LBB39_49
; %bb.51:                               ;   in Loop: Header=BB39_50 Depth=1
	global_load_dword v2, v[68:69], off
	v_add_u32_e32 v79, v76, v70
	v_add_u32_e32 v82, 1, v79
	v_or_b32_e32 v81, 3, v79
	v_or_b32_e32 v80, 2, v79
	s_waitcnt vmcnt(0)
	v_mad_i64_i32 v[2:3], s[0:1], v2, s15, 0
	v_lshl_add_u64 v[46:47], v[2:3], 2, v[66:67]
	global_load_dwordx4 v[6:9], v[46:47], off
	ds_read_b128 v[2:5], v78
	v_cmp_eq_u32_e64 s[0:1], s18, v1
	s_and_saveexec_b64 s[12:13], s[0:1]
	s_cbranch_execnz .LBB39_72
; %bb.52:                               ;   in Loop: Header=BB39_50 Depth=1
	s_or_b64 exec, exec, s[12:13]
	global_load_dwordx4 v[10:13], v[46:47], off offset:1024
	s_and_saveexec_b64 s[12:13], s[0:1]
	s_cbranch_execnz .LBB39_73
.LBB39_53:                              ;   in Loop: Header=BB39_50 Depth=1
	s_or_b64 exec, exec, s[12:13]
	global_load_dwordx4 v[14:17], v[46:47], off offset:2048
	s_and_saveexec_b64 s[12:13], s[0:1]
	s_cbranch_execnz .LBB39_74
.LBB39_54:                              ;   in Loop: Header=BB39_50 Depth=1
	s_or_b64 exec, exec, s[12:13]
	global_load_dwordx4 v[18:21], v[46:47], off offset:3072
	s_and_saveexec_b64 s[12:13], s[0:1]
	s_cbranch_execz .LBB39_56
.LBB39_55:                              ;   in Loop: Header=BB39_50 Depth=1
	v_cmp_gt_i32_e32 vcc, s28, v82
	s_waitcnt vmcnt(0)
	s_nop 0
	v_cndmask_b32_e32 v19, 0, v19, vcc
	v_cmp_gt_i32_e32 vcc, s33, v79
	s_nop 1
	v_cndmask_b32_e32 v18, 0, v18, vcc
	v_cmp_gt_i32_e32 vcc, s28, v81
	;; [unrolled: 3-line block ×3, first 2 shown]
	s_nop 1
	v_cndmask_b32_e32 v20, 0, v20, vcc
.LBB39_56:                              ;   in Loop: Header=BB39_50 Depth=1
	s_or_b64 exec, exec, s[12:13]
	v_add_co_u32_e32 v22, vcc, 0x1000, v46
	s_nop 1
	v_addc_co_u32_e32 v23, vcc, 0, v47, vcc
	global_load_dwordx4 v[22:25], v[22:23], off
	s_and_saveexec_b64 s[12:13], s[0:1]
	s_cbranch_execz .LBB39_58
; %bb.57:                               ;   in Loop: Header=BB39_50 Depth=1
	v_cmp_gt_i32_e32 vcc, s28, v82
	s_waitcnt vmcnt(0)
	s_nop 0
	v_cndmask_b32_e32 v23, 0, v23, vcc
	v_cmp_gt_i32_e32 vcc, s33, v79
	s_nop 1
	v_cndmask_b32_e32 v22, 0, v22, vcc
	v_cmp_gt_i32_e32 vcc, s28, v81
	s_nop 1
	v_cndmask_b32_e32 v25, 0, v25, vcc
	v_cmp_gt_i32_e32 vcc, s33, v80
	s_nop 1
	v_cndmask_b32_e32 v24, 0, v24, vcc
.LBB39_58:                              ;   in Loop: Header=BB39_50 Depth=1
	s_or_b64 exec, exec, s[12:13]
	v_add_co_u32_e32 v26, vcc, 0x1000, v46
	s_nop 1
	v_addc_co_u32_e32 v27, vcc, 0, v47, vcc
	global_load_dwordx4 v[26:29], v[26:27], off offset:1024
	s_and_saveexec_b64 s[12:13], s[0:1]
	s_cbranch_execz .LBB39_60
; %bb.59:                               ;   in Loop: Header=BB39_50 Depth=1
	v_cmp_gt_i32_e32 vcc, s28, v82
	s_waitcnt vmcnt(0)
	s_nop 0
	v_cndmask_b32_e32 v27, 0, v27, vcc
	v_cmp_gt_i32_e32 vcc, s33, v79
	s_nop 1
	v_cndmask_b32_e32 v26, 0, v26, vcc
	v_cmp_gt_i32_e32 vcc, s28, v81
	s_nop 1
	v_cndmask_b32_e32 v29, 0, v29, vcc
	v_cmp_gt_i32_e32 vcc, s33, v80
	s_nop 1
	v_cndmask_b32_e32 v28, 0, v28, vcc
.LBB39_60:                              ;   in Loop: Header=BB39_50 Depth=1
	s_or_b64 exec, exec, s[12:13]
	v_add_co_u32_e32 v30, vcc, 0x1000, v46
	s_nop 1
	v_addc_co_u32_e32 v31, vcc, 0, v47, vcc
	global_load_dwordx4 v[30:33], v[30:31], off offset:2048
	;; [unrolled: 22-line block ×3, first 2 shown]
	s_and_saveexec_b64 s[12:13], s[0:1]
	s_cbranch_execz .LBB39_64
; %bb.63:                               ;   in Loop: Header=BB39_50 Depth=1
	v_cmp_gt_i32_e32 vcc, s28, v82
	s_waitcnt vmcnt(0)
	s_nop 0
	v_cndmask_b32_e32 v35, 0, v35, vcc
	v_cmp_gt_i32_e32 vcc, s33, v79
	s_nop 1
	v_cndmask_b32_e32 v34, 0, v34, vcc
	v_cmp_gt_i32_e32 vcc, s28, v81
	;; [unrolled: 3-line block ×3, first 2 shown]
	s_nop 1
	v_cndmask_b32_e32 v36, 0, v36, vcc
.LBB39_64:                              ;   in Loop: Header=BB39_50 Depth=1
	s_or_b64 exec, exec, s[12:13]
	v_add_co_u32_e32 v38, vcc, 0x2000, v46
	s_nop 1
	v_addc_co_u32_e32 v39, vcc, 0, v47, vcc
	global_load_dwordx4 v[38:41], v[38:39], off
	s_and_saveexec_b64 s[12:13], s[0:1]
	s_cbranch_execz .LBB39_66
; %bb.65:                               ;   in Loop: Header=BB39_50 Depth=1
	v_cmp_gt_i32_e32 vcc, s28, v82
	s_waitcnt vmcnt(0)
	s_nop 0
	v_cndmask_b32_e32 v39, 0, v39, vcc
	v_cmp_gt_i32_e32 vcc, s33, v79
	s_nop 1
	v_cndmask_b32_e32 v38, 0, v38, vcc
	v_cmp_gt_i32_e32 vcc, s28, v81
	s_nop 1
	v_cndmask_b32_e32 v41, 0, v41, vcc
	v_cmp_gt_i32_e32 vcc, s33, v80
	s_nop 1
	v_cndmask_b32_e32 v40, 0, v40, vcc
.LBB39_66:                              ;   in Loop: Header=BB39_50 Depth=1
	s_or_b64 exec, exec, s[12:13]
	v_add_co_u32_e32 v42, vcc, 0x2000, v46
	s_nop 1
	v_addc_co_u32_e32 v43, vcc, 0, v47, vcc
	global_load_dwordx4 v[42:45], v[42:43], off offset:1024
	s_and_saveexec_b64 s[12:13], s[0:1]
	s_cbranch_execz .LBB39_68
; %bb.67:                               ;   in Loop: Header=BB39_50 Depth=1
	v_cmp_gt_i32_e32 vcc, s28, v82
	s_waitcnt vmcnt(0)
	s_nop 0
	v_cndmask_b32_e32 v43, 0, v43, vcc
	v_cmp_gt_i32_e32 vcc, s33, v79
	s_nop 1
	v_cndmask_b32_e32 v42, 0, v42, vcc
	v_cmp_gt_i32_e32 vcc, s28, v81
	s_nop 1
	v_cndmask_b32_e32 v45, 0, v45, vcc
	v_cmp_gt_i32_e32 vcc, s33, v80
	s_nop 1
	v_cndmask_b32_e32 v44, 0, v44, vcc
.LBB39_68:                              ;   in Loop: Header=BB39_50 Depth=1
	s_or_b64 exec, exec, s[12:13]
	v_add_co_u32_e32 v48, vcc, 0x2000, v46
	s_nop 1
	v_addc_co_u32_e32 v49, vcc, 0, v47, vcc
	global_load_dwordx4 v[50:53], v[48:49], off offset:2048
	;; [unrolled: 22-line block ×3, first 2 shown]
	s_and_saveexec_b64 s[12:13], s[0:1]
	s_cbranch_execz .LBB39_48
; %bb.71:                               ;   in Loop: Header=BB39_50 Depth=1
	v_cmp_gt_i32_e32 vcc, s28, v82
	s_waitcnt vmcnt(0)
	s_nop 0
	v_cndmask_b32_e32 v47, 0, v47, vcc
	v_cmp_gt_i32_e32 vcc, s33, v79
	s_nop 1
	v_cndmask_b32_e32 v46, 0, v46, vcc
	v_cmp_gt_i32_e32 vcc, s28, v81
	s_nop 1
	v_cndmask_b32_e32 v49, 0, v49, vcc
	v_cmp_gt_i32_e32 vcc, s33, v80
	s_nop 1
	v_cndmask_b32_e32 v48, 0, v48, vcc
	s_branch .LBB39_48
.LBB39_72:                              ;   in Loop: Header=BB39_50 Depth=1
	v_cmp_gt_i32_e32 vcc, s28, v82
	s_waitcnt vmcnt(0)
	s_nop 0
	v_cndmask_b32_e32 v7, 0, v7, vcc
	v_cmp_gt_i32_e32 vcc, s33, v79
	s_nop 1
	v_cndmask_b32_e32 v6, 0, v6, vcc
	v_cmp_gt_i32_e32 vcc, s28, v81
	;; [unrolled: 3-line block ×3, first 2 shown]
	s_nop 1
	v_cndmask_b32_e32 v8, 0, v8, vcc
	s_or_b64 exec, exec, s[12:13]
	global_load_dwordx4 v[10:13], v[46:47], off offset:1024
	s_and_saveexec_b64 s[12:13], s[0:1]
	s_cbranch_execz .LBB39_53
.LBB39_73:                              ;   in Loop: Header=BB39_50 Depth=1
	v_cmp_gt_i32_e32 vcc, s28, v82
	s_waitcnt vmcnt(0)
	s_nop 0
	v_cndmask_b32_e32 v11, 0, v11, vcc
	v_cmp_gt_i32_e32 vcc, s33, v79
	s_nop 1
	v_cndmask_b32_e32 v10, 0, v10, vcc
	v_cmp_gt_i32_e32 vcc, s28, v81
	s_nop 1
	v_cndmask_b32_e32 v13, 0, v13, vcc
	v_cmp_gt_i32_e32 vcc, s33, v80
	s_nop 1
	v_cndmask_b32_e32 v12, 0, v12, vcc
	s_or_b64 exec, exec, s[12:13]
	global_load_dwordx4 v[14:17], v[46:47], off offset:2048
	s_and_saveexec_b64 s[12:13], s[0:1]
	s_cbranch_execz .LBB39_54
.LBB39_74:                              ;   in Loop: Header=BB39_50 Depth=1
	v_cmp_gt_i32_e32 vcc, s28, v82
	s_waitcnt vmcnt(0)
	s_nop 0
	v_cndmask_b32_e32 v15, 0, v15, vcc
	v_cmp_gt_i32_e32 vcc, s33, v79
	s_nop 1
	v_cndmask_b32_e32 v14, 0, v14, vcc
	v_cmp_gt_i32_e32 vcc, s28, v81
	;; [unrolled: 3-line block ×3, first 2 shown]
	s_nop 1
	v_cndmask_b32_e32 v16, 0, v16, vcc
	s_or_b64 exec, exec, s[12:13]
	global_load_dwordx4 v[18:21], v[46:47], off offset:3072
	s_and_saveexec_b64 s[12:13], s[0:1]
	s_cbranch_execnz .LBB39_55
	s_branch .LBB39_56
.LBB39_75:
	s_or_b64 exec, exec, s[6:7]
.LBB39_76:
	s_or_b64 exec, exec, s[2:3]
	ds_bpermute_b32 v2, v72, v62
	ds_bpermute_b32 v3, v72, v63
	;; [unrolled: 1-line block ×6, first 2 shown]
	s_waitcnt lgkmcnt(4)
	v_pk_add_f32 v[2:3], v[62:63], v[2:3]
	ds_bpermute_b32 v6, v73, v2
	ds_bpermute_b32 v7, v73, v3
	s_waitcnt lgkmcnt(4)
	v_pk_add_f32 v[10:11], v[60:61], v[10:11]
	ds_bpermute_b32 v12, v73, v10
	ds_bpermute_b32 v13, v73, v11
	;; [unrolled: 1-line block ×3, first 2 shown]
	s_waitcnt lgkmcnt(3)
	v_pk_add_f32 v[2:3], v[2:3], v[6:7]
	ds_bpermute_b32 v6, v74, v2
	ds_bpermute_b32 v7, v74, v3
	;; [unrolled: 1-line block ×3, first 2 shown]
	v_pk_add_f32 v[4:5], v[64:65], v[4:5]
	ds_bpermute_b32 v8, v73, v4
	ds_bpermute_b32 v9, v73, v5
	s_waitcnt lgkmcnt(3)
	v_pk_add_f32 v[2:3], v[2:3], v[6:7]
	ds_bpermute_b32 v6, v72, v58
	ds_bpermute_b32 v7, v72, v59
	v_pk_add_f32 v[12:13], v[10:11], v[12:13]
	s_waitcnt lgkmcnt(4)
	v_pk_add_f32 v[10:11], v[56:57], v[16:17]
	ds_bpermute_b32 v20, v72, v54
	ds_bpermute_b32 v21, v72, v55
	s_waitcnt lgkmcnt(2)
	v_pk_add_f32 v[6:7], v[58:59], v[6:7]
	ds_bpermute_b32 v14, v73, v6
	ds_bpermute_b32 v15, v73, v7
	v_pk_add_f32 v[4:5], v[4:5], v[8:9]
	s_waitcnt lgkmcnt(2)
	v_pk_add_f32 v[20:21], v[54:55], v[20:21]
	ds_bpermute_b32 v8, v74, v4
	ds_bpermute_b32 v9, v74, v5
	s_waitcnt lgkmcnt(2)
	v_pk_add_f32 v[6:7], v[6:7], v[14:15]
	ds_bpermute_b32 v14, v73, v10
	ds_bpermute_b32 v15, v73, v11
	;; [unrolled: 1-line block ×6, first 2 shown]
	s_waitcnt lgkmcnt(4)
	v_pk_add_f32 v[14:15], v[10:11], v[14:15]
	ds_bpermute_b32 v22, v74, v14
	ds_bpermute_b32 v23, v74, v15
	;; [unrolled: 1-line block ×4, first 2 shown]
	v_pk_add_f32 v[10:11], v[4:5], v[8:9]
	s_waitcnt lgkmcnt(6)
	v_pk_add_f32 v[8:9], v[12:13], v[18:19]
	s_waitcnt lgkmcnt(4)
	;; [unrolled: 2-line block ×3, first 2 shown]
	v_pk_add_f32 v[4:5], v[14:15], v[22:23]
	ds_bpermute_b32 v14, v74, v12
	ds_bpermute_b32 v15, v74, v13
	v_and_b32_e32 v1, 0x3c7, v0
	s_waitcnt lgkmcnt(2)
	v_pk_add_f32 v[6:7], v[6:7], v[16:17]
	v_cmp_ne_u32_e32 vcc, 64, v1
	s_waitcnt lgkmcnt(0)
	s_barrier
	s_and_saveexec_b64 s[0:1], vcc
	s_xor_b64 s[0:1], exec, s[0:1]
; %bb.77:
                                        ; implicit-def: $vgpr71
; %bb.78:
	s_or_saveexec_b64 s[0:1], s[0:1]
	v_pk_add_f32 v[12:13], v[12:13], v[14:15]
	s_xor_b64 exec, exec, s[0:1]
	s_cbranch_execz .LBB39_80
; %bb.79:
	v_lshrrev_b32_e32 v14, 1, v71
	v_add_u32_e32 v14, 0x190, v14
	ds_write2_b32 v14, v2, v3 offset1:8
	ds_write2_b32 v14, v10, v11 offset0:16 offset1:24
	ds_write2_b32 v14, v8, v9 offset0:32 offset1:40
	;; [unrolled: 1-line block ×5, first 2 shown]
.LBB39_80:
	s_or_b64 exec, exec, s[0:1]
	v_cmp_gt_u32_e32 vcc, 64, v0
	v_lshrrev_b32_e32 v0, 3, v0
	s_waitcnt lgkmcnt(0)
	s_barrier
	s_and_saveexec_b64 s[0:1], vcc
	s_cbranch_execz .LBB39_95
; %bb.81:
	v_mov_b32_e32 v14, 0x190
	v_cmp_eq_u32_e32 vcc, 0, v75
	v_lshl_add_u32 v14, v0, 2, v14
	s_and_saveexec_b64 s[2:3], vcc
	s_cbranch_execnz .LBB39_98
; %bb.82:
	s_or_b64 exec, exec, s[2:3]
	s_and_saveexec_b64 s[2:3], vcc
	s_cbranch_execnz .LBB39_99
.LBB39_83:
	s_or_b64 exec, exec, s[2:3]
	s_and_saveexec_b64 s[2:3], vcc
	s_cbranch_execnz .LBB39_100
.LBB39_84:
	s_or_b64 exec, exec, s[2:3]
	s_and_saveexec_b64 s[2:3], vcc
	s_cbranch_execnz .LBB39_101
.LBB39_85:
	s_or_b64 exec, exec, s[2:3]
	s_and_saveexec_b64 s[2:3], vcc
	s_cbranch_execnz .LBB39_102
.LBB39_86:
	s_or_b64 exec, exec, s[2:3]
	s_and_saveexec_b64 s[2:3], vcc
	s_cbranch_execnz .LBB39_103
.LBB39_87:
	s_or_b64 exec, exec, s[2:3]
	s_and_saveexec_b64 s[2:3], vcc
	s_cbranch_execnz .LBB39_104
.LBB39_88:
	s_or_b64 exec, exec, s[2:3]
	s_and_saveexec_b64 s[2:3], vcc
	s_cbranch_execnz .LBB39_105
.LBB39_89:
	s_or_b64 exec, exec, s[2:3]
	s_and_saveexec_b64 s[2:3], vcc
	s_cbranch_execnz .LBB39_106
.LBB39_90:
	s_or_b64 exec, exec, s[2:3]
	s_and_saveexec_b64 s[2:3], vcc
	s_cbranch_execnz .LBB39_107
.LBB39_91:
	s_or_b64 exec, exec, s[2:3]
	s_and_saveexec_b64 s[2:3], vcc
	s_cbranch_execnz .LBB39_108
.LBB39_92:
	s_or_b64 exec, exec, s[2:3]
	s_and_saveexec_b64 s[2:3], vcc
	s_cbranch_execz .LBB39_94
.LBB39_93:
	ds_read_b32 v14, v14 offset:352
	s_waitcnt lgkmcnt(0)
	v_add_f32_e32 v13, v13, v14
.LBB39_94:
	s_or_b64 exec, exec, s[2:3]
.LBB39_95:
	s_or_b64 exec, exec, s[0:1]
	v_cmp_eq_u32_e32 vcc, 0, v1
	s_barrier
	s_and_saveexec_b64 s[0:1], vcc
	s_cbranch_execz .LBB39_97
; %bb.96:
	s_mul_i32 s0, s10, s11
	s_mul_i32 s0, s0, s5
	s_mulk_i32 s0, 0x60
	s_ashr_i32 s1, s0, 31
	s_lshl_b64 s[0:1], s[0:1], 2
	s_add_u32 s2, s22, s0
	s_mul_i32 s0, s11, s20
	s_addc_u32 s3, s23, s1
	s_ashr_i32 s1, s0, 31
	s_lshl_b64 s[0:1], s[0:1], 2
	s_add_u32 s2, s2, s0
	s_mul_i32 s0, s4, 0x60
	s_addc_u32 s3, s3, s1
	s_ashr_i32 s1, s0, 31
	s_lshl_b64 s[0:1], s[0:1], 2
	s_add_u32 s0, s2, s0
	s_addc_u32 s1, s3, s1
	v_lshlrev_b32_e32 v0, 2, v0
	global_store_dword v0, v2, s[0:1]
	global_store_dword v0, v3, s[0:1] offset:32
	global_store_dword v0, v10, s[0:1] offset:64
	;; [unrolled: 1-line block ×11, first 2 shown]
.LBB39_97:
	s_endpgm
.LBB39_98:
	ds_read_b32 v15, v14
	s_waitcnt lgkmcnt(0)
	v_add_f32_e32 v2, v2, v15
	s_or_b64 exec, exec, s[2:3]
	s_and_saveexec_b64 s[2:3], vcc
	s_cbranch_execz .LBB39_83
.LBB39_99:
	ds_read_b32 v15, v14 offset:32
	s_waitcnt lgkmcnt(0)
	v_add_f32_e32 v3, v3, v15
	s_or_b64 exec, exec, s[2:3]
	s_and_saveexec_b64 s[2:3], vcc
	s_cbranch_execz .LBB39_84
.LBB39_100:
	ds_read_b32 v15, v14 offset:64
	s_waitcnt lgkmcnt(0)
	v_add_f32_e32 v10, v10, v15
	s_or_b64 exec, exec, s[2:3]
	s_and_saveexec_b64 s[2:3], vcc
	s_cbranch_execz .LBB39_85
.LBB39_101:
	ds_read_b32 v15, v14 offset:96
	s_waitcnt lgkmcnt(0)
	v_add_f32_e32 v11, v11, v15
	s_or_b64 exec, exec, s[2:3]
	s_and_saveexec_b64 s[2:3], vcc
	s_cbranch_execz .LBB39_86
.LBB39_102:
	ds_read_b32 v15, v14 offset:128
	s_waitcnt lgkmcnt(0)
	v_add_f32_e32 v8, v8, v15
	s_or_b64 exec, exec, s[2:3]
	s_and_saveexec_b64 s[2:3], vcc
	s_cbranch_execz .LBB39_87
.LBB39_103:
	ds_read_b32 v15, v14 offset:160
	s_waitcnt lgkmcnt(0)
	v_add_f32_e32 v9, v9, v15
	s_or_b64 exec, exec, s[2:3]
	s_and_saveexec_b64 s[2:3], vcc
	s_cbranch_execz .LBB39_88
.LBB39_104:
	ds_read_b32 v15, v14 offset:192
	s_waitcnt lgkmcnt(0)
	v_add_f32_e32 v6, v6, v15
	s_or_b64 exec, exec, s[2:3]
	s_and_saveexec_b64 s[2:3], vcc
	s_cbranch_execz .LBB39_89
.LBB39_105:
	ds_read_b32 v15, v14 offset:224
	s_waitcnt lgkmcnt(0)
	v_add_f32_e32 v7, v7, v15
	s_or_b64 exec, exec, s[2:3]
	s_and_saveexec_b64 s[2:3], vcc
	s_cbranch_execz .LBB39_90
.LBB39_106:
	ds_read_b32 v15, v14 offset:256
	s_waitcnt lgkmcnt(0)
	v_add_f32_e32 v4, v4, v15
	s_or_b64 exec, exec, s[2:3]
	s_and_saveexec_b64 s[2:3], vcc
	s_cbranch_execz .LBB39_91
.LBB39_107:
	ds_read_b32 v15, v14 offset:288
	s_waitcnt lgkmcnt(0)
	v_add_f32_e32 v5, v5, v15
	s_or_b64 exec, exec, s[2:3]
	s_and_saveexec_b64 s[2:3], vcc
	s_cbranch_execz .LBB39_92
.LBB39_108:
	ds_read_b32 v15, v14 offset:320
	s_waitcnt lgkmcnt(0)
	v_add_f32_e32 v12, v12, v15
	s_or_b64 exec, exec, s[2:3]
	s_and_saveexec_b64 s[2:3], vcc
	s_cbranch_execnz .LBB39_93
	s_branch .LBB39_94
	.section	.rodata,"a",@progbits
	.p2align	6, 0x0
	.amdhsa_kernel _ZN4vllm25paged_attention_v1_kernelIffLi96ELi32ELi128ELNS_18Fp8KVCacheDataTypeE0ELb1EEEvPT_PKS2_PKT0_S8_ifPKiSA_iPKfiiiSC_SC_iiiii
		.amdhsa_group_segment_fixed_size 400
		.amdhsa_private_segment_fixed_size 0
		.amdhsa_kernarg_size 384
		.amdhsa_user_sgpr_count 2
		.amdhsa_user_sgpr_dispatch_ptr 0
		.amdhsa_user_sgpr_queue_ptr 0
		.amdhsa_user_sgpr_kernarg_segment_ptr 1
		.amdhsa_user_sgpr_dispatch_id 0
		.amdhsa_user_sgpr_kernarg_preload_length 0
		.amdhsa_user_sgpr_kernarg_preload_offset 0
		.amdhsa_user_sgpr_private_segment_size 0
		.amdhsa_uses_dynamic_stack 0
		.amdhsa_enable_private_segment 0
		.amdhsa_system_sgpr_workgroup_id_x 1
		.amdhsa_system_sgpr_workgroup_id_y 1
		.amdhsa_system_sgpr_workgroup_id_z 1
		.amdhsa_system_sgpr_workgroup_info 0
		.amdhsa_system_vgpr_workitem_id 0
		.amdhsa_next_free_vgpr 105
		.amdhsa_next_free_sgpr 46
		.amdhsa_accum_offset 108
		.amdhsa_reserve_vcc 1
		.amdhsa_float_round_mode_32 0
		.amdhsa_float_round_mode_16_64 0
		.amdhsa_float_denorm_mode_32 3
		.amdhsa_float_denorm_mode_16_64 3
		.amdhsa_dx10_clamp 1
		.amdhsa_ieee_mode 1
		.amdhsa_fp16_overflow 0
		.amdhsa_tg_split 0
		.amdhsa_exception_fp_ieee_invalid_op 0
		.amdhsa_exception_fp_denorm_src 0
		.amdhsa_exception_fp_ieee_div_zero 0
		.amdhsa_exception_fp_ieee_overflow 0
		.amdhsa_exception_fp_ieee_underflow 0
		.amdhsa_exception_fp_ieee_inexact 0
		.amdhsa_exception_int_div_zero 0
	.end_amdhsa_kernel
	.section	.text._ZN4vllm25paged_attention_v1_kernelIffLi96ELi32ELi128ELNS_18Fp8KVCacheDataTypeE0ELb1EEEvPT_PKS2_PKT0_S8_ifPKiSA_iPKfiiiSC_SC_iiiii,"axG",@progbits,_ZN4vllm25paged_attention_v1_kernelIffLi96ELi32ELi128ELNS_18Fp8KVCacheDataTypeE0ELb1EEEvPT_PKS2_PKT0_S8_ifPKiSA_iPKfiiiSC_SC_iiiii,comdat
.Lfunc_end39:
	.size	_ZN4vllm25paged_attention_v1_kernelIffLi96ELi32ELi128ELNS_18Fp8KVCacheDataTypeE0ELb1EEEvPT_PKS2_PKT0_S8_ifPKiSA_iPKfiiiSC_SC_iiiii, .Lfunc_end39-_ZN4vllm25paged_attention_v1_kernelIffLi96ELi32ELi128ELNS_18Fp8KVCacheDataTypeE0ELb1EEEvPT_PKS2_PKT0_S8_ifPKiSA_iPKfiiiSC_SC_iiiii
                                        ; -- End function
	.set _ZN4vllm25paged_attention_v1_kernelIffLi96ELi32ELi128ELNS_18Fp8KVCacheDataTypeE0ELb1EEEvPT_PKS2_PKT0_S8_ifPKiSA_iPKfiiiSC_SC_iiiii.num_vgpr, 105
	.set _ZN4vllm25paged_attention_v1_kernelIffLi96ELi32ELi128ELNS_18Fp8KVCacheDataTypeE0ELb1EEEvPT_PKS2_PKT0_S8_ifPKiSA_iPKfiiiSC_SC_iiiii.num_agpr, 0
	.set _ZN4vllm25paged_attention_v1_kernelIffLi96ELi32ELi128ELNS_18Fp8KVCacheDataTypeE0ELb1EEEvPT_PKS2_PKT0_S8_ifPKiSA_iPKfiiiSC_SC_iiiii.numbered_sgpr, 46
	.set _ZN4vllm25paged_attention_v1_kernelIffLi96ELi32ELi128ELNS_18Fp8KVCacheDataTypeE0ELb1EEEvPT_PKS2_PKT0_S8_ifPKiSA_iPKfiiiSC_SC_iiiii.num_named_barrier, 0
	.set _ZN4vllm25paged_attention_v1_kernelIffLi96ELi32ELi128ELNS_18Fp8KVCacheDataTypeE0ELb1EEEvPT_PKS2_PKT0_S8_ifPKiSA_iPKfiiiSC_SC_iiiii.private_seg_size, 0
	.set _ZN4vllm25paged_attention_v1_kernelIffLi96ELi32ELi128ELNS_18Fp8KVCacheDataTypeE0ELb1EEEvPT_PKS2_PKT0_S8_ifPKiSA_iPKfiiiSC_SC_iiiii.uses_vcc, 1
	.set _ZN4vllm25paged_attention_v1_kernelIffLi96ELi32ELi128ELNS_18Fp8KVCacheDataTypeE0ELb1EEEvPT_PKS2_PKT0_S8_ifPKiSA_iPKfiiiSC_SC_iiiii.uses_flat_scratch, 0
	.set _ZN4vllm25paged_attention_v1_kernelIffLi96ELi32ELi128ELNS_18Fp8KVCacheDataTypeE0ELb1EEEvPT_PKS2_PKT0_S8_ifPKiSA_iPKfiiiSC_SC_iiiii.has_dyn_sized_stack, 0
	.set _ZN4vllm25paged_attention_v1_kernelIffLi96ELi32ELi128ELNS_18Fp8KVCacheDataTypeE0ELb1EEEvPT_PKS2_PKT0_S8_ifPKiSA_iPKfiiiSC_SC_iiiii.has_recursion, 0
	.set _ZN4vllm25paged_attention_v1_kernelIffLi96ELi32ELi128ELNS_18Fp8KVCacheDataTypeE0ELb1EEEvPT_PKS2_PKT0_S8_ifPKiSA_iPKfiiiSC_SC_iiiii.has_indirect_call, 0
	.section	.AMDGPU.csdata,"",@progbits
; Kernel info:
; codeLenInByte = 6608
; TotalNumSgprs: 52
; NumVgprs: 105
; NumAgprs: 0
; TotalNumVgprs: 105
; ScratchSize: 0
; MemoryBound: 0
; FloatMode: 240
; IeeeMode: 1
; LDSByteSize: 400 bytes/workgroup (compile time only)
; SGPRBlocks: 6
; VGPRBlocks: 13
; NumSGPRsForWavesPerEU: 52
; NumVGPRsForWavesPerEU: 105
; AccumOffset: 108
; Occupancy: 4
; WaveLimiterHint : 1
; COMPUTE_PGM_RSRC2:SCRATCH_EN: 0
; COMPUTE_PGM_RSRC2:USER_SGPR: 2
; COMPUTE_PGM_RSRC2:TRAP_HANDLER: 0
; COMPUTE_PGM_RSRC2:TGID_X_EN: 1
; COMPUTE_PGM_RSRC2:TGID_Y_EN: 1
; COMPUTE_PGM_RSRC2:TGID_Z_EN: 1
; COMPUTE_PGM_RSRC2:TIDIG_COMP_CNT: 0
; COMPUTE_PGM_RSRC3_GFX90A:ACCUM_OFFSET: 26
; COMPUTE_PGM_RSRC3_GFX90A:TG_SPLIT: 0
	.section	.text._ZN4vllm25paged_attention_v1_kernelIffLi112ELi32ELi128ELNS_18Fp8KVCacheDataTypeE0ELb1EEEvPT_PKS2_PKT0_S8_ifPKiSA_iPKfiiiSC_SC_iiiii,"axG",@progbits,_ZN4vllm25paged_attention_v1_kernelIffLi112ELi32ELi128ELNS_18Fp8KVCacheDataTypeE0ELb1EEEvPT_PKS2_PKT0_S8_ifPKiSA_iPKfiiiSC_SC_iiiii,comdat
	.protected	_ZN4vllm25paged_attention_v1_kernelIffLi112ELi32ELi128ELNS_18Fp8KVCacheDataTypeE0ELb1EEEvPT_PKS2_PKT0_S8_ifPKiSA_iPKfiiiSC_SC_iiiii ; -- Begin function _ZN4vllm25paged_attention_v1_kernelIffLi112ELi32ELi128ELNS_18Fp8KVCacheDataTypeE0ELb1EEEvPT_PKS2_PKT0_S8_ifPKiSA_iPKfiiiSC_SC_iiiii
	.globl	_ZN4vllm25paged_attention_v1_kernelIffLi112ELi32ELi128ELNS_18Fp8KVCacheDataTypeE0ELb1EEEvPT_PKS2_PKT0_S8_ifPKiSA_iPKfiiiSC_SC_iiiii
	.p2align	8
	.type	_ZN4vllm25paged_attention_v1_kernelIffLi112ELi32ELi128ELNS_18Fp8KVCacheDataTypeE0ELb1EEEvPT_PKS2_PKT0_S8_ifPKiSA_iPKfiiiSC_SC_iiiii,@function
_ZN4vllm25paged_attention_v1_kernelIffLi112ELi32ELi128ELNS_18Fp8KVCacheDataTypeE0ELb1EEEvPT_PKS2_PKT0_S8_ifPKiSA_iPKfiiiSC_SC_iiiii: ; @_ZN4vllm25paged_attention_v1_kernelIffLi112ELi32ELi128ELNS_18Fp8KVCacheDataTypeE0ELb1EEEvPT_PKS2_PKT0_S8_ifPKiSA_iPKfiiiSC_SC_iiiii
; %bb.0:
	s_load_dword s5, s[0:1], 0x80
	s_load_dwordx2 s[6:7], s[0:1], 0x30
	s_load_dwordx2 s[30:31], s[0:1], 0x20
	s_mov_b32 s10, s3
	s_ashr_i32 s11, s3, 31
	s_lshl_b64 s[8:9], s[10:11], 2
	s_waitcnt lgkmcnt(0)
	s_add_u32 s6, s6, s8
	s_addc_u32 s7, s7, s9
	s_abs_i32 s3, s30
	v_cvt_f32_u32_e32 v1, s3
	s_sub_i32 s11, 0, s3
	s_abs_i32 s9, s5
	s_xor_b32 s8, s5, s30
	v_rcp_iflag_f32_e32 v1, v1
	s_ashr_i32 s8, s8, 31
	s_mov_b32 s42, 0
	v_mul_f32_e32 v1, 0x4f7ffffe, v1
	v_cvt_u32_f32_e32 v1, v1
	s_nop 0
	v_readfirstlane_b32 s12, v1
	s_mul_i32 s11, s11, s12
	s_mul_hi_u32 s11, s12, s11
	s_add_i32 s12, s12, s11
	s_mul_hi_u32 s11, s9, s12
	s_mul_i32 s12, s11, s3
	s_sub_i32 s9, s9, s12
	s_add_i32 s12, s11, 1
	s_sub_i32 s13, s9, s3
	s_cmp_ge_u32 s9, s3
	s_cselect_b32 s11, s12, s11
	s_cselect_b32 s9, s13, s9
	s_add_i32 s12, s11, 1
	s_cmp_ge_u32 s9, s3
	s_cselect_b32 s3, s12, s11
	s_xor_b32 s3, s3, s8
	s_sub_i32 s12, s3, s8
	s_abs_i32 s11, s12
	v_cvt_f32_u32_e32 v1, s11
	s_load_dwordx2 s[8:9], s[0:1], 0x40
	s_sub_i32 s3, 0, s11
	s_abs_i32 s22, s2
	v_rcp_iflag_f32_e32 v1, v1
	s_nop 0
	v_mul_f32_e32 v1, 0x4f7ffffe, v1
	v_cvt_u32_f32_e32 v1, v1
	s_nop 0
	v_readfirstlane_b32 s13, v1
	s_mul_i32 s3, s3, s13
	s_mul_hi_u32 s3, s13, s3
	s_add_i32 s13, s13, s3
	s_waitcnt lgkmcnt(0)
	s_cmp_eq_u64 s[8:9], 0
	s_mul_hi_u32 s23, s22, s13
	s_cbranch_scc1 .LBB40_2
; %bb.1:
	s_ashr_i32 s3, s2, 31
	s_lshl_b64 s[14:15], s[2:3], 2
	s_add_u32 s8, s8, s14
	s_addc_u32 s9, s9, s15
	s_load_dword s42, s[8:9], 0x0
.LBB40_2:
	s_load_dword s33, s[6:7], 0x0
	s_ashr_i32 s9, s12, 31
	s_load_dwordx4 s[12:15], s[0:1], 0x48
	s_ashr_i32 s3, s2, 31
	v_and_b32_e32 v4, 1, v0
	s_mul_i32 s20, s2, 0x70
	v_cmp_gt_u32_e32 vcc, 56, v0
	v_lshlrev_b32_e32 v2, 3, v0
	v_lshlrev_b32_e32 v52, 2, v0
	s_and_saveexec_b64 s[6:7], vcc
	s_cbranch_execz .LBB40_4
; %bb.3:
	s_load_dwordx2 s[16:17], s[0:1], 0x8
	s_waitcnt lgkmcnt(0)
	s_mul_i32 s18, s12, s10
	s_ashr_i32 s19, s18, 31
	s_lshl_b64 s[18:19], s[18:19], 2
	v_and_b32_e32 v1, 0xff8, v52
	s_add_u32 s8, s16, s18
	s_addc_u32 s12, s17, s19
	s_ashr_i32 s21, s20, 31
	s_lshl_b64 s[16:17], s[20:21], 2
	s_add_u32 s16, s8, s16
	s_addc_u32 s17, s12, s17
	global_load_dwordx2 v[6:7], v2, s[16:17]
	s_movk_i32 s8, 0xe0
	v_mad_u32_u24 v1, v4, s8, v1
	s_waitcnt vmcnt(0)
	ds_write_b64 v1, v[6:7]
.LBB40_4:
	s_or_b64 exec, exec, s[6:7]
	s_mul_i32 s6, s23, s11
	s_sub_i32 s6, s22, s6
	s_xor_b32 s3, s3, s9
	s_add_i32 s7, s23, 1
	s_sub_i32 s9, s6, s11
	s_load_dwordx4 s[16:19], s[0:1], 0x68
	s_load_dword s8, s[0:1], 0x78
	s_cmp_ge_u32 s6, s11
	s_cselect_b32 s7, s7, s23
	s_cselect_b32 s6, s9, s6
	s_add_i32 s9, s7, 1
	s_cmp_ge_u32 s6, s11
	s_cselect_b32 s6, s9, s7
	s_waitcnt lgkmcnt(0)
	s_abs_i32 s21, s19
	v_cvt_f32_u32_e32 v1, s21
	s_xor_b32 s6, s6, s3
	s_sub_i32 s3, s6, s3
	s_sub_i32 s6, 0, s21
	v_rcp_iflag_f32_e32 v1, v1
	s_add_i32 s11, s33, -1
	s_abs_i32 s9, s11
	v_mul_f32_e32 v1, 0x4f7ffffe, v1
	v_cvt_u32_f32_e32 v1, v1
	s_barrier
	v_readfirstlane_b32 s40, v1
	s_mul_i32 s6, s6, s40
	s_mul_hi_u32 s6, s40, s6
	s_add_i32 s40, s40, s6
	s_cmp_lt_i32 s8, 0
	s_mul_hi_u32 s12, s9, s40
	s_cbranch_scc0 .LBB40_6
; %bb.5:
	s_mul_i32 s6, s16, s30
	s_add_i32 s6, s3, s6
	s_mul_i32 s6, s6, s8
	s_sub_i32 s41, 1, s6
	s_mov_b64 s[6:7], 0
	s_branch .LBB40_7
.LBB40_6:
	s_mov_b64 s[6:7], -1
                                        ; implicit-def: $sgpr41
.LBB40_7:
	s_load_dwordx2 s[24:25], s[0:1], 0x28
	s_ashr_i32 s15, s11, 31
	s_andn2_b64 vcc, exec, s[6:7]
	s_ashr_i32 s19, s19, 31
	s_cbranch_vccnz .LBB40_9
; %bb.8:
	s_mul_i32 s6, s5, s16
	s_add_i32 s2, s6, s2
	s_mul_i32 s2, s2, s8
	s_add_i32 s41, s2, 1
.LBB40_9:
	s_load_dword s2, s[0:1], 0x38
	s_load_dwordx2 s[22:23], s[0:1], 0x0
	s_load_dwordx2 s[28:29], s[0:1], 0x18
	s_load_dword s11, s[0:1], 0x88
	s_xor_b32 s6, s15, s19
	s_waitcnt lgkmcnt(0)
	s_mul_i32 s26, s2, s10
	s_mul_i32 s2, s12, s21
	s_sub_i32 s2, s9, s2
	s_ashr_i32 s27, s26, 31
	s_add_i32 s7, s12, 1
	s_sub_i32 s8, s2, s21
	s_cmp_ge_u32 s2, s21
	s_cselect_b32 s7, s7, s12
	s_cselect_b32 s2, s8, s2
	s_add_i32 s8, s7, 1
	s_cmp_ge_u32 s2, s21
	s_cselect_b32 s2, s8, s7
	s_xor_b32 s2, s2, s6
	s_sub_i32 s12, s2, s6
	s_add_i32 s2, s33, 31
	s_ashr_i32 s6, s2, 31
	s_lshr_b32 s6, s6, 27
	s_add_i32 s2, s2, s6
	s_ashr_i32 s16, s2, 5
	v_lshrrev_b32_e32 v1, 6, v0
	v_cmp_gt_i32_e64 s[6:7], s16, v1
	v_mov_b32_e32 v57, 0xff7fffff
	s_mul_i32 s14, s3, s14
	v_lshrrev_b32_e32 v53, 4, v0
	v_lshlrev_b32_e32 v80, 5, v1
	v_mbcnt_lo_u32_b32 v54, -1, 0
	s_and_saveexec_b64 s[34:35], s[6:7]
	s_cbranch_execz .LBB40_21
; %bb.10:
	s_load_dwordx2 s[0:1], s[0:1], 0x10
	s_ashr_i32 s15, s14, 31
	s_sub_i32 s30, s12, s17
	s_lshl_b64 s[2:3], s[14:15], 2
	v_bfe_u32 v55, v0, 1, 5
	s_waitcnt lgkmcnt(0)
	s_add_u32 s0, s0, s2
	s_addc_u32 s1, s1, s3
	s_abs_i32 s15, s18
	v_cvt_f32_u32_e32 v3, s15
	v_lshlrev_b32_e32 v6, 4, v55
	v_mov_b32_e32 v7, 0
	v_lshl_add_u64 v[8:9], s[0:1], 0, v[6:7]
	v_rcp_iflag_f32_e32 v5, v3
	s_sub_i32 s0, 0, s15
	v_cmp_eq_u32_e32 vcc, 0, v4
	v_mul_u32_u24_e32 v56, 0xe0, v4
	v_mul_f32_e32 v5, 0x4f7ffffe, v5
	v_cvt_u32_f32_e32 v5, v5
	v_and_b32_e32 v6, 8, v2
	v_lshl_add_u64 v[2:3], v[8:9], 0, v[6:7]
	v_and_b32_e32 v6, 60, v53
	v_mul_lo_u32 v4, s0, v5
	s_lshl_b64 s[0:1], s[26:27], 2
	s_add_u32 s0, s24, s0
	v_mul_hi_u32 v4, v5, v4
	s_addc_u32 s1, s25, s1
	v_lshlrev_b32_e32 v10, 2, v55
	v_add_u32_e32 v58, v5, v4
	v_lshl_add_u64 v[4:5], s[0:1], 0, v[6:7]
	v_subrev_u32_e32 v6, s33, v55
	v_add_u32_e32 v60, 1, v6
	v_lshl_or_b32 v6, v1, 7, v10
	v_mbcnt_hi_u32_b32 v63, -1, v54
	v_add_u32_e32 v61, 0x1d0, v6
	v_and_b32_e32 v6, 64, v63
	s_mov_b32 s43, s13
	v_cmp_neq_f32_e64 s[2:3], s42, 0
	v_lshlrev_b32_e32 v59, 5, v1
	v_mov_b32_e32 v62, 0xff7fffff
	s_mov_b64 s[36:37], 0
	s_movk_i32 s44, 0x1000
	s_movk_i32 s45, 0x2000
	s_movk_i32 s46, 0x3000
	v_xor_b32_e32 v64, 1, v63
	v_add_u32_e32 v65, 64, v6
	v_mov_b32_e32 v57, 0xff7fffff
	v_mov_b32_e32 v66, v1
	s_branch .LBB40_13
.LBB40_11:                              ;   in Loop: Header=BB40_13 Depth=1
	s_or_b64 exec, exec, s[38:39]
.LBB40_12:                              ;   in Loop: Header=BB40_13 Depth=1
	s_or_b64 exec, exec, s[8:9]
	v_add_u32_e32 v66, 2, v66
	v_cmp_le_i32_e64 s[0:1], s16, v66
	v_lshl_add_u64 v[4:5], v[4:5], 0, 8
	v_add_u32_e32 v59, 64, v59
	s_or_b64 s[36:37], s[0:1], s[36:37]
	v_add_u32_e32 v61, 0x100, v61
	s_andn2_b64 exec, exec, s[36:37]
	s_cbranch_execz .LBB40_20
.LBB40_13:                              ; =>This Inner Loop Header: Depth=1
	v_mul_hi_u32 v6, v59, s40
	s_waitcnt lgkmcnt(0)
	v_mul_lo_u32 v7, v6, s21
	v_sub_u32_e32 v7, v59, v7
	v_add_u32_e32 v8, 1, v6
	v_cmp_le_u32_e64 s[0:1], s21, v7
	s_nop 1
	v_cndmask_b32_e64 v6, v6, v8, s[0:1]
	v_subrev_u32_e32 v8, s21, v7
	v_cndmask_b32_e64 v7, v7, v8, s[0:1]
	v_add_u32_e32 v8, 1, v6
	v_cmp_le_u32_e64 s[0:1], s21, v7
	s_nop 1
	v_cndmask_b32_e64 v6, v6, v8, s[0:1]
	v_xor_b32_e32 v6, s19, v6
	v_subrev_u32_e32 v6, s19, v6
	v_add_u32_e32 v7, s41, v6
	v_sub_u32_e32 v9, 0, v7
	v_ashrrev_i32_e32 v8, 31, v7
	v_max_i32_e32 v7, v7, v9
	v_mul_hi_u32 v9, v7, v58
	v_mul_lo_u32 v9, v9, s15
	v_sub_u32_e32 v7, v7, v9
	v_subrev_u32_e32 v9, s15, v7
	v_cmp_le_u32_e64 s[0:1], s15, v7
	v_cmp_ge_i32_e64 s[8:9], s30, v6
	s_nop 0
	v_cndmask_b32_e64 v7, v7, v9, s[0:1]
	v_subrev_u32_e32 v9, s15, v7
	v_cmp_le_u32_e64 s[0:1], s15, v7
	s_nop 1
	v_cndmask_b32_e64 v7, v7, v9, s[0:1]
	v_xor_b32_e32 v7, v7, v8
	v_sub_u32_e32 v7, v7, v8
	v_cmp_ne_u32_e64 s[0:1], 0, v7
	s_and_b64 s[0:1], s[0:1], s[8:9]
	s_and_saveexec_b64 s[8:9], s[0:1]
	s_xor_b64 s[0:1], exec, s[8:9]
	s_cbranch_execz .LBB40_17
; %bb.14:                               ;   in Loop: Header=BB40_13 Depth=1
	s_and_saveexec_b64 s[8:9], vcc
; %bb.15:                               ;   in Loop: Header=BB40_13 Depth=1
	ds_write_b32 v61, v62
; %bb.16:                               ;   in Loop: Header=BB40_13 Depth=1
	s_or_b64 exec, exec, s[8:9]
.LBB40_17:                              ;   in Loop: Header=BB40_13 Depth=1
	s_andn2_saveexec_b64 s[8:9], s[0:1]
	s_cbranch_execz .LBB40_12
; %bb.18:                               ;   in Loop: Header=BB40_13 Depth=1
	global_load_dword v6, v[4:5], off
	s_waitcnt vmcnt(0)
	v_mad_i64_i32 v[6:7], s[0:1], v6, s43, 0
	v_lshl_add_u64 v[38:39], v[6:7], 2, v[2:3]
	global_load_dwordx2 v[94:95], v[38:39], off offset:512
	global_load_dwordx2 v[98:99], v[38:39], off offset:1024
	;; [unrolled: 1-line block ×3, first 2 shown]
	global_load_dwordx2 v[96:97], v[38:39], off
	global_load_dwordx2 v[102:103], v[38:39], off offset:2048
	global_load_dwordx2 v[50:51], v[38:39], off offset:2560
	;; [unrolled: 1-line block ×4, first 2 shown]
	v_add_co_u32_e64 v30, s[0:1], s45, v38
	s_nop 1
	v_addc_co_u32_e64 v31, s[0:1], 0, v39, s[0:1]
	global_load_dwordx2 v[12:13], v[30:31], off offset:-4096
	v_add_co_u32_e64 v22, s[0:1], s44, v38
	s_nop 1
	v_addc_co_u32_e64 v23, s[0:1], 0, v39, s[0:1]
	global_load_dwordx2 v[16:17], v[22:23], off offset:512
	global_load_dwordx2 v[14:15], v[22:23], off offset:1024
	;; [unrolled: 1-line block ×7, first 2 shown]
	global_load_dwordx2 v[28:29], v[30:31], off
	global_load_dwordx2 v[24:25], v[30:31], off offset:512
                                        ; kill: killed $vgpr22 killed $vgpr23
	global_load_dwordx2 v[26:27], v[30:31], off offset:1024
	s_nop 0
	global_load_dwordx2 v[22:23], v[30:31], off offset:1536
	global_load_dwordx2 v[32:33], v[30:31], off offset:2048
	;; [unrolled: 1-line block ×4, first 2 shown]
	s_nop 0
	global_load_dwordx2 v[30:31], v[30:31], off offset:3584
	v_add_co_u32_e64 v38, s[0:1], s46, v38
	s_nop 1
	v_addc_co_u32_e64 v39, s[0:1], 0, v39, s[0:1]
	global_load_dwordx2 v[40:41], v[38:39], off
	global_load_dwordx2 v[44:45], v[38:39], off offset:512
	global_load_dwordx2 v[42:43], v[38:39], off offset:1024
	s_nop 0
	global_load_dwordx2 v[38:39], v[38:39], off offset:1536
	ds_read_b128 v[68:71], v56
	ds_read_b128 v[72:75], v56 offset:16
	ds_read_b128 v[76:79], v56 offset:32
	;; [unrolled: 1-line block ×5, first 2 shown]
	v_cmp_lt_i32_e64 s[0:1], v64, v65
	s_waitcnt vmcnt(27) lgkmcnt(5)
	v_mul_f32_e32 v67, v70, v94
	v_mul_f32_e32 v81, v71, v95
	s_waitcnt vmcnt(24)
	v_fmac_f32_e32 v67, v68, v96
	v_fmac_f32_e32 v81, v69, v97
	s_waitcnt lgkmcnt(4)
	v_fmac_f32_e32 v67, v72, v98
	v_fmac_f32_e32 v81, v73, v99
	;; [unrolled: 1-line block ×4, first 2 shown]
	s_waitcnt vmcnt(23) lgkmcnt(3)
	v_fmac_f32_e32 v67, v76, v102
	v_fmac_f32_e32 v81, v77, v103
	s_waitcnt vmcnt(22)
	v_fmac_f32_e32 v67, v78, v50
	v_fmac_f32_e32 v81, v79, v51
	s_waitcnt vmcnt(21) lgkmcnt(2)
	v_fmac_f32_e32 v67, v82, v48
	v_fmac_f32_e32 v81, v83, v49
	s_waitcnt vmcnt(20)
	v_fmac_f32_e32 v67, v84, v46
	v_fmac_f32_e32 v81, v85, v47
	ds_read_b128 v[68:71], v56 offset:96
	ds_read_b128 v[94:97], v56 offset:112
	s_waitcnt vmcnt(19) lgkmcnt(3)
	v_fmac_f32_e32 v67, v86, v12
	v_fmac_f32_e32 v81, v87, v13
	s_waitcnt vmcnt(18)
	v_fmac_f32_e32 v67, v88, v16
	v_fmac_f32_e32 v81, v89, v17
	s_waitcnt vmcnt(17) lgkmcnt(2)
	v_fmac_f32_e32 v67, v90, v14
	v_fmac_f32_e32 v81, v91, v15
	s_waitcnt vmcnt(16)
	v_fmac_f32_e32 v67, v92, v10
	v_fmac_f32_e32 v81, v93, v11
	ds_read_b128 v[72:75], v56 offset:128
	ds_read_b128 v[98:101], v56 offset:144
	;; [unrolled: 14-line block ×4, first 2 shown]
	s_waitcnt vmcnt(7) lgkmcnt(3)
	v_fmac_f32_e32 v67, v76, v32
	v_fmac_f32_e32 v81, v77, v33
	s_waitcnt vmcnt(6)
	v_fmac_f32_e32 v67, v78, v36
	v_fmac_f32_e32 v81, v79, v37
	s_waitcnt vmcnt(5) lgkmcnt(2)
	v_fmac_f32_e32 v67, v102, v34
	v_fmac_f32_e32 v81, v103, v35
	s_waitcnt vmcnt(4)
	v_fmac_f32_e32 v67, v104, v30
	v_fmac_f32_e32 v81, v105, v31
	;; [unrolled: 6-line block ×3, first 2 shown]
	s_waitcnt vmcnt(1) lgkmcnt(0)
	v_fmac_f32_e32 v67, v42, v82
	v_fmac_f32_e32 v81, v43, v83
	v_cndmask_b32_e64 v50, v63, v64, s[0:1]
	s_waitcnt vmcnt(0)
	v_fmac_f32_e32 v67, v38, v84
	v_fmac_f32_e32 v81, v39, v85
	v_lshlrev_b32_e32 v50, 2, v50
	v_add_f32_e32 v6, v67, v81
	ds_bpermute_b32 v7, v50, v6
	s_and_saveexec_b64 s[38:39], vcc
	s_cbranch_execz .LBB40_11
; %bb.19:                               ;   in Loop: Header=BB40_13 Depth=1
	v_add_u32_e32 v8, v60, v59
	v_cvt_f32_i32_e32 v8, v8
	s_waitcnt lgkmcnt(0)
	v_add_f32_e32 v6, v6, v7
	v_add_u32_e32 v9, v55, v59
	v_cmp_gt_i32_e64 s[0:1], s33, v9
	v_mul_f32_e32 v7, s42, v8
	v_cndmask_b32_e64 v7, 0, v7, s[2:3]
	v_fmac_f32_e32 v7, s31, v6
	v_cndmask_b32_e64 v6, 0, v7, s[0:1]
	ds_write_b32 v61, v6
	v_max_f32_e32 v6, v57, v57
	v_max_f32_e32 v6, v6, v7
	v_cndmask_b32_e64 v57, v57, v6, s[0:1]
	s_branch .LBB40_11
.LBB40_20:
	s_or_b64 exec, exec, s[36:37]
.LBB40_21:
	s_or_b64 exec, exec, s[34:35]
	v_mbcnt_hi_u32_b32 v2, -1, v54
	v_and_b32_e32 v8, 64, v2
	v_add_u32_e32 v9, 64, v8
	v_xor_b32_e32 v3, 32, v2
	v_cmp_lt_i32_e32 vcc, v3, v9
	v_xor_b32_e32 v6, 16, v2
	v_max_f32_e32 v5, v57, v57
	v_cndmask_b32_e32 v3, v2, v3, vcc
	v_lshlrev_b32_e32 v3, 2, v3
	ds_bpermute_b32 v4, v3, v57
	v_cmp_lt_i32_e32 vcc, v6, v9
	s_waitcnt lgkmcnt(1)
	v_xor_b32_e32 v7, 8, v2
	v_xor_b32_e32 v10, 4, v2
	v_and_b32_e32 v81, 63, v0
	s_waitcnt lgkmcnt(0)
	v_max_f32_e32 v4, v4, v4
	v_max_f32_e32 v5, v5, v4
	v_cndmask_b32_e32 v4, v2, v6, vcc
	v_lshlrev_b32_e32 v4, 2, v4
	ds_bpermute_b32 v6, v4, v5
	v_cmp_lt_i32_e32 vcc, v7, v9
	s_waitcnt lgkmcnt(0)
	v_max_f32_e32 v6, v6, v6
	v_max_f32_e32 v6, v5, v6
	v_cndmask_b32_e32 v5, v2, v7, vcc
	v_lshlrev_b32_e32 v5, 2, v5
	ds_bpermute_b32 v7, v5, v6
	v_cmp_lt_i32_e32 vcc, v10, v9
	s_waitcnt lgkmcnt(0)
	v_max_f32_e32 v7, v7, v7
	v_max_f32_e32 v6, v6, v7
	v_cndmask_b32_e32 v7, v2, v10, vcc
	v_lshlrev_b32_e32 v82, 2, v7
	ds_bpermute_b32 v7, v82, v6
	v_xor_b32_e32 v10, 2, v2
	v_cmp_lt_i32_e32 vcc, v10, v9
	s_waitcnt lgkmcnt(0)
	v_max_f32_e32 v7, v7, v7
	v_max_f32_e32 v7, v6, v7
	v_cndmask_b32_e32 v6, v2, v10, vcc
	v_lshlrev_b32_e32 v83, 2, v6
	ds_bpermute_b32 v10, v83, v7
	v_cmp_eq_u32_e32 vcc, 0, v81
	v_lshlrev_b32_e32 v6, 2, v1
	s_and_saveexec_b64 s[0:1], vcc
	s_cbranch_execz .LBB40_23
; %bb.22:
	s_waitcnt lgkmcnt(0)
	v_max_f32_e32 v10, v10, v10
	v_max_f32_e32 v7, v7, v7
	;; [unrolled: 1-line block ×3, first 2 shown]
	ds_write_b32 v6, v7 offset:448
.LBB40_23:
	s_or_b64 exec, exec, s[0:1]
	v_cmp_gt_u32_e64 s[0:1], 2, v81
	s_waitcnt lgkmcnt(0)
	v_mov_b32_e32 v10, 0xff7fffff
	v_lshlrev_b32_e32 v7, 2, v81
	s_barrier
	s_and_saveexec_b64 s[2:3], s[0:1]
; %bb.24:
	ds_read_b32 v10, v7 offset:448
; %bb.25:
	s_or_b64 exec, exec, s[2:3]
	v_xor_b32_e32 v11, 1, v2
	v_cmp_lt_i32_e64 s[2:3], v11, v9
	v_lshlrev_b32_e32 v8, 2, v8
	s_nop 0
	v_cndmask_b32_e64 v9, v2, v11, s[2:3]
	v_lshlrev_b32_e32 v84, 2, v9
	s_waitcnt lgkmcnt(0)
	ds_bpermute_b32 v9, v84, v10
	v_max_f32_e32 v10, v10, v10
	s_lshl_b32 s2, s16, 5
	s_min_i32 s15, s2, s33
	v_cmp_gt_i32_e64 s[2:3], s15, v0
	s_waitcnt lgkmcnt(0)
	v_max_f32_e32 v9, v9, v9
	v_max_f32_e32 v9, v10, v9
	ds_bpermute_b32 v9, v8, v9
	v_mov_b32_e32 v8, 0
	s_and_saveexec_b64 s[30:31], s[2:3]
	s_cbranch_execz .LBB40_29
; %bb.26:
	v_mov_b32_e32 v8, 0x1d0
	v_lshl_add_u32 v10, v0, 2, v8
	v_mov_b32_e32 v8, 0
	s_mov_b64 s[34:35], 0
	v_mov_b32_e32 v11, v0
.LBB40_27:                              ; =>This Inner Loop Header: Depth=1
	ds_read_b32 v12, v10
	v_add_u32_e32 v11, 0x80, v11
	v_cmp_le_i32_e64 s[8:9], s15, v11
	s_or_b64 s[34:35], s[8:9], s[34:35]
	s_waitcnt lgkmcnt(0)
	v_sub_f32_e32 v12, v12, v9
	v_mul_f32_e32 v12, 0x3fb8aa3b, v12
	v_exp_f32_e32 v12, v12
	ds_write_b32 v10, v12
	v_add_f32_e32 v8, v8, v12
	v_add_u32_e32 v10, 0x200, v10
	s_andn2_b64 exec, exec, s[34:35]
	s_cbranch_execnz .LBB40_27
; %bb.28:
	s_or_b64 exec, exec, s[34:35]
.LBB40_29:
	s_or_b64 exec, exec, s[30:31]
	ds_bpermute_b32 v3, v3, v8
	s_waitcnt lgkmcnt(0)
	v_add_f32_e32 v3, v8, v3
	ds_bpermute_b32 v4, v4, v3
	s_waitcnt lgkmcnt(0)
	v_add_f32_e32 v3, v3, v4
	;; [unrolled: 3-line block ×6, first 2 shown]
	s_and_saveexec_b64 s[8:9], vcc
; %bb.30:
	ds_write_b32 v6, v3 offset:456
; %bb.31:
	s_or_b64 exec, exec, s[8:9]
	s_waitcnt lgkmcnt(0)
	s_barrier
	s_and_saveexec_b64 s[8:9], s[0:1]
; %bb.32:
	ds_read_b32 v3, v7 offset:456
; %bb.33:
	s_or_b64 exec, exec, s[8:9]
	s_waitcnt lgkmcnt(0)
	ds_bpermute_b32 v4, v84, v3
	v_lshlrev_b32_e32 v2, 2, v2
	v_and_b32_e32 v2, 0x100, v2
	s_waitcnt lgkmcnt(0)
	v_add_f32_e32 v3, v3, v4
	ds_bpermute_b32 v2, v2, v3
	s_and_saveexec_b64 s[0:1], s[2:3]
	s_cbranch_execz .LBB40_46
; %bb.34:
	s_waitcnt lgkmcnt(0)
	v_add_f32_e32 v2, 0x358637bd, v2
	v_div_scale_f32 v3, s[2:3], v2, v2, 1.0
	v_rcp_f32_e32 v4, v3
	v_div_scale_f32 v5, vcc, 1.0, v2, 1.0
	s_movk_i32 s2, 0x7f
	v_fma_f32 v6, -v3, v4, 1.0
	v_fmac_f32_e32 v4, v6, v4
	v_mul_f32_e32 v6, v5, v4
	v_fma_f32 v7, -v3, v6, v5
	v_fmac_f32_e32 v6, v7, v4
	v_fma_f32 v3, -v3, v6, v5
	v_div_fmas_f32 v3, v3, v4, v6
	v_xad_u32 v4, v0, -1, s15
	v_div_fixup_f32 v2, v3, v2, 1.0
	v_cmp_lt_u32_e32 vcc, s2, v4
	s_mov_b64 s[8:9], -1
	v_mov_b32_e32 v3, v0
	s_and_saveexec_b64 s[2:3], vcc
	s_cbranch_execz .LBB40_43
; %bb.35:
	v_lshrrev_b32_e32 v4, 7, v4
	v_add_u32_e32 v6, -1, v4
	v_lshrrev_b32_e32 v5, 1, v6
	v_mov_b32_e32 v3, v2
	v_add_u32_e32 v5, 1, v5
	v_cmp_lt_u32_e32 vcc, 13, v6
	v_mov_b32_e32 v8, 0
	s_and_saveexec_b64 s[8:9], vcc
	s_cbranch_execz .LBB40_39
; %bb.36:
	v_mov_b32_e32 v7, 0x1d0
	v_and_b32_e32 v6, -8, v5
	v_lshl_add_u32 v7, v0, 2, v7
	s_mov_b32 s34, 0
	s_mov_b64 s[30:31], 0
.LBB40_37:                              ; =>This Inner Loop Header: Depth=1
	ds_read2st64_b32 v[8:9], v7 offset1:2
	ds_read2st64_b32 v[10:11], v7 offset0:4 offset1:6
	ds_read2st64_b32 v[12:13], v7 offset0:8 offset1:10
	;; [unrolled: 1-line block ×3, first 2 shown]
	v_add_u32_e32 v6, -8, v6
	s_waitcnt lgkmcnt(3)
	v_pk_mul_f32 v[8:9], v[2:3], v[8:9]
	s_waitcnt lgkmcnt(2)
	v_pk_mul_f32 v[10:11], v[2:3], v[10:11]
	ds_write2st64_b32 v7, v8, v9 offset1:2
	ds_write2st64_b32 v7, v10, v11 offset0:4 offset1:6
	ds_read2st64_b32 v[10:11], v7 offset0:16 offset1:18
	s_waitcnt lgkmcnt(4)
	v_pk_mul_f32 v[8:9], v[2:3], v[12:13]
	ds_write2st64_b32 v7, v8, v9 offset0:8 offset1:10
	s_waitcnt lgkmcnt(4)
	v_pk_mul_f32 v[8:9], v[2:3], v[14:15]
	ds_write2st64_b32 v7, v8, v9 offset0:12 offset1:14
	ds_read2st64_b32 v[8:9], v7 offset0:20 offset1:22
	s_waitcnt lgkmcnt(3)
	v_pk_mul_f32 v[10:11], v[2:3], v[10:11]
	ds_read2st64_b32 v[12:13], v7 offset0:24 offset1:26
	ds_write2st64_b32 v7, v10, v11 offset0:16 offset1:18
	ds_read2st64_b32 v[10:11], v7 offset0:28 offset1:30
	s_waitcnt lgkmcnt(3)
	v_pk_mul_f32 v[8:9], v[2:3], v[8:9]
	ds_write2st64_b32 v7, v8, v9 offset0:20 offset1:22
	s_waitcnt lgkmcnt(3)
	v_pk_mul_f32 v[8:9], v[2:3], v[12:13]
	ds_write2st64_b32 v7, v8, v9 offset0:24 offset1:26
	s_waitcnt lgkmcnt(2)
	v_pk_mul_f32 v[8:9], v[2:3], v[10:11]
	s_add_i32 s34, s34, 16
	v_cmp_eq_u32_e32 vcc, 0, v6
	ds_write2st64_b32 v7, v8, v9 offset0:28 offset1:30
	v_add_u32_e32 v7, 0x2000, v7
	s_or_b64 s[30:31], vcc, s[30:31]
	v_mov_b32_e32 v8, s34
	s_andn2_b64 exec, exec, s[30:31]
	s_cbranch_execnz .LBB40_37
; %bb.38:
	s_or_b64 exec, exec, s[30:31]
.LBB40_39:
	s_or_b64 exec, exec, s[8:9]
	v_and_b32_e32 v5, 7, v5
	v_cmp_ne_u32_e32 vcc, 0, v5
	s_and_saveexec_b64 s[8:9], vcc
	s_cbranch_execz .LBB40_42
; %bb.40:
	v_lshlrev_b32_e32 v6, 9, v8
	s_movk_i32 s30, 0x1d0
	v_add3_u32 v6, v6, v52, s30
	s_mov_b64 s[30:31], 0
.LBB40_41:                              ; =>This Inner Loop Header: Depth=1
	ds_read2st64_b32 v[8:9], v6 offset1:2
	v_add_u32_e32 v5, -1, v5
	v_cmp_eq_u32_e32 vcc, 0, v5
	s_or_b64 s[30:31], vcc, s[30:31]
	s_waitcnt lgkmcnt(0)
	v_pk_mul_f32 v[8:9], v[2:3], v[8:9]
	ds_write2st64_b32 v6, v8, v9 offset1:2
	v_add_u32_e32 v6, 0x400, v6
	s_andn2_b64 exec, exec, s[30:31]
	s_cbranch_execnz .LBB40_41
.LBB40_42:
	s_or_b64 exec, exec, s[8:9]
	v_add_u32_e32 v4, 1, v4
	v_and_b32_e32 v5, 0x3fffffe, v4
	v_cmp_ne_u32_e32 vcc, v4, v5
	v_lshl_add_u32 v3, v5, 7, v0
	s_orn2_b64 s[8:9], vcc, exec
.LBB40_43:
	s_or_b64 exec, exec, s[2:3]
	s_and_b64 exec, exec, s[8:9]
	s_cbranch_execz .LBB40_46
; %bb.44:
	v_mov_b32_e32 v4, 0x1d0
	v_lshl_add_u32 v4, v3, 2, v4
	s_mov_b64 s[2:3], 0
.LBB40_45:                              ; =>This Inner Loop Header: Depth=1
	ds_read_b32 v5, v4
	v_add_u32_e32 v3, 0x80, v3
	v_cmp_le_i32_e32 vcc, s15, v3
	s_or_b64 s[2:3], vcc, s[2:3]
	s_waitcnt lgkmcnt(0)
	v_mul_f32_e32 v5, v2, v5
	ds_write_b32 v4, v5
	v_add_u32_e32 v4, 0x200, v4
	s_andn2_b64 exec, exec, s[2:3]
	s_cbranch_execnz .LBB40_45
.LBB40_46:
	s_or_b64 exec, exec, s[0:1]
	v_mov_b32_e32 v63, 0
	v_and_b32_e32 v85, 7, v0
	v_mov_b32_e32 v62, 0
	v_mov_b32_e32 v65, 0
	;; [unrolled: 1-line block ×13, first 2 shown]
	s_waitcnt lgkmcnt(0)
	s_barrier
	s_and_saveexec_b64 s[2:3], s[6:7]
	s_cbranch_execz .LBB40_80
; %bb.47:
	s_ashr_i32 s15, s14, 31
	s_sub_i32 s17, s12, s17
	s_lshl_b64 s[0:1], s[14:15], 2
	s_add_u32 s0, s28, s0
	s_addc_u32 s1, s29, s1
	s_abs_i32 s14, s18
	v_cvt_f32_u32_e32 v2, s14
	v_lshlrev_b32_e32 v3, 4, v0
	v_and_b32_e32 v72, 0x3f0, v3
	v_mov_b32_e32 v73, 0
	v_rcp_iflag_f32_e32 v2, v2
	v_lshl_add_u64 v[76:77], s[0:1], 0, v[72:73]
	s_sub_i32 s0, 0, s14
	s_add_i32 s18, s16, -1
	v_mul_f32_e32 v2, 0x4f7ffffe, v2
	v_cvt_u32_f32_e32 v2, v2
	v_and_b32_e32 v72, 60, v53
	v_and_b32_e32 v86, 28, v52
	s_mov_b32 s15, s13
	v_mul_lo_u32 v3, s0, v2
	v_mul_hi_u32 v3, v2, v3
	s_lshl_b64 s[0:1], s[26:27], 2
	v_add_u32_e32 v87, v2, v3
	s_add_u32 s0, s24, s0
	v_lshlrev_b32_e32 v2, 4, v85
	s_addc_u32 s1, s25, s1
	v_lshl_or_b32 v2, v1, 7, v2
	s_mov_b32 s28, s33
	v_lshl_add_u64 v[78:79], s[0:1], 0, v[72:73]
	v_add_u32_e32 v88, 0x1d0, v2
	s_mov_b64 s[6:7], 0
	v_mov_b32_e32 v72, v73
	v_mov_b32_e32 v74, v73
	;; [unrolled: 1-line block ×13, first 2 shown]
	s_branch .LBB40_50
.LBB40_48:                              ;   in Loop: Header=BB40_50 Depth=1
	s_or_b64 exec, exec, s[12:13]
	s_waitcnt vmcnt(1) lgkmcnt(0)
	v_mul_f32_e32 v58, v2, v58
	v_mul_f32_e32 v54, v2, v54
	;; [unrolled: 1-line block ×13, first 2 shown]
	v_fmac_f32_e32 v58, v3, v59
	v_fmac_f32_e32 v54, v3, v55
	;; [unrolled: 1-line block ×26, first 2 shown]
	s_waitcnt vmcnt(0)
	v_pk_mul_f32 v[2:3], v[2:3], v[50:51]
	v_fmac_f32_e32 v58, v5, v61
	v_fmac_f32_e32 v54, v5, v57
	;; [unrolled: 1-line block ×13, first 2 shown]
	v_pk_mul_f32 v[4:5], v[4:5], v[52:53]
	v_add_f32_e32 v2, v3, v2
	v_add_f32_e32 v2, v4, v2
	;; [unrolled: 1-line block ×17, first 2 shown]
.LBB40_49:                              ;   in Loop: Header=BB40_50 Depth=1
	s_or_b64 exec, exec, s[8:9]
	v_add_u32_e32 v1, 2, v1
	v_cmp_le_i32_e32 vcc, s16, v1
	v_lshl_add_u64 v[78:79], v[78:79], 0, 8
	v_add_u32_e32 v80, 64, v80
	s_or_b64 s[6:7], vcc, s[6:7]
	v_add_u32_e32 v88, 0x100, v88
	s_andn2_b64 exec, exec, s[6:7]
	s_cbranch_execz .LBB40_79
.LBB40_50:                              ; =>This Inner Loop Header: Depth=1
	v_mul_hi_u32 v2, v80, s40
	v_mul_lo_u32 v3, v2, s21
	v_sub_u32_e32 v3, v80, v3
	v_add_u32_e32 v4, 1, v2
	v_cmp_le_u32_e32 vcc, s21, v3
	s_nop 1
	v_cndmask_b32_e32 v2, v2, v4, vcc
	v_subrev_u32_e32 v4, s21, v3
	v_cndmask_b32_e32 v3, v3, v4, vcc
	v_add_u32_e32 v4, 1, v2
	v_cmp_le_u32_e32 vcc, s21, v3
	s_nop 1
	v_cndmask_b32_e32 v2, v2, v4, vcc
	v_xor_b32_e32 v2, s19, v2
	v_subrev_u32_e32 v2, s19, v2
	v_add_u32_e32 v3, s41, v2
	v_sub_u32_e32 v5, 0, v3
	v_ashrrev_i32_e32 v4, 31, v3
	v_max_i32_e32 v3, v3, v5
	v_mul_hi_u32 v5, v3, v87
	v_mul_lo_u32 v5, v5, s14
	v_sub_u32_e32 v3, v3, v5
	v_subrev_u32_e32 v5, s14, v3
	v_cmp_le_u32_e32 vcc, s14, v3
	v_cmp_lt_i32_e64 s[0:1], s17, v2
	s_nop 0
	v_cndmask_b32_e32 v3, v3, v5, vcc
	v_subrev_u32_e32 v5, s14, v3
	v_cmp_le_u32_e32 vcc, s14, v3
	s_nop 1
	v_cndmask_b32_e32 v3, v3, v5, vcc
	v_xor_b32_e32 v3, v3, v4
	v_sub_u32_e32 v3, v3, v4
	v_cmp_eq_u32_e32 vcc, 0, v3
	s_or_b64 s[0:1], vcc, s[0:1]
	s_and_saveexec_b64 s[8:9], s[0:1]
	s_cbranch_execz .LBB40_49
; %bb.51:                               ;   in Loop: Header=BB40_50 Depth=1
	global_load_dword v2, v[78:79], off
	v_add_u32_e32 v89, v86, v80
	v_add_u32_e32 v92, 1, v89
	v_or_b32_e32 v91, 3, v89
	v_or_b32_e32 v90, 2, v89
	s_waitcnt vmcnt(0)
	v_mad_i64_i32 v[2:3], s[0:1], v2, s15, 0
	v_lshl_add_u64 v[50:51], v[2:3], 2, v[76:77]
	global_load_dwordx4 v[6:9], v[50:51], off
	ds_read_b128 v[2:5], v88
	v_cmp_eq_u32_e64 s[0:1], s18, v1
	s_and_saveexec_b64 s[12:13], s[0:1]
	s_cbranch_execnz .LBB40_76
; %bb.52:                               ;   in Loop: Header=BB40_50 Depth=1
	s_or_b64 exec, exec, s[12:13]
	global_load_dwordx4 v[10:13], v[50:51], off offset:1024
	s_and_saveexec_b64 s[12:13], s[0:1]
	s_cbranch_execnz .LBB40_77
.LBB40_53:                              ;   in Loop: Header=BB40_50 Depth=1
	s_or_b64 exec, exec, s[12:13]
	global_load_dwordx4 v[14:17], v[50:51], off offset:2048
	s_and_saveexec_b64 s[12:13], s[0:1]
	s_cbranch_execnz .LBB40_78
.LBB40_54:                              ;   in Loop: Header=BB40_50 Depth=1
	s_or_b64 exec, exec, s[12:13]
	global_load_dwordx4 v[18:21], v[50:51], off offset:3072
	s_and_saveexec_b64 s[12:13], s[0:1]
	s_cbranch_execz .LBB40_56
.LBB40_55:                              ;   in Loop: Header=BB40_50 Depth=1
	v_cmp_gt_i32_e32 vcc, s28, v92
	s_waitcnt vmcnt(0)
	s_nop 0
	v_cndmask_b32_e32 v19, 0, v19, vcc
	v_cmp_gt_i32_e32 vcc, s33, v89
	s_nop 1
	v_cndmask_b32_e32 v18, 0, v18, vcc
	v_cmp_gt_i32_e32 vcc, s28, v91
	;; [unrolled: 3-line block ×3, first 2 shown]
	s_nop 1
	v_cndmask_b32_e32 v20, 0, v20, vcc
.LBB40_56:                              ;   in Loop: Header=BB40_50 Depth=1
	s_or_b64 exec, exec, s[12:13]
	v_add_co_u32_e32 v22, vcc, 0x1000, v50
	s_nop 1
	v_addc_co_u32_e32 v23, vcc, 0, v51, vcc
	global_load_dwordx4 v[22:25], v[22:23], off
	s_and_saveexec_b64 s[12:13], s[0:1]
	s_cbranch_execz .LBB40_58
; %bb.57:                               ;   in Loop: Header=BB40_50 Depth=1
	v_cmp_gt_i32_e32 vcc, s28, v92
	s_waitcnt vmcnt(0)
	s_nop 0
	v_cndmask_b32_e32 v23, 0, v23, vcc
	v_cmp_gt_i32_e32 vcc, s33, v89
	s_nop 1
	v_cndmask_b32_e32 v22, 0, v22, vcc
	v_cmp_gt_i32_e32 vcc, s28, v91
	s_nop 1
	v_cndmask_b32_e32 v25, 0, v25, vcc
	v_cmp_gt_i32_e32 vcc, s33, v90
	s_nop 1
	v_cndmask_b32_e32 v24, 0, v24, vcc
.LBB40_58:                              ;   in Loop: Header=BB40_50 Depth=1
	s_or_b64 exec, exec, s[12:13]
	v_add_co_u32_e32 v26, vcc, 0x1000, v50
	s_nop 1
	v_addc_co_u32_e32 v27, vcc, 0, v51, vcc
	global_load_dwordx4 v[26:29], v[26:27], off offset:1024
	s_and_saveexec_b64 s[12:13], s[0:1]
	s_cbranch_execz .LBB40_60
; %bb.59:                               ;   in Loop: Header=BB40_50 Depth=1
	v_cmp_gt_i32_e32 vcc, s28, v92
	s_waitcnt vmcnt(0)
	s_nop 0
	v_cndmask_b32_e32 v27, 0, v27, vcc
	v_cmp_gt_i32_e32 vcc, s33, v89
	s_nop 1
	v_cndmask_b32_e32 v26, 0, v26, vcc
	v_cmp_gt_i32_e32 vcc, s28, v91
	s_nop 1
	v_cndmask_b32_e32 v29, 0, v29, vcc
	v_cmp_gt_i32_e32 vcc, s33, v90
	s_nop 1
	v_cndmask_b32_e32 v28, 0, v28, vcc
.LBB40_60:                              ;   in Loop: Header=BB40_50 Depth=1
	s_or_b64 exec, exec, s[12:13]
	v_add_co_u32_e32 v30, vcc, 0x1000, v50
	s_nop 1
	v_addc_co_u32_e32 v31, vcc, 0, v51, vcc
	global_load_dwordx4 v[30:33], v[30:31], off offset:2048
	;; [unrolled: 22-line block ×3, first 2 shown]
	s_and_saveexec_b64 s[12:13], s[0:1]
	s_cbranch_execz .LBB40_64
; %bb.63:                               ;   in Loop: Header=BB40_50 Depth=1
	v_cmp_gt_i32_e32 vcc, s28, v92
	s_waitcnt vmcnt(0)
	s_nop 0
	v_cndmask_b32_e32 v35, 0, v35, vcc
	v_cmp_gt_i32_e32 vcc, s33, v89
	s_nop 1
	v_cndmask_b32_e32 v34, 0, v34, vcc
	v_cmp_gt_i32_e32 vcc, s28, v91
	;; [unrolled: 3-line block ×3, first 2 shown]
	s_nop 1
	v_cndmask_b32_e32 v36, 0, v36, vcc
.LBB40_64:                              ;   in Loop: Header=BB40_50 Depth=1
	s_or_b64 exec, exec, s[12:13]
	v_add_co_u32_e32 v38, vcc, 0x2000, v50
	s_nop 1
	v_addc_co_u32_e32 v39, vcc, 0, v51, vcc
	global_load_dwordx4 v[38:41], v[38:39], off
	s_and_saveexec_b64 s[12:13], s[0:1]
	s_cbranch_execz .LBB40_66
; %bb.65:                               ;   in Loop: Header=BB40_50 Depth=1
	v_cmp_gt_i32_e32 vcc, s28, v92
	s_waitcnt vmcnt(0)
	s_nop 0
	v_cndmask_b32_e32 v39, 0, v39, vcc
	v_cmp_gt_i32_e32 vcc, s33, v89
	s_nop 1
	v_cndmask_b32_e32 v38, 0, v38, vcc
	v_cmp_gt_i32_e32 vcc, s28, v91
	s_nop 1
	v_cndmask_b32_e32 v41, 0, v41, vcc
	v_cmp_gt_i32_e32 vcc, s33, v90
	s_nop 1
	v_cndmask_b32_e32 v40, 0, v40, vcc
.LBB40_66:                              ;   in Loop: Header=BB40_50 Depth=1
	s_or_b64 exec, exec, s[12:13]
	v_add_co_u32_e32 v42, vcc, 0x2000, v50
	s_nop 1
	v_addc_co_u32_e32 v43, vcc, 0, v51, vcc
	global_load_dwordx4 v[42:45], v[42:43], off offset:1024
	s_and_saveexec_b64 s[12:13], s[0:1]
	s_cbranch_execz .LBB40_68
; %bb.67:                               ;   in Loop: Header=BB40_50 Depth=1
	v_cmp_gt_i32_e32 vcc, s28, v92
	s_waitcnt vmcnt(0)
	s_nop 0
	v_cndmask_b32_e32 v43, 0, v43, vcc
	v_cmp_gt_i32_e32 vcc, s33, v89
	s_nop 1
	v_cndmask_b32_e32 v42, 0, v42, vcc
	v_cmp_gt_i32_e32 vcc, s28, v91
	s_nop 1
	v_cndmask_b32_e32 v45, 0, v45, vcc
	v_cmp_gt_i32_e32 vcc, s33, v90
	s_nop 1
	v_cndmask_b32_e32 v44, 0, v44, vcc
.LBB40_68:                              ;   in Loop: Header=BB40_50 Depth=1
	s_or_b64 exec, exec, s[12:13]
	v_add_co_u32_e32 v46, vcc, 0x2000, v50
	s_nop 1
	v_addc_co_u32_e32 v47, vcc, 0, v51, vcc
	global_load_dwordx4 v[46:49], v[46:47], off offset:2048
	;; [unrolled: 22-line block ×3, first 2 shown]
	s_and_saveexec_b64 s[12:13], s[0:1]
	s_cbranch_execz .LBB40_72
; %bb.71:                               ;   in Loop: Header=BB40_50 Depth=1
	v_cmp_gt_i32_e32 vcc, s28, v92
	s_waitcnt vmcnt(0)
	s_nop 0
	v_cndmask_b32_e32 v55, 0, v55, vcc
	v_cmp_gt_i32_e32 vcc, s33, v89
	s_nop 1
	v_cndmask_b32_e32 v54, 0, v54, vcc
	v_cmp_gt_i32_e32 vcc, s28, v91
	;; [unrolled: 3-line block ×3, first 2 shown]
	s_nop 1
	v_cndmask_b32_e32 v56, 0, v56, vcc
.LBB40_72:                              ;   in Loop: Header=BB40_50 Depth=1
	s_or_b64 exec, exec, s[12:13]
	v_add_co_u32_e32 v52, vcc, 0x3000, v50
	s_nop 1
	v_addc_co_u32_e32 v53, vcc, 0, v51, vcc
	global_load_dwordx4 v[58:61], v[52:53], off
	s_and_saveexec_b64 s[12:13], s[0:1]
	s_cbranch_execz .LBB40_74
; %bb.73:                               ;   in Loop: Header=BB40_50 Depth=1
	v_cmp_gt_i32_e32 vcc, s28, v92
	s_waitcnt vmcnt(0)
	s_nop 0
	v_cndmask_b32_e32 v59, 0, v59, vcc
	v_cmp_gt_i32_e32 vcc, s33, v89
	s_nop 1
	v_cndmask_b32_e32 v58, 0, v58, vcc
	v_cmp_gt_i32_e32 vcc, s28, v91
	;; [unrolled: 3-line block ×3, first 2 shown]
	s_nop 1
	v_cndmask_b32_e32 v60, 0, v60, vcc
.LBB40_74:                              ;   in Loop: Header=BB40_50 Depth=1
	s_or_b64 exec, exec, s[12:13]
	v_add_co_u32_e32 v50, vcc, 0x3000, v50
	s_nop 1
	v_addc_co_u32_e32 v51, vcc, 0, v51, vcc
	global_load_dwordx4 v[50:53], v[50:51], off offset:1024
	s_and_saveexec_b64 s[12:13], s[0:1]
	s_cbranch_execz .LBB40_48
; %bb.75:                               ;   in Loop: Header=BB40_50 Depth=1
	v_cmp_gt_i32_e32 vcc, s28, v92
	s_waitcnt vmcnt(0)
	s_nop 0
	v_cndmask_b32_e32 v51, 0, v51, vcc
	v_cmp_gt_i32_e32 vcc, s33, v89
	s_nop 1
	v_cndmask_b32_e32 v50, 0, v50, vcc
	v_cmp_gt_i32_e32 vcc, s28, v91
	s_nop 1
	v_cndmask_b32_e32 v53, 0, v53, vcc
	v_cmp_gt_i32_e32 vcc, s33, v90
	s_nop 1
	v_cndmask_b32_e32 v52, 0, v52, vcc
	s_branch .LBB40_48
.LBB40_76:                              ;   in Loop: Header=BB40_50 Depth=1
	v_cmp_gt_i32_e32 vcc, s28, v92
	s_waitcnt vmcnt(0)
	s_nop 0
	v_cndmask_b32_e32 v7, 0, v7, vcc
	v_cmp_gt_i32_e32 vcc, s33, v89
	s_nop 1
	v_cndmask_b32_e32 v6, 0, v6, vcc
	v_cmp_gt_i32_e32 vcc, s28, v91
	;; [unrolled: 3-line block ×3, first 2 shown]
	s_nop 1
	v_cndmask_b32_e32 v8, 0, v8, vcc
	s_or_b64 exec, exec, s[12:13]
	global_load_dwordx4 v[10:13], v[50:51], off offset:1024
	s_and_saveexec_b64 s[12:13], s[0:1]
	s_cbranch_execz .LBB40_53
.LBB40_77:                              ;   in Loop: Header=BB40_50 Depth=1
	v_cmp_gt_i32_e32 vcc, s28, v92
	s_waitcnt vmcnt(0)
	s_nop 0
	v_cndmask_b32_e32 v11, 0, v11, vcc
	v_cmp_gt_i32_e32 vcc, s33, v89
	s_nop 1
	v_cndmask_b32_e32 v10, 0, v10, vcc
	v_cmp_gt_i32_e32 vcc, s28, v91
	;; [unrolled: 3-line block ×3, first 2 shown]
	s_nop 1
	v_cndmask_b32_e32 v12, 0, v12, vcc
	s_or_b64 exec, exec, s[12:13]
	global_load_dwordx4 v[14:17], v[50:51], off offset:2048
	s_and_saveexec_b64 s[12:13], s[0:1]
	s_cbranch_execz .LBB40_54
.LBB40_78:                              ;   in Loop: Header=BB40_50 Depth=1
	v_cmp_gt_i32_e32 vcc, s28, v92
	s_waitcnt vmcnt(0)
	s_nop 0
	v_cndmask_b32_e32 v15, 0, v15, vcc
	v_cmp_gt_i32_e32 vcc, s33, v89
	s_nop 1
	v_cndmask_b32_e32 v14, 0, v14, vcc
	v_cmp_gt_i32_e32 vcc, s28, v91
	;; [unrolled: 3-line block ×3, first 2 shown]
	s_nop 1
	v_cndmask_b32_e32 v16, 0, v16, vcc
	s_or_b64 exec, exec, s[12:13]
	global_load_dwordx4 v[18:21], v[50:51], off offset:3072
	s_and_saveexec_b64 s[12:13], s[0:1]
	s_cbranch_execnz .LBB40_55
	s_branch .LBB40_56
.LBB40_79:
	s_or_b64 exec, exec, s[6:7]
.LBB40_80:
	s_or_b64 exec, exec, s[2:3]
	ds_bpermute_b32 v2, v82, v72
	ds_bpermute_b32 v3, v82, v73
	;; [unrolled: 1-line block ×6, first 2 shown]
	s_waitcnt lgkmcnt(4)
	v_pk_add_f32 v[2:3], v[72:73], v[2:3]
	ds_bpermute_b32 v6, v83, v2
	s_waitcnt lgkmcnt(3)
	v_pk_add_f32 v[4:5], v[74:75], v[4:5]
	ds_bpermute_b32 v7, v83, v3
	ds_bpermute_b32 v10, v83, v4
	;; [unrolled: 1-line block ×3, first 2 shown]
	s_waitcnt lgkmcnt(4)
	v_pk_add_f32 v[8:9], v[70:71], v[8:9]
	ds_bpermute_b32 v14, v83, v8
	s_waitcnt lgkmcnt(3)
	v_pk_add_f32 v[2:3], v[2:3], v[6:7]
	ds_bpermute_b32 v6, v84, v2
	;; [unrolled: 3-line block ×3, first 2 shown]
	ds_bpermute_b32 v12, v84, v10
	ds_bpermute_b32 v13, v84, v11
	;; [unrolled: 1-line block ×4, first 2 shown]
	s_waitcnt lgkmcnt(4)
	v_pk_add_f32 v[4:5], v[2:3], v[6:7]
	ds_bpermute_b32 v19, v82, v65
	s_waitcnt lgkmcnt(3)
	v_pk_add_f32 v[2:3], v[10:11], v[12:13]
	ds_bpermute_b32 v12, v82, v66
	ds_bpermute_b32 v13, v82, v67
	s_waitcnt lgkmcnt(4)
	v_pk_add_f32 v[6:7], v[8:9], v[14:15]
	ds_bpermute_b32 v8, v82, v68
	ds_bpermute_b32 v9, v82, v69
	;; [unrolled: 1-line block ×3, first 2 shown]
	s_waitcnt lgkmcnt(3)
	v_pk_add_f32 v[12:13], v[66:67], v[12:13]
	ds_bpermute_b32 v16, v83, v12
	ds_bpermute_b32 v17, v83, v13
	s_waitcnt lgkmcnt(3)
	v_pk_add_f32 v[8:9], v[68:69], v[8:9]
	ds_bpermute_b32 v14, v83, v8
	ds_bpermute_b32 v15, v83, v9
	;; [unrolled: 1-line block ×3, first 2 shown]
	s_waitcnt lgkmcnt(3)
	v_pk_add_f32 v[16:17], v[12:13], v[16:17]
	v_pk_add_f32 v[12:13], v[64:65], v[18:19]
	ds_bpermute_b32 v18, v83, v12
	s_waitcnt lgkmcnt(2)
	v_pk_add_f32 v[8:9], v[8:9], v[14:15]
	ds_bpermute_b32 v19, v83, v13
	s_waitcnt lgkmcnt(2)
	v_pk_add_f32 v[22:23], v[62:63], v[22:23]
	ds_bpermute_b32 v10, v84, v6
	ds_bpermute_b32 v11, v84, v7
	ds_bpermute_b32 v14, v84, v8
	ds_bpermute_b32 v15, v84, v9
	ds_bpermute_b32 v26, v83, v22
	ds_bpermute_b32 v27, v83, v23
	ds_bpermute_b32 v20, v84, v16
	ds_bpermute_b32 v21, v84, v17
	s_waitcnt lgkmcnt(8)
	v_pk_add_f32 v[18:19], v[12:13], v[18:19]
	ds_bpermute_b32 v24, v84, v18
	ds_bpermute_b32 v25, v84, v19
	s_waitcnt lgkmcnt(8)
	v_pk_add_f32 v[12:13], v[6:7], v[10:11]
	s_waitcnt lgkmcnt(6)
	v_pk_add_f32 v[10:11], v[8:9], v[14:15]
	;; [unrolled: 2-line block ×4, first 2 shown]
	ds_bpermute_b32 v16, v84, v14
	ds_bpermute_b32 v17, v84, v15
	v_and_b32_e32 v1, 0x3c7, v0
	s_waitcnt lgkmcnt(2)
	v_pk_add_f32 v[6:7], v[18:19], v[24:25]
	v_cmp_ne_u32_e32 vcc, 64, v1
	s_waitcnt lgkmcnt(0)
	s_barrier
	s_and_saveexec_b64 s[0:1], vcc
	s_xor_b64 s[0:1], exec, s[0:1]
; %bb.81:
                                        ; implicit-def: $vgpr81
; %bb.82:
	s_or_saveexec_b64 s[0:1], s[0:1]
	v_pk_add_f32 v[14:15], v[14:15], v[16:17]
	s_xor_b64 exec, exec, s[0:1]
	s_cbranch_execz .LBB40_84
; %bb.83:
	v_lshrrev_b32_e32 v16, 1, v81
	v_add_u32_e32 v16, 0x1d0, v16
	ds_write2_b32 v16, v4, v5 offset1:8
	ds_write2_b32 v16, v2, v3 offset0:16 offset1:24
	ds_write2_b32 v16, v12, v13 offset0:32 offset1:40
	ds_write2_b32 v16, v10, v11 offset0:48 offset1:56
	ds_write2_b32 v16, v8, v9 offset0:64 offset1:72
	ds_write2_b32 v16, v6, v7 offset0:80 offset1:88
	ds_write2_b32 v16, v14, v15 offset0:96 offset1:104
.LBB40_84:
	s_or_b64 exec, exec, s[0:1]
	v_cmp_gt_u32_e32 vcc, 64, v0
	v_lshrrev_b32_e32 v0, 3, v0
	s_waitcnt lgkmcnt(0)
	s_barrier
	s_and_saveexec_b64 s[0:1], vcc
	s_cbranch_execz .LBB40_101
; %bb.85:
	v_mov_b32_e32 v16, 0x1d0
	v_cmp_eq_u32_e32 vcc, 0, v85
	v_lshl_add_u32 v16, v0, 2, v16
	s_and_saveexec_b64 s[2:3], vcc
	s_cbranch_execnz .LBB40_104
; %bb.86:
	s_or_b64 exec, exec, s[2:3]
	s_and_saveexec_b64 s[2:3], vcc
	s_cbranch_execnz .LBB40_105
.LBB40_87:
	s_or_b64 exec, exec, s[2:3]
	s_and_saveexec_b64 s[2:3], vcc
	s_cbranch_execnz .LBB40_106
.LBB40_88:
	s_or_b64 exec, exec, s[2:3]
	s_and_saveexec_b64 s[2:3], vcc
	s_cbranch_execnz .LBB40_107
.LBB40_89:
	s_or_b64 exec, exec, s[2:3]
	s_and_saveexec_b64 s[2:3], vcc
	s_cbranch_execnz .LBB40_108
.LBB40_90:
	s_or_b64 exec, exec, s[2:3]
	s_and_saveexec_b64 s[2:3], vcc
	s_cbranch_execnz .LBB40_109
.LBB40_91:
	s_or_b64 exec, exec, s[2:3]
	s_and_saveexec_b64 s[2:3], vcc
	s_cbranch_execnz .LBB40_110
.LBB40_92:
	s_or_b64 exec, exec, s[2:3]
	s_and_saveexec_b64 s[2:3], vcc
	s_cbranch_execnz .LBB40_111
.LBB40_93:
	s_or_b64 exec, exec, s[2:3]
	s_and_saveexec_b64 s[2:3], vcc
	s_cbranch_execnz .LBB40_112
.LBB40_94:
	s_or_b64 exec, exec, s[2:3]
	s_and_saveexec_b64 s[2:3], vcc
	s_cbranch_execnz .LBB40_113
.LBB40_95:
	s_or_b64 exec, exec, s[2:3]
	s_and_saveexec_b64 s[2:3], vcc
	s_cbranch_execnz .LBB40_114
.LBB40_96:
	s_or_b64 exec, exec, s[2:3]
	s_and_saveexec_b64 s[2:3], vcc
	s_cbranch_execnz .LBB40_115
.LBB40_97:
	s_or_b64 exec, exec, s[2:3]
	s_and_saveexec_b64 s[2:3], vcc
	s_cbranch_execnz .LBB40_116
.LBB40_98:
	s_or_b64 exec, exec, s[2:3]
	s_and_saveexec_b64 s[2:3], vcc
	s_cbranch_execz .LBB40_100
.LBB40_99:
	ds_read_b32 v16, v16 offset:416
	s_waitcnt lgkmcnt(0)
	v_add_f32_e32 v15, v15, v16
.LBB40_100:
	s_or_b64 exec, exec, s[2:3]
.LBB40_101:
	s_or_b64 exec, exec, s[0:1]
	v_cmp_eq_u32_e32 vcc, 0, v1
	s_barrier
	s_and_saveexec_b64 s[0:1], vcc
	s_cbranch_execz .LBB40_103
; %bb.102:
	s_mul_i32 s0, s10, s11
	s_mul_i32 s0, s0, s5
	s_mulk_i32 s0, 0x70
	s_ashr_i32 s1, s0, 31
	s_lshl_b64 s[0:1], s[0:1], 2
	s_add_u32 s2, s22, s0
	s_mul_i32 s0, s11, s20
	s_addc_u32 s3, s23, s1
	s_ashr_i32 s1, s0, 31
	s_lshl_b64 s[0:1], s[0:1], 2
	s_add_u32 s2, s2, s0
	s_mul_i32 s0, s4, 0x70
	s_addc_u32 s3, s3, s1
	s_ashr_i32 s1, s0, 31
	s_lshl_b64 s[0:1], s[0:1], 2
	s_add_u32 s0, s2, s0
	s_addc_u32 s1, s3, s1
	v_lshlrev_b32_e32 v0, 2, v0
	global_store_dword v0, v4, s[0:1]
	global_store_dword v0, v5, s[0:1] offset:32
	global_store_dword v0, v2, s[0:1] offset:64
	;; [unrolled: 1-line block ×13, first 2 shown]
.LBB40_103:
	s_endpgm
.LBB40_104:
	ds_read_b32 v17, v16
	s_waitcnt lgkmcnt(0)
	v_add_f32_e32 v4, v4, v17
	s_or_b64 exec, exec, s[2:3]
	s_and_saveexec_b64 s[2:3], vcc
	s_cbranch_execz .LBB40_87
.LBB40_105:
	ds_read_b32 v17, v16 offset:32
	s_waitcnt lgkmcnt(0)
	v_add_f32_e32 v5, v5, v17
	s_or_b64 exec, exec, s[2:3]
	s_and_saveexec_b64 s[2:3], vcc
	s_cbranch_execz .LBB40_88
.LBB40_106:
	ds_read_b32 v17, v16 offset:64
	s_waitcnt lgkmcnt(0)
	v_add_f32_e32 v2, v2, v17
	s_or_b64 exec, exec, s[2:3]
	s_and_saveexec_b64 s[2:3], vcc
	s_cbranch_execz .LBB40_89
.LBB40_107:
	ds_read_b32 v17, v16 offset:96
	s_waitcnt lgkmcnt(0)
	v_add_f32_e32 v3, v3, v17
	s_or_b64 exec, exec, s[2:3]
	s_and_saveexec_b64 s[2:3], vcc
	s_cbranch_execz .LBB40_90
.LBB40_108:
	ds_read_b32 v17, v16 offset:128
	s_waitcnt lgkmcnt(0)
	v_add_f32_e32 v12, v12, v17
	s_or_b64 exec, exec, s[2:3]
	s_and_saveexec_b64 s[2:3], vcc
	s_cbranch_execz .LBB40_91
.LBB40_109:
	ds_read_b32 v17, v16 offset:160
	s_waitcnt lgkmcnt(0)
	v_add_f32_e32 v13, v13, v17
	s_or_b64 exec, exec, s[2:3]
	s_and_saveexec_b64 s[2:3], vcc
	s_cbranch_execz .LBB40_92
.LBB40_110:
	ds_read_b32 v17, v16 offset:192
	s_waitcnt lgkmcnt(0)
	v_add_f32_e32 v10, v10, v17
	s_or_b64 exec, exec, s[2:3]
	s_and_saveexec_b64 s[2:3], vcc
	s_cbranch_execz .LBB40_93
.LBB40_111:
	ds_read_b32 v17, v16 offset:224
	s_waitcnt lgkmcnt(0)
	v_add_f32_e32 v11, v11, v17
	s_or_b64 exec, exec, s[2:3]
	s_and_saveexec_b64 s[2:3], vcc
	s_cbranch_execz .LBB40_94
.LBB40_112:
	ds_read_b32 v17, v16 offset:256
	s_waitcnt lgkmcnt(0)
	v_add_f32_e32 v8, v8, v17
	s_or_b64 exec, exec, s[2:3]
	s_and_saveexec_b64 s[2:3], vcc
	s_cbranch_execz .LBB40_95
.LBB40_113:
	ds_read_b32 v17, v16 offset:288
	s_waitcnt lgkmcnt(0)
	v_add_f32_e32 v9, v9, v17
	s_or_b64 exec, exec, s[2:3]
	s_and_saveexec_b64 s[2:3], vcc
	s_cbranch_execz .LBB40_96
.LBB40_114:
	ds_read_b32 v17, v16 offset:320
	s_waitcnt lgkmcnt(0)
	v_add_f32_e32 v6, v6, v17
	s_or_b64 exec, exec, s[2:3]
	s_and_saveexec_b64 s[2:3], vcc
	s_cbranch_execz .LBB40_97
.LBB40_115:
	ds_read_b32 v17, v16 offset:352
	s_waitcnt lgkmcnt(0)
	v_add_f32_e32 v7, v7, v17
	s_or_b64 exec, exec, s[2:3]
	s_and_saveexec_b64 s[2:3], vcc
	s_cbranch_execz .LBB40_98
.LBB40_116:
	ds_read_b32 v17, v16 offset:384
	s_waitcnt lgkmcnt(0)
	v_add_f32_e32 v14, v14, v17
	s_or_b64 exec, exec, s[2:3]
	s_and_saveexec_b64 s[2:3], vcc
	s_cbranch_execnz .LBB40_99
	s_branch .LBB40_100
	.section	.rodata,"a",@progbits
	.p2align	6, 0x0
	.amdhsa_kernel _ZN4vllm25paged_attention_v1_kernelIffLi112ELi32ELi128ELNS_18Fp8KVCacheDataTypeE0ELb1EEEvPT_PKS2_PKT0_S8_ifPKiSA_iPKfiiiSC_SC_iiiii
		.amdhsa_group_segment_fixed_size 464
		.amdhsa_private_segment_fixed_size 0
		.amdhsa_kernarg_size 384
		.amdhsa_user_sgpr_count 2
		.amdhsa_user_sgpr_dispatch_ptr 0
		.amdhsa_user_sgpr_queue_ptr 0
		.amdhsa_user_sgpr_kernarg_segment_ptr 1
		.amdhsa_user_sgpr_dispatch_id 0
		.amdhsa_user_sgpr_kernarg_preload_length 0
		.amdhsa_user_sgpr_kernarg_preload_offset 0
		.amdhsa_user_sgpr_private_segment_size 0
		.amdhsa_uses_dynamic_stack 0
		.amdhsa_enable_private_segment 0
		.amdhsa_system_sgpr_workgroup_id_x 1
		.amdhsa_system_sgpr_workgroup_id_y 1
		.amdhsa_system_sgpr_workgroup_id_z 1
		.amdhsa_system_sgpr_workgroup_info 0
		.amdhsa_system_vgpr_workitem_id 0
		.amdhsa_next_free_vgpr 106
		.amdhsa_next_free_sgpr 47
		.amdhsa_accum_offset 108
		.amdhsa_reserve_vcc 1
		.amdhsa_float_round_mode_32 0
		.amdhsa_float_round_mode_16_64 0
		.amdhsa_float_denorm_mode_32 3
		.amdhsa_float_denorm_mode_16_64 3
		.amdhsa_dx10_clamp 1
		.amdhsa_ieee_mode 1
		.amdhsa_fp16_overflow 0
		.amdhsa_tg_split 0
		.amdhsa_exception_fp_ieee_invalid_op 0
		.amdhsa_exception_fp_denorm_src 0
		.amdhsa_exception_fp_ieee_div_zero 0
		.amdhsa_exception_fp_ieee_overflow 0
		.amdhsa_exception_fp_ieee_underflow 0
		.amdhsa_exception_fp_ieee_inexact 0
		.amdhsa_exception_int_div_zero 0
	.end_amdhsa_kernel
	.section	.text._ZN4vllm25paged_attention_v1_kernelIffLi112ELi32ELi128ELNS_18Fp8KVCacheDataTypeE0ELb1EEEvPT_PKS2_PKT0_S8_ifPKiSA_iPKfiiiSC_SC_iiiii,"axG",@progbits,_ZN4vllm25paged_attention_v1_kernelIffLi112ELi32ELi128ELNS_18Fp8KVCacheDataTypeE0ELb1EEEvPT_PKS2_PKT0_S8_ifPKiSA_iPKfiiiSC_SC_iiiii,comdat
.Lfunc_end40:
	.size	_ZN4vllm25paged_attention_v1_kernelIffLi112ELi32ELi128ELNS_18Fp8KVCacheDataTypeE0ELb1EEEvPT_PKS2_PKT0_S8_ifPKiSA_iPKfiiiSC_SC_iiiii, .Lfunc_end40-_ZN4vllm25paged_attention_v1_kernelIffLi112ELi32ELi128ELNS_18Fp8KVCacheDataTypeE0ELb1EEEvPT_PKS2_PKT0_S8_ifPKiSA_iPKfiiiSC_SC_iiiii
                                        ; -- End function
	.set _ZN4vllm25paged_attention_v1_kernelIffLi112ELi32ELi128ELNS_18Fp8KVCacheDataTypeE0ELb1EEEvPT_PKS2_PKT0_S8_ifPKiSA_iPKfiiiSC_SC_iiiii.num_vgpr, 106
	.set _ZN4vllm25paged_attention_v1_kernelIffLi112ELi32ELi128ELNS_18Fp8KVCacheDataTypeE0ELb1EEEvPT_PKS2_PKT0_S8_ifPKiSA_iPKfiiiSC_SC_iiiii.num_agpr, 0
	.set _ZN4vllm25paged_attention_v1_kernelIffLi112ELi32ELi128ELNS_18Fp8KVCacheDataTypeE0ELb1EEEvPT_PKS2_PKT0_S8_ifPKiSA_iPKfiiiSC_SC_iiiii.numbered_sgpr, 47
	.set _ZN4vllm25paged_attention_v1_kernelIffLi112ELi32ELi128ELNS_18Fp8KVCacheDataTypeE0ELb1EEEvPT_PKS2_PKT0_S8_ifPKiSA_iPKfiiiSC_SC_iiiii.num_named_barrier, 0
	.set _ZN4vllm25paged_attention_v1_kernelIffLi112ELi32ELi128ELNS_18Fp8KVCacheDataTypeE0ELb1EEEvPT_PKS2_PKT0_S8_ifPKiSA_iPKfiiiSC_SC_iiiii.private_seg_size, 0
	.set _ZN4vllm25paged_attention_v1_kernelIffLi112ELi32ELi128ELNS_18Fp8KVCacheDataTypeE0ELb1EEEvPT_PKS2_PKT0_S8_ifPKiSA_iPKfiiiSC_SC_iiiii.uses_vcc, 1
	.set _ZN4vllm25paged_attention_v1_kernelIffLi112ELi32ELi128ELNS_18Fp8KVCacheDataTypeE0ELb1EEEvPT_PKS2_PKT0_S8_ifPKiSA_iPKfiiiSC_SC_iiiii.uses_flat_scratch, 0
	.set _ZN4vllm25paged_attention_v1_kernelIffLi112ELi32ELi128ELNS_18Fp8KVCacheDataTypeE0ELb1EEEvPT_PKS2_PKT0_S8_ifPKiSA_iPKfiiiSC_SC_iiiii.has_dyn_sized_stack, 0
	.set _ZN4vllm25paged_attention_v1_kernelIffLi112ELi32ELi128ELNS_18Fp8KVCacheDataTypeE0ELb1EEEvPT_PKS2_PKT0_S8_ifPKiSA_iPKfiiiSC_SC_iiiii.has_recursion, 0
	.set _ZN4vllm25paged_attention_v1_kernelIffLi112ELi32ELi128ELNS_18Fp8KVCacheDataTypeE0ELb1EEEvPT_PKS2_PKT0_S8_ifPKiSA_iPKfiiiSC_SC_iiiii.has_indirect_call, 0
	.section	.AMDGPU.csdata,"",@progbits
; Kernel info:
; codeLenInByte = 7176
; TotalNumSgprs: 53
; NumVgprs: 106
; NumAgprs: 0
; TotalNumVgprs: 106
; ScratchSize: 0
; MemoryBound: 0
; FloatMode: 240
; IeeeMode: 1
; LDSByteSize: 464 bytes/workgroup (compile time only)
; SGPRBlocks: 6
; VGPRBlocks: 13
; NumSGPRsForWavesPerEU: 53
; NumVGPRsForWavesPerEU: 106
; AccumOffset: 108
; Occupancy: 4
; WaveLimiterHint : 1
; COMPUTE_PGM_RSRC2:SCRATCH_EN: 0
; COMPUTE_PGM_RSRC2:USER_SGPR: 2
; COMPUTE_PGM_RSRC2:TRAP_HANDLER: 0
; COMPUTE_PGM_RSRC2:TGID_X_EN: 1
; COMPUTE_PGM_RSRC2:TGID_Y_EN: 1
; COMPUTE_PGM_RSRC2:TGID_Z_EN: 1
; COMPUTE_PGM_RSRC2:TIDIG_COMP_CNT: 0
; COMPUTE_PGM_RSRC3_GFX90A:ACCUM_OFFSET: 26
; COMPUTE_PGM_RSRC3_GFX90A:TG_SPLIT: 0
	.section	.text._ZN4vllm25paged_attention_v1_kernelIffLi120ELi32ELi128ELNS_18Fp8KVCacheDataTypeE0ELb1EEEvPT_PKS2_PKT0_S8_ifPKiSA_iPKfiiiSC_SC_iiiii,"axG",@progbits,_ZN4vllm25paged_attention_v1_kernelIffLi120ELi32ELi128ELNS_18Fp8KVCacheDataTypeE0ELb1EEEvPT_PKS2_PKT0_S8_ifPKiSA_iPKfiiiSC_SC_iiiii,comdat
	.protected	_ZN4vllm25paged_attention_v1_kernelIffLi120ELi32ELi128ELNS_18Fp8KVCacheDataTypeE0ELb1EEEvPT_PKS2_PKT0_S8_ifPKiSA_iPKfiiiSC_SC_iiiii ; -- Begin function _ZN4vllm25paged_attention_v1_kernelIffLi120ELi32ELi128ELNS_18Fp8KVCacheDataTypeE0ELb1EEEvPT_PKS2_PKT0_S8_ifPKiSA_iPKfiiiSC_SC_iiiii
	.globl	_ZN4vllm25paged_attention_v1_kernelIffLi120ELi32ELi128ELNS_18Fp8KVCacheDataTypeE0ELb1EEEvPT_PKS2_PKT0_S8_ifPKiSA_iPKfiiiSC_SC_iiiii
	.p2align	8
	.type	_ZN4vllm25paged_attention_v1_kernelIffLi120ELi32ELi128ELNS_18Fp8KVCacheDataTypeE0ELb1EEEvPT_PKS2_PKT0_S8_ifPKiSA_iPKfiiiSC_SC_iiiii,@function
_ZN4vllm25paged_attention_v1_kernelIffLi120ELi32ELi128ELNS_18Fp8KVCacheDataTypeE0ELb1EEEvPT_PKS2_PKT0_S8_ifPKiSA_iPKfiiiSC_SC_iiiii: ; @_ZN4vllm25paged_attention_v1_kernelIffLi120ELi32ELi128ELNS_18Fp8KVCacheDataTypeE0ELb1EEEvPT_PKS2_PKT0_S8_ifPKiSA_iPKfiiiSC_SC_iiiii
; %bb.0:
	s_load_dword s5, s[0:1], 0x80
	s_load_dwordx2 s[6:7], s[0:1], 0x30
	s_load_dwordx2 s[30:31], s[0:1], 0x20
	s_mov_b32 s10, s3
	s_ashr_i32 s11, s3, 31
	s_lshl_b64 s[8:9], s[10:11], 2
	s_waitcnt lgkmcnt(0)
	s_add_u32 s6, s6, s8
	s_addc_u32 s7, s7, s9
	s_abs_i32 s3, s30
	v_cvt_f32_u32_e32 v1, s3
	s_sub_i32 s11, 0, s3
	s_abs_i32 s9, s5
	s_xor_b32 s8, s5, s30
	v_rcp_iflag_f32_e32 v1, v1
	s_ashr_i32 s8, s8, 31
	s_mov_b32 s42, 0
	v_mul_f32_e32 v1, 0x4f7ffffe, v1
	v_cvt_u32_f32_e32 v1, v1
	s_nop 0
	v_readfirstlane_b32 s12, v1
	s_mul_i32 s11, s11, s12
	s_mul_hi_u32 s11, s12, s11
	s_add_i32 s12, s12, s11
	s_mul_hi_u32 s11, s9, s12
	s_mul_i32 s12, s11, s3
	s_sub_i32 s9, s9, s12
	s_add_i32 s12, s11, 1
	s_sub_i32 s13, s9, s3
	s_cmp_ge_u32 s9, s3
	s_cselect_b32 s11, s12, s11
	s_cselect_b32 s9, s13, s9
	s_add_i32 s12, s11, 1
	s_cmp_ge_u32 s9, s3
	s_cselect_b32 s3, s12, s11
	s_xor_b32 s3, s3, s8
	s_sub_i32 s12, s3, s8
	s_abs_i32 s11, s12
	v_cvt_f32_u32_e32 v1, s11
	s_load_dwordx2 s[8:9], s[0:1], 0x40
	s_sub_i32 s3, 0, s11
	s_abs_i32 s22, s2
	v_rcp_iflag_f32_e32 v1, v1
	s_nop 0
	v_mul_f32_e32 v1, 0x4f7ffffe, v1
	v_cvt_u32_f32_e32 v1, v1
	s_nop 0
	v_readfirstlane_b32 s13, v1
	s_mul_i32 s3, s3, s13
	s_mul_hi_u32 s3, s13, s3
	s_add_i32 s13, s13, s3
	s_waitcnt lgkmcnt(0)
	s_cmp_eq_u64 s[8:9], 0
	s_mul_hi_u32 s23, s22, s13
	s_cbranch_scc1 .LBB41_2
; %bb.1:
	s_ashr_i32 s3, s2, 31
	s_lshl_b64 s[14:15], s[2:3], 2
	s_add_u32 s8, s8, s14
	s_addc_u32 s9, s9, s15
	s_load_dword s42, s[8:9], 0x0
.LBB41_2:
	s_load_dword s33, s[6:7], 0x0
	s_ashr_i32 s9, s12, 31
	s_load_dwordx4 s[12:15], s[0:1], 0x48
	s_ashr_i32 s3, s2, 31
	v_and_b32_e32 v4, 1, v0
	s_mul_i32 s20, s2, 0x78
	v_cmp_gt_u32_e32 vcc, 60, v0
	v_lshlrev_b32_e32 v2, 3, v0
	v_lshlrev_b32_e32 v34, 2, v0
	s_and_saveexec_b64 s[6:7], vcc
	s_cbranch_execz .LBB41_4
; %bb.3:
	s_load_dwordx2 s[16:17], s[0:1], 0x8
	s_waitcnt lgkmcnt(0)
	s_mul_i32 s18, s12, s10
	s_ashr_i32 s19, s18, 31
	s_lshl_b64 s[18:19], s[18:19], 2
	v_and_b32_e32 v1, 0xff8, v34
	s_add_u32 s8, s16, s18
	s_addc_u32 s12, s17, s19
	s_ashr_i32 s21, s20, 31
	s_lshl_b64 s[16:17], s[20:21], 2
	s_add_u32 s16, s8, s16
	s_addc_u32 s17, s12, s17
	global_load_dwordx2 v[6:7], v2, s[16:17]
	s_movk_i32 s8, 0xf0
	v_mad_u32_u24 v1, v4, s8, v1
	s_waitcnt vmcnt(0)
	ds_write_b64 v1, v[6:7]
.LBB41_4:
	s_or_b64 exec, exec, s[6:7]
	s_mul_i32 s6, s23, s11
	s_sub_i32 s6, s22, s6
	s_xor_b32 s3, s3, s9
	s_add_i32 s7, s23, 1
	s_sub_i32 s9, s6, s11
	s_load_dwordx4 s[16:19], s[0:1], 0x68
	s_load_dword s8, s[0:1], 0x78
	s_cmp_ge_u32 s6, s11
	s_cselect_b32 s7, s7, s23
	s_cselect_b32 s6, s9, s6
	s_add_i32 s9, s7, 1
	s_cmp_ge_u32 s6, s11
	s_cselect_b32 s6, s9, s7
	s_waitcnt lgkmcnt(0)
	s_abs_i32 s21, s19
	v_cvt_f32_u32_e32 v1, s21
	s_xor_b32 s6, s6, s3
	s_sub_i32 s3, s6, s3
	s_sub_i32 s6, 0, s21
	v_rcp_iflag_f32_e32 v1, v1
	s_add_i32 s11, s33, -1
	s_abs_i32 s9, s11
	v_mul_f32_e32 v1, 0x4f7ffffe, v1
	v_cvt_u32_f32_e32 v1, v1
	s_barrier
	v_readfirstlane_b32 s40, v1
	s_mul_i32 s6, s6, s40
	s_mul_hi_u32 s6, s40, s6
	s_add_i32 s40, s40, s6
	s_cmp_lt_i32 s8, 0
	s_mul_hi_u32 s12, s9, s40
	s_cbranch_scc0 .LBB41_6
; %bb.5:
	s_mul_i32 s6, s16, s30
	s_add_i32 s6, s3, s6
	s_mul_i32 s6, s6, s8
	s_sub_i32 s41, 1, s6
	s_mov_b64 s[6:7], 0
	s_branch .LBB41_7
.LBB41_6:
	s_mov_b64 s[6:7], -1
                                        ; implicit-def: $sgpr41
.LBB41_7:
	s_load_dwordx2 s[24:25], s[0:1], 0x28
	s_ashr_i32 s15, s11, 31
	s_andn2_b64 vcc, exec, s[6:7]
	s_ashr_i32 s19, s19, 31
	s_cbranch_vccnz .LBB41_9
; %bb.8:
	s_mul_i32 s6, s5, s16
	s_add_i32 s2, s6, s2
	s_mul_i32 s2, s2, s8
	s_add_i32 s41, s2, 1
.LBB41_9:
	s_load_dword s2, s[0:1], 0x38
	s_load_dwordx2 s[22:23], s[0:1], 0x0
	s_load_dwordx2 s[28:29], s[0:1], 0x18
	s_load_dword s11, s[0:1], 0x88
	s_xor_b32 s6, s15, s19
	s_waitcnt lgkmcnt(0)
	s_mul_i32 s26, s2, s10
	s_mul_i32 s2, s12, s21
	s_sub_i32 s2, s9, s2
	s_ashr_i32 s27, s26, 31
	s_add_i32 s7, s12, 1
	s_sub_i32 s8, s2, s21
	s_cmp_ge_u32 s2, s21
	s_cselect_b32 s7, s7, s12
	s_cselect_b32 s2, s8, s2
	s_add_i32 s8, s7, 1
	s_cmp_ge_u32 s2, s21
	s_cselect_b32 s2, s8, s7
	s_xor_b32 s2, s2, s6
	s_sub_i32 s12, s2, s6
	s_add_i32 s2, s33, 31
	s_ashr_i32 s6, s2, 31
	s_lshr_b32 s6, s6, 27
	s_add_i32 s2, s2, s6
	s_ashr_i32 s16, s2, 5
	v_lshrrev_b32_e32 v1, 6, v0
	v_cmp_gt_i32_e64 s[6:7], s16, v1
	v_mov_b32_e32 v39, 0xff7fffff
	s_mul_i32 s14, s3, s14
	v_lshrrev_b32_e32 v35, 4, v0
	v_lshlrev_b32_e32 v86, 5, v1
	v_mbcnt_lo_u32_b32 v36, -1, 0
	s_and_saveexec_b64 s[34:35], s[6:7]
	s_cbranch_execz .LBB41_21
; %bb.10:
	s_load_dwordx2 s[0:1], s[0:1], 0x10
	s_ashr_i32 s15, s14, 31
	s_sub_i32 s30, s12, s17
	s_lshl_b64 s[2:3], s[14:15], 2
	v_bfe_u32 v37, v0, 1, 5
	s_waitcnt lgkmcnt(0)
	s_add_u32 s0, s0, s2
	s_addc_u32 s1, s1, s3
	s_abs_i32 s15, s18
	v_cvt_f32_u32_e32 v3, s15
	v_lshlrev_b32_e32 v6, 4, v37
	v_mov_b32_e32 v7, 0
	v_lshl_add_u64 v[8:9], s[0:1], 0, v[6:7]
	v_rcp_iflag_f32_e32 v5, v3
	s_sub_i32 s0, 0, s15
	v_cmp_eq_u32_e32 vcc, 0, v4
	v_mul_u32_u24_e32 v38, 0xf0, v4
	v_mul_f32_e32 v5, 0x4f7ffffe, v5
	v_cvt_u32_f32_e32 v5, v5
	v_and_b32_e32 v6, 8, v2
	v_lshl_add_u64 v[2:3], v[8:9], 0, v[6:7]
	v_and_b32_e32 v6, 60, v35
	v_mul_lo_u32 v4, s0, v5
	s_lshl_b64 s[0:1], s[26:27], 2
	s_add_u32 s0, s24, s0
	v_mul_hi_u32 v4, v5, v4
	s_addc_u32 s1, s25, s1
	v_lshlrev_b32_e32 v10, 2, v37
	v_add_u32_e32 v40, v5, v4
	v_lshl_add_u64 v[4:5], s[0:1], 0, v[6:7]
	v_subrev_u32_e32 v6, s33, v37
	v_add_u32_e32 v42, 1, v6
	v_lshl_or_b32 v6, v1, 7, v10
	v_mbcnt_hi_u32_b32 v45, -1, v36
	v_add_u32_e32 v43, 0x1f0, v6
	v_and_b32_e32 v6, 64, v45
	s_mov_b32 s43, s13
	v_cmp_neq_f32_e64 s[2:3], s42, 0
	v_lshlrev_b32_e32 v41, 5, v1
	v_mov_b32_e32 v44, 0xff7fffff
	s_mov_b64 s[36:37], 0
	s_movk_i32 s44, 0x1000
	s_movk_i32 s45, 0x2000
	;; [unrolled: 1-line block ×3, first 2 shown]
	v_xor_b32_e32 v46, 1, v45
	v_add_u32_e32 v47, 64, v6
	v_mov_b32_e32 v39, 0xff7fffff
	v_mov_b32_e32 v48, v1
	s_branch .LBB41_13
.LBB41_11:                              ;   in Loop: Header=BB41_13 Depth=1
	s_or_b64 exec, exec, s[38:39]
.LBB41_12:                              ;   in Loop: Header=BB41_13 Depth=1
	s_or_b64 exec, exec, s[8:9]
	v_add_u32_e32 v48, 2, v48
	v_cmp_le_i32_e64 s[0:1], s16, v48
	v_lshl_add_u64 v[4:5], v[4:5], 0, 8
	v_add_u32_e32 v41, 64, v41
	s_or_b64 s[36:37], s[0:1], s[36:37]
	v_add_u32_e32 v43, 0x100, v43
	s_andn2_b64 exec, exec, s[36:37]
	s_cbranch_execz .LBB41_20
.LBB41_13:                              ; =>This Inner Loop Header: Depth=1
	v_mul_hi_u32 v6, v41, s40
	s_waitcnt lgkmcnt(0)
	v_mul_lo_u32 v7, v6, s21
	v_sub_u32_e32 v7, v41, v7
	v_add_u32_e32 v8, 1, v6
	v_cmp_le_u32_e64 s[0:1], s21, v7
	s_nop 1
	v_cndmask_b32_e64 v6, v6, v8, s[0:1]
	v_subrev_u32_e32 v8, s21, v7
	v_cndmask_b32_e64 v7, v7, v8, s[0:1]
	v_add_u32_e32 v8, 1, v6
	v_cmp_le_u32_e64 s[0:1], s21, v7
	s_nop 1
	v_cndmask_b32_e64 v6, v6, v8, s[0:1]
	v_xor_b32_e32 v6, s19, v6
	v_subrev_u32_e32 v6, s19, v6
	v_add_u32_e32 v7, s41, v6
	v_sub_u32_e32 v9, 0, v7
	v_ashrrev_i32_e32 v8, 31, v7
	v_max_i32_e32 v7, v7, v9
	v_mul_hi_u32 v9, v7, v40
	v_mul_lo_u32 v9, v9, s15
	v_sub_u32_e32 v7, v7, v9
	v_subrev_u32_e32 v9, s15, v7
	v_cmp_le_u32_e64 s[0:1], s15, v7
	v_cmp_ge_i32_e64 s[8:9], s30, v6
	s_nop 0
	v_cndmask_b32_e64 v7, v7, v9, s[0:1]
	v_subrev_u32_e32 v9, s15, v7
	v_cmp_le_u32_e64 s[0:1], s15, v7
	s_nop 1
	v_cndmask_b32_e64 v7, v7, v9, s[0:1]
	v_xor_b32_e32 v7, v7, v8
	v_sub_u32_e32 v7, v7, v8
	v_cmp_ne_u32_e64 s[0:1], 0, v7
	s_and_b64 s[0:1], s[0:1], s[8:9]
	s_and_saveexec_b64 s[8:9], s[0:1]
	s_xor_b64 s[0:1], exec, s[8:9]
	s_cbranch_execz .LBB41_17
; %bb.14:                               ;   in Loop: Header=BB41_13 Depth=1
	s_and_saveexec_b64 s[8:9], vcc
; %bb.15:                               ;   in Loop: Header=BB41_13 Depth=1
	ds_write_b32 v43, v44
; %bb.16:                               ;   in Loop: Header=BB41_13 Depth=1
	s_or_b64 exec, exec, s[8:9]
.LBB41_17:                              ;   in Loop: Header=BB41_13 Depth=1
	s_andn2_saveexec_b64 s[8:9], s[0:1]
	s_cbranch_execz .LBB41_12
; %bb.18:                               ;   in Loop: Header=BB41_13 Depth=1
	global_load_dword v6, v[4:5], off
	s_waitcnt vmcnt(0)
	v_mad_i64_i32 v[6:7], s[0:1], v6, s43, 0
	v_lshl_add_u64 v[18:19], v[6:7], 2, v[2:3]
	global_load_dwordx2 v[24:25], v[18:19], off offset:512
	global_load_dwordx2 v[26:27], v[18:19], off
	global_load_dwordx2 v[28:29], v[18:19], off offset:1024
	global_load_dwordx2 v[60:61], v[18:19], off offset:1536
	;; [unrolled: 1-line block ×6, first 2 shown]
	v_add_co_u32_e64 v70, s[0:1], s45, v18
	s_nop 1
	v_addc_co_u32_e64 v71, s[0:1], 0, v19, s[0:1]
	global_load_dwordx2 v[72:73], v[70:71], off offset:-4096
	v_add_co_u32_e64 v52, s[0:1], s44, v18
	s_nop 1
	v_addc_co_u32_e64 v53, s[0:1], 0, v19, s[0:1]
	global_load_dwordx2 v[74:75], v[52:53], off offset:512
	global_load_dwordx2 v[32:33], v[52:53], off offset:1024
	ds_read_b128 v[6:9], v38
	ds_read_b128 v[10:13], v38 offset:16
	global_load_dwordx2 v[30:31], v[52:53], off offset:1536
	ds_read_b128 v[14:17], v38 offset:32
	ds_read_b128 v[20:23], v38 offset:48
	global_load_dwordx2 v[76:77], v[52:53], off offset:2048
	global_load_dwordx2 v[78:79], v[52:53], off offset:2560
	;; [unrolled: 1-line block ×4, first 2 shown]
	ds_read_b128 v[52:55], v38 offset:64
	ds_read_b128 v[56:59], v38 offset:80
	global_load_dwordx2 v[84:85], v[70:71], off
	global_load_dwordx2 v[88:89], v[70:71], off offset:512
	s_waitcnt vmcnt(17) lgkmcnt(5)
	v_mul_f32_e32 v49, v8, v24
	v_mul_f32_e32 v50, v9, v25
	s_waitcnt vmcnt(16)
	v_fmac_f32_e32 v49, v6, v26
	v_fmac_f32_e32 v50, v7, v27
	global_load_dwordx2 v[8:9], v[70:71], off offset:1024
	global_load_dwordx2 v[6:7], v[70:71], off offset:1536
	s_waitcnt vmcnt(17) lgkmcnt(4)
	v_fmac_f32_e32 v49, v10, v28
	v_fmac_f32_e32 v50, v11, v29
	s_waitcnt vmcnt(16)
	v_fmac_f32_e32 v49, v12, v60
	v_fmac_f32_e32 v50, v13, v61
	v_add_co_u32_e64 v26, s[0:1], s46, v18
	s_waitcnt vmcnt(15) lgkmcnt(3)
	v_fmac_f32_e32 v49, v14, v62
	v_fmac_f32_e32 v50, v15, v63
	v_addc_co_u32_e64 v27, s[0:1], 0, v19, s[0:1]
	s_waitcnt vmcnt(14)
	v_fmac_f32_e32 v49, v16, v64
	v_fmac_f32_e32 v50, v17, v65
	global_load_dwordx2 v[18:19], v[70:71], off offset:2048
	global_load_dwordx2 v[14:15], v[70:71], off offset:2560
	;; [unrolled: 1-line block ×4, first 2 shown]
	s_waitcnt vmcnt(17) lgkmcnt(2)
	v_fmac_f32_e32 v49, v20, v66
	v_fmac_f32_e32 v50, v21, v67
	global_load_dwordx2 v[20:21], v[26:27], off
	s_waitcnt vmcnt(17)
	v_fmac_f32_e32 v49, v22, v68
	v_fmac_f32_e32 v50, v23, v69
	global_load_dwordx2 v[24:25], v[26:27], off offset:512
	global_load_dwordx2 v[22:23], v[26:27], off offset:1024
	global_load_dwordx2 v[16:17], v[26:27], off offset:2560
	global_load_dwordx2 v[28:29], v[26:27], off offset:1536
	s_nop 0
	global_load_dwordx2 v[26:27], v[26:27], off offset:2048
	s_waitcnt vmcnt(21) lgkmcnt(1)
	v_fmac_f32_e32 v49, v52, v72
	v_fmac_f32_e32 v50, v53, v73
	s_waitcnt vmcnt(20)
	v_fmac_f32_e32 v49, v54, v74
	v_fmac_f32_e32 v50, v55, v75
	ds_read_b128 v[52:55], v38 offset:96
	ds_read_b128 v[60:63], v38 offset:112
	s_waitcnt vmcnt(19) lgkmcnt(2)
	v_fmac_f32_e32 v49, v56, v32
	v_fmac_f32_e32 v50, v57, v33
	s_waitcnt vmcnt(18)
	v_fmac_f32_e32 v49, v58, v30
	v_fmac_f32_e32 v50, v59, v31
	s_waitcnt vmcnt(17) lgkmcnt(1)
	v_fmac_f32_e32 v49, v52, v76
	v_fmac_f32_e32 v50, v53, v77
	ds_read_b128 v[30:33], v38 offset:128
	ds_read_b128 v[56:59], v38 offset:144
	s_waitcnt vmcnt(16)
	v_fmac_f32_e32 v49, v54, v78
	v_fmac_f32_e32 v50, v55, v79
	s_waitcnt vmcnt(15) lgkmcnt(2)
	v_fmac_f32_e32 v49, v60, v80
	v_fmac_f32_e32 v50, v61, v81
	s_waitcnt vmcnt(14)
	v_fmac_f32_e32 v49, v62, v82
	v_fmac_f32_e32 v50, v63, v83
	ds_read_b128 v[52:55], v38 offset:160
	ds_read_b128 v[64:67], v38 offset:176
	s_waitcnt vmcnt(13) lgkmcnt(3)
	v_fmac_f32_e32 v49, v30, v84
	v_fmac_f32_e32 v50, v31, v85
	s_waitcnt vmcnt(12)
	v_fmac_f32_e32 v49, v32, v88
	v_fmac_f32_e32 v50, v33, v89
	ds_read_b128 v[30:33], v38 offset:192
	ds_read_b128 v[60:63], v38 offset:208
	;; [unrolled: 1-line block ×3, first 2 shown]
	v_cmp_lt_i32_e64 s[0:1], v46, v47
	s_waitcnt vmcnt(11) lgkmcnt(5)
	v_fmac_f32_e32 v49, v56, v8
	v_fmac_f32_e32 v50, v57, v9
	s_waitcnt vmcnt(10)
	v_fmac_f32_e32 v49, v58, v6
	v_fmac_f32_e32 v50, v59, v7
	v_cndmask_b32_e64 v51, v45, v46, s[0:1]
	v_lshlrev_b32_e32 v51, 2, v51
	s_waitcnt vmcnt(9) lgkmcnt(4)
	v_fmac_f32_e32 v49, v52, v18
	v_fmac_f32_e32 v50, v53, v19
	s_waitcnt vmcnt(8)
	v_fmac_f32_e32 v49, v54, v14
	v_fmac_f32_e32 v50, v55, v15
	s_waitcnt vmcnt(7) lgkmcnt(3)
	v_fmac_f32_e32 v49, v64, v12
	v_fmac_f32_e32 v50, v65, v13
	s_waitcnt vmcnt(6)
	v_fmac_f32_e32 v49, v66, v10
	v_fmac_f32_e32 v50, v67, v11
	s_waitcnt vmcnt(5) lgkmcnt(2)
	v_fmac_f32_e32 v49, v30, v20
	v_fmac_f32_e32 v50, v31, v21
	s_waitcnt vmcnt(4)
	v_fmac_f32_e32 v49, v24, v32
	v_fmac_f32_e32 v50, v25, v33
	s_waitcnt vmcnt(3) lgkmcnt(1)
	v_fmac_f32_e32 v49, v22, v60
	v_fmac_f32_e32 v50, v23, v61
	s_waitcnt vmcnt(1)
	v_fmac_f32_e32 v49, v28, v62
	v_fmac_f32_e32 v50, v29, v63
	s_waitcnt vmcnt(0) lgkmcnt(0)
	v_fmac_f32_e32 v49, v26, v68
	v_fmac_f32_e32 v50, v27, v69
	;; [unrolled: 1-line block ×4, first 2 shown]
	v_add_f32_e32 v6, v49, v50
	ds_bpermute_b32 v7, v51, v6
	s_and_saveexec_b64 s[38:39], vcc
	s_cbranch_execz .LBB41_11
; %bb.19:                               ;   in Loop: Header=BB41_13 Depth=1
	v_add_u32_e32 v8, v42, v41
	v_cvt_f32_i32_e32 v8, v8
	s_waitcnt lgkmcnt(0)
	v_add_f32_e32 v6, v6, v7
	v_add_u32_e32 v9, v37, v41
	v_cmp_gt_i32_e64 s[0:1], s33, v9
	v_mul_f32_e32 v7, s42, v8
	v_cndmask_b32_e64 v7, 0, v7, s[2:3]
	v_fmac_f32_e32 v7, s31, v6
	v_cndmask_b32_e64 v6, 0, v7, s[0:1]
	ds_write_b32 v43, v6
	v_max_f32_e32 v6, v39, v39
	v_max_f32_e32 v6, v6, v7
	v_cndmask_b32_e64 v39, v39, v6, s[0:1]
	s_branch .LBB41_11
.LBB41_20:
	s_or_b64 exec, exec, s[36:37]
.LBB41_21:
	s_or_b64 exec, exec, s[34:35]
	v_mbcnt_hi_u32_b32 v2, -1, v36
	v_and_b32_e32 v8, 64, v2
	v_add_u32_e32 v9, 64, v8
	v_xor_b32_e32 v3, 32, v2
	v_cmp_lt_i32_e32 vcc, v3, v9
	v_xor_b32_e32 v6, 16, v2
	v_max_f32_e32 v5, v39, v39
	v_cndmask_b32_e32 v3, v2, v3, vcc
	v_lshlrev_b32_e32 v3, 2, v3
	ds_bpermute_b32 v4, v3, v39
	v_cmp_lt_i32_e32 vcc, v6, v9
	s_waitcnt lgkmcnt(1)
	v_xor_b32_e32 v7, 8, v2
	v_xor_b32_e32 v10, 4, v2
	v_and_b32_e32 v87, 63, v0
	s_waitcnt lgkmcnt(0)
	v_max_f32_e32 v4, v4, v4
	v_max_f32_e32 v5, v5, v4
	v_cndmask_b32_e32 v4, v2, v6, vcc
	v_lshlrev_b32_e32 v4, 2, v4
	ds_bpermute_b32 v6, v4, v5
	v_cmp_lt_i32_e32 vcc, v7, v9
	s_waitcnt lgkmcnt(0)
	v_max_f32_e32 v6, v6, v6
	v_max_f32_e32 v6, v5, v6
	v_cndmask_b32_e32 v5, v2, v7, vcc
	v_lshlrev_b32_e32 v5, 2, v5
	ds_bpermute_b32 v7, v5, v6
	v_cmp_lt_i32_e32 vcc, v10, v9
	s_waitcnt lgkmcnt(0)
	v_max_f32_e32 v7, v7, v7
	v_max_f32_e32 v6, v6, v7
	v_cndmask_b32_e32 v7, v2, v10, vcc
	v_lshlrev_b32_e32 v88, 2, v7
	ds_bpermute_b32 v7, v88, v6
	v_xor_b32_e32 v10, 2, v2
	v_cmp_lt_i32_e32 vcc, v10, v9
	s_waitcnt lgkmcnt(0)
	v_max_f32_e32 v7, v7, v7
	v_max_f32_e32 v7, v6, v7
	v_cndmask_b32_e32 v6, v2, v10, vcc
	v_lshlrev_b32_e32 v89, 2, v6
	ds_bpermute_b32 v10, v89, v7
	v_cmp_eq_u32_e32 vcc, 0, v87
	v_lshlrev_b32_e32 v6, 2, v1
	s_and_saveexec_b64 s[0:1], vcc
	s_cbranch_execz .LBB41_23
; %bb.22:
	s_waitcnt lgkmcnt(0)
	v_max_f32_e32 v10, v10, v10
	v_max_f32_e32 v7, v7, v7
	;; [unrolled: 1-line block ×3, first 2 shown]
	ds_write_b32 v6, v7 offset:480
.LBB41_23:
	s_or_b64 exec, exec, s[0:1]
	v_cmp_gt_u32_e64 s[0:1], 2, v87
	s_waitcnt lgkmcnt(0)
	v_mov_b32_e32 v10, 0xff7fffff
	v_lshlrev_b32_e32 v7, 2, v87
	s_barrier
	s_and_saveexec_b64 s[2:3], s[0:1]
; %bb.24:
	ds_read_b32 v10, v7 offset:480
; %bb.25:
	s_or_b64 exec, exec, s[2:3]
	v_xor_b32_e32 v11, 1, v2
	v_cmp_lt_i32_e64 s[2:3], v11, v9
	v_lshlrev_b32_e32 v8, 2, v8
	s_nop 0
	v_cndmask_b32_e64 v9, v2, v11, s[2:3]
	v_lshlrev_b32_e32 v90, 2, v9
	s_waitcnt lgkmcnt(0)
	ds_bpermute_b32 v9, v90, v10
	v_max_f32_e32 v10, v10, v10
	s_lshl_b32 s2, s16, 5
	s_min_i32 s15, s2, s33
	v_cmp_gt_i32_e64 s[2:3], s15, v0
	s_waitcnt lgkmcnt(0)
	v_max_f32_e32 v9, v9, v9
	v_max_f32_e32 v9, v10, v9
	ds_bpermute_b32 v9, v8, v9
	v_mov_b32_e32 v8, 0
	s_and_saveexec_b64 s[30:31], s[2:3]
	s_cbranch_execz .LBB41_29
; %bb.26:
	v_mov_b32_e32 v8, 0x1f0
	v_lshl_add_u32 v10, v0, 2, v8
	v_mov_b32_e32 v8, 0
	s_mov_b64 s[34:35], 0
	v_mov_b32_e32 v11, v0
.LBB41_27:                              ; =>This Inner Loop Header: Depth=1
	ds_read_b32 v12, v10
	v_add_u32_e32 v11, 0x80, v11
	v_cmp_le_i32_e64 s[8:9], s15, v11
	s_or_b64 s[34:35], s[8:9], s[34:35]
	s_waitcnt lgkmcnt(0)
	v_sub_f32_e32 v12, v12, v9
	v_mul_f32_e32 v12, 0x3fb8aa3b, v12
	v_exp_f32_e32 v12, v12
	ds_write_b32 v10, v12
	v_add_f32_e32 v8, v8, v12
	v_add_u32_e32 v10, 0x200, v10
	s_andn2_b64 exec, exec, s[34:35]
	s_cbranch_execnz .LBB41_27
; %bb.28:
	s_or_b64 exec, exec, s[34:35]
.LBB41_29:
	s_or_b64 exec, exec, s[30:31]
	ds_bpermute_b32 v3, v3, v8
	s_waitcnt lgkmcnt(0)
	v_add_f32_e32 v3, v8, v3
	ds_bpermute_b32 v4, v4, v3
	s_waitcnt lgkmcnt(0)
	v_add_f32_e32 v3, v3, v4
	;; [unrolled: 3-line block ×6, first 2 shown]
	s_and_saveexec_b64 s[8:9], vcc
; %bb.30:
	ds_write_b32 v6, v3 offset:488
; %bb.31:
	s_or_b64 exec, exec, s[8:9]
	s_waitcnt lgkmcnt(0)
	s_barrier
	s_and_saveexec_b64 s[8:9], s[0:1]
; %bb.32:
	ds_read_b32 v3, v7 offset:488
; %bb.33:
	s_or_b64 exec, exec, s[8:9]
	s_waitcnt lgkmcnt(0)
	ds_bpermute_b32 v4, v90, v3
	v_lshlrev_b32_e32 v2, 2, v2
	v_and_b32_e32 v2, 0x100, v2
	s_waitcnt lgkmcnt(0)
	v_add_f32_e32 v3, v3, v4
	ds_bpermute_b32 v2, v2, v3
	s_and_saveexec_b64 s[0:1], s[2:3]
	s_cbranch_execz .LBB41_46
; %bb.34:
	s_waitcnt lgkmcnt(0)
	v_add_f32_e32 v2, 0x358637bd, v2
	v_div_scale_f32 v3, s[2:3], v2, v2, 1.0
	v_rcp_f32_e32 v4, v3
	v_div_scale_f32 v5, vcc, 1.0, v2, 1.0
	s_movk_i32 s2, 0x7f
	v_fma_f32 v6, -v3, v4, 1.0
	v_fmac_f32_e32 v4, v6, v4
	v_mul_f32_e32 v6, v5, v4
	v_fma_f32 v7, -v3, v6, v5
	v_fmac_f32_e32 v6, v7, v4
	v_fma_f32 v3, -v3, v6, v5
	v_div_fmas_f32 v3, v3, v4, v6
	v_xad_u32 v4, v0, -1, s15
	v_div_fixup_f32 v2, v3, v2, 1.0
	v_cmp_lt_u32_e32 vcc, s2, v4
	s_mov_b64 s[8:9], -1
	v_mov_b32_e32 v3, v0
	s_and_saveexec_b64 s[2:3], vcc
	s_cbranch_execz .LBB41_43
; %bb.35:
	v_lshrrev_b32_e32 v4, 7, v4
	v_add_u32_e32 v6, -1, v4
	v_lshrrev_b32_e32 v5, 1, v6
	v_mov_b32_e32 v3, v2
	v_add_u32_e32 v5, 1, v5
	v_cmp_lt_u32_e32 vcc, 13, v6
	v_mov_b32_e32 v8, 0
	s_and_saveexec_b64 s[8:9], vcc
	s_cbranch_execz .LBB41_39
; %bb.36:
	v_mov_b32_e32 v7, 0x1f0
	v_and_b32_e32 v6, -8, v5
	v_lshl_add_u32 v7, v0, 2, v7
	s_mov_b32 s34, 0
	s_mov_b64 s[30:31], 0
.LBB41_37:                              ; =>This Inner Loop Header: Depth=1
	ds_read2st64_b32 v[8:9], v7 offset1:2
	ds_read2st64_b32 v[10:11], v7 offset0:4 offset1:6
	ds_read2st64_b32 v[12:13], v7 offset0:8 offset1:10
	;; [unrolled: 1-line block ×3, first 2 shown]
	v_add_u32_e32 v6, -8, v6
	s_waitcnt lgkmcnt(3)
	v_pk_mul_f32 v[8:9], v[2:3], v[8:9]
	s_waitcnt lgkmcnt(2)
	v_pk_mul_f32 v[10:11], v[2:3], v[10:11]
	ds_write2st64_b32 v7, v8, v9 offset1:2
	ds_write2st64_b32 v7, v10, v11 offset0:4 offset1:6
	ds_read2st64_b32 v[10:11], v7 offset0:16 offset1:18
	s_waitcnt lgkmcnt(4)
	v_pk_mul_f32 v[8:9], v[2:3], v[12:13]
	ds_write2st64_b32 v7, v8, v9 offset0:8 offset1:10
	s_waitcnt lgkmcnt(4)
	v_pk_mul_f32 v[8:9], v[2:3], v[14:15]
	ds_write2st64_b32 v7, v8, v9 offset0:12 offset1:14
	ds_read2st64_b32 v[8:9], v7 offset0:20 offset1:22
	s_waitcnt lgkmcnt(3)
	v_pk_mul_f32 v[10:11], v[2:3], v[10:11]
	ds_read2st64_b32 v[12:13], v7 offset0:24 offset1:26
	ds_write2st64_b32 v7, v10, v11 offset0:16 offset1:18
	ds_read2st64_b32 v[10:11], v7 offset0:28 offset1:30
	s_waitcnt lgkmcnt(3)
	v_pk_mul_f32 v[8:9], v[2:3], v[8:9]
	ds_write2st64_b32 v7, v8, v9 offset0:20 offset1:22
	s_waitcnt lgkmcnt(3)
	v_pk_mul_f32 v[8:9], v[2:3], v[12:13]
	ds_write2st64_b32 v7, v8, v9 offset0:24 offset1:26
	s_waitcnt lgkmcnt(2)
	v_pk_mul_f32 v[8:9], v[2:3], v[10:11]
	s_add_i32 s34, s34, 16
	v_cmp_eq_u32_e32 vcc, 0, v6
	ds_write2st64_b32 v7, v8, v9 offset0:28 offset1:30
	v_add_u32_e32 v7, 0x2000, v7
	s_or_b64 s[30:31], vcc, s[30:31]
	v_mov_b32_e32 v8, s34
	s_andn2_b64 exec, exec, s[30:31]
	s_cbranch_execnz .LBB41_37
; %bb.38:
	s_or_b64 exec, exec, s[30:31]
.LBB41_39:
	s_or_b64 exec, exec, s[8:9]
	v_and_b32_e32 v5, 7, v5
	v_cmp_ne_u32_e32 vcc, 0, v5
	s_and_saveexec_b64 s[8:9], vcc
	s_cbranch_execz .LBB41_42
; %bb.40:
	v_lshlrev_b32_e32 v6, 9, v8
	s_movk_i32 s30, 0x1f0
	v_add3_u32 v6, v6, v34, s30
	s_mov_b64 s[30:31], 0
.LBB41_41:                              ; =>This Inner Loop Header: Depth=1
	ds_read2st64_b32 v[8:9], v6 offset1:2
	v_add_u32_e32 v5, -1, v5
	v_cmp_eq_u32_e32 vcc, 0, v5
	s_or_b64 s[30:31], vcc, s[30:31]
	s_waitcnt lgkmcnt(0)
	v_pk_mul_f32 v[8:9], v[2:3], v[8:9]
	ds_write2st64_b32 v6, v8, v9 offset1:2
	v_add_u32_e32 v6, 0x400, v6
	s_andn2_b64 exec, exec, s[30:31]
	s_cbranch_execnz .LBB41_41
.LBB41_42:
	s_or_b64 exec, exec, s[8:9]
	v_add_u32_e32 v4, 1, v4
	v_and_b32_e32 v5, 0x3fffffe, v4
	v_cmp_ne_u32_e32 vcc, v4, v5
	v_lshl_add_u32 v3, v5, 7, v0
	s_orn2_b64 s[8:9], vcc, exec
.LBB41_43:
	s_or_b64 exec, exec, s[2:3]
	s_and_b64 exec, exec, s[8:9]
	s_cbranch_execz .LBB41_46
; %bb.44:
	v_mov_b32_e32 v4, 0x1f0
	v_lshl_add_u32 v4, v3, 2, v4
	s_mov_b64 s[2:3], 0
.LBB41_45:                              ; =>This Inner Loop Header: Depth=1
	ds_read_b32 v5, v4
	v_add_u32_e32 v3, 0x80, v3
	v_cmp_le_i32_e32 vcc, s15, v3
	s_or_b64 s[2:3], vcc, s[2:3]
	s_waitcnt lgkmcnt(0)
	v_mul_f32_e32 v5, v2, v5
	ds_write_b32 v4, v5
	v_add_u32_e32 v4, 0x200, v4
	s_andn2_b64 exec, exec, s[2:3]
	s_cbranch_execnz .LBB41_45
.LBB41_46:
	s_or_b64 exec, exec, s[0:1]
	v_mov_b32_e32 v69, 0
	v_and_b32_e32 v91, 7, v0
	v_mov_b32_e32 v68, 0
	v_mov_b32_e32 v71, 0
	;; [unrolled: 1-line block ×14, first 2 shown]
	s_waitcnt lgkmcnt(0)
	s_barrier
	s_and_saveexec_b64 s[2:3], s[6:7]
	s_cbranch_execz .LBB41_82
; %bb.47:
	s_ashr_i32 s15, s14, 31
	s_sub_i32 s17, s12, s17
	s_lshl_b64 s[0:1], s[14:15], 2
	s_add_u32 s0, s28, s0
	s_addc_u32 s1, s29, s1
	s_abs_i32 s14, s18
	v_cvt_f32_u32_e32 v2, s14
	v_lshlrev_b32_e32 v3, 4, v0
	v_and_b32_e32 v66, 0x3f0, v3
	v_mov_b32_e32 v67, 0
	v_rcp_iflag_f32_e32 v2, v2
	v_lshl_add_u64 v[82:83], s[0:1], 0, v[66:67]
	s_sub_i32 s0, 0, s14
	s_add_i32 s18, s16, -1
	v_mul_f32_e32 v2, 0x4f7ffffe, v2
	v_cvt_u32_f32_e32 v2, v2
	v_and_b32_e32 v66, 60, v35
	v_and_b32_e32 v92, 28, v34
	s_mov_b32 s15, s13
	v_mul_lo_u32 v3, s0, v2
	v_mul_hi_u32 v3, v2, v3
	s_lshl_b64 s[0:1], s[26:27], 2
	v_add_u32_e32 v93, v2, v3
	s_add_u32 s0, s24, s0
	v_lshlrev_b32_e32 v2, 4, v91
	s_addc_u32 s1, s25, s1
	v_lshl_or_b32 v2, v1, 7, v2
	s_mov_b32 s28, s33
	v_lshl_add_u64 v[84:85], s[0:1], 0, v[66:67]
	v_add_u32_e32 v66, 0x1f0, v2
	s_mov_b64 s[6:7], 0
	v_mov_b32_e32 v80, v67
	v_mov_b32_e32 v81, v67
	;; [unrolled: 1-line block ×14, first 2 shown]
	s_branch .LBB41_50
.LBB41_48:                              ;   in Loop: Header=BB41_50 Depth=1
	s_or_b64 exec, exec, s[12:13]
	s_waitcnt vmcnt(1) lgkmcnt(0)
	v_mul_f32_e32 v62, v2, v62
	v_mul_f32_e32 v58, v2, v58
	;; [unrolled: 1-line block ×14, first 2 shown]
	v_fmac_f32_e32 v62, v3, v63
	v_fmac_f32_e32 v58, v3, v59
	;; [unrolled: 1-line block ×28, first 2 shown]
	s_waitcnt vmcnt(0)
	v_pk_mul_f32 v[2:3], v[2:3], v[54:55]
	v_fmac_f32_e32 v62, v5, v65
	v_fmac_f32_e32 v58, v5, v61
	;; [unrolled: 1-line block ×14, first 2 shown]
	v_pk_mul_f32 v[4:5], v[4:5], v[56:57]
	v_add_f32_e32 v2, v3, v2
	v_add_f32_e32 v2, v4, v2
	;; [unrolled: 1-line block ×18, first 2 shown]
.LBB41_49:                              ;   in Loop: Header=BB41_50 Depth=1
	s_or_b64 exec, exec, s[8:9]
	v_add_u32_e32 v1, 2, v1
	v_cmp_le_i32_e32 vcc, s16, v1
	v_lshl_add_u64 v[84:85], v[84:85], 0, 8
	v_add_u32_e32 v86, 64, v86
	s_or_b64 s[6:7], vcc, s[6:7]
	v_add_u32_e32 v66, 0x100, v66
	s_andn2_b64 exec, exec, s[6:7]
	s_cbranch_execz .LBB41_81
.LBB41_50:                              ; =>This Inner Loop Header: Depth=1
	v_mul_hi_u32 v2, v86, s40
	v_mul_lo_u32 v3, v2, s21
	v_sub_u32_e32 v3, v86, v3
	v_add_u32_e32 v4, 1, v2
	v_cmp_le_u32_e32 vcc, s21, v3
	s_nop 1
	v_cndmask_b32_e32 v2, v2, v4, vcc
	v_subrev_u32_e32 v4, s21, v3
	v_cndmask_b32_e32 v3, v3, v4, vcc
	v_add_u32_e32 v4, 1, v2
	v_cmp_le_u32_e32 vcc, s21, v3
	s_nop 1
	v_cndmask_b32_e32 v2, v2, v4, vcc
	v_xor_b32_e32 v2, s19, v2
	v_subrev_u32_e32 v2, s19, v2
	v_add_u32_e32 v3, s41, v2
	v_sub_u32_e32 v5, 0, v3
	v_ashrrev_i32_e32 v4, 31, v3
	v_max_i32_e32 v3, v3, v5
	v_mul_hi_u32 v5, v3, v93
	v_mul_lo_u32 v5, v5, s14
	v_sub_u32_e32 v3, v3, v5
	v_subrev_u32_e32 v5, s14, v3
	v_cmp_le_u32_e32 vcc, s14, v3
	v_cmp_lt_i32_e64 s[0:1], s17, v2
	s_nop 0
	v_cndmask_b32_e32 v3, v3, v5, vcc
	v_subrev_u32_e32 v5, s14, v3
	v_cmp_le_u32_e32 vcc, s14, v3
	s_nop 1
	v_cndmask_b32_e32 v3, v3, v5, vcc
	v_xor_b32_e32 v3, v3, v4
	v_sub_u32_e32 v3, v3, v4
	v_cmp_eq_u32_e32 vcc, 0, v3
	s_or_b64 s[0:1], vcc, s[0:1]
	s_and_saveexec_b64 s[8:9], s[0:1]
	s_cbranch_execz .LBB41_49
; %bb.51:                               ;   in Loop: Header=BB41_50 Depth=1
	global_load_dword v2, v[84:85], off
	v_add_u32_e32 v94, v92, v86
	v_add_u32_e32 v97, 1, v94
	v_or_b32_e32 v96, 3, v94
	v_or_b32_e32 v95, 2, v94
	s_waitcnt vmcnt(0)
	v_mad_i64_i32 v[2:3], s[0:1], v2, s15, 0
	v_lshl_add_u64 v[54:55], v[2:3], 2, v[82:83]
	global_load_dwordx4 v[6:9], v[54:55], off
	ds_read_b128 v[2:5], v66
	v_cmp_eq_u32_e64 s[0:1], s18, v1
	s_and_saveexec_b64 s[12:13], s[0:1]
	s_cbranch_execnz .LBB41_78
; %bb.52:                               ;   in Loop: Header=BB41_50 Depth=1
	s_or_b64 exec, exec, s[12:13]
	global_load_dwordx4 v[10:13], v[54:55], off offset:1024
	s_and_saveexec_b64 s[12:13], s[0:1]
	s_cbranch_execnz .LBB41_79
.LBB41_53:                              ;   in Loop: Header=BB41_50 Depth=1
	s_or_b64 exec, exec, s[12:13]
	global_load_dwordx4 v[14:17], v[54:55], off offset:2048
	s_and_saveexec_b64 s[12:13], s[0:1]
	s_cbranch_execnz .LBB41_80
.LBB41_54:                              ;   in Loop: Header=BB41_50 Depth=1
	s_or_b64 exec, exec, s[12:13]
	global_load_dwordx4 v[18:21], v[54:55], off offset:3072
	s_and_saveexec_b64 s[12:13], s[0:1]
	s_cbranch_execz .LBB41_56
.LBB41_55:                              ;   in Loop: Header=BB41_50 Depth=1
	v_cmp_gt_i32_e32 vcc, s28, v97
	s_waitcnt vmcnt(0)
	s_nop 0
	v_cndmask_b32_e32 v19, 0, v19, vcc
	v_cmp_gt_i32_e32 vcc, s33, v94
	s_nop 1
	v_cndmask_b32_e32 v18, 0, v18, vcc
	v_cmp_gt_i32_e32 vcc, s28, v96
	;; [unrolled: 3-line block ×3, first 2 shown]
	s_nop 1
	v_cndmask_b32_e32 v20, 0, v20, vcc
.LBB41_56:                              ;   in Loop: Header=BB41_50 Depth=1
	s_or_b64 exec, exec, s[12:13]
	v_add_co_u32_e32 v22, vcc, 0x1000, v54
	s_nop 1
	v_addc_co_u32_e32 v23, vcc, 0, v55, vcc
	global_load_dwordx4 v[22:25], v[22:23], off
	s_and_saveexec_b64 s[12:13], s[0:1]
	s_cbranch_execz .LBB41_58
; %bb.57:                               ;   in Loop: Header=BB41_50 Depth=1
	v_cmp_gt_i32_e32 vcc, s28, v97
	s_waitcnt vmcnt(0)
	s_nop 0
	v_cndmask_b32_e32 v23, 0, v23, vcc
	v_cmp_gt_i32_e32 vcc, s33, v94
	s_nop 1
	v_cndmask_b32_e32 v22, 0, v22, vcc
	v_cmp_gt_i32_e32 vcc, s28, v96
	s_nop 1
	v_cndmask_b32_e32 v25, 0, v25, vcc
	v_cmp_gt_i32_e32 vcc, s33, v95
	s_nop 1
	v_cndmask_b32_e32 v24, 0, v24, vcc
.LBB41_58:                              ;   in Loop: Header=BB41_50 Depth=1
	s_or_b64 exec, exec, s[12:13]
	v_add_co_u32_e32 v26, vcc, 0x1000, v54
	s_nop 1
	v_addc_co_u32_e32 v27, vcc, 0, v55, vcc
	global_load_dwordx4 v[26:29], v[26:27], off offset:1024
	s_and_saveexec_b64 s[12:13], s[0:1]
	s_cbranch_execz .LBB41_60
; %bb.59:                               ;   in Loop: Header=BB41_50 Depth=1
	v_cmp_gt_i32_e32 vcc, s28, v97
	s_waitcnt vmcnt(0)
	s_nop 0
	v_cndmask_b32_e32 v27, 0, v27, vcc
	v_cmp_gt_i32_e32 vcc, s33, v94
	s_nop 1
	v_cndmask_b32_e32 v26, 0, v26, vcc
	v_cmp_gt_i32_e32 vcc, s28, v96
	s_nop 1
	v_cndmask_b32_e32 v29, 0, v29, vcc
	v_cmp_gt_i32_e32 vcc, s33, v95
	s_nop 1
	v_cndmask_b32_e32 v28, 0, v28, vcc
.LBB41_60:                              ;   in Loop: Header=BB41_50 Depth=1
	s_or_b64 exec, exec, s[12:13]
	v_add_co_u32_e32 v30, vcc, 0x1000, v54
	s_nop 1
	v_addc_co_u32_e32 v31, vcc, 0, v55, vcc
	global_load_dwordx4 v[30:33], v[30:31], off offset:2048
	;; [unrolled: 22-line block ×3, first 2 shown]
	s_and_saveexec_b64 s[12:13], s[0:1]
	s_cbranch_execz .LBB41_64
; %bb.63:                               ;   in Loop: Header=BB41_50 Depth=1
	v_cmp_gt_i32_e32 vcc, s28, v97
	s_waitcnt vmcnt(0)
	s_nop 0
	v_cndmask_b32_e32 v35, 0, v35, vcc
	v_cmp_gt_i32_e32 vcc, s33, v94
	s_nop 1
	v_cndmask_b32_e32 v34, 0, v34, vcc
	v_cmp_gt_i32_e32 vcc, s28, v96
	;; [unrolled: 3-line block ×3, first 2 shown]
	s_nop 1
	v_cndmask_b32_e32 v36, 0, v36, vcc
.LBB41_64:                              ;   in Loop: Header=BB41_50 Depth=1
	s_or_b64 exec, exec, s[12:13]
	v_add_co_u32_e32 v38, vcc, 0x2000, v54
	s_nop 1
	v_addc_co_u32_e32 v39, vcc, 0, v55, vcc
	global_load_dwordx4 v[38:41], v[38:39], off
	s_and_saveexec_b64 s[12:13], s[0:1]
	s_cbranch_execz .LBB41_66
; %bb.65:                               ;   in Loop: Header=BB41_50 Depth=1
	v_cmp_gt_i32_e32 vcc, s28, v97
	s_waitcnt vmcnt(0)
	s_nop 0
	v_cndmask_b32_e32 v39, 0, v39, vcc
	v_cmp_gt_i32_e32 vcc, s33, v94
	s_nop 1
	v_cndmask_b32_e32 v38, 0, v38, vcc
	v_cmp_gt_i32_e32 vcc, s28, v96
	s_nop 1
	v_cndmask_b32_e32 v41, 0, v41, vcc
	v_cmp_gt_i32_e32 vcc, s33, v95
	s_nop 1
	v_cndmask_b32_e32 v40, 0, v40, vcc
.LBB41_66:                              ;   in Loop: Header=BB41_50 Depth=1
	s_or_b64 exec, exec, s[12:13]
	v_add_co_u32_e32 v42, vcc, 0x2000, v54
	s_nop 1
	v_addc_co_u32_e32 v43, vcc, 0, v55, vcc
	global_load_dwordx4 v[42:45], v[42:43], off offset:1024
	s_and_saveexec_b64 s[12:13], s[0:1]
	s_cbranch_execz .LBB41_68
; %bb.67:                               ;   in Loop: Header=BB41_50 Depth=1
	v_cmp_gt_i32_e32 vcc, s28, v97
	s_waitcnt vmcnt(0)
	s_nop 0
	v_cndmask_b32_e32 v43, 0, v43, vcc
	v_cmp_gt_i32_e32 vcc, s33, v94
	s_nop 1
	v_cndmask_b32_e32 v42, 0, v42, vcc
	v_cmp_gt_i32_e32 vcc, s28, v96
	s_nop 1
	v_cndmask_b32_e32 v45, 0, v45, vcc
	v_cmp_gt_i32_e32 vcc, s33, v95
	s_nop 1
	v_cndmask_b32_e32 v44, 0, v44, vcc
.LBB41_68:                              ;   in Loop: Header=BB41_50 Depth=1
	s_or_b64 exec, exec, s[12:13]
	v_add_co_u32_e32 v46, vcc, 0x2000, v54
	s_nop 1
	v_addc_co_u32_e32 v47, vcc, 0, v55, vcc
	global_load_dwordx4 v[46:49], v[46:47], off offset:2048
	;; [unrolled: 22-line block ×3, first 2 shown]
	s_and_saveexec_b64 s[12:13], s[0:1]
	s_cbranch_execz .LBB41_72
; %bb.71:                               ;   in Loop: Header=BB41_50 Depth=1
	v_cmp_gt_i32_e32 vcc, s28, v97
	s_waitcnt vmcnt(0)
	s_nop 0
	v_cndmask_b32_e32 v51, 0, v51, vcc
	v_cmp_gt_i32_e32 vcc, s33, v94
	s_nop 1
	v_cndmask_b32_e32 v50, 0, v50, vcc
	v_cmp_gt_i32_e32 vcc, s28, v96
	;; [unrolled: 3-line block ×3, first 2 shown]
	s_nop 1
	v_cndmask_b32_e32 v52, 0, v52, vcc
.LBB41_72:                              ;   in Loop: Header=BB41_50 Depth=1
	s_or_b64 exec, exec, s[12:13]
	v_add_co_u32_e32 v56, vcc, 0x3000, v54
	s_nop 1
	v_addc_co_u32_e32 v57, vcc, 0, v55, vcc
	global_load_dwordx4 v[58:61], v[56:57], off
	s_and_saveexec_b64 s[12:13], s[0:1]
	s_cbranch_execz .LBB41_74
; %bb.73:                               ;   in Loop: Header=BB41_50 Depth=1
	v_cmp_gt_i32_e32 vcc, s28, v97
	s_waitcnt vmcnt(0)
	s_nop 0
	v_cndmask_b32_e32 v59, 0, v59, vcc
	v_cmp_gt_i32_e32 vcc, s33, v94
	s_nop 1
	v_cndmask_b32_e32 v58, 0, v58, vcc
	v_cmp_gt_i32_e32 vcc, s28, v96
	;; [unrolled: 3-line block ×3, first 2 shown]
	s_nop 1
	v_cndmask_b32_e32 v60, 0, v60, vcc
.LBB41_74:                              ;   in Loop: Header=BB41_50 Depth=1
	s_or_b64 exec, exec, s[12:13]
	v_add_co_u32_e32 v56, vcc, 0x3000, v54
	s_nop 1
	v_addc_co_u32_e32 v57, vcc, 0, v55, vcc
	global_load_dwordx4 v[62:65], v[56:57], off offset:1024
	s_and_saveexec_b64 s[12:13], s[0:1]
	s_cbranch_execz .LBB41_76
; %bb.75:                               ;   in Loop: Header=BB41_50 Depth=1
	v_cmp_gt_i32_e32 vcc, s28, v97
	s_waitcnt vmcnt(0)
	s_nop 0
	v_cndmask_b32_e32 v63, 0, v63, vcc
	v_cmp_gt_i32_e32 vcc, s33, v94
	s_nop 1
	v_cndmask_b32_e32 v62, 0, v62, vcc
	v_cmp_gt_i32_e32 vcc, s28, v96
	;; [unrolled: 3-line block ×3, first 2 shown]
	s_nop 1
	v_cndmask_b32_e32 v64, 0, v64, vcc
.LBB41_76:                              ;   in Loop: Header=BB41_50 Depth=1
	s_or_b64 exec, exec, s[12:13]
	v_add_co_u32_e32 v54, vcc, 0x3000, v54
	s_nop 1
	v_addc_co_u32_e32 v55, vcc, 0, v55, vcc
	global_load_dwordx4 v[54:57], v[54:55], off offset:2048
	s_and_saveexec_b64 s[12:13], s[0:1]
	s_cbranch_execz .LBB41_48
; %bb.77:                               ;   in Loop: Header=BB41_50 Depth=1
	v_cmp_gt_i32_e32 vcc, s28, v97
	s_waitcnt vmcnt(0)
	s_nop 0
	v_cndmask_b32_e32 v55, 0, v55, vcc
	v_cmp_gt_i32_e32 vcc, s33, v94
	s_nop 1
	v_cndmask_b32_e32 v54, 0, v54, vcc
	v_cmp_gt_i32_e32 vcc, s28, v96
	;; [unrolled: 3-line block ×3, first 2 shown]
	s_nop 1
	v_cndmask_b32_e32 v56, 0, v56, vcc
	s_branch .LBB41_48
.LBB41_78:                              ;   in Loop: Header=BB41_50 Depth=1
	v_cmp_gt_i32_e32 vcc, s28, v97
	s_waitcnt vmcnt(0)
	s_nop 0
	v_cndmask_b32_e32 v7, 0, v7, vcc
	v_cmp_gt_i32_e32 vcc, s33, v94
	s_nop 1
	v_cndmask_b32_e32 v6, 0, v6, vcc
	v_cmp_gt_i32_e32 vcc, s28, v96
	;; [unrolled: 3-line block ×3, first 2 shown]
	s_nop 1
	v_cndmask_b32_e32 v8, 0, v8, vcc
	s_or_b64 exec, exec, s[12:13]
	global_load_dwordx4 v[10:13], v[54:55], off offset:1024
	s_and_saveexec_b64 s[12:13], s[0:1]
	s_cbranch_execz .LBB41_53
.LBB41_79:                              ;   in Loop: Header=BB41_50 Depth=1
	v_cmp_gt_i32_e32 vcc, s28, v97
	s_waitcnt vmcnt(0)
	s_nop 0
	v_cndmask_b32_e32 v11, 0, v11, vcc
	v_cmp_gt_i32_e32 vcc, s33, v94
	s_nop 1
	v_cndmask_b32_e32 v10, 0, v10, vcc
	v_cmp_gt_i32_e32 vcc, s28, v96
	;; [unrolled: 3-line block ×3, first 2 shown]
	s_nop 1
	v_cndmask_b32_e32 v12, 0, v12, vcc
	s_or_b64 exec, exec, s[12:13]
	global_load_dwordx4 v[14:17], v[54:55], off offset:2048
	s_and_saveexec_b64 s[12:13], s[0:1]
	s_cbranch_execz .LBB41_54
.LBB41_80:                              ;   in Loop: Header=BB41_50 Depth=1
	v_cmp_gt_i32_e32 vcc, s28, v97
	s_waitcnt vmcnt(0)
	s_nop 0
	v_cndmask_b32_e32 v15, 0, v15, vcc
	v_cmp_gt_i32_e32 vcc, s33, v94
	s_nop 1
	v_cndmask_b32_e32 v14, 0, v14, vcc
	v_cmp_gt_i32_e32 vcc, s28, v96
	s_nop 1
	v_cndmask_b32_e32 v17, 0, v17, vcc
	v_cmp_gt_i32_e32 vcc, s33, v95
	s_nop 1
	v_cndmask_b32_e32 v16, 0, v16, vcc
	s_or_b64 exec, exec, s[12:13]
	global_load_dwordx4 v[18:21], v[54:55], off offset:3072
	s_and_saveexec_b64 s[12:13], s[0:1]
	s_cbranch_execnz .LBB41_55
	s_branch .LBB41_56
.LBB41_81:
	s_or_b64 exec, exec, s[6:7]
.LBB41_82:
	s_or_b64 exec, exec, s[2:3]
	ds_bpermute_b32 v4, v88, v78
	ds_bpermute_b32 v5, v88, v79
	;; [unrolled: 1-line block ×6, first 2 shown]
	s_waitcnt lgkmcnt(4)
	v_pk_add_f32 v[4:5], v[78:79], v[4:5]
	ds_bpermute_b32 v8, v89, v4
	ds_bpermute_b32 v9, v89, v5
	s_waitcnt lgkmcnt(4)
	v_pk_add_f32 v[2:3], v[80:81], v[2:3]
	ds_bpermute_b32 v6, v89, v2
	ds_bpermute_b32 v7, v89, v3
	;; [unrolled: 1-line block ×3, first 2 shown]
	s_waitcnt lgkmcnt(3)
	v_pk_add_f32 v[4:5], v[4:5], v[8:9]
	v_pk_add_f32 v[8:9], v[76:77], v[10:11]
	ds_bpermute_b32 v10, v89, v8
	ds_bpermute_b32 v11, v89, v9
	;; [unrolled: 1-line block ×3, first 2 shown]
	s_waitcnt lgkmcnt(4)
	v_pk_add_f32 v[2:3], v[2:3], v[6:7]
	ds_bpermute_b32 v6, v90, v2
	ds_bpermute_b32 v7, v90, v3
	s_waitcnt lgkmcnt(3)
	v_pk_add_f32 v[8:9], v[8:9], v[10:11]
	s_waitcnt lgkmcnt(2)
	v_pk_add_f32 v[14:15], v[74:75], v[14:15]
	ds_bpermute_b32 v10, v90, v8
	ds_bpermute_b32 v11, v90, v9
	ds_bpermute_b32 v16, v89, v14
	ds_bpermute_b32 v17, v89, v15
	ds_bpermute_b32 v18, v88, v72
	ds_bpermute_b32 v19, v88, v73
	s_waitcnt lgkmcnt(6)
	v_pk_add_f32 v[6:7], v[2:3], v[6:7]
	s_waitcnt lgkmcnt(4)
	v_pk_add_f32 v[2:3], v[8:9], v[10:11]
	;; [unrolled: 2-line block ×3, first 2 shown]
	ds_bpermute_b32 v16, v88, v70
	ds_bpermute_b32 v17, v88, v71
	ds_bpermute_b32 v12, v90, v4
	ds_bpermute_b32 v13, v90, v5
	s_waitcnt lgkmcnt(4)
	v_pk_add_f32 v[10:11], v[72:73], v[18:19]
	ds_bpermute_b32 v18, v88, v68
	ds_bpermute_b32 v19, v88, v69
	s_waitcnt lgkmcnt(4)
	v_pk_add_f32 v[16:17], v[70:71], v[16:17]
	s_waitcnt lgkmcnt(2)
	v_pk_add_f32 v[4:5], v[4:5], v[12:13]
	ds_bpermute_b32 v12, v89, v10
	ds_bpermute_b32 v13, v89, v11
	;; [unrolled: 1-line block ×5, first 2 shown]
	s_waitcnt lgkmcnt(5)
	v_pk_add_f32 v[18:19], v[68:69], v[18:19]
	s_waitcnt lgkmcnt(3)
	v_pk_add_f32 v[10:11], v[10:11], v[12:13]
	ds_bpermute_b32 v22, v89, v18
	ds_bpermute_b32 v23, v89, v19
	s_waitcnt lgkmcnt(3)
	v_pk_add_f32 v[16:17], v[16:17], v[20:21]
	s_waitcnt lgkmcnt(2)
	v_add_f32_e32 v1, v67, v1
	ds_bpermute_b32 v12, v90, v10
	ds_bpermute_b32 v13, v90, v11
	;; [unrolled: 1-line block ×5, first 2 shown]
	s_waitcnt lgkmcnt(5)
	v_pk_add_f32 v[18:19], v[18:19], v[22:23]
	ds_bpermute_b32 v14, v90, v8
	ds_bpermute_b32 v15, v90, v9
	;; [unrolled: 1-line block ×4, first 2 shown]
	s_waitcnt lgkmcnt(7)
	v_pk_add_f32 v[12:13], v[10:11], v[12:13]
	s_waitcnt lgkmcnt(5)
	v_pk_add_f32 v[10:11], v[16:17], v[20:21]
	s_waitcnt lgkmcnt(4)
	v_add_f32_e32 v16, v1, v24
	ds_bpermute_b32 v17, v90, v16
	v_and_b32_e32 v1, 0x3c7, v0
	s_waitcnt lgkmcnt(3)
	v_pk_add_f32 v[14:15], v[8:9], v[14:15]
	s_waitcnt lgkmcnt(1)
	v_pk_add_f32 v[8:9], v[18:19], v[22:23]
	v_cmp_ne_u32_e32 vcc, 64, v1
	s_waitcnt lgkmcnt(0)
	s_barrier
	s_and_saveexec_b64 s[0:1], vcc
	s_xor_b64 s[0:1], exec, s[0:1]
; %bb.83:
                                        ; implicit-def: $vgpr87
; %bb.84:
	s_or_saveexec_b64 s[0:1], s[0:1]
	v_add_f32_e32 v16, v16, v17
	s_xor_b64 exec, exec, s[0:1]
	s_cbranch_execz .LBB41_86
; %bb.85:
	v_lshrrev_b32_e32 v17, 1, v87
	v_add_u32_e32 v17, 0x1f0, v17
	ds_write2_b32 v17, v6, v7 offset1:8
	ds_write2_b32 v17, v4, v5 offset0:16 offset1:24
	ds_write2_b32 v17, v2, v3 offset0:32 offset1:40
	;; [unrolled: 1-line block ×6, first 2 shown]
	ds_write_b32 v17, v16 offset:448
.LBB41_86:
	s_or_b64 exec, exec, s[0:1]
	v_cmp_gt_u32_e32 vcc, 64, v0
	v_lshrrev_b32_e32 v0, 3, v0
	s_waitcnt lgkmcnt(0)
	s_barrier
	s_and_saveexec_b64 s[0:1], vcc
	s_cbranch_execz .LBB41_104
; %bb.87:
	v_mov_b32_e32 v17, 0x1f0
	v_cmp_eq_u32_e32 vcc, 0, v91
	v_lshl_add_u32 v17, v0, 2, v17
	s_and_saveexec_b64 s[2:3], vcc
	s_cbranch_execnz .LBB41_107
; %bb.88:
	s_or_b64 exec, exec, s[2:3]
	s_and_saveexec_b64 s[2:3], vcc
	s_cbranch_execnz .LBB41_108
.LBB41_89:
	s_or_b64 exec, exec, s[2:3]
	s_and_saveexec_b64 s[2:3], vcc
	s_cbranch_execnz .LBB41_109
.LBB41_90:
	s_or_b64 exec, exec, s[2:3]
	s_and_saveexec_b64 s[2:3], vcc
	s_cbranch_execnz .LBB41_110
.LBB41_91:
	s_or_b64 exec, exec, s[2:3]
	s_and_saveexec_b64 s[2:3], vcc
	s_cbranch_execnz .LBB41_111
.LBB41_92:
	s_or_b64 exec, exec, s[2:3]
	s_and_saveexec_b64 s[2:3], vcc
	s_cbranch_execnz .LBB41_112
.LBB41_93:
	s_or_b64 exec, exec, s[2:3]
	s_and_saveexec_b64 s[2:3], vcc
	s_cbranch_execnz .LBB41_113
.LBB41_94:
	s_or_b64 exec, exec, s[2:3]
	s_and_saveexec_b64 s[2:3], vcc
	s_cbranch_execnz .LBB41_114
.LBB41_95:
	s_or_b64 exec, exec, s[2:3]
	s_and_saveexec_b64 s[2:3], vcc
	s_cbranch_execnz .LBB41_115
.LBB41_96:
	s_or_b64 exec, exec, s[2:3]
	s_and_saveexec_b64 s[2:3], vcc
	s_cbranch_execnz .LBB41_116
.LBB41_97:
	s_or_b64 exec, exec, s[2:3]
	s_and_saveexec_b64 s[2:3], vcc
	s_cbranch_execnz .LBB41_117
.LBB41_98:
	s_or_b64 exec, exec, s[2:3]
	s_and_saveexec_b64 s[2:3], vcc
	s_cbranch_execnz .LBB41_118
.LBB41_99:
	s_or_b64 exec, exec, s[2:3]
	s_and_saveexec_b64 s[2:3], vcc
	s_cbranch_execnz .LBB41_119
.LBB41_100:
	s_or_b64 exec, exec, s[2:3]
	s_and_saveexec_b64 s[2:3], vcc
	s_cbranch_execnz .LBB41_120
.LBB41_101:
	s_or_b64 exec, exec, s[2:3]
	s_and_saveexec_b64 s[2:3], vcc
	s_cbranch_execz .LBB41_103
.LBB41_102:
	ds_read_b32 v17, v17 offset:448
	s_waitcnt lgkmcnt(0)
	v_add_f32_e32 v16, v16, v17
.LBB41_103:
	s_or_b64 exec, exec, s[2:3]
.LBB41_104:
	s_or_b64 exec, exec, s[0:1]
	v_cmp_eq_u32_e32 vcc, 0, v1
	s_barrier
	s_and_saveexec_b64 s[0:1], vcc
	s_cbranch_execz .LBB41_106
; %bb.105:
	s_mul_i32 s0, s10, s11
	s_mul_i32 s0, s0, s5
	s_mulk_i32 s0, 0x78
	s_ashr_i32 s1, s0, 31
	s_lshl_b64 s[0:1], s[0:1], 2
	s_add_u32 s2, s22, s0
	s_mul_i32 s0, s11, s20
	s_addc_u32 s3, s23, s1
	s_ashr_i32 s1, s0, 31
	s_lshl_b64 s[0:1], s[0:1], 2
	s_add_u32 s2, s2, s0
	s_mul_i32 s0, s4, 0x78
	s_addc_u32 s3, s3, s1
	s_ashr_i32 s1, s0, 31
	s_lshl_b64 s[0:1], s[0:1], 2
	s_add_u32 s0, s2, s0
	s_addc_u32 s1, s3, s1
	v_lshlrev_b32_e32 v0, 2, v0
	global_store_dword v0, v6, s[0:1]
	global_store_dword v0, v7, s[0:1] offset:32
	global_store_dword v0, v4, s[0:1] offset:64
	;; [unrolled: 1-line block ×14, first 2 shown]
.LBB41_106:
	s_endpgm
.LBB41_107:
	ds_read_b32 v18, v17
	s_waitcnt lgkmcnt(0)
	v_add_f32_e32 v6, v6, v18
	s_or_b64 exec, exec, s[2:3]
	s_and_saveexec_b64 s[2:3], vcc
	s_cbranch_execz .LBB41_89
.LBB41_108:
	ds_read_b32 v18, v17 offset:32
	s_waitcnt lgkmcnt(0)
	v_add_f32_e32 v7, v7, v18
	s_or_b64 exec, exec, s[2:3]
	s_and_saveexec_b64 s[2:3], vcc
	s_cbranch_execz .LBB41_90
.LBB41_109:
	ds_read_b32 v18, v17 offset:64
	s_waitcnt lgkmcnt(0)
	v_add_f32_e32 v4, v4, v18
	s_or_b64 exec, exec, s[2:3]
	s_and_saveexec_b64 s[2:3], vcc
	s_cbranch_execz .LBB41_91
.LBB41_110:
	ds_read_b32 v18, v17 offset:96
	s_waitcnt lgkmcnt(0)
	v_add_f32_e32 v5, v5, v18
	s_or_b64 exec, exec, s[2:3]
	s_and_saveexec_b64 s[2:3], vcc
	s_cbranch_execz .LBB41_92
.LBB41_111:
	ds_read_b32 v18, v17 offset:128
	s_waitcnt lgkmcnt(0)
	v_add_f32_e32 v2, v2, v18
	s_or_b64 exec, exec, s[2:3]
	s_and_saveexec_b64 s[2:3], vcc
	s_cbranch_execz .LBB41_93
.LBB41_112:
	ds_read_b32 v18, v17 offset:160
	s_waitcnt lgkmcnt(0)
	v_add_f32_e32 v3, v3, v18
	s_or_b64 exec, exec, s[2:3]
	s_and_saveexec_b64 s[2:3], vcc
	s_cbranch_execz .LBB41_94
.LBB41_113:
	ds_read_b32 v18, v17 offset:192
	s_waitcnt lgkmcnt(0)
	v_add_f32_e32 v14, v14, v18
	s_or_b64 exec, exec, s[2:3]
	s_and_saveexec_b64 s[2:3], vcc
	s_cbranch_execz .LBB41_95
.LBB41_114:
	ds_read_b32 v18, v17 offset:224
	s_waitcnt lgkmcnt(0)
	v_add_f32_e32 v15, v15, v18
	s_or_b64 exec, exec, s[2:3]
	s_and_saveexec_b64 s[2:3], vcc
	s_cbranch_execz .LBB41_96
.LBB41_115:
	ds_read_b32 v18, v17 offset:256
	s_waitcnt lgkmcnt(0)
	v_add_f32_e32 v12, v12, v18
	s_or_b64 exec, exec, s[2:3]
	s_and_saveexec_b64 s[2:3], vcc
	s_cbranch_execz .LBB41_97
.LBB41_116:
	ds_read_b32 v18, v17 offset:288
	s_waitcnt lgkmcnt(0)
	v_add_f32_e32 v13, v13, v18
	s_or_b64 exec, exec, s[2:3]
	s_and_saveexec_b64 s[2:3], vcc
	s_cbranch_execz .LBB41_98
.LBB41_117:
	ds_read_b32 v18, v17 offset:320
	s_waitcnt lgkmcnt(0)
	v_add_f32_e32 v10, v10, v18
	s_or_b64 exec, exec, s[2:3]
	s_and_saveexec_b64 s[2:3], vcc
	s_cbranch_execz .LBB41_99
.LBB41_118:
	ds_read_b32 v18, v17 offset:352
	s_waitcnt lgkmcnt(0)
	v_add_f32_e32 v11, v11, v18
	s_or_b64 exec, exec, s[2:3]
	s_and_saveexec_b64 s[2:3], vcc
	s_cbranch_execz .LBB41_100
.LBB41_119:
	ds_read_b32 v18, v17 offset:384
	s_waitcnt lgkmcnt(0)
	v_add_f32_e32 v8, v8, v18
	s_or_b64 exec, exec, s[2:3]
	s_and_saveexec_b64 s[2:3], vcc
	s_cbranch_execz .LBB41_101
.LBB41_120:
	ds_read_b32 v18, v17 offset:416
	s_waitcnt lgkmcnt(0)
	v_add_f32_e32 v9, v9, v18
	s_or_b64 exec, exec, s[2:3]
	s_and_saveexec_b64 s[2:3], vcc
	s_cbranch_execnz .LBB41_102
	s_branch .LBB41_103
	.section	.rodata,"a",@progbits
	.p2align	6, 0x0
	.amdhsa_kernel _ZN4vllm25paged_attention_v1_kernelIffLi120ELi32ELi128ELNS_18Fp8KVCacheDataTypeE0ELb1EEEvPT_PKS2_PKT0_S8_ifPKiSA_iPKfiiiSC_SC_iiiii
		.amdhsa_group_segment_fixed_size 496
		.amdhsa_private_segment_fixed_size 0
		.amdhsa_kernarg_size 384
		.amdhsa_user_sgpr_count 2
		.amdhsa_user_sgpr_dispatch_ptr 0
		.amdhsa_user_sgpr_queue_ptr 0
		.amdhsa_user_sgpr_kernarg_segment_ptr 1
		.amdhsa_user_sgpr_dispatch_id 0
		.amdhsa_user_sgpr_kernarg_preload_length 0
		.amdhsa_user_sgpr_kernarg_preload_offset 0
		.amdhsa_user_sgpr_private_segment_size 0
		.amdhsa_uses_dynamic_stack 0
		.amdhsa_enable_private_segment 0
		.amdhsa_system_sgpr_workgroup_id_x 1
		.amdhsa_system_sgpr_workgroup_id_y 1
		.amdhsa_system_sgpr_workgroup_id_z 1
		.amdhsa_system_sgpr_workgroup_info 0
		.amdhsa_system_vgpr_workitem_id 0
		.amdhsa_next_free_vgpr 98
		.amdhsa_next_free_sgpr 47
		.amdhsa_accum_offset 100
		.amdhsa_reserve_vcc 1
		.amdhsa_float_round_mode_32 0
		.amdhsa_float_round_mode_16_64 0
		.amdhsa_float_denorm_mode_32 3
		.amdhsa_float_denorm_mode_16_64 3
		.amdhsa_dx10_clamp 1
		.amdhsa_ieee_mode 1
		.amdhsa_fp16_overflow 0
		.amdhsa_tg_split 0
		.amdhsa_exception_fp_ieee_invalid_op 0
		.amdhsa_exception_fp_denorm_src 0
		.amdhsa_exception_fp_ieee_div_zero 0
		.amdhsa_exception_fp_ieee_overflow 0
		.amdhsa_exception_fp_ieee_underflow 0
		.amdhsa_exception_fp_ieee_inexact 0
		.amdhsa_exception_int_div_zero 0
	.end_amdhsa_kernel
	.section	.text._ZN4vllm25paged_attention_v1_kernelIffLi120ELi32ELi128ELNS_18Fp8KVCacheDataTypeE0ELb1EEEvPT_PKS2_PKT0_S8_ifPKiSA_iPKfiiiSC_SC_iiiii,"axG",@progbits,_ZN4vllm25paged_attention_v1_kernelIffLi120ELi32ELi128ELNS_18Fp8KVCacheDataTypeE0ELb1EEEvPT_PKS2_PKT0_S8_ifPKiSA_iPKfiiiSC_SC_iiiii,comdat
.Lfunc_end41:
	.size	_ZN4vllm25paged_attention_v1_kernelIffLi120ELi32ELi128ELNS_18Fp8KVCacheDataTypeE0ELb1EEEvPT_PKS2_PKT0_S8_ifPKiSA_iPKfiiiSC_SC_iiiii, .Lfunc_end41-_ZN4vllm25paged_attention_v1_kernelIffLi120ELi32ELi128ELNS_18Fp8KVCacheDataTypeE0ELb1EEEvPT_PKS2_PKT0_S8_ifPKiSA_iPKfiiiSC_SC_iiiii
                                        ; -- End function
	.set _ZN4vllm25paged_attention_v1_kernelIffLi120ELi32ELi128ELNS_18Fp8KVCacheDataTypeE0ELb1EEEvPT_PKS2_PKT0_S8_ifPKiSA_iPKfiiiSC_SC_iiiii.num_vgpr, 98
	.set _ZN4vllm25paged_attention_v1_kernelIffLi120ELi32ELi128ELNS_18Fp8KVCacheDataTypeE0ELb1EEEvPT_PKS2_PKT0_S8_ifPKiSA_iPKfiiiSC_SC_iiiii.num_agpr, 0
	.set _ZN4vllm25paged_attention_v1_kernelIffLi120ELi32ELi128ELNS_18Fp8KVCacheDataTypeE0ELb1EEEvPT_PKS2_PKT0_S8_ifPKiSA_iPKfiiiSC_SC_iiiii.numbered_sgpr, 47
	.set _ZN4vllm25paged_attention_v1_kernelIffLi120ELi32ELi128ELNS_18Fp8KVCacheDataTypeE0ELb1EEEvPT_PKS2_PKT0_S8_ifPKiSA_iPKfiiiSC_SC_iiiii.num_named_barrier, 0
	.set _ZN4vllm25paged_attention_v1_kernelIffLi120ELi32ELi128ELNS_18Fp8KVCacheDataTypeE0ELb1EEEvPT_PKS2_PKT0_S8_ifPKiSA_iPKfiiiSC_SC_iiiii.private_seg_size, 0
	.set _ZN4vllm25paged_attention_v1_kernelIffLi120ELi32ELi128ELNS_18Fp8KVCacheDataTypeE0ELb1EEEvPT_PKS2_PKT0_S8_ifPKiSA_iPKfiiiSC_SC_iiiii.uses_vcc, 1
	.set _ZN4vllm25paged_attention_v1_kernelIffLi120ELi32ELi128ELNS_18Fp8KVCacheDataTypeE0ELb1EEEvPT_PKS2_PKT0_S8_ifPKiSA_iPKfiiiSC_SC_iiiii.uses_flat_scratch, 0
	.set _ZN4vllm25paged_attention_v1_kernelIffLi120ELi32ELi128ELNS_18Fp8KVCacheDataTypeE0ELb1EEEvPT_PKS2_PKT0_S8_ifPKiSA_iPKfiiiSC_SC_iiiii.has_dyn_sized_stack, 0
	.set _ZN4vllm25paged_attention_v1_kernelIffLi120ELi32ELi128ELNS_18Fp8KVCacheDataTypeE0ELb1EEEvPT_PKS2_PKT0_S8_ifPKiSA_iPKfiiiSC_SC_iiiii.has_recursion, 0
	.set _ZN4vllm25paged_attention_v1_kernelIffLi120ELi32ELi128ELNS_18Fp8KVCacheDataTypeE0ELb1EEEvPT_PKS2_PKT0_S8_ifPKiSA_iPKfiiiSC_SC_iiiii.has_indirect_call, 0
	.section	.AMDGPU.csdata,"",@progbits
; Kernel info:
; codeLenInByte = 7432
; TotalNumSgprs: 53
; NumVgprs: 98
; NumAgprs: 0
; TotalNumVgprs: 98
; ScratchSize: 0
; MemoryBound: 0
; FloatMode: 240
; IeeeMode: 1
; LDSByteSize: 496 bytes/workgroup (compile time only)
; SGPRBlocks: 6
; VGPRBlocks: 12
; NumSGPRsForWavesPerEU: 53
; NumVGPRsForWavesPerEU: 98
; AccumOffset: 100
; Occupancy: 4
; WaveLimiterHint : 1
; COMPUTE_PGM_RSRC2:SCRATCH_EN: 0
; COMPUTE_PGM_RSRC2:USER_SGPR: 2
; COMPUTE_PGM_RSRC2:TRAP_HANDLER: 0
; COMPUTE_PGM_RSRC2:TGID_X_EN: 1
; COMPUTE_PGM_RSRC2:TGID_Y_EN: 1
; COMPUTE_PGM_RSRC2:TGID_Z_EN: 1
; COMPUTE_PGM_RSRC2:TIDIG_COMP_CNT: 0
; COMPUTE_PGM_RSRC3_GFX90A:ACCUM_OFFSET: 24
; COMPUTE_PGM_RSRC3_GFX90A:TG_SPLIT: 0
	.section	.text._ZN4vllm25paged_attention_v1_kernelIffLi128ELi32ELi128ELNS_18Fp8KVCacheDataTypeE0ELb1EEEvPT_PKS2_PKT0_S8_ifPKiSA_iPKfiiiSC_SC_iiiii,"axG",@progbits,_ZN4vllm25paged_attention_v1_kernelIffLi128ELi32ELi128ELNS_18Fp8KVCacheDataTypeE0ELb1EEEvPT_PKS2_PKT0_S8_ifPKiSA_iPKfiiiSC_SC_iiiii,comdat
	.protected	_ZN4vllm25paged_attention_v1_kernelIffLi128ELi32ELi128ELNS_18Fp8KVCacheDataTypeE0ELb1EEEvPT_PKS2_PKT0_S8_ifPKiSA_iPKfiiiSC_SC_iiiii ; -- Begin function _ZN4vllm25paged_attention_v1_kernelIffLi128ELi32ELi128ELNS_18Fp8KVCacheDataTypeE0ELb1EEEvPT_PKS2_PKT0_S8_ifPKiSA_iPKfiiiSC_SC_iiiii
	.globl	_ZN4vllm25paged_attention_v1_kernelIffLi128ELi32ELi128ELNS_18Fp8KVCacheDataTypeE0ELb1EEEvPT_PKS2_PKT0_S8_ifPKiSA_iPKfiiiSC_SC_iiiii
	.p2align	8
	.type	_ZN4vllm25paged_attention_v1_kernelIffLi128ELi32ELi128ELNS_18Fp8KVCacheDataTypeE0ELb1EEEvPT_PKS2_PKT0_S8_ifPKiSA_iPKfiiiSC_SC_iiiii,@function
_ZN4vllm25paged_attention_v1_kernelIffLi128ELi32ELi128ELNS_18Fp8KVCacheDataTypeE0ELb1EEEvPT_PKS2_PKT0_S8_ifPKiSA_iPKfiiiSC_SC_iiiii: ; @_ZN4vllm25paged_attention_v1_kernelIffLi128ELi32ELi128ELNS_18Fp8KVCacheDataTypeE0ELb1EEEvPT_PKS2_PKT0_S8_ifPKiSA_iPKfiiiSC_SC_iiiii
; %bb.0:
	s_load_dword s5, s[0:1], 0x80
	s_load_dwordx2 s[6:7], s[0:1], 0x30
	s_load_dwordx2 s[34:35], s[0:1], 0x20
	s_mov_b32 s20, s3
	s_ashr_i32 s21, s3, 31
	s_lshl_b64 s[8:9], s[20:21], 2
	s_waitcnt lgkmcnt(0)
	s_add_u32 s6, s6, s8
	s_addc_u32 s7, s7, s9
	s_abs_i32 s3, s34
	v_cvt_f32_u32_e32 v1, s3
	s_sub_i32 s10, 0, s3
	s_abs_i32 s9, s5
	s_xor_b32 s8, s5, s34
	v_rcp_iflag_f32_e32 v1, v1
	s_ashr_i32 s8, s8, 31
	s_mov_b32 s44, 0
	v_mul_f32_e32 v1, 0x4f7ffffe, v1
	v_cvt_u32_f32_e32 v1, v1
	s_nop 0
	v_readfirstlane_b32 s11, v1
	s_mul_i32 s10, s10, s11
	s_mul_hi_u32 s10, s11, s10
	s_add_i32 s11, s11, s10
	s_mul_hi_u32 s10, s9, s11
	s_mul_i32 s11, s10, s3
	s_sub_i32 s9, s9, s11
	s_add_i32 s11, s10, 1
	s_sub_i32 s12, s9, s3
	s_cmp_ge_u32 s9, s3
	s_cselect_b32 s10, s11, s10
	s_cselect_b32 s9, s12, s9
	s_add_i32 s11, s10, 1
	s_cmp_ge_u32 s9, s3
	s_cselect_b32 s3, s11, s10
	s_xor_b32 s3, s3, s8
	s_sub_i32 s12, s3, s8
	s_abs_i32 s10, s12
	v_cvt_f32_u32_e32 v1, s10
	s_load_dwordx2 s[8:9], s[0:1], 0x40
	s_sub_i32 s3, 0, s10
	s_abs_i32 s11, s2
	v_rcp_iflag_f32_e32 v1, v1
	s_nop 0
	v_mul_f32_e32 v1, 0x4f7ffffe, v1
	v_cvt_u32_f32_e32 v1, v1
	s_nop 0
	v_readfirstlane_b32 s13, v1
	s_mul_i32 s3, s3, s13
	s_mul_hi_u32 s3, s13, s3
	s_add_i32 s13, s13, s3
	s_waitcnt lgkmcnt(0)
	s_cmp_eq_u64 s[8:9], 0
	s_mul_hi_u32 s24, s11, s13
	s_cbranch_scc1 .LBB42_2
; %bb.1:
	s_ashr_i32 s3, s2, 31
	s_lshl_b64 s[14:15], s[2:3], 2
	s_add_u32 s8, s8, s14
	s_addc_u32 s9, s9, s15
	s_load_dword s44, s[8:9], 0x0
.LBB42_2:
	s_load_dword s21, s[6:7], 0x0
	s_ashr_i32 s26, s12, 31
	s_load_dwordx4 s[12:15], s[0:1], 0x48
	s_ashr_i32 s25, s2, 31
	v_and_b32_e32 v4, 1, v0
	s_lshl_b32 s22, s2, 7
	v_cmp_gt_u32_e64 s[6:7], 64, v0
	v_lshlrev_b32_e32 v2, 3, v0
	v_lshlrev_b32_e32 v44, 2, v0
	s_and_saveexec_b64 s[8:9], s[6:7]
	s_cbranch_execz .LBB42_4
; %bb.3:
	s_load_dwordx2 s[16:17], s[0:1], 0x8
	s_waitcnt lgkmcnt(0)
	s_mul_i32 s18, s12, s20
	s_ashr_i32 s19, s18, 31
	s_lshl_b64 s[18:19], s[18:19], 2
	v_and_b32_e32 v1, 0xff8, v44
	s_add_u32 s3, s16, s18
	s_addc_u32 s12, s17, s19
	s_ashr_i32 s23, s22, 31
	s_lshl_b64 s[16:17], s[22:23], 2
	s_add_u32 s16, s3, s16
	s_addc_u32 s17, s12, s17
	global_load_dwordx2 v[6:7], v2, s[16:17]
	v_lshl_add_u32 v1, v4, 8, v1
	s_waitcnt vmcnt(0)
	ds_write_b64 v1, v[6:7]
.LBB42_4:
	s_or_b64 exec, exec, s[8:9]
	s_mul_i32 s9, s24, s10
	s_sub_i32 s9, s11, s9
	s_xor_b32 s8, s25, s26
	s_add_i32 s11, s24, 1
	s_waitcnt lgkmcnt(0)
	s_sub_i32 s12, s9, s10
	s_load_dwordx4 s[16:19], s[0:1], 0x68
	s_load_dword s3, s[0:1], 0x78
	s_cmp_ge_u32 s9, s10
	s_cselect_b32 s11, s11, s24
	s_cselect_b32 s9, s12, s9
	s_add_i32 s12, s11, 1
	s_cmp_ge_u32 s9, s10
	s_cselect_b32 s9, s12, s11
	s_waitcnt lgkmcnt(0)
	s_abs_i32 s23, s19
	v_cvt_f32_u32_e32 v1, s23
	s_xor_b32 s9, s9, s8
	s_sub_i32 s10, s9, s8
	s_sub_i32 s8, 0, s23
	v_rcp_iflag_f32_e32 v1, v1
	s_add_i32 s15, s21, -1
	s_abs_i32 s11, s15
	v_mul_f32_e32 v1, 0x4f7ffffe, v1
	v_cvt_u32_f32_e32 v1, v1
	s_barrier
	v_readfirstlane_b32 s33, v1
	s_mul_i32 s8, s8, s33
	s_mul_hi_u32 s8, s33, s8
	s_add_i32 s33, s33, s8
	s_cmp_lt_i32 s3, 0
	s_mul_hi_u32 s12, s11, s33
	s_cbranch_scc0 .LBB42_6
; %bb.5:
	s_mul_i32 s8, s16, s34
	s_add_i32 s8, s10, s8
	s_mul_i32 s8, s8, s3
	s_sub_i32 s42, 1, s8
	s_mov_b64 s[8:9], 0
	s_branch .LBB42_7
.LBB42_6:
	s_mov_b64 s[8:9], -1
                                        ; implicit-def: $sgpr42
.LBB42_7:
	s_load_dwordx2 s[26:27], s[0:1], 0x28
	s_ashr_i32 s15, s15, 31
	s_andn2_b64 vcc, exec, s[8:9]
	s_ashr_i32 s19, s19, 31
	s_cbranch_vccnz .LBB42_9
; %bb.8:
	s_mul_i32 s8, s5, s16
	s_add_i32 s2, s8, s2
	s_mul_i32 s2, s2, s3
	s_add_i32 s42, s2, 1
.LBB42_9:
	s_load_dword s2, s[0:1], 0x38
	s_load_dwordx2 s[24:25], s[0:1], 0x0
	s_load_dwordx2 s[30:31], s[0:1], 0x18
	s_load_dword s16, s[0:1], 0x88
	s_xor_b32 s3, s15, s19
	s_waitcnt lgkmcnt(0)
	s_mul_i32 s28, s2, s20
	s_mul_i32 s2, s12, s23
	s_sub_i32 s2, s11, s2
	s_ashr_i32 s29, s28, 31
	s_add_i32 s8, s12, 1
	s_sub_i32 s9, s2, s23
	s_cmp_ge_u32 s2, s23
	s_cselect_b32 s8, s8, s12
	s_cselect_b32 s2, s9, s2
	s_add_i32 s9, s8, 1
	s_cmp_ge_u32 s2, s23
	s_cselect_b32 s2, s9, s8
	s_xor_b32 s2, s2, s3
	s_sub_i32 s12, s2, s3
	s_add_i32 s2, s21, 31
	s_ashr_i32 s3, s2, 31
	s_lshr_b32 s3, s3, 27
	s_add_i32 s2, s2, s3
	s_ashr_i32 s43, s2, 5
	v_lshrrev_b32_e32 v1, 6, v0
	v_cmp_gt_i32_e64 s[2:3], s43, v1
	v_mov_b32_e32 v49, 0xff7fffff
	s_mul_i32 s14, s10, s14
	v_lshrrev_b32_e32 v45, 4, v0
	v_lshlrev_b32_e32 v92, 5, v1
	v_mbcnt_lo_u32_b32 v46, -1, 0
	s_and_saveexec_b64 s[36:37], s[2:3]
	s_cbranch_execz .LBB42_21
; %bb.10:
	s_load_dwordx2 s[0:1], s[0:1], 0x10
	s_ashr_i32 s15, s14, 31
	s_sub_i32 s34, s12, s17
	s_lshl_b64 s[8:9], s[14:15], 2
	v_bfe_u32 v47, v0, 1, 5
	s_waitcnt lgkmcnt(0)
	s_add_u32 s0, s0, s8
	s_addc_u32 s1, s1, s9
	s_abs_i32 s15, s18
	v_cvt_f32_u32_e32 v3, s15
	s_sub_i32 s8, 0, s15
	v_cmp_eq_u32_e32 vcc, 0, v4
	v_lshlrev_b32_e32 v6, 4, v47
	v_rcp_iflag_f32_e32 v5, v3
	v_mov_b32_e32 v7, 0
	v_lshlrev_b32_e32 v48, 8, v4
	v_lshl_add_u64 v[8:9], s[0:1], 0, v[6:7]
	v_mul_f32_e32 v5, 0x4f7ffffe, v5
	v_cvt_u32_f32_e32 v5, v5
	v_and_b32_e32 v6, 8, v2
	v_lshl_add_u64 v[2:3], v[8:9], 0, v[6:7]
	v_and_b32_e32 v6, 60, v45
	v_mul_lo_u32 v4, s8, v5
	s_lshl_b64 s[8:9], s[28:29], 2
	s_add_u32 s8, s26, s8
	v_mul_hi_u32 v4, v5, v4
	s_addc_u32 s9, s27, s9
	v_lshlrev_b32_e32 v10, 2, v47
	v_add_u32_e32 v50, v5, v4
	v_lshl_add_u64 v[4:5], s[8:9], 0, v[6:7]
	v_subrev_u32_e32 v6, s21, v47
	v_add_u32_e32 v52, 1, v6
	v_lshl_or_b32 v6, v1, 7, v10
	v_mbcnt_hi_u32_b32 v55, -1, v46
	v_add_u32_e32 v53, 0x210, v6
	v_and_b32_e32 v6, 64, v55
	s_mov_b32 s45, s13
	v_cmp_neq_f32_e64 s[0:1], s44, 0
	v_lshlrev_b32_e32 v51, 5, v1
	v_mov_b32_e32 v54, 0xff7fffff
	s_mov_b64 s[38:39], 0
	s_movk_i32 s46, 0x1000
	s_movk_i32 s47, 0x2000
	;; [unrolled: 1-line block ×3, first 2 shown]
	v_xor_b32_e32 v56, 1, v55
	v_add_u32_e32 v57, 64, v6
	v_mov_b32_e32 v49, 0xff7fffff
	v_mov_b32_e32 v58, v1
	s_branch .LBB42_13
.LBB42_11:                              ;   in Loop: Header=BB42_13 Depth=1
	s_or_b64 exec, exec, s[40:41]
.LBB42_12:                              ;   in Loop: Header=BB42_13 Depth=1
	s_or_b64 exec, exec, s[10:11]
	v_add_u32_e32 v58, 2, v58
	v_cmp_le_i32_e64 s[8:9], s43, v58
	v_lshl_add_u64 v[4:5], v[4:5], 0, 8
	v_add_u32_e32 v51, 64, v51
	s_or_b64 s[38:39], s[8:9], s[38:39]
	v_add_u32_e32 v53, 0x100, v53
	s_andn2_b64 exec, exec, s[38:39]
	s_cbranch_execz .LBB42_20
.LBB42_13:                              ; =>This Inner Loop Header: Depth=1
	v_mul_hi_u32 v6, v51, s33
	s_waitcnt lgkmcnt(0)
	v_mul_lo_u32 v7, v6, s23
	v_sub_u32_e32 v7, v51, v7
	v_add_u32_e32 v8, 1, v6
	v_cmp_le_u32_e64 s[8:9], s23, v7
	s_nop 1
	v_cndmask_b32_e64 v6, v6, v8, s[8:9]
	v_subrev_u32_e32 v8, s23, v7
	v_cndmask_b32_e64 v7, v7, v8, s[8:9]
	v_add_u32_e32 v8, 1, v6
	v_cmp_le_u32_e64 s[8:9], s23, v7
	s_nop 1
	v_cndmask_b32_e64 v6, v6, v8, s[8:9]
	v_xor_b32_e32 v6, s19, v6
	v_subrev_u32_e32 v6, s19, v6
	v_add_u32_e32 v7, s42, v6
	v_sub_u32_e32 v9, 0, v7
	v_ashrrev_i32_e32 v8, 31, v7
	v_max_i32_e32 v7, v7, v9
	v_mul_hi_u32 v9, v7, v50
	v_mul_lo_u32 v9, v9, s15
	v_sub_u32_e32 v7, v7, v9
	v_subrev_u32_e32 v9, s15, v7
	v_cmp_le_u32_e64 s[8:9], s15, v7
	v_cmp_ge_i32_e64 s[10:11], s34, v6
	s_nop 0
	v_cndmask_b32_e64 v7, v7, v9, s[8:9]
	v_subrev_u32_e32 v9, s15, v7
	v_cmp_le_u32_e64 s[8:9], s15, v7
	s_nop 1
	v_cndmask_b32_e64 v7, v7, v9, s[8:9]
	v_xor_b32_e32 v7, v7, v8
	v_sub_u32_e32 v7, v7, v8
	v_cmp_ne_u32_e64 s[8:9], 0, v7
	s_and_b64 s[8:9], s[8:9], s[10:11]
	s_and_saveexec_b64 s[10:11], s[8:9]
	s_xor_b64 s[8:9], exec, s[10:11]
	s_cbranch_execz .LBB42_17
; %bb.14:                               ;   in Loop: Header=BB42_13 Depth=1
	s_and_saveexec_b64 s[10:11], vcc
; %bb.15:                               ;   in Loop: Header=BB42_13 Depth=1
	ds_write_b32 v53, v54
; %bb.16:                               ;   in Loop: Header=BB42_13 Depth=1
	s_or_b64 exec, exec, s[10:11]
.LBB42_17:                              ;   in Loop: Header=BB42_13 Depth=1
	s_andn2_saveexec_b64 s[10:11], s[8:9]
	s_cbranch_execz .LBB42_12
; %bb.18:                               ;   in Loop: Header=BB42_13 Depth=1
	global_load_dword v6, v[4:5], off
	s_waitcnt vmcnt(0)
	v_mad_i64_i32 v[6:7], s[8:9], v6, s45, 0
	v_lshl_add_u64 v[14:15], v[6:7], 2, v[2:3]
	v_add_co_u32_e64 v72, s[8:9], s47, v14
	global_load_dwordx2 v[16:17], v[14:15], off offset:512
	global_load_dwordx2 v[22:23], v[14:15], off
	global_load_dwordx2 v[24:25], v[14:15], off offset:1024
	global_load_dwordx2 v[26:27], v[14:15], off offset:1536
	;; [unrolled: 1-line block ×6, first 2 shown]
	v_addc_co_u32_e64 v73, s[8:9], 0, v15, s[8:9]
	global_load_dwordx2 v[74:75], v[72:73], off offset:-4096
	v_add_co_u32_e64 v18, s[8:9], s46, v14
	s_nop 1
	v_addc_co_u32_e64 v19, s[8:9], 0, v15, s[8:9]
	global_load_dwordx2 v[76:77], v[18:19], off offset:512
	global_load_dwordx2 v[78:79], v[18:19], off offset:1024
	ds_read_b128 v[6:9], v48
	ds_read_b128 v[10:13], v48 offset:16
	global_load_dwordx2 v[42:43], v[18:19], off offset:1536
	global_load_dwordx2 v[36:37], v[18:19], off offset:2048
	global_load_dwordx2 v[34:35], v[18:19], off offset:2560
	global_load_dwordx2 v[40:41], v[18:19], off offset:3072
	global_load_dwordx2 v[38:39], v[18:19], off offset:3584
	v_add_co_u32_e64 v80, s[8:9], s48, v14
	s_waitcnt vmcnt(15) lgkmcnt(1)
	v_mul_f32_e32 v59, v8, v16
	v_addc_co_u32_e64 v81, s[8:9], 0, v15, s[8:9]
	v_mul_f32_e32 v60, v9, v17
	ds_read_b128 v[14:17], v48 offset:32
	ds_read_b128 v[18:21], v48 offset:48
	global_load_dwordx2 v[82:83], v[72:73], off
	global_load_dwordx2 v[84:85], v[72:73], off offset:512
	global_load_dwordx2 v[32:33], v[72:73], off offset:1024
	;; [unrolled: 1-line block ×3, first 2 shown]
	s_waitcnt vmcnt(18)
	v_fmac_f32_e32 v59, v6, v22
	v_fmac_f32_e32 v60, v7, v23
	s_waitcnt vmcnt(17) lgkmcnt(2)
	v_fmac_f32_e32 v59, v10, v24
	v_fmac_f32_e32 v60, v11, v25
	s_waitcnt vmcnt(16)
	v_fmac_f32_e32 v59, v12, v26
	v_fmac_f32_e32 v60, v13, v27
	s_waitcnt vmcnt(15) lgkmcnt(1)
	v_fmac_f32_e32 v59, v14, v28
	v_fmac_f32_e32 v60, v15, v29
	ds_read_b128 v[22:25], v48 offset:64
	ds_read_b128 v[62:65], v48 offset:80
	global_load_dwordx2 v[14:15], v[72:73], off offset:2048
	global_load_dwordx2 v[12:13], v[72:73], off offset:2560
	;; [unrolled: 1-line block ×4, first 2 shown]
	s_waitcnt vmcnt(18)
	v_fmac_f32_e32 v59, v16, v66
	v_fmac_f32_e32 v60, v17, v67
	global_load_dwordx2 v[16:17], v[80:81], off
	s_waitcnt vmcnt(18) lgkmcnt(2)
	v_fmac_f32_e32 v59, v18, v68
	v_fmac_f32_e32 v60, v19, v69
	s_waitcnt vmcnt(17)
	v_fmac_f32_e32 v59, v20, v70
	v_fmac_f32_e32 v60, v21, v71
	global_load_dwordx2 v[18:19], v[80:81], off offset:512
	global_load_dwordx2 v[6:7], v[80:81], off offset:3584
	s_waitcnt vmcnt(18) lgkmcnt(1)
	v_fmac_f32_e32 v59, v22, v74
	v_fmac_f32_e32 v60, v23, v75
	global_load_dwordx2 v[22:23], v[80:81], off offset:1024
	global_load_dwordx2 v[20:21], v[80:81], off offset:1536
	s_waitcnt vmcnt(19)
	v_fmac_f32_e32 v59, v24, v76
	v_fmac_f32_e32 v60, v25, v77
	global_load_dwordx2 v[28:29], v[80:81], off offset:2048
	global_load_dwordx2 v[26:27], v[80:81], off offset:2560
	global_load_dwordx2 v[24:25], v[80:81], off offset:3072
	ds_read_b128 v[66:69], v48 offset:96
	s_waitcnt vmcnt(21) lgkmcnt(1)
	v_fmac_f32_e32 v59, v62, v78
	v_fmac_f32_e32 v60, v63, v79
	s_waitcnt vmcnt(20)
	v_fmac_f32_e32 v59, v64, v42
	v_fmac_f32_e32 v60, v65, v43
	ds_read_b128 v[62:65], v48 offset:112
	s_waitcnt vmcnt(19) lgkmcnt(1)
	v_fmac_f32_e32 v59, v66, v36
	v_fmac_f32_e32 v60, v67, v37
	s_waitcnt vmcnt(18)
	v_fmac_f32_e32 v59, v68, v34
	v_fmac_f32_e32 v60, v69, v35
	ds_read_b128 v[34:37], v48 offset:128
	ds_read_b128 v[66:69], v48 offset:144
	s_waitcnt vmcnt(17) lgkmcnt(2)
	v_fmac_f32_e32 v59, v62, v40
	v_fmac_f32_e32 v60, v63, v41
	s_waitcnt vmcnt(16)
	v_fmac_f32_e32 v59, v64, v38
	v_fmac_f32_e32 v60, v65, v39
	ds_read_b128 v[38:41], v48 offset:160
	ds_read_b128 v[62:65], v48 offset:176
	v_cmp_lt_i32_e64 s[8:9], v56, v57
	s_waitcnt vmcnt(15) lgkmcnt(3)
	v_fmac_f32_e32 v59, v34, v82
	v_fmac_f32_e32 v60, v35, v83
	s_waitcnt vmcnt(14)
	v_fmac_f32_e32 v59, v36, v84
	v_fmac_f32_e32 v60, v37, v85
	s_waitcnt vmcnt(13) lgkmcnt(2)
	v_fmac_f32_e32 v59, v66, v32
	v_fmac_f32_e32 v60, v67, v33
	s_waitcnt vmcnt(12)
	v_fmac_f32_e32 v59, v68, v30
	v_fmac_f32_e32 v60, v69, v31
	ds_read_b128 v[34:37], v48 offset:192
	ds_read_b128 v[70:73], v48 offset:208
	;; [unrolled: 1-line block ×4, first 2 shown]
	s_waitcnt vmcnt(11) lgkmcnt(5)
	v_fmac_f32_e32 v59, v38, v14
	v_fmac_f32_e32 v60, v39, v15
	s_waitcnt vmcnt(10)
	v_fmac_f32_e32 v59, v40, v12
	v_fmac_f32_e32 v60, v41, v13
	s_waitcnt vmcnt(9) lgkmcnt(4)
	v_fmac_f32_e32 v59, v62, v10
	v_fmac_f32_e32 v60, v63, v11
	s_waitcnt vmcnt(8)
	v_fmac_f32_e32 v59, v64, v8
	v_fmac_f32_e32 v60, v65, v9
	;; [unrolled: 6-line block ×3, first 2 shown]
	v_cndmask_b32_e64 v42, v55, v56, s[8:9]
	s_waitcnt vmcnt(4) lgkmcnt(2)
	v_fmac_f32_e32 v59, v22, v70
	v_fmac_f32_e32 v60, v23, v71
	s_waitcnt vmcnt(3)
	v_fmac_f32_e32 v59, v20, v72
	v_fmac_f32_e32 v60, v21, v73
	s_waitcnt vmcnt(2) lgkmcnt(1)
	v_fmac_f32_e32 v59, v28, v30
	v_fmac_f32_e32 v60, v29, v31
	s_waitcnt vmcnt(1)
	v_fmac_f32_e32 v59, v26, v32
	v_fmac_f32_e32 v60, v27, v33
	s_waitcnt vmcnt(0) lgkmcnt(0)
	v_fmac_f32_e32 v59, v24, v66
	v_fmac_f32_e32 v60, v25, v67
	;; [unrolled: 1-line block ×4, first 2 shown]
	v_lshlrev_b32_e32 v42, 2, v42
	v_add_f32_e32 v6, v59, v60
	ds_bpermute_b32 v7, v42, v6
	s_and_saveexec_b64 s[40:41], vcc
	s_cbranch_execz .LBB42_11
; %bb.19:                               ;   in Loop: Header=BB42_13 Depth=1
	v_add_u32_e32 v8, v52, v51
	v_cvt_f32_i32_e32 v8, v8
	s_waitcnt lgkmcnt(0)
	v_add_f32_e32 v6, v6, v7
	v_add_u32_e32 v9, v47, v51
	v_cmp_gt_i32_e64 s[8:9], s21, v9
	v_mul_f32_e32 v7, s44, v8
	v_cndmask_b32_e64 v7, 0, v7, s[0:1]
	v_fmac_f32_e32 v7, s35, v6
	v_cndmask_b32_e64 v6, 0, v7, s[8:9]
	ds_write_b32 v53, v6
	v_max_f32_e32 v6, v49, v49
	v_max_f32_e32 v6, v6, v7
	v_cndmask_b32_e64 v49, v49, v6, s[8:9]
	s_branch .LBB42_11
.LBB42_20:
	s_or_b64 exec, exec, s[38:39]
.LBB42_21:
	s_or_b64 exec, exec, s[36:37]
	v_mbcnt_hi_u32_b32 v2, -1, v46
	v_and_b32_e32 v8, 64, v2
	v_add_u32_e32 v9, 64, v8
	v_xor_b32_e32 v3, 32, v2
	v_cmp_lt_i32_e32 vcc, v3, v9
	v_xor_b32_e32 v6, 16, v2
	v_max_f32_e32 v5, v49, v49
	v_cndmask_b32_e32 v3, v2, v3, vcc
	v_lshlrev_b32_e32 v3, 2, v3
	ds_bpermute_b32 v4, v3, v49
	v_cmp_lt_i32_e32 vcc, v6, v9
	s_waitcnt lgkmcnt(1)
	v_xor_b32_e32 v7, 8, v2
	v_xor_b32_e32 v10, 4, v2
	v_and_b32_e32 v93, 63, v0
	s_waitcnt lgkmcnt(0)
	v_max_f32_e32 v4, v4, v4
	v_max_f32_e32 v5, v5, v4
	v_cndmask_b32_e32 v4, v2, v6, vcc
	v_lshlrev_b32_e32 v4, 2, v4
	ds_bpermute_b32 v6, v4, v5
	v_cmp_lt_i32_e32 vcc, v7, v9
	s_waitcnt lgkmcnt(0)
	v_max_f32_e32 v6, v6, v6
	v_max_f32_e32 v6, v5, v6
	v_cndmask_b32_e32 v5, v2, v7, vcc
	v_lshlrev_b32_e32 v5, 2, v5
	ds_bpermute_b32 v7, v5, v6
	v_cmp_lt_i32_e32 vcc, v10, v9
	s_waitcnt lgkmcnt(0)
	v_max_f32_e32 v7, v7, v7
	v_max_f32_e32 v6, v6, v7
	v_cndmask_b32_e32 v7, v2, v10, vcc
	v_lshlrev_b32_e32 v94, 2, v7
	ds_bpermute_b32 v7, v94, v6
	v_xor_b32_e32 v10, 2, v2
	v_cmp_lt_i32_e32 vcc, v10, v9
	s_waitcnt lgkmcnt(0)
	v_max_f32_e32 v7, v7, v7
	v_max_f32_e32 v7, v6, v7
	v_cndmask_b32_e32 v6, v2, v10, vcc
	v_lshlrev_b32_e32 v95, 2, v6
	ds_bpermute_b32 v10, v95, v7
	v_cmp_eq_u32_e32 vcc, 0, v93
	v_lshlrev_b32_e32 v6, 2, v1
	s_and_saveexec_b64 s[0:1], vcc
	s_cbranch_execz .LBB42_23
; %bb.22:
	s_waitcnt lgkmcnt(0)
	v_max_f32_e32 v10, v10, v10
	v_max_f32_e32 v7, v7, v7
	;; [unrolled: 1-line block ×3, first 2 shown]
	ds_write_b32 v6, v7 offset:512
.LBB42_23:
	s_or_b64 exec, exec, s[0:1]
	v_cmp_gt_u32_e64 s[0:1], 2, v93
	s_waitcnt lgkmcnt(0)
	v_mov_b32_e32 v10, 0xff7fffff
	v_lshlrev_b32_e32 v7, 2, v93
	s_barrier
	s_and_saveexec_b64 s[8:9], s[0:1]
; %bb.24:
	ds_read_b32 v10, v7 offset:512
; %bb.25:
	s_or_b64 exec, exec, s[8:9]
	v_xor_b32_e32 v11, 1, v2
	v_cmp_lt_i32_e64 s[8:9], v11, v9
	v_lshlrev_b32_e32 v8, 2, v8
	s_nop 0
	v_cndmask_b32_e64 v9, v2, v11, s[8:9]
	v_lshlrev_b32_e32 v96, 2, v9
	s_waitcnt lgkmcnt(0)
	ds_bpermute_b32 v9, v96, v10
	v_max_f32_e32 v10, v10, v10
	s_lshl_b32 s8, s43, 5
	s_min_i32 s15, s8, s21
	v_cmp_gt_i32_e64 s[8:9], s15, v0
	s_waitcnt lgkmcnt(0)
	v_max_f32_e32 v9, v9, v9
	v_max_f32_e32 v9, v10, v9
	ds_bpermute_b32 v9, v8, v9
	v_mov_b32_e32 v8, 0
	s_and_saveexec_b64 s[34:35], s[8:9]
	s_cbranch_execz .LBB42_29
; %bb.26:
	v_mov_b32_e32 v8, 0x210
	v_lshl_add_u32 v10, v0, 2, v8
	v_mov_b32_e32 v8, 0
	s_mov_b64 s[36:37], 0
	v_mov_b32_e32 v11, v0
.LBB42_27:                              ; =>This Inner Loop Header: Depth=1
	ds_read_b32 v12, v10
	v_add_u32_e32 v11, 0x80, v11
	v_cmp_le_i32_e64 s[10:11], s15, v11
	s_or_b64 s[36:37], s[10:11], s[36:37]
	s_waitcnt lgkmcnt(0)
	v_sub_f32_e32 v12, v12, v9
	v_mul_f32_e32 v12, 0x3fb8aa3b, v12
	v_exp_f32_e32 v12, v12
	ds_write_b32 v10, v12
	v_add_f32_e32 v8, v8, v12
	v_add_u32_e32 v10, 0x200, v10
	s_andn2_b64 exec, exec, s[36:37]
	s_cbranch_execnz .LBB42_27
; %bb.28:
	s_or_b64 exec, exec, s[36:37]
.LBB42_29:
	s_or_b64 exec, exec, s[34:35]
	ds_bpermute_b32 v3, v3, v8
	s_waitcnt lgkmcnt(0)
	v_add_f32_e32 v3, v8, v3
	ds_bpermute_b32 v4, v4, v3
	s_waitcnt lgkmcnt(0)
	v_add_f32_e32 v3, v3, v4
	;; [unrolled: 3-line block ×6, first 2 shown]
	s_and_saveexec_b64 s[10:11], vcc
; %bb.30:
	ds_write_b32 v6, v3 offset:520
; %bb.31:
	s_or_b64 exec, exec, s[10:11]
	s_waitcnt lgkmcnt(0)
	s_barrier
	s_and_saveexec_b64 s[10:11], s[0:1]
; %bb.32:
	ds_read_b32 v3, v7 offset:520
; %bb.33:
	s_or_b64 exec, exec, s[10:11]
	s_waitcnt lgkmcnt(0)
	ds_bpermute_b32 v4, v96, v3
	v_lshlrev_b32_e32 v2, 2, v2
	v_and_b32_e32 v2, 0x100, v2
	s_waitcnt lgkmcnt(0)
	v_add_f32_e32 v3, v3, v4
	ds_bpermute_b32 v2, v2, v3
	s_and_saveexec_b64 s[0:1], s[8:9]
	s_cbranch_execz .LBB42_46
; %bb.34:
	s_waitcnt lgkmcnt(0)
	v_add_f32_e32 v2, 0x358637bd, v2
	v_div_scale_f32 v3, s[8:9], v2, v2, 1.0
	v_rcp_f32_e32 v4, v3
	v_div_scale_f32 v5, vcc, 1.0, v2, 1.0
	s_movk_i32 s8, 0x7f
	v_fma_f32 v6, -v3, v4, 1.0
	v_fmac_f32_e32 v4, v6, v4
	v_mul_f32_e32 v6, v5, v4
	v_fma_f32 v7, -v3, v6, v5
	v_fmac_f32_e32 v6, v7, v4
	v_fma_f32 v3, -v3, v6, v5
	v_div_fmas_f32 v3, v3, v4, v6
	v_xad_u32 v4, v0, -1, s15
	v_div_fixup_f32 v2, v3, v2, 1.0
	v_cmp_lt_u32_e32 vcc, s8, v4
	s_mov_b64 s[10:11], -1
	v_mov_b32_e32 v3, v0
	s_and_saveexec_b64 s[8:9], vcc
	s_cbranch_execz .LBB42_43
; %bb.35:
	v_lshrrev_b32_e32 v4, 7, v4
	v_add_u32_e32 v6, -1, v4
	v_lshrrev_b32_e32 v5, 1, v6
	v_mov_b32_e32 v3, v2
	v_add_u32_e32 v5, 1, v5
	v_cmp_lt_u32_e32 vcc, 13, v6
	v_mov_b32_e32 v8, 0
	s_and_saveexec_b64 s[10:11], vcc
	s_cbranch_execz .LBB42_39
; %bb.36:
	v_mov_b32_e32 v7, 0x210
	v_and_b32_e32 v6, -8, v5
	v_lshl_add_u32 v7, v0, 2, v7
	s_mov_b32 s36, 0
	s_mov_b64 s[34:35], 0
.LBB42_37:                              ; =>This Inner Loop Header: Depth=1
	ds_read2st64_b32 v[8:9], v7 offset1:2
	ds_read2st64_b32 v[10:11], v7 offset0:4 offset1:6
	ds_read2st64_b32 v[12:13], v7 offset0:8 offset1:10
	;; [unrolled: 1-line block ×3, first 2 shown]
	v_add_u32_e32 v6, -8, v6
	s_waitcnt lgkmcnt(3)
	v_pk_mul_f32 v[8:9], v[2:3], v[8:9]
	s_waitcnt lgkmcnt(2)
	v_pk_mul_f32 v[10:11], v[2:3], v[10:11]
	ds_write2st64_b32 v7, v8, v9 offset1:2
	ds_write2st64_b32 v7, v10, v11 offset0:4 offset1:6
	ds_read2st64_b32 v[10:11], v7 offset0:16 offset1:18
	s_waitcnt lgkmcnt(4)
	v_pk_mul_f32 v[8:9], v[2:3], v[12:13]
	ds_write2st64_b32 v7, v8, v9 offset0:8 offset1:10
	s_waitcnt lgkmcnt(4)
	v_pk_mul_f32 v[8:9], v[2:3], v[14:15]
	ds_write2st64_b32 v7, v8, v9 offset0:12 offset1:14
	ds_read2st64_b32 v[8:9], v7 offset0:20 offset1:22
	s_waitcnt lgkmcnt(3)
	v_pk_mul_f32 v[10:11], v[2:3], v[10:11]
	ds_read2st64_b32 v[12:13], v7 offset0:24 offset1:26
	ds_write2st64_b32 v7, v10, v11 offset0:16 offset1:18
	ds_read2st64_b32 v[10:11], v7 offset0:28 offset1:30
	s_waitcnt lgkmcnt(3)
	v_pk_mul_f32 v[8:9], v[2:3], v[8:9]
	ds_write2st64_b32 v7, v8, v9 offset0:20 offset1:22
	s_waitcnt lgkmcnt(3)
	v_pk_mul_f32 v[8:9], v[2:3], v[12:13]
	ds_write2st64_b32 v7, v8, v9 offset0:24 offset1:26
	s_waitcnt lgkmcnt(2)
	v_pk_mul_f32 v[8:9], v[2:3], v[10:11]
	s_add_i32 s36, s36, 16
	v_cmp_eq_u32_e32 vcc, 0, v6
	ds_write2st64_b32 v7, v8, v9 offset0:28 offset1:30
	v_add_u32_e32 v7, 0x2000, v7
	s_or_b64 s[34:35], vcc, s[34:35]
	v_mov_b32_e32 v8, s36
	s_andn2_b64 exec, exec, s[34:35]
	s_cbranch_execnz .LBB42_37
; %bb.38:
	s_or_b64 exec, exec, s[34:35]
.LBB42_39:
	s_or_b64 exec, exec, s[10:11]
	v_and_b32_e32 v5, 7, v5
	v_cmp_ne_u32_e32 vcc, 0, v5
	s_and_saveexec_b64 s[10:11], vcc
	s_cbranch_execz .LBB42_42
; %bb.40:
	v_lshlrev_b32_e32 v6, 9, v8
	s_movk_i32 s34, 0x210
	v_add3_u32 v6, v6, v44, s34
	s_mov_b64 s[34:35], 0
.LBB42_41:                              ; =>This Inner Loop Header: Depth=1
	ds_read2st64_b32 v[8:9], v6 offset1:2
	v_add_u32_e32 v5, -1, v5
	v_cmp_eq_u32_e32 vcc, 0, v5
	s_or_b64 s[34:35], vcc, s[34:35]
	s_waitcnt lgkmcnt(0)
	v_pk_mul_f32 v[8:9], v[2:3], v[8:9]
	ds_write2st64_b32 v6, v8, v9 offset1:2
	v_add_u32_e32 v6, 0x400, v6
	s_andn2_b64 exec, exec, s[34:35]
	s_cbranch_execnz .LBB42_41
.LBB42_42:
	s_or_b64 exec, exec, s[10:11]
	v_add_u32_e32 v4, 1, v4
	v_and_b32_e32 v5, 0x3fffffe, v4
	v_cmp_ne_u32_e32 vcc, v4, v5
	v_lshl_add_u32 v3, v5, 7, v0
	s_orn2_b64 s[10:11], vcc, exec
.LBB42_43:
	s_or_b64 exec, exec, s[8:9]
	s_and_b64 exec, exec, s[10:11]
	s_cbranch_execz .LBB42_46
; %bb.44:
	v_mov_b32_e32 v4, 0x210
	v_lshl_add_u32 v4, v3, 2, v4
	s_mov_b64 s[8:9], 0
.LBB42_45:                              ; =>This Inner Loop Header: Depth=1
	ds_read_b32 v5, v4
	v_add_u32_e32 v3, 0x80, v3
	v_cmp_le_i32_e32 vcc, s15, v3
	s_or_b64 s[8:9], vcc, s[8:9]
	s_waitcnt lgkmcnt(0)
	v_mul_f32_e32 v5, v2, v5
	ds_write_b32 v4, v5
	v_add_u32_e32 v4, 0x200, v4
	s_andn2_b64 exec, exec, s[8:9]
	s_cbranch_execnz .LBB42_45
.LBB42_46:
	s_or_b64 exec, exec, s[0:1]
	v_mov_b32_e32 v71, 0
	v_and_b32_e32 v97, 7, v0
	v_mov_b32_e32 v70, 0
	v_mov_b32_e32 v73, 0
	;; [unrolled: 1-line block ×15, first 2 shown]
	s_waitcnt lgkmcnt(0)
	s_barrier
	s_and_saveexec_b64 s[8:9], s[2:3]
	s_cbranch_execz .LBB42_84
; %bb.47:
	s_ashr_i32 s15, s14, 31
	s_sub_i32 s17, s12, s17
	s_lshl_b64 s[0:1], s[14:15], 2
	s_add_u32 s10, s30, s0
	s_addc_u32 s11, s31, s1
	s_abs_i32 s18, s18
	v_cvt_f32_u32_e32 v2, s18
	s_sub_i32 s0, 0, s18
	s_add_i32 s31, s43, -1
	v_mov_b32_e32 v87, 0
	v_rcp_iflag_f32_e32 v3, v2
	v_and_b32_e32 v2, 0xfc, v44
	v_or_b32_e32 v4, 0xf00, v44
	v_and_b32_e32 v86, 60, v45
	v_mul_f32_e32 v3, 0x4f7ffffe, v3
	v_cvt_u32_f32_e32 v3, v3
	v_and_b32_e32 v98, 28, v44
	s_mov_b32 s30, s13
	s_mov_b32 s34, s21
	v_mul_lo_u32 v5, s0, v3
	v_mul_hi_u32 v5, v3, v5
	s_lshl_b64 s[0:1], s[28:29], 2
	v_add_u32_e32 v99, v3, v5
	s_add_u32 s0, s26, s0
	v_lshlrev_b32_e32 v3, 4, v97
	s_addc_u32 s1, s27, s1
	v_lshl_or_b32 v3, v1, 7, v3
	v_lshl_add_u64 v[88:89], s[0:1], 0, v[86:87]
	v_add_u32_e32 v100, 0x210, v3
	s_mov_b64 s[12:13], 0
	v_lshlrev_b32_e32 v90, 2, v2
	v_lshlrev_b32_e32 v86, 2, v4
	v_mov_b32_e32 v84, v87
	v_mov_b32_e32 v85, v87
	;; [unrolled: 1-line block ×16, first 2 shown]
	s_branch .LBB42_50
.LBB42_48:                              ;   in Loop: Header=BB42_50 Depth=1
	s_or_b64 exec, exec, s[14:15]
	s_waitcnt vmcnt(1) lgkmcnt(0)
	v_mul_f32_e32 v66, v2, v66
	v_mul_f32_e32 v62, v2, v62
	;; [unrolled: 1-line block ×15, first 2 shown]
	v_fmac_f32_e32 v66, v3, v67
	v_fmac_f32_e32 v62, v3, v63
	;; [unrolled: 1-line block ×30, first 2 shown]
	s_waitcnt vmcnt(0)
	v_pk_mul_f32 v[2:3], v[2:3], v[58:59]
	v_fmac_f32_e32 v66, v5, v69
	v_fmac_f32_e32 v62, v5, v65
	;; [unrolled: 1-line block ×15, first 2 shown]
	v_pk_mul_f32 v[4:5], v[4:5], v[60:61]
	v_add_f32_e32 v2, v3, v2
	v_add_f32_e32 v2, v4, v2
	;; [unrolled: 1-line block ×19, first 2 shown]
.LBB42_49:                              ;   in Loop: Header=BB42_50 Depth=1
	s_or_b64 exec, exec, s[0:1]
	v_add_u32_e32 v1, 2, v1
	v_cmp_le_i32_e32 vcc, s43, v1
	v_lshl_add_u64 v[88:89], v[88:89], 0, 8
	v_add_u32_e32 v92, 64, v92
	s_or_b64 s[12:13], vcc, s[12:13]
	v_add_u32_e32 v100, 0x100, v100
	s_andn2_b64 exec, exec, s[12:13]
	s_cbranch_execz .LBB42_83
.LBB42_50:                              ; =>This Inner Loop Header: Depth=1
	v_mul_hi_u32 v2, v92, s33
	v_mul_lo_u32 v3, v2, s23
	v_sub_u32_e32 v3, v92, v3
	v_add_u32_e32 v4, 1, v2
	v_cmp_le_u32_e32 vcc, s23, v3
	s_nop 1
	v_cndmask_b32_e32 v2, v2, v4, vcc
	v_subrev_u32_e32 v4, s23, v3
	v_cndmask_b32_e32 v3, v3, v4, vcc
	v_add_u32_e32 v4, 1, v2
	v_cmp_le_u32_e32 vcc, s23, v3
	s_nop 1
	v_cndmask_b32_e32 v2, v2, v4, vcc
	v_xor_b32_e32 v2, s19, v2
	v_subrev_u32_e32 v2, s19, v2
	v_add_u32_e32 v3, s42, v2
	v_sub_u32_e32 v5, 0, v3
	v_ashrrev_i32_e32 v4, 31, v3
	v_max_i32_e32 v3, v3, v5
	v_mul_hi_u32 v5, v3, v99
	v_mul_lo_u32 v5, v5, s18
	v_sub_u32_e32 v3, v3, v5
	v_subrev_u32_e32 v5, s18, v3
	v_cmp_le_u32_e32 vcc, s18, v3
	v_cmp_lt_i32_e64 s[0:1], s17, v2
	s_nop 0
	v_cndmask_b32_e32 v3, v3, v5, vcc
	v_subrev_u32_e32 v5, s18, v3
	v_cmp_le_u32_e32 vcc, s18, v3
	s_nop 1
	v_cndmask_b32_e32 v3, v3, v5, vcc
	v_xor_b32_e32 v3, v3, v4
	v_sub_u32_e32 v3, v3, v4
	v_cmp_eq_u32_e32 vcc, 0, v3
	s_or_b64 s[2:3], vcc, s[0:1]
	s_and_saveexec_b64 s[0:1], s[2:3]
	s_cbranch_execz .LBB42_49
; %bb.51:                               ;   in Loop: Header=BB42_50 Depth=1
	global_load_dword v2, v[88:89], off
	v_mov_b32_e32 v91, v87
	s_waitcnt vmcnt(0)
	v_mad_i64_i32 v[2:3], s[2:3], v2, s30, 0
	v_lshl_add_u64 v[58:59], v[2:3], 2, s[10:11]
	v_lshl_add_u64 v[60:61], v[58:59], 0, v[90:91]
	global_load_dwordx4 v[6:9], v[60:61], off
	ds_read_b128 v[2:5], v100
	v_add_u32_e32 v91, v98, v92
	v_cmp_eq_u32_e64 s[2:3], s31, v1
	v_add_u32_e32 v103, 1, v91
	v_or_b32_e32 v102, 3, v91
	v_or_b32_e32 v101, 2, v91
	s_and_saveexec_b64 s[14:15], s[2:3]
	s_cbranch_execnz .LBB42_80
; %bb.52:                               ;   in Loop: Header=BB42_50 Depth=1
	s_or_b64 exec, exec, s[14:15]
	global_load_dwordx4 v[10:13], v[60:61], off offset:1024
	s_and_saveexec_b64 s[14:15], s[2:3]
	s_cbranch_execnz .LBB42_81
.LBB42_53:                              ;   in Loop: Header=BB42_50 Depth=1
	s_or_b64 exec, exec, s[14:15]
	global_load_dwordx4 v[14:17], v[60:61], off offset:2048
	s_and_saveexec_b64 s[14:15], s[2:3]
	s_cbranch_execnz .LBB42_82
.LBB42_54:                              ;   in Loop: Header=BB42_50 Depth=1
	s_or_b64 exec, exec, s[14:15]
	global_load_dwordx4 v[18:21], v[60:61], off offset:3072
	s_and_saveexec_b64 s[14:15], s[2:3]
	s_cbranch_execz .LBB42_56
.LBB42_55:                              ;   in Loop: Header=BB42_50 Depth=1
	v_cmp_gt_i32_e32 vcc, s34, v103
	s_waitcnt vmcnt(0)
	s_nop 0
	v_cndmask_b32_e32 v19, 0, v19, vcc
	v_cmp_gt_i32_e32 vcc, s21, v91
	s_nop 1
	v_cndmask_b32_e32 v18, 0, v18, vcc
	v_cmp_gt_i32_e32 vcc, s34, v102
	;; [unrolled: 3-line block ×3, first 2 shown]
	s_nop 1
	v_cndmask_b32_e32 v20, 0, v20, vcc
.LBB42_56:                              ;   in Loop: Header=BB42_50 Depth=1
	s_or_b64 exec, exec, s[14:15]
	v_add_co_u32_e32 v22, vcc, 0x1000, v60
	s_nop 1
	v_addc_co_u32_e32 v23, vcc, 0, v61, vcc
	global_load_dwordx4 v[22:25], v[22:23], off
	s_and_saveexec_b64 s[14:15], s[2:3]
	s_cbranch_execz .LBB42_58
; %bb.57:                               ;   in Loop: Header=BB42_50 Depth=1
	v_cmp_gt_i32_e32 vcc, s34, v103
	s_waitcnt vmcnt(0)
	s_nop 0
	v_cndmask_b32_e32 v23, 0, v23, vcc
	v_cmp_gt_i32_e32 vcc, s21, v91
	s_nop 1
	v_cndmask_b32_e32 v22, 0, v22, vcc
	v_cmp_gt_i32_e32 vcc, s34, v102
	s_nop 1
	v_cndmask_b32_e32 v25, 0, v25, vcc
	v_cmp_gt_i32_e32 vcc, s21, v101
	s_nop 1
	v_cndmask_b32_e32 v24, 0, v24, vcc
.LBB42_58:                              ;   in Loop: Header=BB42_50 Depth=1
	s_or_b64 exec, exec, s[14:15]
	v_add_co_u32_e32 v26, vcc, 0x1000, v60
	s_nop 1
	v_addc_co_u32_e32 v27, vcc, 0, v61, vcc
	global_load_dwordx4 v[26:29], v[26:27], off offset:1024
	s_and_saveexec_b64 s[14:15], s[2:3]
	s_cbranch_execz .LBB42_60
; %bb.59:                               ;   in Loop: Header=BB42_50 Depth=1
	v_cmp_gt_i32_e32 vcc, s34, v103
	s_waitcnt vmcnt(0)
	s_nop 0
	v_cndmask_b32_e32 v27, 0, v27, vcc
	v_cmp_gt_i32_e32 vcc, s21, v91
	s_nop 1
	v_cndmask_b32_e32 v26, 0, v26, vcc
	v_cmp_gt_i32_e32 vcc, s34, v102
	s_nop 1
	v_cndmask_b32_e32 v29, 0, v29, vcc
	v_cmp_gt_i32_e32 vcc, s21, v101
	s_nop 1
	v_cndmask_b32_e32 v28, 0, v28, vcc
.LBB42_60:                              ;   in Loop: Header=BB42_50 Depth=1
	s_or_b64 exec, exec, s[14:15]
	v_add_co_u32_e32 v30, vcc, 0x1000, v60
	s_nop 1
	v_addc_co_u32_e32 v31, vcc, 0, v61, vcc
	global_load_dwordx4 v[30:33], v[30:31], off offset:2048
	;; [unrolled: 22-line block ×3, first 2 shown]
	s_and_saveexec_b64 s[14:15], s[2:3]
	s_cbranch_execz .LBB42_64
; %bb.63:                               ;   in Loop: Header=BB42_50 Depth=1
	v_cmp_gt_i32_e32 vcc, s34, v103
	s_waitcnt vmcnt(0)
	s_nop 0
	v_cndmask_b32_e32 v35, 0, v35, vcc
	v_cmp_gt_i32_e32 vcc, s21, v91
	s_nop 1
	v_cndmask_b32_e32 v34, 0, v34, vcc
	v_cmp_gt_i32_e32 vcc, s34, v102
	;; [unrolled: 3-line block ×3, first 2 shown]
	s_nop 1
	v_cndmask_b32_e32 v36, 0, v36, vcc
.LBB42_64:                              ;   in Loop: Header=BB42_50 Depth=1
	s_or_b64 exec, exec, s[14:15]
	v_add_co_u32_e32 v38, vcc, 0x2000, v60
	s_nop 1
	v_addc_co_u32_e32 v39, vcc, 0, v61, vcc
	global_load_dwordx4 v[38:41], v[38:39], off
	s_and_saveexec_b64 s[14:15], s[2:3]
	s_cbranch_execz .LBB42_66
; %bb.65:                               ;   in Loop: Header=BB42_50 Depth=1
	v_cmp_gt_i32_e32 vcc, s34, v103
	s_waitcnt vmcnt(0)
	s_nop 0
	v_cndmask_b32_e32 v39, 0, v39, vcc
	v_cmp_gt_i32_e32 vcc, s21, v91
	s_nop 1
	v_cndmask_b32_e32 v38, 0, v38, vcc
	v_cmp_gt_i32_e32 vcc, s34, v102
	s_nop 1
	v_cndmask_b32_e32 v41, 0, v41, vcc
	v_cmp_gt_i32_e32 vcc, s21, v101
	s_nop 1
	v_cndmask_b32_e32 v40, 0, v40, vcc
.LBB42_66:                              ;   in Loop: Header=BB42_50 Depth=1
	s_or_b64 exec, exec, s[14:15]
	v_add_co_u32_e32 v42, vcc, 0x2000, v60
	s_nop 1
	v_addc_co_u32_e32 v43, vcc, 0, v61, vcc
	global_load_dwordx4 v[42:45], v[42:43], off offset:1024
	s_and_saveexec_b64 s[14:15], s[2:3]
	s_cbranch_execz .LBB42_68
; %bb.67:                               ;   in Loop: Header=BB42_50 Depth=1
	v_cmp_gt_i32_e32 vcc, s34, v103
	s_waitcnt vmcnt(0)
	s_nop 0
	v_cndmask_b32_e32 v43, 0, v43, vcc
	v_cmp_gt_i32_e32 vcc, s21, v91
	s_nop 1
	v_cndmask_b32_e32 v42, 0, v42, vcc
	v_cmp_gt_i32_e32 vcc, s34, v102
	s_nop 1
	v_cndmask_b32_e32 v45, 0, v45, vcc
	v_cmp_gt_i32_e32 vcc, s21, v101
	s_nop 1
	v_cndmask_b32_e32 v44, 0, v44, vcc
.LBB42_68:                              ;   in Loop: Header=BB42_50 Depth=1
	s_or_b64 exec, exec, s[14:15]
	v_add_co_u32_e32 v46, vcc, 0x2000, v60
	s_nop 1
	v_addc_co_u32_e32 v47, vcc, 0, v61, vcc
	global_load_dwordx4 v[46:49], v[46:47], off offset:2048
	;; [unrolled: 22-line block ×3, first 2 shown]
	s_and_saveexec_b64 s[14:15], s[2:3]
	s_cbranch_execz .LBB42_72
; %bb.71:                               ;   in Loop: Header=BB42_50 Depth=1
	v_cmp_gt_i32_e32 vcc, s34, v103
	s_waitcnt vmcnt(0)
	s_nop 0
	v_cndmask_b32_e32 v51, 0, v51, vcc
	v_cmp_gt_i32_e32 vcc, s21, v91
	s_nop 1
	v_cndmask_b32_e32 v50, 0, v50, vcc
	v_cmp_gt_i32_e32 vcc, s34, v102
	;; [unrolled: 3-line block ×3, first 2 shown]
	s_nop 1
	v_cndmask_b32_e32 v52, 0, v52, vcc
.LBB42_72:                              ;   in Loop: Header=BB42_50 Depth=1
	s_or_b64 exec, exec, s[14:15]
	v_add_co_u32_e32 v54, vcc, 0x3000, v60
	s_nop 1
	v_addc_co_u32_e32 v55, vcc, 0, v61, vcc
	global_load_dwordx4 v[54:57], v[54:55], off
	s_and_saveexec_b64 s[14:15], s[2:3]
	s_cbranch_execz .LBB42_74
; %bb.73:                               ;   in Loop: Header=BB42_50 Depth=1
	v_cmp_gt_i32_e32 vcc, s34, v103
	s_waitcnt vmcnt(0)
	s_nop 0
	v_cndmask_b32_e32 v55, 0, v55, vcc
	v_cmp_gt_i32_e32 vcc, s21, v91
	s_nop 1
	v_cndmask_b32_e32 v54, 0, v54, vcc
	v_cmp_gt_i32_e32 vcc, s34, v102
	;; [unrolled: 3-line block ×3, first 2 shown]
	s_nop 1
	v_cndmask_b32_e32 v56, 0, v56, vcc
.LBB42_74:                              ;   in Loop: Header=BB42_50 Depth=1
	s_or_b64 exec, exec, s[14:15]
	v_add_co_u32_e32 v62, vcc, 0x3000, v60
	s_nop 1
	v_addc_co_u32_e32 v63, vcc, 0, v61, vcc
	global_load_dwordx4 v[62:65], v[62:63], off offset:1024
	s_and_saveexec_b64 s[14:15], s[2:3]
	s_cbranch_execz .LBB42_76
; %bb.75:                               ;   in Loop: Header=BB42_50 Depth=1
	v_cmp_gt_i32_e32 vcc, s34, v103
	s_waitcnt vmcnt(0)
	s_nop 0
	v_cndmask_b32_e32 v63, 0, v63, vcc
	v_cmp_gt_i32_e32 vcc, s21, v91
	s_nop 1
	v_cndmask_b32_e32 v62, 0, v62, vcc
	v_cmp_gt_i32_e32 vcc, s34, v102
	;; [unrolled: 3-line block ×3, first 2 shown]
	s_nop 1
	v_cndmask_b32_e32 v64, 0, v64, vcc
.LBB42_76:                              ;   in Loop: Header=BB42_50 Depth=1
	s_or_b64 exec, exec, s[14:15]
	v_add_co_u32_e32 v60, vcc, 0x3000, v60
	s_nop 1
	v_addc_co_u32_e32 v61, vcc, 0, v61, vcc
	global_load_dwordx4 v[66:69], v[60:61], off offset:2048
	s_and_saveexec_b64 s[14:15], s[2:3]
	s_cbranch_execz .LBB42_78
; %bb.77:                               ;   in Loop: Header=BB42_50 Depth=1
	v_cmp_gt_i32_e32 vcc, s34, v103
	s_waitcnt vmcnt(0)
	s_nop 0
	v_cndmask_b32_e32 v67, 0, v67, vcc
	v_cmp_gt_i32_e32 vcc, s21, v91
	s_nop 1
	v_cndmask_b32_e32 v66, 0, v66, vcc
	v_cmp_gt_i32_e32 vcc, s34, v102
	;; [unrolled: 3-line block ×3, first 2 shown]
	s_nop 1
	v_cndmask_b32_e32 v68, 0, v68, vcc
.LBB42_78:                              ;   in Loop: Header=BB42_50 Depth=1
	s_or_b64 exec, exec, s[14:15]
	v_lshl_add_u64 v[58:59], v[58:59], 0, v[86:87]
	global_load_dwordx4 v[58:61], v[58:59], off
	s_and_saveexec_b64 s[14:15], s[2:3]
	s_cbranch_execz .LBB42_48
; %bb.79:                               ;   in Loop: Header=BB42_50 Depth=1
	v_cmp_gt_i32_e32 vcc, s34, v103
	s_waitcnt vmcnt(0)
	s_nop 0
	v_cndmask_b32_e32 v59, 0, v59, vcc
	v_cmp_gt_i32_e32 vcc, s21, v91
	s_nop 1
	v_cndmask_b32_e32 v58, 0, v58, vcc
	v_cmp_gt_i32_e32 vcc, s34, v102
	;; [unrolled: 3-line block ×3, first 2 shown]
	s_nop 1
	v_cndmask_b32_e32 v60, 0, v60, vcc
	s_branch .LBB42_48
.LBB42_80:                              ;   in Loop: Header=BB42_50 Depth=1
	v_cmp_gt_i32_e32 vcc, s34, v103
	s_waitcnt vmcnt(0)
	s_nop 0
	v_cndmask_b32_e32 v7, 0, v7, vcc
	v_cmp_gt_i32_e32 vcc, s21, v91
	s_nop 1
	v_cndmask_b32_e32 v6, 0, v6, vcc
	v_cmp_gt_i32_e32 vcc, s34, v102
	s_nop 1
	v_cndmask_b32_e32 v9, 0, v9, vcc
	v_cmp_gt_i32_e32 vcc, s21, v101
	s_nop 1
	v_cndmask_b32_e32 v8, 0, v8, vcc
	s_or_b64 exec, exec, s[14:15]
	global_load_dwordx4 v[10:13], v[60:61], off offset:1024
	s_and_saveexec_b64 s[14:15], s[2:3]
	s_cbranch_execz .LBB42_53
.LBB42_81:                              ;   in Loop: Header=BB42_50 Depth=1
	v_cmp_gt_i32_e32 vcc, s34, v103
	s_waitcnt vmcnt(0)
	s_nop 0
	v_cndmask_b32_e32 v11, 0, v11, vcc
	v_cmp_gt_i32_e32 vcc, s21, v91
	s_nop 1
	v_cndmask_b32_e32 v10, 0, v10, vcc
	v_cmp_gt_i32_e32 vcc, s34, v102
	;; [unrolled: 3-line block ×3, first 2 shown]
	s_nop 1
	v_cndmask_b32_e32 v12, 0, v12, vcc
	s_or_b64 exec, exec, s[14:15]
	global_load_dwordx4 v[14:17], v[60:61], off offset:2048
	s_and_saveexec_b64 s[14:15], s[2:3]
	s_cbranch_execz .LBB42_54
.LBB42_82:                              ;   in Loop: Header=BB42_50 Depth=1
	v_cmp_gt_i32_e32 vcc, s34, v103
	s_waitcnt vmcnt(0)
	s_nop 0
	v_cndmask_b32_e32 v15, 0, v15, vcc
	v_cmp_gt_i32_e32 vcc, s21, v91
	s_nop 1
	v_cndmask_b32_e32 v14, 0, v14, vcc
	v_cmp_gt_i32_e32 vcc, s34, v102
	;; [unrolled: 3-line block ×3, first 2 shown]
	s_nop 1
	v_cndmask_b32_e32 v16, 0, v16, vcc
	s_or_b64 exec, exec, s[14:15]
	global_load_dwordx4 v[18:21], v[60:61], off offset:3072
	s_and_saveexec_b64 s[14:15], s[2:3]
	s_cbranch_execnz .LBB42_55
	s_branch .LBB42_56
.LBB42_83:
	s_or_b64 exec, exec, s[12:13]
.LBB42_84:
	s_or_b64 exec, exec, s[8:9]
	ds_bpermute_b32 v4, v94, v82
	ds_bpermute_b32 v5, v94, v83
	;; [unrolled: 1-line block ×6, first 2 shown]
	s_waitcnt lgkmcnt(4)
	v_pk_add_f32 v[4:5], v[82:83], v[4:5]
	ds_bpermute_b32 v8, v95, v4
	ds_bpermute_b32 v9, v95, v5
	s_waitcnt lgkmcnt(4)
	v_pk_add_f32 v[2:3], v[84:85], v[2:3]
	ds_bpermute_b32 v6, v95, v2
	ds_bpermute_b32 v7, v95, v3
	;; [unrolled: 1-line block ×3, first 2 shown]
	s_waitcnt lgkmcnt(3)
	v_pk_add_f32 v[4:5], v[4:5], v[8:9]
	v_pk_add_f32 v[8:9], v[80:81], v[10:11]
	ds_bpermute_b32 v10, v95, v8
	ds_bpermute_b32 v11, v95, v9
	;; [unrolled: 1-line block ×3, first 2 shown]
	s_waitcnt lgkmcnt(4)
	v_pk_add_f32 v[2:3], v[2:3], v[6:7]
	ds_bpermute_b32 v6, v96, v2
	ds_bpermute_b32 v7, v96, v3
	s_waitcnt lgkmcnt(3)
	v_pk_add_f32 v[8:9], v[8:9], v[10:11]
	s_waitcnt lgkmcnt(2)
	v_pk_add_f32 v[14:15], v[78:79], v[14:15]
	ds_bpermute_b32 v10, v96, v8
	ds_bpermute_b32 v11, v96, v9
	;; [unrolled: 1-line block ×4, first 2 shown]
	s_waitcnt lgkmcnt(4)
	v_pk_add_f32 v[6:7], v[2:3], v[6:7]
	ds_bpermute_b32 v20, v94, v72
	s_waitcnt lgkmcnt(3)
	v_pk_add_f32 v[2:3], v[8:9], v[10:11]
	ds_bpermute_b32 v10, v94, v76
	;; [unrolled: 3-line block ×3, first 2 shown]
	ds_bpermute_b32 v15, v94, v75
	ds_bpermute_b32 v11, v94, v77
	;; [unrolled: 1-line block ×5, first 2 shown]
	s_waitcnt lgkmcnt(4)
	v_pk_add_f32 v[14:15], v[74:75], v[14:15]
	s_waitcnt lgkmcnt(3)
	v_pk_add_f32 v[10:11], v[76:77], v[10:11]
	ds_bpermute_b32 v18, v95, v14
	ds_bpermute_b32 v19, v95, v15
	;; [unrolled: 1-line block ×6, first 2 shown]
	s_waitcnt lgkmcnt(4)
	v_pk_add_f32 v[18:19], v[14:15], v[18:19]
	v_pk_add_f32 v[14:15], v[72:73], v[20:21]
	s_waitcnt lgkmcnt(2)
	v_pk_add_f32 v[10:11], v[10:11], v[16:17]
	ds_bpermute_b32 v20, v95, v14
	ds_bpermute_b32 v21, v95, v15
	v_pk_add_f32 v[24:25], v[70:71], v[24:25]
	s_waitcnt lgkmcnt(2)
	v_pk_add_f32 v[4:5], v[4:5], v[12:13]
	ds_bpermute_b32 v12, v96, v8
	ds_bpermute_b32 v13, v96, v9
	;; [unrolled: 1-line block ×8, first 2 shown]
	s_waitcnt lgkmcnt(8)
	v_pk_add_f32 v[20:21], v[14:15], v[20:21]
	ds_bpermute_b32 v26, v96, v20
	ds_bpermute_b32 v27, v96, v21
	s_waitcnt lgkmcnt(8)
	v_pk_add_f32 v[14:15], v[8:9], v[12:13]
	s_waitcnt lgkmcnt(6)
	v_pk_add_f32 v[12:13], v[10:11], v[16:17]
	;; [unrolled: 2-line block ×4, first 2 shown]
	ds_bpermute_b32 v18, v96, v16
	ds_bpermute_b32 v19, v96, v17
	v_and_b32_e32 v1, 0x3c7, v0
	s_waitcnt lgkmcnt(2)
	v_pk_add_f32 v[8:9], v[20:21], v[26:27]
	v_cmp_ne_u32_e32 vcc, 64, v1
	s_waitcnt lgkmcnt(0)
	s_barrier
	s_and_saveexec_b64 s[0:1], vcc
	s_xor_b64 s[0:1], exec, s[0:1]
; %bb.85:
                                        ; implicit-def: $vgpr93
; %bb.86:
	s_or_saveexec_b64 s[0:1], s[0:1]
	v_pk_add_f32 v[16:17], v[16:17], v[18:19]
	s_xor_b64 exec, exec, s[0:1]
	s_cbranch_execz .LBB42_88
; %bb.87:
	v_lshrrev_b32_e32 v18, 1, v93
	v_add_u32_e32 v18, 0x210, v18
	ds_write2_b32 v18, v6, v7 offset1:8
	ds_write2_b32 v18, v4, v5 offset0:16 offset1:24
	ds_write2_b32 v18, v2, v3 offset0:32 offset1:40
	ds_write2_b32 v18, v14, v15 offset0:48 offset1:56
	ds_write2_b32 v18, v12, v13 offset0:64 offset1:72
	ds_write2_b32 v18, v10, v11 offset0:80 offset1:88
	ds_write2_b32 v18, v8, v9 offset0:96 offset1:104
	ds_write2_b32 v18, v16, v17 offset0:112 offset1:120
.LBB42_88:
	s_or_b64 exec, exec, s[0:1]
	v_lshrrev_b32_e32 v0, 3, v0
	s_waitcnt lgkmcnt(0)
	s_barrier
	s_and_saveexec_b64 s[0:1], s[6:7]
	s_cbranch_execz .LBB42_107
; %bb.89:
	v_mov_b32_e32 v18, 0x210
	v_cmp_eq_u32_e32 vcc, 0, v97
	v_lshl_add_u32 v18, v0, 2, v18
	s_and_saveexec_b64 s[2:3], vcc
	s_cbranch_execnz .LBB42_110
; %bb.90:
	s_or_b64 exec, exec, s[2:3]
	s_and_saveexec_b64 s[2:3], vcc
	s_cbranch_execnz .LBB42_111
.LBB42_91:
	s_or_b64 exec, exec, s[2:3]
	s_and_saveexec_b64 s[2:3], vcc
	s_cbranch_execnz .LBB42_112
.LBB42_92:
	s_or_b64 exec, exec, s[2:3]
	s_and_saveexec_b64 s[2:3], vcc
	s_cbranch_execnz .LBB42_113
.LBB42_93:
	s_or_b64 exec, exec, s[2:3]
	s_and_saveexec_b64 s[2:3], vcc
	s_cbranch_execnz .LBB42_114
.LBB42_94:
	s_or_b64 exec, exec, s[2:3]
	s_and_saveexec_b64 s[2:3], vcc
	s_cbranch_execnz .LBB42_115
.LBB42_95:
	s_or_b64 exec, exec, s[2:3]
	s_and_saveexec_b64 s[2:3], vcc
	s_cbranch_execnz .LBB42_116
.LBB42_96:
	s_or_b64 exec, exec, s[2:3]
	s_and_saveexec_b64 s[2:3], vcc
	s_cbranch_execnz .LBB42_117
.LBB42_97:
	s_or_b64 exec, exec, s[2:3]
	s_and_saveexec_b64 s[2:3], vcc
	s_cbranch_execnz .LBB42_118
.LBB42_98:
	s_or_b64 exec, exec, s[2:3]
	s_and_saveexec_b64 s[2:3], vcc
	s_cbranch_execnz .LBB42_119
.LBB42_99:
	s_or_b64 exec, exec, s[2:3]
	s_and_saveexec_b64 s[2:3], vcc
	s_cbranch_execnz .LBB42_120
.LBB42_100:
	s_or_b64 exec, exec, s[2:3]
	s_and_saveexec_b64 s[2:3], vcc
	s_cbranch_execnz .LBB42_121
.LBB42_101:
	s_or_b64 exec, exec, s[2:3]
	s_and_saveexec_b64 s[2:3], vcc
	s_cbranch_execnz .LBB42_122
.LBB42_102:
	s_or_b64 exec, exec, s[2:3]
	s_and_saveexec_b64 s[2:3], vcc
	s_cbranch_execnz .LBB42_123
.LBB42_103:
	s_or_b64 exec, exec, s[2:3]
	s_and_saveexec_b64 s[2:3], vcc
	s_cbranch_execnz .LBB42_124
.LBB42_104:
	s_or_b64 exec, exec, s[2:3]
	s_and_saveexec_b64 s[2:3], vcc
	s_cbranch_execz .LBB42_106
.LBB42_105:
	ds_read_b32 v18, v18 offset:480
	s_waitcnt lgkmcnt(0)
	v_add_f32_e32 v17, v17, v18
.LBB42_106:
	s_or_b64 exec, exec, s[2:3]
.LBB42_107:
	s_or_b64 exec, exec, s[0:1]
	v_cmp_eq_u32_e32 vcc, 0, v1
	s_barrier
	s_and_saveexec_b64 s[0:1], vcc
	s_cbranch_execz .LBB42_109
; %bb.108:
	s_mul_i32 s0, s20, s16
	s_mul_i32 s0, s0, s5
	s_lshl_b32 s0, s0, 7
	s_ashr_i32 s1, s0, 31
	s_lshl_b64 s[0:1], s[0:1], 2
	s_add_u32 s2, s24, s0
	s_mul_i32 s0, s16, s22
	s_addc_u32 s3, s25, s1
	s_ashr_i32 s1, s0, 31
	s_lshl_b64 s[0:1], s[0:1], 2
	s_add_u32 s2, s2, s0
	s_addc_u32 s3, s3, s1
	s_lshl_b32 s0, s4, 7
	s_ashr_i32 s1, s0, 31
	s_lshl_b64 s[0:1], s[0:1], 2
	s_add_u32 s0, s2, s0
	s_addc_u32 s1, s3, s1
	v_lshlrev_b32_e32 v0, 2, v0
	global_store_dword v0, v6, s[0:1]
	global_store_dword v0, v7, s[0:1] offset:32
	global_store_dword v0, v4, s[0:1] offset:64
	;; [unrolled: 1-line block ×15, first 2 shown]
.LBB42_109:
	s_endpgm
.LBB42_110:
	ds_read_b32 v19, v18
	s_waitcnt lgkmcnt(0)
	v_add_f32_e32 v6, v6, v19
	s_or_b64 exec, exec, s[2:3]
	s_and_saveexec_b64 s[2:3], vcc
	s_cbranch_execz .LBB42_91
.LBB42_111:
	ds_read_b32 v19, v18 offset:32
	s_waitcnt lgkmcnt(0)
	v_add_f32_e32 v7, v7, v19
	s_or_b64 exec, exec, s[2:3]
	s_and_saveexec_b64 s[2:3], vcc
	s_cbranch_execz .LBB42_92
.LBB42_112:
	ds_read_b32 v19, v18 offset:64
	s_waitcnt lgkmcnt(0)
	v_add_f32_e32 v4, v4, v19
	s_or_b64 exec, exec, s[2:3]
	s_and_saveexec_b64 s[2:3], vcc
	s_cbranch_execz .LBB42_93
.LBB42_113:
	ds_read_b32 v19, v18 offset:96
	s_waitcnt lgkmcnt(0)
	v_add_f32_e32 v5, v5, v19
	s_or_b64 exec, exec, s[2:3]
	s_and_saveexec_b64 s[2:3], vcc
	s_cbranch_execz .LBB42_94
.LBB42_114:
	ds_read_b32 v19, v18 offset:128
	s_waitcnt lgkmcnt(0)
	v_add_f32_e32 v2, v2, v19
	s_or_b64 exec, exec, s[2:3]
	s_and_saveexec_b64 s[2:3], vcc
	s_cbranch_execz .LBB42_95
.LBB42_115:
	ds_read_b32 v19, v18 offset:160
	s_waitcnt lgkmcnt(0)
	v_add_f32_e32 v3, v3, v19
	s_or_b64 exec, exec, s[2:3]
	s_and_saveexec_b64 s[2:3], vcc
	s_cbranch_execz .LBB42_96
.LBB42_116:
	ds_read_b32 v19, v18 offset:192
	s_waitcnt lgkmcnt(0)
	v_add_f32_e32 v14, v14, v19
	s_or_b64 exec, exec, s[2:3]
	s_and_saveexec_b64 s[2:3], vcc
	s_cbranch_execz .LBB42_97
.LBB42_117:
	ds_read_b32 v19, v18 offset:224
	s_waitcnt lgkmcnt(0)
	v_add_f32_e32 v15, v15, v19
	s_or_b64 exec, exec, s[2:3]
	s_and_saveexec_b64 s[2:3], vcc
	s_cbranch_execz .LBB42_98
.LBB42_118:
	ds_read_b32 v19, v18 offset:256
	s_waitcnt lgkmcnt(0)
	v_add_f32_e32 v12, v12, v19
	s_or_b64 exec, exec, s[2:3]
	s_and_saveexec_b64 s[2:3], vcc
	s_cbranch_execz .LBB42_99
.LBB42_119:
	ds_read_b32 v19, v18 offset:288
	s_waitcnt lgkmcnt(0)
	v_add_f32_e32 v13, v13, v19
	s_or_b64 exec, exec, s[2:3]
	s_and_saveexec_b64 s[2:3], vcc
	s_cbranch_execz .LBB42_100
.LBB42_120:
	ds_read_b32 v19, v18 offset:320
	s_waitcnt lgkmcnt(0)
	v_add_f32_e32 v10, v10, v19
	s_or_b64 exec, exec, s[2:3]
	s_and_saveexec_b64 s[2:3], vcc
	s_cbranch_execz .LBB42_101
.LBB42_121:
	ds_read_b32 v19, v18 offset:352
	s_waitcnt lgkmcnt(0)
	v_add_f32_e32 v11, v11, v19
	s_or_b64 exec, exec, s[2:3]
	s_and_saveexec_b64 s[2:3], vcc
	s_cbranch_execz .LBB42_102
.LBB42_122:
	ds_read_b32 v19, v18 offset:384
	s_waitcnt lgkmcnt(0)
	v_add_f32_e32 v8, v8, v19
	s_or_b64 exec, exec, s[2:3]
	s_and_saveexec_b64 s[2:3], vcc
	s_cbranch_execz .LBB42_103
.LBB42_123:
	ds_read_b32 v19, v18 offset:416
	s_waitcnt lgkmcnt(0)
	v_add_f32_e32 v9, v9, v19
	s_or_b64 exec, exec, s[2:3]
	s_and_saveexec_b64 s[2:3], vcc
	s_cbranch_execz .LBB42_104
.LBB42_124:
	ds_read_b32 v19, v18 offset:448
	s_waitcnt lgkmcnt(0)
	v_add_f32_e32 v16, v16, v19
	s_or_b64 exec, exec, s[2:3]
	s_and_saveexec_b64 s[2:3], vcc
	s_cbranch_execnz .LBB42_105
	s_branch .LBB42_106
	.section	.rodata,"a",@progbits
	.p2align	6, 0x0
	.amdhsa_kernel _ZN4vllm25paged_attention_v1_kernelIffLi128ELi32ELi128ELNS_18Fp8KVCacheDataTypeE0ELb1EEEvPT_PKS2_PKT0_S8_ifPKiSA_iPKfiiiSC_SC_iiiii
		.amdhsa_group_segment_fixed_size 528
		.amdhsa_private_segment_fixed_size 0
		.amdhsa_kernarg_size 384
		.amdhsa_user_sgpr_count 2
		.amdhsa_user_sgpr_dispatch_ptr 0
		.amdhsa_user_sgpr_queue_ptr 0
		.amdhsa_user_sgpr_kernarg_segment_ptr 1
		.amdhsa_user_sgpr_dispatch_id 0
		.amdhsa_user_sgpr_kernarg_preload_length 0
		.amdhsa_user_sgpr_kernarg_preload_offset 0
		.amdhsa_user_sgpr_private_segment_size 0
		.amdhsa_uses_dynamic_stack 0
		.amdhsa_enable_private_segment 0
		.amdhsa_system_sgpr_workgroup_id_x 1
		.amdhsa_system_sgpr_workgroup_id_y 1
		.amdhsa_system_sgpr_workgroup_id_z 1
		.amdhsa_system_sgpr_workgroup_info 0
		.amdhsa_system_vgpr_workitem_id 0
		.amdhsa_next_free_vgpr 104
		.amdhsa_next_free_sgpr 49
		.amdhsa_accum_offset 104
		.amdhsa_reserve_vcc 1
		.amdhsa_float_round_mode_32 0
		.amdhsa_float_round_mode_16_64 0
		.amdhsa_float_denorm_mode_32 3
		.amdhsa_float_denorm_mode_16_64 3
		.amdhsa_dx10_clamp 1
		.amdhsa_ieee_mode 1
		.amdhsa_fp16_overflow 0
		.amdhsa_tg_split 0
		.amdhsa_exception_fp_ieee_invalid_op 0
		.amdhsa_exception_fp_denorm_src 0
		.amdhsa_exception_fp_ieee_div_zero 0
		.amdhsa_exception_fp_ieee_overflow 0
		.amdhsa_exception_fp_ieee_underflow 0
		.amdhsa_exception_fp_ieee_inexact 0
		.amdhsa_exception_int_div_zero 0
	.end_amdhsa_kernel
	.section	.text._ZN4vllm25paged_attention_v1_kernelIffLi128ELi32ELi128ELNS_18Fp8KVCacheDataTypeE0ELb1EEEvPT_PKS2_PKT0_S8_ifPKiSA_iPKfiiiSC_SC_iiiii,"axG",@progbits,_ZN4vllm25paged_attention_v1_kernelIffLi128ELi32ELi128ELNS_18Fp8KVCacheDataTypeE0ELb1EEEvPT_PKS2_PKT0_S8_ifPKiSA_iPKfiiiSC_SC_iiiii,comdat
.Lfunc_end42:
	.size	_ZN4vllm25paged_attention_v1_kernelIffLi128ELi32ELi128ELNS_18Fp8KVCacheDataTypeE0ELb1EEEvPT_PKS2_PKT0_S8_ifPKiSA_iPKfiiiSC_SC_iiiii, .Lfunc_end42-_ZN4vllm25paged_attention_v1_kernelIffLi128ELi32ELi128ELNS_18Fp8KVCacheDataTypeE0ELb1EEEvPT_PKS2_PKT0_S8_ifPKiSA_iPKfiiiSC_SC_iiiii
                                        ; -- End function
	.set _ZN4vllm25paged_attention_v1_kernelIffLi128ELi32ELi128ELNS_18Fp8KVCacheDataTypeE0ELb1EEEvPT_PKS2_PKT0_S8_ifPKiSA_iPKfiiiSC_SC_iiiii.num_vgpr, 104
	.set _ZN4vllm25paged_attention_v1_kernelIffLi128ELi32ELi128ELNS_18Fp8KVCacheDataTypeE0ELb1EEEvPT_PKS2_PKT0_S8_ifPKiSA_iPKfiiiSC_SC_iiiii.num_agpr, 0
	.set _ZN4vllm25paged_attention_v1_kernelIffLi128ELi32ELi128ELNS_18Fp8KVCacheDataTypeE0ELb1EEEvPT_PKS2_PKT0_S8_ifPKiSA_iPKfiiiSC_SC_iiiii.numbered_sgpr, 49
	.set _ZN4vllm25paged_attention_v1_kernelIffLi128ELi32ELi128ELNS_18Fp8KVCacheDataTypeE0ELb1EEEvPT_PKS2_PKT0_S8_ifPKiSA_iPKfiiiSC_SC_iiiii.num_named_barrier, 0
	.set _ZN4vllm25paged_attention_v1_kernelIffLi128ELi32ELi128ELNS_18Fp8KVCacheDataTypeE0ELb1EEEvPT_PKS2_PKT0_S8_ifPKiSA_iPKfiiiSC_SC_iiiii.private_seg_size, 0
	.set _ZN4vllm25paged_attention_v1_kernelIffLi128ELi32ELi128ELNS_18Fp8KVCacheDataTypeE0ELb1EEEvPT_PKS2_PKT0_S8_ifPKiSA_iPKfiiiSC_SC_iiiii.uses_vcc, 1
	.set _ZN4vllm25paged_attention_v1_kernelIffLi128ELi32ELi128ELNS_18Fp8KVCacheDataTypeE0ELb1EEEvPT_PKS2_PKT0_S8_ifPKiSA_iPKfiiiSC_SC_iiiii.uses_flat_scratch, 0
	.set _ZN4vllm25paged_attention_v1_kernelIffLi128ELi32ELi128ELNS_18Fp8KVCacheDataTypeE0ELb1EEEvPT_PKS2_PKT0_S8_ifPKiSA_iPKfiiiSC_SC_iiiii.has_dyn_sized_stack, 0
	.set _ZN4vllm25paged_attention_v1_kernelIffLi128ELi32ELi128ELNS_18Fp8KVCacheDataTypeE0ELb1EEEvPT_PKS2_PKT0_S8_ifPKiSA_iPKfiiiSC_SC_iiiii.has_recursion, 0
	.set _ZN4vllm25paged_attention_v1_kernelIffLi128ELi32ELi128ELNS_18Fp8KVCacheDataTypeE0ELb1EEEvPT_PKS2_PKT0_S8_ifPKiSA_iPKfiiiSC_SC_iiiii.has_indirect_call, 0
	.section	.AMDGPU.csdata,"",@progbits
; Kernel info:
; codeLenInByte = 7664
; TotalNumSgprs: 55
; NumVgprs: 104
; NumAgprs: 0
; TotalNumVgprs: 104
; ScratchSize: 0
; MemoryBound: 0
; FloatMode: 240
; IeeeMode: 1
; LDSByteSize: 528 bytes/workgroup (compile time only)
; SGPRBlocks: 6
; VGPRBlocks: 12
; NumSGPRsForWavesPerEU: 55
; NumVGPRsForWavesPerEU: 104
; AccumOffset: 104
; Occupancy: 4
; WaveLimiterHint : 1
; COMPUTE_PGM_RSRC2:SCRATCH_EN: 0
; COMPUTE_PGM_RSRC2:USER_SGPR: 2
; COMPUTE_PGM_RSRC2:TRAP_HANDLER: 0
; COMPUTE_PGM_RSRC2:TGID_X_EN: 1
; COMPUTE_PGM_RSRC2:TGID_Y_EN: 1
; COMPUTE_PGM_RSRC2:TGID_Z_EN: 1
; COMPUTE_PGM_RSRC2:TIDIG_COMP_CNT: 0
; COMPUTE_PGM_RSRC3_GFX90A:ACCUM_OFFSET: 25
; COMPUTE_PGM_RSRC3_GFX90A:TG_SPLIT: 0
	.section	.text._ZN4vllm25paged_attention_v1_kernelIffLi192ELi32ELi128ELNS_18Fp8KVCacheDataTypeE0ELb1EEEvPT_PKS2_PKT0_S8_ifPKiSA_iPKfiiiSC_SC_iiiii,"axG",@progbits,_ZN4vllm25paged_attention_v1_kernelIffLi192ELi32ELi128ELNS_18Fp8KVCacheDataTypeE0ELb1EEEvPT_PKS2_PKT0_S8_ifPKiSA_iPKfiiiSC_SC_iiiii,comdat
	.protected	_ZN4vllm25paged_attention_v1_kernelIffLi192ELi32ELi128ELNS_18Fp8KVCacheDataTypeE0ELb1EEEvPT_PKS2_PKT0_S8_ifPKiSA_iPKfiiiSC_SC_iiiii ; -- Begin function _ZN4vllm25paged_attention_v1_kernelIffLi192ELi32ELi128ELNS_18Fp8KVCacheDataTypeE0ELb1EEEvPT_PKS2_PKT0_S8_ifPKiSA_iPKfiiiSC_SC_iiiii
	.globl	_ZN4vllm25paged_attention_v1_kernelIffLi192ELi32ELi128ELNS_18Fp8KVCacheDataTypeE0ELb1EEEvPT_PKS2_PKT0_S8_ifPKiSA_iPKfiiiSC_SC_iiiii
	.p2align	8
	.type	_ZN4vllm25paged_attention_v1_kernelIffLi192ELi32ELi128ELNS_18Fp8KVCacheDataTypeE0ELb1EEEvPT_PKS2_PKT0_S8_ifPKiSA_iPKfiiiSC_SC_iiiii,@function
_ZN4vllm25paged_attention_v1_kernelIffLi192ELi32ELi128ELNS_18Fp8KVCacheDataTypeE0ELb1EEEvPT_PKS2_PKT0_S8_ifPKiSA_iPKfiiiSC_SC_iiiii: ; @_ZN4vllm25paged_attention_v1_kernelIffLi192ELi32ELi128ELNS_18Fp8KVCacheDataTypeE0ELb1EEEvPT_PKS2_PKT0_S8_ifPKiSA_iPKfiiiSC_SC_iiiii
; %bb.0:
	s_load_dword s5, s[0:1], 0x80
	s_load_dwordx2 s[6:7], s[0:1], 0x30
	s_load_dwordx2 s[30:31], s[0:1], 0x20
	s_mov_b32 s10, s3
	s_ashr_i32 s11, s3, 31
	s_lshl_b64 s[8:9], s[10:11], 2
	s_waitcnt lgkmcnt(0)
	s_add_u32 s6, s6, s8
	s_addc_u32 s7, s7, s9
	s_abs_i32 s3, s30
	v_mov_b32_e32 v107, v0
	v_cvt_f32_u32_e32 v0, s3
	s_sub_i32 s11, 0, s3
	s_abs_i32 s9, s5
	s_xor_b32 s8, s5, s30
	v_rcp_iflag_f32_e32 v0, v0
	s_ashr_i32 s8, s8, 31
	s_mov_b32 s42, 0
	v_mul_f32_e32 v0, 0x4f7ffffe, v0
	v_cvt_u32_f32_e32 v0, v0
	s_nop 0
	v_readfirstlane_b32 s12, v0
	s_mul_i32 s11, s11, s12
	s_mul_hi_u32 s11, s12, s11
	s_add_i32 s12, s12, s11
	s_mul_hi_u32 s11, s9, s12
	s_mul_i32 s12, s11, s3
	s_sub_i32 s9, s9, s12
	s_add_i32 s12, s11, 1
	s_sub_i32 s13, s9, s3
	s_cmp_ge_u32 s9, s3
	s_cselect_b32 s11, s12, s11
	s_cselect_b32 s9, s13, s9
	s_add_i32 s12, s11, 1
	s_cmp_ge_u32 s9, s3
	s_cselect_b32 s3, s12, s11
	s_xor_b32 s3, s3, s8
	s_sub_i32 s12, s3, s8
	s_abs_i32 s11, s12
	v_cvt_f32_u32_e32 v0, s11
	s_load_dwordx2 s[8:9], s[0:1], 0x40
	s_sub_i32 s3, 0, s11
	s_abs_i32 s22, s2
	v_rcp_iflag_f32_e32 v0, v0
	s_nop 0
	v_mul_f32_e32 v0, 0x4f7ffffe, v0
	v_cvt_u32_f32_e32 v0, v0
	s_nop 0
	v_readfirstlane_b32 s13, v0
	s_mul_i32 s3, s3, s13
	s_mul_hi_u32 s3, s13, s3
	s_add_i32 s13, s13, s3
	s_waitcnt lgkmcnt(0)
	s_cmp_eq_u64 s[8:9], 0
	s_mul_hi_u32 s23, s22, s13
	s_cbranch_scc1 .LBB43_2
; %bb.1:
	s_ashr_i32 s3, s2, 31
	s_lshl_b64 s[14:15], s[2:3], 2
	s_add_u32 s8, s8, s14
	s_addc_u32 s9, s9, s15
	s_load_dword s42, s[8:9], 0x0
.LBB43_2:
	s_load_dword s33, s[6:7], 0x0
	s_ashr_i32 s9, s12, 31
	s_load_dwordx4 s[12:15], s[0:1], 0x48
	s_movk_i32 s6, 0x60
	s_ashr_i32 s3, s2, 31
	v_and_b32_e32 v2, 1, v107
	s_mul_i32 s20, s2, 0xc0
	v_cmp_gt_u32_e32 vcc, s6, v107
	v_lshlrev_b32_e32 v0, 3, v107
	v_lshlrev_b32_e32 v54, 2, v107
	s_and_saveexec_b64 s[6:7], vcc
	s_cbranch_execz .LBB43_4
; %bb.3:
	s_load_dwordx2 s[16:17], s[0:1], 0x8
	s_waitcnt lgkmcnt(0)
	s_mul_i32 s18, s12, s10
	s_ashr_i32 s19, s18, 31
	s_lshl_b64 s[18:19], s[18:19], 2
	v_and_b32_e32 v1, 0xff8, v54
	s_add_u32 s8, s16, s18
	s_addc_u32 s12, s17, s19
	s_ashr_i32 s21, s20, 31
	s_lshl_b64 s[16:17], s[20:21], 2
	s_add_u32 s16, s8, s16
	s_addc_u32 s17, s12, s17
	global_load_dwordx2 v[4:5], v0, s[16:17]
	s_movk_i32 s8, 0x180
	v_mad_u32_u24 v1, v2, s8, v1
	s_waitcnt vmcnt(0)
	ds_write_b64 v1, v[4:5]
.LBB43_4:
	s_or_b64 exec, exec, s[6:7]
	s_mul_i32 s6, s23, s11
	s_sub_i32 s6, s22, s6
	s_xor_b32 s3, s3, s9
	s_add_i32 s7, s23, 1
	s_sub_i32 s9, s6, s11
	s_load_dwordx4 s[16:19], s[0:1], 0x68
	s_load_dword s8, s[0:1], 0x78
	s_cmp_ge_u32 s6, s11
	s_cselect_b32 s7, s7, s23
	s_cselect_b32 s6, s9, s6
	s_add_i32 s9, s7, 1
	s_cmp_ge_u32 s6, s11
	s_cselect_b32 s6, s9, s7
	s_waitcnt lgkmcnt(0)
	s_abs_i32 s21, s19
	v_cvt_f32_u32_e32 v1, s21
	s_xor_b32 s6, s6, s3
	s_sub_i32 s3, s6, s3
	s_sub_i32 s6, 0, s21
	v_rcp_iflag_f32_e32 v1, v1
	s_add_i32 s11, s33, -1
	s_abs_i32 s9, s11
	v_mul_f32_e32 v1, 0x4f7ffffe, v1
	v_cvt_u32_f32_e32 v1, v1
	s_barrier
	v_readfirstlane_b32 s40, v1
	s_mul_i32 s6, s6, s40
	s_mul_hi_u32 s6, s40, s6
	s_add_i32 s40, s40, s6
	s_cmp_lt_i32 s8, 0
	s_mul_hi_u32 s12, s9, s40
	s_cbranch_scc0 .LBB43_6
; %bb.5:
	s_mul_i32 s6, s16, s30
	s_add_i32 s6, s3, s6
	s_mul_i32 s6, s6, s8
	s_sub_i32 s41, 1, s6
	s_mov_b64 s[6:7], 0
	s_branch .LBB43_7
.LBB43_6:
	s_mov_b64 s[6:7], -1
                                        ; implicit-def: $sgpr41
.LBB43_7:
	s_load_dwordx2 s[24:25], s[0:1], 0x28
	s_ashr_i32 s15, s11, 31
	s_andn2_b64 vcc, exec, s[6:7]
	s_ashr_i32 s19, s19, 31
	s_cbranch_vccnz .LBB43_9
; %bb.8:
	s_mul_i32 s6, s5, s16
	s_add_i32 s2, s6, s2
	s_mul_i32 s2, s2, s8
	s_add_i32 s41, s2, 1
.LBB43_9:
	s_load_dword s2, s[0:1], 0x38
	s_load_dwordx2 s[22:23], s[0:1], 0x0
	s_load_dwordx2 s[28:29], s[0:1], 0x18
	s_load_dword s11, s[0:1], 0x88
	s_xor_b32 s6, s15, s19
	s_waitcnt lgkmcnt(0)
	s_mul_i32 s26, s2, s10
	s_mul_i32 s2, s12, s21
	s_sub_i32 s2, s9, s2
	s_ashr_i32 s27, s26, 31
	s_add_i32 s7, s12, 1
	s_sub_i32 s8, s2, s21
	s_cmp_ge_u32 s2, s21
	s_cselect_b32 s7, s7, s12
	s_cselect_b32 s2, s8, s2
	s_add_i32 s8, s7, 1
	s_cmp_ge_u32 s2, s21
	s_cselect_b32 s2, s8, s7
	s_xor_b32 s2, s2, s6
	s_sub_i32 s12, s2, s6
	s_add_i32 s2, s33, 31
	s_ashr_i32 s6, s2, 31
	s_lshr_b32 s6, s6, 27
	s_add_i32 s2, s2, s6
	s_ashr_i32 s16, s2, 5
	v_lshrrev_b32_e32 v102, 6, v107
	v_cmp_gt_i32_e64 s[6:7], s16, v102
	v_mov_b32_e32 v59, 0xff7fffff
	s_mul_i32 s14, s3, s14
	v_lshrrev_b32_e32 v55, 4, v107
	v_lshlrev_b32_e32 v103, 5, v102
	v_mbcnt_lo_u32_b32 v56, -1, 0
	s_and_saveexec_b64 s[34:35], s[6:7]
	s_cbranch_execz .LBB43_21
; %bb.10:
	s_load_dwordx2 s[0:1], s[0:1], 0x10
	s_ashr_i32 s15, s14, 31
	s_sub_i32 s30, s12, s17
	s_lshl_b64 s[2:3], s[14:15], 2
	v_bfe_u32 v57, v107, 1, 5
	s_waitcnt lgkmcnt(0)
	s_add_u32 s0, s0, s2
	s_addc_u32 s1, s1, s3
	s_abs_i32 s15, s18
	v_cvt_f32_u32_e32 v1, s15
	v_lshlrev_b32_e32 v4, 4, v57
	v_mov_b32_e32 v5, 0
	v_lshl_add_u64 v[6:7], s[0:1], 0, v[4:5]
	v_rcp_iflag_f32_e32 v3, v1
	s_sub_i32 s0, 0, s15
	v_cmp_eq_u32_e32 vcc, 0, v2
	v_mul_u32_u24_e32 v58, 0x180, v2
	v_mul_f32_e32 v3, 0x4f7ffffe, v3
	v_cvt_u32_f32_e32 v3, v3
	v_and_b32_e32 v4, 8, v0
	v_lshl_add_u64 v[0:1], v[6:7], 0, v[4:5]
	v_and_b32_e32 v4, 60, v55
	v_mul_lo_u32 v2, s0, v3
	s_lshl_b64 s[0:1], s[26:27], 2
	s_add_u32 s0, s24, s0
	v_mul_hi_u32 v2, v3, v2
	s_addc_u32 s1, s25, s1
	v_lshlrev_b32_e32 v8, 2, v57
	v_add_u32_e32 v60, v3, v2
	v_lshl_add_u64 v[2:3], s[0:1], 0, v[4:5]
	v_subrev_u32_e32 v4, s33, v57
	v_add_u32_e32 v62, 1, v4
	v_lshl_or_b32 v4, v102, 7, v8
	v_mbcnt_hi_u32_b32 v65, -1, v56
	v_add_u32_e32 v63, 0x310, v4
	v_and_b32_e32 v4, 64, v65
	s_mov_b32 s43, s13
	v_cmp_neq_f32_e64 s[2:3], s42, 0
	v_lshlrev_b32_e32 v61, 5, v102
	v_mov_b32_e32 v64, 0xff7fffff
	s_mov_b64 s[36:37], 0
	s_movk_i32 s44, 0x1000
	s_movk_i32 s45, 0x2000
	;; [unrolled: 1-line block ×5, first 2 shown]
	v_xor_b32_e32 v66, 1, v65
	v_add_u32_e32 v67, 64, v4
	v_mov_b32_e32 v59, 0xff7fffff
	v_mov_b32_e32 v68, v102
	s_branch .LBB43_13
.LBB43_11:                              ;   in Loop: Header=BB43_13 Depth=1
	s_or_b64 exec, exec, s[38:39]
.LBB43_12:                              ;   in Loop: Header=BB43_13 Depth=1
	s_or_b64 exec, exec, s[8:9]
	v_add_u32_e32 v68, 2, v68
	v_cmp_le_i32_e64 s[0:1], s16, v68
	v_lshl_add_u64 v[2:3], v[2:3], 0, 8
	v_add_u32_e32 v61, 64, v61
	s_or_b64 s[36:37], s[0:1], s[36:37]
	v_add_u32_e32 v63, 0x100, v63
	s_andn2_b64 exec, exec, s[36:37]
	s_cbranch_execz .LBB43_20
.LBB43_13:                              ; =>This Inner Loop Header: Depth=1
	v_mul_hi_u32 v4, v61, s40
	s_waitcnt lgkmcnt(0)
	v_mul_lo_u32 v5, v4, s21
	v_sub_u32_e32 v5, v61, v5
	v_add_u32_e32 v6, 1, v4
	v_cmp_le_u32_e64 s[0:1], s21, v5
	s_nop 1
	v_cndmask_b32_e64 v4, v4, v6, s[0:1]
	v_subrev_u32_e32 v6, s21, v5
	v_cndmask_b32_e64 v5, v5, v6, s[0:1]
	v_add_u32_e32 v6, 1, v4
	v_cmp_le_u32_e64 s[0:1], s21, v5
	s_nop 1
	v_cndmask_b32_e64 v4, v4, v6, s[0:1]
	v_xor_b32_e32 v4, s19, v4
	v_subrev_u32_e32 v4, s19, v4
	v_add_u32_e32 v5, s41, v4
	v_sub_u32_e32 v7, 0, v5
	v_ashrrev_i32_e32 v6, 31, v5
	v_max_i32_e32 v5, v5, v7
	v_mul_hi_u32 v7, v5, v60
	v_mul_lo_u32 v7, v7, s15
	v_sub_u32_e32 v5, v5, v7
	v_subrev_u32_e32 v7, s15, v5
	v_cmp_le_u32_e64 s[0:1], s15, v5
	v_cmp_ge_i32_e64 s[8:9], s30, v4
	s_nop 0
	v_cndmask_b32_e64 v5, v5, v7, s[0:1]
	v_subrev_u32_e32 v7, s15, v5
	v_cmp_le_u32_e64 s[0:1], s15, v5
	s_nop 1
	v_cndmask_b32_e64 v5, v5, v7, s[0:1]
	v_xor_b32_e32 v5, v5, v6
	v_sub_u32_e32 v5, v5, v6
	v_cmp_ne_u32_e64 s[0:1], 0, v5
	s_and_b64 s[0:1], s[0:1], s[8:9]
	s_and_saveexec_b64 s[8:9], s[0:1]
	s_xor_b64 s[0:1], exec, s[8:9]
	s_cbranch_execz .LBB43_17
; %bb.14:                               ;   in Loop: Header=BB43_13 Depth=1
	s_and_saveexec_b64 s[8:9], vcc
; %bb.15:                               ;   in Loop: Header=BB43_13 Depth=1
	ds_write_b32 v63, v64
; %bb.16:                               ;   in Loop: Header=BB43_13 Depth=1
	s_or_b64 exec, exec, s[8:9]
.LBB43_17:                              ;   in Loop: Header=BB43_13 Depth=1
	s_andn2_saveexec_b64 s[8:9], s[0:1]
	s_cbranch_execz .LBB43_12
; %bb.18:                               ;   in Loop: Header=BB43_13 Depth=1
	global_load_dword v4, v[2:3], off
	s_waitcnt vmcnt(0)
	v_mad_i64_i32 v[4:5], s[0:1], v4, s43, 0
	v_lshl_add_u64 v[4:5], v[4:5], 2, v[0:1]
	global_load_dwordx2 v[10:11], v[4:5], off offset:512
	global_load_dwordx2 v[16:17], v[4:5], off
	global_load_dwordx2 v[26:27], v[4:5], off offset:1024
	global_load_dwordx2 v[38:39], v[4:5], off offset:1536
	global_load_dwordx2 v[42:43], v[4:5], off offset:2048
	global_load_dwordx2 v[44:45], v[4:5], off offset:2560
	global_load_dwordx2 v[52:53], v[4:5], off offset:3072
	global_load_dwordx2 v[76:77], v[4:5], off offset:3584
	v_add_co_u32_e64 v78, s[0:1], s45, v4
	s_nop 1
	v_addc_co_u32_e64 v79, s[0:1], 0, v5, s[0:1]
	global_load_dwordx2 v[80:81], v[78:79], off offset:-4096
	v_add_co_u32_e64 v12, s[0:1], s44, v4
	s_nop 1
	v_addc_co_u32_e64 v13, s[0:1], 0, v5, s[0:1]
	global_load_dwordx2 v[82:83], v[12:13], off offset:512
	global_load_dwordx2 v[84:85], v[12:13], off offset:1024
	global_load_dwordx2 v[18:19], v[12:13], off offset:1536
	ds_read_b128 v[6:9], v58
	ds_read_b128 v[22:25], v58 offset:16
	global_load_dwordx2 v[28:29], v[12:13], off offset:2048
	global_load_dwordx2 v[20:21], v[12:13], off offset:2560
	ds_read_b128 v[30:33], v58 offset:32
	ds_read_b128 v[34:37], v58 offset:48
	global_load_dwordx2 v[14:15], v[12:13], off offset:3072
	s_nop 0
	global_load_dwordx2 v[12:13], v[12:13], off offset:3584
	v_add_co_u32_e64 v86, s[0:1], s46, v4
	s_waitcnt vmcnt(15) lgkmcnt(3)
	v_mul_f32_e32 v69, v8, v10
	v_mul_f32_e32 v70, v9, v11
	s_waitcnt vmcnt(14)
	v_fmac_f32_e32 v69, v6, v16
	v_fmac_f32_e32 v70, v7, v17
	global_load_dwordx2 v[10:11], v[78:79], off
	global_load_dwordx2 v[8:9], v[78:79], off offset:512
	s_waitcnt vmcnt(15) lgkmcnt(2)
	v_fmac_f32_e32 v69, v22, v26
	v_fmac_f32_e32 v70, v23, v27
	s_waitcnt vmcnt(14)
	v_fmac_f32_e32 v69, v24, v38
	v_fmac_f32_e32 v70, v25, v39
	ds_read_b128 v[38:41], v58 offset:64
	ds_read_b128 v[72:75], v58 offset:80
	s_waitcnt vmcnt(13) lgkmcnt(3)
	v_fmac_f32_e32 v69, v30, v42
	v_fmac_f32_e32 v70, v31, v43
	global_load_dwordx2 v[48:49], v[78:79], off offset:1024
	global_load_dwordx2 v[30:31], v[78:79], off offset:1536
	;; [unrolled: 1-line block ×4, first 2 shown]
	v_addc_co_u32_e64 v87, s[0:1], 0, v5, s[0:1]
	global_load_dwordx2 v[16:17], v[78:79], off offset:3072
	global_load_dwordx2 v[22:23], v[78:79], off offset:3584
	s_waitcnt vmcnt(18)
	v_fmac_f32_e32 v69, v32, v44
	v_add_co_u32_e64 v44, s[0:1], s47, v4
	v_fmac_f32_e32 v70, v33, v45
	s_nop 0
	v_addc_co_u32_e64 v45, s[0:1], 0, v5, s[0:1]
	v_add_co_u32_e64 v6, s[0:1], s48, v4
	s_waitcnt vmcnt(17) lgkmcnt(2)
	v_fmac_f32_e32 v69, v34, v52
	v_addc_co_u32_e64 v7, s[0:1], 0, v5, s[0:1]
	global_load_dwordx2 v[24:25], v[44:45], off offset:-4096
	global_load_dwordx2 v[4:5], v[6:7], off offset:3584
	global_load_dwordx2 v[26:27], v[86:87], off offset:512
	v_fmac_f32_e32 v70, v35, v53
	s_waitcnt vmcnt(19)
	v_fmac_f32_e32 v69, v36, v76
	v_fmac_f32_e32 v70, v37, v77
	s_waitcnt vmcnt(18) lgkmcnt(1)
	v_fmac_f32_e32 v69, v38, v80
	v_fmac_f32_e32 v70, v39, v81
	ds_read_b128 v[32:35], v58 offset:96
	ds_read_b128 v[36:39], v58 offset:112
	s_waitcnt vmcnt(17)
	v_fmac_f32_e32 v69, v40, v82
	v_fmac_f32_e32 v70, v41, v83
	s_waitcnt vmcnt(16) lgkmcnt(2)
	v_fmac_f32_e32 v69, v72, v84
	v_fmac_f32_e32 v70, v73, v85
	s_waitcnt vmcnt(15)
	v_fmac_f32_e32 v69, v74, v18
	v_fmac_f32_e32 v70, v75, v19
	global_load_dwordx2 v[76:77], v[86:87], off offset:1024
	global_load_dwordx2 v[52:53], v[86:87], off offset:1536
	s_waitcnt vmcnt(16) lgkmcnt(1)
	v_fmac_f32_e32 v69, v32, v28
	v_fmac_f32_e32 v70, v33, v29
	s_waitcnt vmcnt(15)
	v_fmac_f32_e32 v69, v34, v20
	v_fmac_f32_e32 v70, v35, v21
	ds_read_b128 v[18:21], v58 offset:128
	ds_read_b128 v[72:75], v58 offset:144
	global_load_dwordx2 v[42:43], v[86:87], off offset:2048
	global_load_dwordx2 v[40:41], v[86:87], off offset:2560
	s_waitcnt vmcnt(16) lgkmcnt(2)
	v_fmac_f32_e32 v69, v36, v14
	v_fmac_f32_e32 v70, v37, v15
	s_waitcnt vmcnt(15)
	v_fmac_f32_e32 v69, v38, v12
	v_fmac_f32_e32 v70, v39, v13
	global_load_dwordx2 v[36:37], v[86:87], off offset:3072
	global_load_dwordx2 v[32:33], v[86:87], off offset:3584
	v_cmp_lt_i32_e64 s[0:1], v66, v67
	s_waitcnt vmcnt(16) lgkmcnt(1)
	v_fmac_f32_e32 v69, v18, v10
	v_fmac_f32_e32 v70, v19, v11
	s_waitcnt vmcnt(15)
	v_fmac_f32_e32 v69, v20, v8
	v_fmac_f32_e32 v70, v21, v9
	ds_read_b128 v[8:11], v58 offset:160
	ds_read_b128 v[12:15], v58 offset:176
	global_load_dwordx2 v[38:39], v[44:45], off
	global_load_dwordx2 v[34:35], v[44:45], off offset:512
	s_waitcnt vmcnt(16) lgkmcnt(2)
	v_fmac_f32_e32 v69, v72, v48
	v_fmac_f32_e32 v70, v73, v49
	s_waitcnt vmcnt(15)
	v_fmac_f32_e32 v69, v74, v30
	v_fmac_f32_e32 v70, v75, v31
	global_load_dwordx2 v[30:31], v[44:45], off offset:1024
	global_load_dwordx2 v[28:29], v[44:45], off offset:1536
	s_waitcnt vmcnt(16) lgkmcnt(1)
	v_fmac_f32_e32 v69, v8, v50
	v_fmac_f32_e32 v70, v9, v51
	s_waitcnt vmcnt(15)
	v_fmac_f32_e32 v69, v10, v46
	v_fmac_f32_e32 v70, v11, v47
	ds_read_b128 v[46:49], v58 offset:192
	ds_read_b128 v[72:75], v58 offset:208
	global_load_dwordx2 v[18:19], v[44:45], off offset:2048
	global_load_dwordx2 v[8:9], v[44:45], off offset:2560
	;; [unrolled: 1-line block ×4, first 2 shown]
	s_waitcnt vmcnt(18) lgkmcnt(2)
	v_fmac_f32_e32 v69, v12, v16
	v_fmac_f32_e32 v70, v13, v17
	s_waitcnt vmcnt(17)
	v_fmac_f32_e32 v69, v14, v22
	v_fmac_f32_e32 v70, v15, v23
	global_load_dwordx2 v[22:23], v[6:7], off
	global_load_dwordx2 v[12:13], v[6:7], off offset:512
	s_waitcnt vmcnt(18) lgkmcnt(1)
	v_fmac_f32_e32 v69, v46, v24
	v_fmac_f32_e32 v70, v47, v25
	global_load_dwordx2 v[24:25], v[6:7], off offset:1024
	global_load_dwordx2 v[14:15], v[6:7], off offset:1536
	s_waitcnt vmcnt(18)
	v_fmac_f32_e32 v69, v26, v48
	v_fmac_f32_e32 v70, v27, v49
	global_load_dwordx2 v[26:27], v[6:7], off offset:2048
	global_load_dwordx2 v[16:17], v[6:7], off offset:2560
	s_nop 0
	global_load_dwordx2 v[6:7], v[6:7], off offset:3072
	ds_read_b128 v[44:47], v58 offset:224
	ds_read_b128 v[48:51], v58 offset:240
	s_waitcnt vmcnt(20) lgkmcnt(2)
	v_fmac_f32_e32 v69, v76, v72
	v_fmac_f32_e32 v70, v77, v73
	s_waitcnt vmcnt(19)
	v_fmac_f32_e32 v69, v52, v74
	v_fmac_f32_e32 v70, v53, v75
	v_cndmask_b32_e64 v52, v65, v66, s[0:1]
	s_waitcnt vmcnt(18) lgkmcnt(1)
	v_fmac_f32_e32 v69, v42, v44
	v_fmac_f32_e32 v70, v43, v45
	s_waitcnt vmcnt(17)
	v_fmac_f32_e32 v69, v40, v46
	v_fmac_f32_e32 v70, v41, v47
	ds_read_b128 v[40:43], v58 offset:256
	ds_read_b128 v[44:47], v58 offset:272
	s_waitcnt vmcnt(16) lgkmcnt(2)
	v_fmac_f32_e32 v69, v36, v48
	v_fmac_f32_e32 v70, v37, v49
	s_waitcnt vmcnt(15)
	v_fmac_f32_e32 v69, v32, v50
	v_fmac_f32_e32 v70, v33, v51
	ds_read_b128 v[48:51], v58 offset:288
	ds_read_b128 v[72:75], v58 offset:304
	;; [unrolled: 8-line block ×4, first 2 shown]
	v_lshlrev_b32_e32 v44, 2, v52
	s_waitcnt vmcnt(10) lgkmcnt(5)
	v_fmac_f32_e32 v69, v18, v48
	v_fmac_f32_e32 v70, v19, v49
	s_waitcnt vmcnt(9)
	v_fmac_f32_e32 v69, v8, v50
	v_fmac_f32_e32 v70, v9, v51
	s_waitcnt vmcnt(8) lgkmcnt(4)
	v_fmac_f32_e32 v69, v20, v72
	v_fmac_f32_e32 v70, v21, v73
	s_waitcnt vmcnt(7)
	v_fmac_f32_e32 v69, v10, v74
	v_fmac_f32_e32 v70, v11, v75
	;; [unrolled: 6-line block ×5, first 2 shown]
	s_waitcnt vmcnt(0) lgkmcnt(0)
	v_fmac_f32_e32 v69, v6, v40
	v_fmac_f32_e32 v70, v7, v41
	;; [unrolled: 1-line block ×4, first 2 shown]
	v_add_f32_e32 v4, v69, v70
	ds_bpermute_b32 v5, v44, v4
	s_and_saveexec_b64 s[38:39], vcc
	s_cbranch_execz .LBB43_11
; %bb.19:                               ;   in Loop: Header=BB43_13 Depth=1
	v_add_u32_e32 v6, v62, v61
	v_cvt_f32_i32_e32 v6, v6
	s_waitcnt lgkmcnt(0)
	v_add_f32_e32 v4, v4, v5
	v_add_u32_e32 v7, v57, v61
	v_cmp_gt_i32_e64 s[0:1], s33, v7
	v_mul_f32_e32 v5, s42, v6
	v_cndmask_b32_e64 v5, 0, v5, s[2:3]
	v_fmac_f32_e32 v5, s31, v4
	v_cndmask_b32_e64 v4, 0, v5, s[0:1]
	ds_write_b32 v63, v4
	v_max_f32_e32 v4, v59, v59
	v_max_f32_e32 v4, v4, v5
	v_cndmask_b32_e64 v59, v59, v4, s[0:1]
	s_branch .LBB43_11
.LBB43_20:
	s_or_b64 exec, exec, s[36:37]
.LBB43_21:
	s_or_b64 exec, exec, s[34:35]
	v_mbcnt_hi_u32_b32 v0, -1, v56
	v_and_b32_e32 v6, 64, v0
	v_add_u32_e32 v7, 64, v6
	v_xor_b32_e32 v1, 32, v0
	v_cmp_lt_i32_e32 vcc, v1, v7
	v_xor_b32_e32 v4, 16, v0
	v_max_f32_e32 v3, v59, v59
	v_cndmask_b32_e32 v1, v0, v1, vcc
	v_lshlrev_b32_e32 v1, 2, v1
	ds_bpermute_b32 v2, v1, v59
	v_cmp_lt_i32_e32 vcc, v4, v7
	s_waitcnt lgkmcnt(1)
	v_xor_b32_e32 v5, 8, v0
	v_xor_b32_e32 v8, 4, v0
	v_and_b32_e32 v38, 63, v107
	s_waitcnt lgkmcnt(0)
	v_max_f32_e32 v2, v2, v2
	v_max_f32_e32 v3, v3, v2
	v_cndmask_b32_e32 v2, v0, v4, vcc
	v_lshlrev_b32_e32 v2, 2, v2
	ds_bpermute_b32 v4, v2, v3
	v_cmp_lt_i32_e32 vcc, v5, v7
	s_waitcnt lgkmcnt(0)
	v_max_f32_e32 v4, v4, v4
	v_max_f32_e32 v4, v3, v4
	v_cndmask_b32_e32 v3, v0, v5, vcc
	v_lshlrev_b32_e32 v3, 2, v3
	ds_bpermute_b32 v5, v3, v4
	v_cmp_lt_i32_e32 vcc, v8, v7
	s_waitcnt lgkmcnt(0)
	v_max_f32_e32 v5, v5, v5
	v_max_f32_e32 v4, v4, v5
	v_cndmask_b32_e32 v5, v0, v8, vcc
	v_lshlrev_b32_e32 v31, 2, v5
	ds_bpermute_b32 v5, v31, v4
	v_xor_b32_e32 v8, 2, v0
	v_cmp_lt_i32_e32 vcc, v8, v7
	s_waitcnt lgkmcnt(0)
	v_max_f32_e32 v5, v5, v5
	v_max_f32_e32 v5, v4, v5
	v_cndmask_b32_e32 v4, v0, v8, vcc
	v_lshlrev_b32_e32 v37, 2, v4
	ds_bpermute_b32 v8, v37, v5
	v_cmp_eq_u32_e32 vcc, 0, v38
	v_lshlrev_b32_e32 v4, 2, v102
	s_and_saveexec_b64 s[0:1], vcc
	s_cbranch_execz .LBB43_23
; %bb.22:
	s_waitcnt lgkmcnt(0)
	v_max_f32_e32 v8, v8, v8
	v_max_f32_e32 v5, v5, v5
	;; [unrolled: 1-line block ×3, first 2 shown]
	ds_write_b32 v4, v5 offset:768
.LBB43_23:
	s_or_b64 exec, exec, s[0:1]
	v_cmp_gt_u32_e64 s[0:1], 2, v38
	s_waitcnt lgkmcnt(0)
	v_mov_b32_e32 v8, 0xff7fffff
	v_lshlrev_b32_e32 v5, 2, v38
	s_barrier
	s_and_saveexec_b64 s[2:3], s[0:1]
; %bb.24:
	ds_read_b32 v8, v5 offset:768
; %bb.25:
	s_or_b64 exec, exec, s[2:3]
	v_xor_b32_e32 v9, 1, v0
	v_cmp_lt_i32_e64 s[2:3], v9, v7
	v_lshlrev_b32_e32 v6, 2, v6
	s_nop 0
	v_cndmask_b32_e64 v7, v0, v9, s[2:3]
	v_lshlrev_b32_e32 v39, 2, v7
	s_waitcnt lgkmcnt(0)
	ds_bpermute_b32 v7, v39, v8
	v_max_f32_e32 v8, v8, v8
	s_lshl_b32 s2, s16, 5
	s_min_i32 s15, s2, s33
	v_cmp_gt_i32_e64 s[2:3], s15, v107
	s_waitcnt lgkmcnt(0)
	v_max_f32_e32 v7, v7, v7
	v_max_f32_e32 v7, v8, v7
	ds_bpermute_b32 v7, v6, v7
	v_mov_b32_e32 v6, 0
	s_and_saveexec_b64 s[30:31], s[2:3]
	s_cbranch_execz .LBB43_29
; %bb.26:
	v_mov_b32_e32 v6, 0x310
	v_lshl_add_u32 v8, v107, 2, v6
	v_mov_b32_e32 v6, 0
	s_mov_b64 s[34:35], 0
	v_mov_b32_e32 v9, v107
.LBB43_27:                              ; =>This Inner Loop Header: Depth=1
	ds_read_b32 v10, v8
	v_add_u32_e32 v9, 0x80, v9
	v_cmp_le_i32_e64 s[8:9], s15, v9
	s_or_b64 s[34:35], s[8:9], s[34:35]
	s_waitcnt lgkmcnt(0)
	v_sub_f32_e32 v10, v10, v7
	v_mul_f32_e32 v10, 0x3fb8aa3b, v10
	v_exp_f32_e32 v10, v10
	ds_write_b32 v8, v10
	v_add_f32_e32 v6, v6, v10
	v_add_u32_e32 v8, 0x200, v8
	s_andn2_b64 exec, exec, s[34:35]
	s_cbranch_execnz .LBB43_27
; %bb.28:
	s_or_b64 exec, exec, s[34:35]
.LBB43_29:
	s_or_b64 exec, exec, s[30:31]
	ds_bpermute_b32 v1, v1, v6
	s_waitcnt lgkmcnt(0)
	v_add_f32_e32 v1, v6, v1
	ds_bpermute_b32 v2, v2, v1
	s_waitcnt lgkmcnt(0)
	v_add_f32_e32 v1, v1, v2
	ds_bpermute_b32 v2, v3, v1
	s_waitcnt lgkmcnt(0)
	v_add_f32_e32 v1, v1, v2
	ds_bpermute_b32 v2, v31, v1
	s_waitcnt lgkmcnt(0)
	v_add_f32_e32 v1, v1, v2
	ds_bpermute_b32 v2, v37, v1
	s_waitcnt lgkmcnt(0)
	v_add_f32_e32 v1, v1, v2
	ds_bpermute_b32 v2, v39, v1
	s_waitcnt lgkmcnt(0)
	v_add_f32_e32 v1, v1, v2
	s_and_saveexec_b64 s[8:9], vcc
; %bb.30:
	ds_write_b32 v4, v1 offset:776
; %bb.31:
	s_or_b64 exec, exec, s[8:9]
	s_waitcnt lgkmcnt(0)
	s_barrier
	s_and_saveexec_b64 s[8:9], s[0:1]
; %bb.32:
	ds_read_b32 v1, v5 offset:776
; %bb.33:
	s_or_b64 exec, exec, s[8:9]
	s_waitcnt lgkmcnt(0)
	ds_bpermute_b32 v2, v39, v1
	v_lshlrev_b32_e32 v0, 2, v0
	v_and_b32_e32 v0, 0x100, v0
	s_waitcnt lgkmcnt(0)
	v_add_f32_e32 v1, v1, v2
	ds_bpermute_b32 v0, v0, v1
	s_and_saveexec_b64 s[0:1], s[2:3]
	s_cbranch_execz .LBB43_46
; %bb.34:
	s_waitcnt lgkmcnt(0)
	v_add_f32_e32 v0, 0x358637bd, v0
	v_div_scale_f32 v1, s[2:3], v0, v0, 1.0
	v_rcp_f32_e32 v2, v1
	v_div_scale_f32 v3, vcc, 1.0, v0, 1.0
	s_movk_i32 s2, 0x7f
	v_fma_f32 v4, -v1, v2, 1.0
	v_fmac_f32_e32 v2, v4, v2
	v_mul_f32_e32 v4, v3, v2
	v_fma_f32 v5, -v1, v4, v3
	v_fmac_f32_e32 v4, v5, v2
	v_fma_f32 v1, -v1, v4, v3
	v_div_fmas_f32 v1, v1, v2, v4
	v_xad_u32 v2, v107, -1, s15
	v_div_fixup_f32 v0, v1, v0, 1.0
	v_cmp_lt_u32_e32 vcc, s2, v2
	s_mov_b64 s[8:9], -1
	v_mov_b32_e32 v1, v107
	s_and_saveexec_b64 s[2:3], vcc
	s_cbranch_execz .LBB43_43
; %bb.35:
	v_lshrrev_b32_e32 v2, 7, v2
	v_add_u32_e32 v4, -1, v2
	v_lshrrev_b32_e32 v3, 1, v4
	v_mov_b32_e32 v1, v0
	v_add_u32_e32 v3, 1, v3
	v_cmp_lt_u32_e32 vcc, 13, v4
	v_mov_b32_e32 v6, 0
	s_and_saveexec_b64 s[8:9], vcc
	s_cbranch_execz .LBB43_39
; %bb.36:
	v_mov_b32_e32 v5, 0x310
	v_and_b32_e32 v4, -8, v3
	v_lshl_add_u32 v5, v107, 2, v5
	s_mov_b32 s34, 0
	s_mov_b64 s[30:31], 0
.LBB43_37:                              ; =>This Inner Loop Header: Depth=1
	ds_read2st64_b32 v[6:7], v5 offset1:2
	ds_read2st64_b32 v[8:9], v5 offset0:4 offset1:6
	ds_read2st64_b32 v[10:11], v5 offset0:8 offset1:10
	;; [unrolled: 1-line block ×3, first 2 shown]
	v_add_u32_e32 v4, -8, v4
	s_waitcnt lgkmcnt(3)
	v_pk_mul_f32 v[6:7], v[0:1], v[6:7]
	s_waitcnt lgkmcnt(2)
	v_pk_mul_f32 v[8:9], v[0:1], v[8:9]
	ds_write2st64_b32 v5, v6, v7 offset1:2
	ds_write2st64_b32 v5, v8, v9 offset0:4 offset1:6
	ds_read2st64_b32 v[8:9], v5 offset0:16 offset1:18
	s_waitcnt lgkmcnt(4)
	v_pk_mul_f32 v[6:7], v[0:1], v[10:11]
	ds_write2st64_b32 v5, v6, v7 offset0:8 offset1:10
	s_waitcnt lgkmcnt(4)
	v_pk_mul_f32 v[6:7], v[0:1], v[12:13]
	ds_write2st64_b32 v5, v6, v7 offset0:12 offset1:14
	ds_read2st64_b32 v[6:7], v5 offset0:20 offset1:22
	s_waitcnt lgkmcnt(3)
	v_pk_mul_f32 v[8:9], v[0:1], v[8:9]
	ds_read2st64_b32 v[10:11], v5 offset0:24 offset1:26
	ds_write2st64_b32 v5, v8, v9 offset0:16 offset1:18
	ds_read2st64_b32 v[8:9], v5 offset0:28 offset1:30
	s_waitcnt lgkmcnt(3)
	v_pk_mul_f32 v[6:7], v[0:1], v[6:7]
	ds_write2st64_b32 v5, v6, v7 offset0:20 offset1:22
	s_waitcnt lgkmcnt(3)
	v_pk_mul_f32 v[6:7], v[0:1], v[10:11]
	ds_write2st64_b32 v5, v6, v7 offset0:24 offset1:26
	s_waitcnt lgkmcnt(2)
	v_pk_mul_f32 v[6:7], v[0:1], v[8:9]
	s_add_i32 s34, s34, 16
	v_cmp_eq_u32_e32 vcc, 0, v4
	ds_write2st64_b32 v5, v6, v7 offset0:28 offset1:30
	v_add_u32_e32 v5, 0x2000, v5
	s_or_b64 s[30:31], vcc, s[30:31]
	v_mov_b32_e32 v6, s34
	s_andn2_b64 exec, exec, s[30:31]
	s_cbranch_execnz .LBB43_37
; %bb.38:
	s_or_b64 exec, exec, s[30:31]
.LBB43_39:
	s_or_b64 exec, exec, s[8:9]
	v_and_b32_e32 v3, 7, v3
	v_cmp_ne_u32_e32 vcc, 0, v3
	s_and_saveexec_b64 s[8:9], vcc
	s_cbranch_execz .LBB43_42
; %bb.40:
	v_lshlrev_b32_e32 v4, 9, v6
	s_movk_i32 s30, 0x310
	v_add3_u32 v4, v4, v54, s30
	s_mov_b64 s[30:31], 0
.LBB43_41:                              ; =>This Inner Loop Header: Depth=1
	ds_read2st64_b32 v[6:7], v4 offset1:2
	v_add_u32_e32 v3, -1, v3
	v_cmp_eq_u32_e32 vcc, 0, v3
	s_or_b64 s[30:31], vcc, s[30:31]
	s_waitcnt lgkmcnt(0)
	v_pk_mul_f32 v[6:7], v[0:1], v[6:7]
	ds_write2st64_b32 v4, v6, v7 offset1:2
	v_add_u32_e32 v4, 0x400, v4
	s_andn2_b64 exec, exec, s[30:31]
	s_cbranch_execnz .LBB43_41
.LBB43_42:
	s_or_b64 exec, exec, s[8:9]
	v_add_u32_e32 v2, 1, v2
	v_and_b32_e32 v3, 0x3fffffe, v2
	v_cmp_ne_u32_e32 vcc, v2, v3
	v_lshl_add_u32 v1, v3, 7, v107
	s_orn2_b64 s[8:9], vcc, exec
.LBB43_43:
	s_or_b64 exec, exec, s[2:3]
	s_and_b64 exec, exec, s[8:9]
	s_cbranch_execz .LBB43_46
; %bb.44:
	v_mov_b32_e32 v2, 0x310
	v_lshl_add_u32 v2, v1, 2, v2
	s_mov_b64 s[2:3], 0
.LBB43_45:                              ; =>This Inner Loop Header: Depth=1
	ds_read_b32 v3, v2
	v_add_u32_e32 v1, 0x80, v1
	v_cmp_le_i32_e32 vcc, s15, v1
	s_or_b64 s[2:3], vcc, s[2:3]
	s_waitcnt lgkmcnt(0)
	v_mul_f32_e32 v3, v0, v3
	ds_write_b32 v2, v3
	v_add_u32_e32 v2, 0x200, v2
	s_andn2_b64 exec, exec, s[2:3]
	s_cbranch_execnz .LBB43_45
.LBB43_46:
	s_or_b64 exec, exec, s[0:1]
	v_mov_b32_e32 v41, 0
	s_waitcnt lgkmcnt(0)
	v_and_b32_e32 v0, 7, v107
	v_mov_b32_e32 v40, 0
	v_mov_b32_e32 v33, 0
	;; [unrolled: 1-line block ×23, first 2 shown]
	s_barrier
	scratch_store_dword off, v0, off offset:48 ; 4-byte Folded Spill
	s_and_saveexec_b64 s[2:3], s[6:7]
	s_cbranch_execz .LBB43_100
; %bb.47:
	s_ashr_i32 s15, s14, 31
	s_sub_i32 s17, s12, s17
	s_lshl_b64 s[0:1], s[14:15], 2
	s_add_u32 s6, s28, s0
	s_addc_u32 s7, s29, s1
	s_abs_i32 s18, s18
	v_cvt_f32_u32_e32 v0, s18
	v_and_b32_e32 v1, 28, v54
	s_sub_i32 s0, 0, s18
	scratch_store_dword off, v39, off offset:60 ; 4-byte Folded Spill
	scratch_store_dword off, v37, off offset:56 ; 4-byte Folded Spill
	;; [unrolled: 1-line block ×3, first 2 shown]
	v_rcp_iflag_f32_e32 v0, v0
	scratch_store_dword off, v1, off offset:44 ; 4-byte Folded Spill
	s_add_i32 s29, s16, -1
	v_and_b32_e32 v2, 0xfc, v54
	v_mul_f32_e32 v0, 0x4f7ffffe, v0
	v_cvt_u32_f32_e32 v0, v0
	v_mov_b32_e32 v7, 0
	v_and_b32_e32 v6, 60, v55
	v_lshlrev_b32_e32 v2, 2, v2
	v_mul_lo_u32 v1, s0, v0
	v_mul_hi_u32 v1, v0, v1
	v_add_u32_e32 v0, v0, v1
	scratch_store_dword off, v0, off offset:32 ; 4-byte Folded Spill
	s_lshl_b64 s[0:1], s[26:27], 2
	v_and_b32_e32 v0, 7, v107
	s_add_u32 s0, s24, s0
	v_lshlrev_b32_e32 v0, 4, v0
	s_addc_u32 s1, s25, s1
	v_lshl_or_b32 v0, v102, 7, v0
	s_mov_b32 s28, s13
	v_or_b32_e32 v4, 0xf00, v54
	s_mov_b32 s30, s33
	v_lshl_add_u64 v[126:127], s[0:1], 0, v[6:7]
	v_add_u32_e32 v0, 0x310, v0
	s_mov_b64 s[8:9], 0
	scratch_store_dwordx2 off, v[2:3], off offset:36 ; 8-byte Folded Spill
	v_mov_b32_e32 v124, v7
	v_mov_b32_e32 v125, v7
	;; [unrolled: 1-line block ×20, first 2 shown]
	v_lshlrev_b32_e32 v6, 2, v4
	scratch_store_dwordx2 off, v[2:3], off offset:16 ; 8-byte Folded Spill
	scratch_store_dwordx2 off, v[2:3], off offset:8 ; 8-byte Folded Spill
	;; [unrolled: 1-line block ×3, first 2 shown]
	scratch_store_dwordx2 off, v[2:3], off  ; 8-byte Folded Spill
	s_branch .LBB43_50
.LBB43_48:                              ;   in Loop: Header=BB43_50 Depth=1
	s_or_b64 exec, exec, s[14:15]
	s_waitcnt vmcnt(1) lgkmcnt(0)
	v_mul_f32_e32 v1, v2, v98
	v_fmac_f32_e32 v1, v3, v99
	scratch_load_dwordx2 v[98:99], off, off ; 8-byte Folded Reload
	v_fmac_f32_e32 v1, v4, v100
	v_fmac_f32_e32 v1, v5, v101
	s_waitcnt vmcnt(0)
	v_add_f32_e32 v98, v98, v1
	v_mul_f32_e32 v1, v2, v94
	v_fmac_f32_e32 v1, v3, v95
	scratch_load_dwordx2 v[94:95], off, off offset:8 ; 8-byte Folded Reload
	v_fmac_f32_e32 v1, v4, v96
	v_fmac_f32_e32 v1, v5, v97
	s_waitcnt vmcnt(0)
	v_add_f32_e32 v95, v95, v1
	v_mul_f32_e32 v1, v2, v90
	v_fmac_f32_e32 v1, v3, v91
	v_fmac_f32_e32 v1, v4, v92
	v_fmac_f32_e32 v1, v5, v93
	v_add_f32_e32 v94, v94, v1
	v_mul_f32_e32 v1, v2, v82
	v_fmac_f32_e32 v1, v3, v83
	scratch_load_dwordx2 v[82:83], off, off offset:16 ; 8-byte Folded Reload
	v_fmac_f32_e32 v1, v4, v84
	v_fmac_f32_e32 v1, v5, v85
	scratch_store_dwordx2 off, v[94:95], off offset:8 ; 8-byte Folded Spill
	s_waitcnt vmcnt(1)
	v_add_f32_e32 v83, v83, v1
	v_mul_f32_e32 v1, v2, v78
	v_fmac_f32_e32 v1, v3, v79
	v_fmac_f32_e32 v1, v4, v80
	v_fmac_f32_e32 v1, v5, v81
	v_add_f32_e32 v82, v82, v1
	v_mul_f32_e32 v1, v2, v74
	v_fmac_f32_e32 v1, v3, v75
	v_fmac_f32_e32 v1, v4, v76
	v_fmac_f32_e32 v1, v5, v77
	;; [unrolled: 5-line block ×19, first 2 shown]
	v_pk_mul_f32 v[2:3], v[2:3], v[86:87]
	v_add_f32_e32 v124, v124, v1
	v_pk_mul_f32 v[4:5], v[4:5], v[88:89]
	v_add_f32_e32 v1, v3, v2
	v_add_f32_e32 v1, v4, v1
	;; [unrolled: 1-line block ×4, first 2 shown]
	scratch_store_dwordx2 off, v[82:83], off offset:16 ; 8-byte Folded Spill
	scratch_store_dwordx2 off, v[98:99], off ; 8-byte Folded Spill
.LBB43_49:                              ;   in Loop: Header=BB43_50 Depth=1
	s_or_b64 exec, exec, s[12:13]
	v_add_u32_e32 v102, 2, v102
	v_cmp_le_i32_e32 vcc, s16, v102
	v_lshl_add_u64 v[126:127], v[126:127], 0, 8
	v_add_u32_e32 v103, 64, v103
	s_or_b64 s[8:9], vcc, s[8:9]
	v_add_u32_e32 v0, 0x100, v0
	s_andn2_b64 exec, exec, s[8:9]
	s_cbranch_execz .LBB43_99
.LBB43_50:                              ; =>This Inner Loop Header: Depth=1
	v_mul_hi_u32 v1, v103, s40
	v_mul_lo_u32 v2, v1, s21
	v_sub_u32_e32 v2, v103, v2
	v_add_u32_e32 v3, 1, v1
	v_cmp_le_u32_e32 vcc, s21, v2
	s_nop 1
	v_cndmask_b32_e32 v1, v1, v3, vcc
	v_subrev_u32_e32 v3, s21, v2
	v_cndmask_b32_e32 v2, v2, v3, vcc
	v_add_u32_e32 v3, 1, v1
	v_cmp_le_u32_e32 vcc, s21, v2
	s_nop 1
	v_cndmask_b32_e32 v1, v1, v3, vcc
	v_xor_b32_e32 v1, s19, v1
	v_subrev_u32_e32 v1, s19, v1
	v_add_u32_e32 v2, s41, v1
	v_sub_u32_e32 v4, 0, v2
	v_ashrrev_i32_e32 v3, 31, v2
	v_max_i32_e32 v2, v2, v4
	scratch_load_dword v4, off, off offset:32 ; 4-byte Folded Reload
	v_cmp_lt_i32_e64 s[0:1], s17, v1
	s_waitcnt vmcnt(0)
	v_mul_hi_u32 v4, v2, v4
	v_mul_lo_u32 v4, v4, s18
	v_sub_u32_e32 v2, v2, v4
	v_subrev_u32_e32 v4, s18, v2
	v_cmp_le_u32_e32 vcc, s18, v2
	s_nop 1
	v_cndmask_b32_e32 v2, v2, v4, vcc
	v_subrev_u32_e32 v4, s18, v2
	v_cmp_le_u32_e32 vcc, s18, v2
	s_nop 1
	v_cndmask_b32_e32 v2, v2, v4, vcc
	v_xor_b32_e32 v2, v2, v3
	v_sub_u32_e32 v2, v2, v3
	v_cmp_eq_u32_e32 vcc, 0, v2
	s_or_b64 s[0:1], vcc, s[0:1]
	s_and_saveexec_b64 s[12:13], s[0:1]
	s_cbranch_execz .LBB43_49
; %bb.51:                               ;   in Loop: Header=BB43_50 Depth=1
	global_load_dword v1, v[126:127], off
	s_waitcnt vmcnt(0)
	v_mad_i64_i32 v[2:3], s[0:1], v1, s28, 0
	v_lshl_add_u64 v[66:67], v[2:3], 2, s[6:7]
	scratch_load_dwordx2 v[2:3], off, off offset:24 ; 8-byte Folded Reload
	scratch_load_dwordx2 v[4:5], off, off offset:36 ; 8-byte Folded Reload
	v_cmp_eq_u32_e64 s[0:1], s29, v102
	s_waitcnt vmcnt(0)
	v_mov_b32_e32 v2, v4
	scratch_store_dwordx2 off, v[4:5], off offset:36 ; 8-byte Folded Spill
	v_lshl_add_u64 v[86:87], v[66:67], 0, v[2:3]
	global_load_dwordx4 v[6:9], v[86:87], off
	scratch_load_dword v1, off, off offset:44 ; 4-byte Folded Reload
	ds_read_b128 v[2:5], v0
	s_waitcnt vmcnt(0)
	v_add_u32_e32 v1, v1, v103
	v_add_u32_e32 v106, 1, v1
	v_or_b32_e32 v105, 3, v1
	v_or_b32_e32 v104, 2, v1
	s_and_saveexec_b64 s[14:15], s[0:1]
	s_cbranch_execnz .LBB43_96
; %bb.52:                               ;   in Loop: Header=BB43_50 Depth=1
	s_or_b64 exec, exec, s[14:15]
	global_load_dwordx4 v[10:13], v[86:87], off offset:1024
	s_and_saveexec_b64 s[14:15], s[0:1]
	s_cbranch_execnz .LBB43_97
.LBB43_53:                              ;   in Loop: Header=BB43_50 Depth=1
	s_or_b64 exec, exec, s[14:15]
	global_load_dwordx4 v[14:17], v[86:87], off offset:2048
	s_and_saveexec_b64 s[14:15], s[0:1]
	s_cbranch_execnz .LBB43_98
.LBB43_54:                              ;   in Loop: Header=BB43_50 Depth=1
	s_or_b64 exec, exec, s[14:15]
	global_load_dwordx4 v[18:21], v[86:87], off offset:3072
	s_and_saveexec_b64 s[14:15], s[0:1]
	s_cbranch_execz .LBB43_56
.LBB43_55:                              ;   in Loop: Header=BB43_50 Depth=1
	v_cmp_gt_i32_e32 vcc, s30, v106
	s_waitcnt vmcnt(0)
	s_nop 0
	v_cndmask_b32_e32 v19, 0, v19, vcc
	v_cmp_gt_i32_e32 vcc, s33, v1
	s_nop 1
	v_cndmask_b32_e32 v18, 0, v18, vcc
	v_cmp_gt_i32_e32 vcc, s30, v105
	;; [unrolled: 3-line block ×3, first 2 shown]
	s_nop 1
	v_cndmask_b32_e32 v20, 0, v20, vcc
.LBB43_56:                              ;   in Loop: Header=BB43_50 Depth=1
	s_or_b64 exec, exec, s[14:15]
	v_add_co_u32_e32 v22, vcc, 0x1000, v86
	s_nop 1
	v_addc_co_u32_e32 v23, vcc, 0, v87, vcc
	global_load_dwordx4 v[22:25], v[22:23], off
	s_and_saveexec_b64 s[14:15], s[0:1]
	s_cbranch_execz .LBB43_58
; %bb.57:                               ;   in Loop: Header=BB43_50 Depth=1
	v_cmp_gt_i32_e32 vcc, s30, v106
	s_waitcnt vmcnt(0)
	s_nop 0
	v_cndmask_b32_e32 v23, 0, v23, vcc
	v_cmp_gt_i32_e32 vcc, s33, v1
	s_nop 1
	v_cndmask_b32_e32 v22, 0, v22, vcc
	v_cmp_gt_i32_e32 vcc, s30, v105
	s_nop 1
	v_cndmask_b32_e32 v25, 0, v25, vcc
	v_cmp_gt_i32_e32 vcc, s33, v104
	s_nop 1
	v_cndmask_b32_e32 v24, 0, v24, vcc
.LBB43_58:                              ;   in Loop: Header=BB43_50 Depth=1
	s_or_b64 exec, exec, s[14:15]
	v_add_co_u32_e32 v26, vcc, 0x1000, v86
	s_nop 1
	v_addc_co_u32_e32 v27, vcc, 0, v87, vcc
	global_load_dwordx4 v[26:29], v[26:27], off offset:1024
	s_and_saveexec_b64 s[14:15], s[0:1]
	s_cbranch_execz .LBB43_60
; %bb.59:                               ;   in Loop: Header=BB43_50 Depth=1
	v_cmp_gt_i32_e32 vcc, s30, v106
	s_waitcnt vmcnt(0)
	s_nop 0
	v_cndmask_b32_e32 v27, 0, v27, vcc
	v_cmp_gt_i32_e32 vcc, s33, v1
	s_nop 1
	v_cndmask_b32_e32 v26, 0, v26, vcc
	v_cmp_gt_i32_e32 vcc, s30, v105
	s_nop 1
	v_cndmask_b32_e32 v29, 0, v29, vcc
	v_cmp_gt_i32_e32 vcc, s33, v104
	s_nop 1
	v_cndmask_b32_e32 v28, 0, v28, vcc
.LBB43_60:                              ;   in Loop: Header=BB43_50 Depth=1
	s_or_b64 exec, exec, s[14:15]
	v_add_co_u32_e32 v30, vcc, 0x1000, v86
	s_nop 1
	v_addc_co_u32_e32 v31, vcc, 0, v87, vcc
	global_load_dwordx4 v[30:33], v[30:31], off offset:2048
	s_and_saveexec_b64 s[14:15], s[0:1]
	s_cbranch_execz .LBB43_62
; %bb.61:                               ;   in Loop: Header=BB43_50 Depth=1
	v_cmp_gt_i32_e32 vcc, s30, v106
	s_waitcnt vmcnt(0)
	s_nop 0
	v_cndmask_b32_e32 v31, 0, v31, vcc
	v_cmp_gt_i32_e32 vcc, s33, v1
	s_nop 1
	v_cndmask_b32_e32 v30, 0, v30, vcc
	v_cmp_gt_i32_e32 vcc, s30, v105
	s_nop 1
	v_cndmask_b32_e32 v33, 0, v33, vcc
	v_cmp_gt_i32_e32 vcc, s33, v104
	s_nop 1
	v_cndmask_b32_e32 v32, 0, v32, vcc
.LBB43_62:                              ;   in Loop: Header=BB43_50 Depth=1
	s_or_b64 exec, exec, s[14:15]
	v_add_co_u32_e32 v34, vcc, 0x1000, v86
	s_nop 1
	v_addc_co_u32_e32 v35, vcc, 0, v87, vcc
	global_load_dwordx4 v[34:37], v[34:35], off offset:3072
	s_and_saveexec_b64 s[14:15], s[0:1]
	s_cbranch_execz .LBB43_64
; %bb.63:                               ;   in Loop: Header=BB43_50 Depth=1
	v_cmp_gt_i32_e32 vcc, s30, v106
	s_waitcnt vmcnt(0)
	s_nop 0
	v_cndmask_b32_e32 v35, 0, v35, vcc
	v_cmp_gt_i32_e32 vcc, s33, v1
	s_nop 1
	v_cndmask_b32_e32 v34, 0, v34, vcc
	v_cmp_gt_i32_e32 vcc, s30, v105
	;; [unrolled: 3-line block ×3, first 2 shown]
	s_nop 1
	v_cndmask_b32_e32 v36, 0, v36, vcc
.LBB43_64:                              ;   in Loop: Header=BB43_50 Depth=1
	s_or_b64 exec, exec, s[14:15]
	v_add_co_u32_e32 v38, vcc, 0x2000, v86
	s_nop 1
	v_addc_co_u32_e32 v39, vcc, 0, v87, vcc
	global_load_dwordx4 v[38:41], v[38:39], off
	s_and_saveexec_b64 s[14:15], s[0:1]
	s_cbranch_execz .LBB43_66
; %bb.65:                               ;   in Loop: Header=BB43_50 Depth=1
	v_cmp_gt_i32_e32 vcc, s30, v106
	s_waitcnt vmcnt(0)
	s_nop 0
	v_cndmask_b32_e32 v39, 0, v39, vcc
	v_cmp_gt_i32_e32 vcc, s33, v1
	s_nop 1
	v_cndmask_b32_e32 v38, 0, v38, vcc
	v_cmp_gt_i32_e32 vcc, s30, v105
	s_nop 1
	v_cndmask_b32_e32 v41, 0, v41, vcc
	v_cmp_gt_i32_e32 vcc, s33, v104
	s_nop 1
	v_cndmask_b32_e32 v40, 0, v40, vcc
.LBB43_66:                              ;   in Loop: Header=BB43_50 Depth=1
	s_or_b64 exec, exec, s[14:15]
	v_add_co_u32_e32 v42, vcc, 0x2000, v86
	s_nop 1
	v_addc_co_u32_e32 v43, vcc, 0, v87, vcc
	global_load_dwordx4 v[42:45], v[42:43], off offset:1024
	s_and_saveexec_b64 s[14:15], s[0:1]
	s_cbranch_execz .LBB43_68
; %bb.67:                               ;   in Loop: Header=BB43_50 Depth=1
	v_cmp_gt_i32_e32 vcc, s30, v106
	s_waitcnt vmcnt(0)
	s_nop 0
	v_cndmask_b32_e32 v43, 0, v43, vcc
	v_cmp_gt_i32_e32 vcc, s33, v1
	s_nop 1
	v_cndmask_b32_e32 v42, 0, v42, vcc
	v_cmp_gt_i32_e32 vcc, s30, v105
	s_nop 1
	v_cndmask_b32_e32 v45, 0, v45, vcc
	v_cmp_gt_i32_e32 vcc, s33, v104
	s_nop 1
	v_cndmask_b32_e32 v44, 0, v44, vcc
.LBB43_68:                              ;   in Loop: Header=BB43_50 Depth=1
	s_or_b64 exec, exec, s[14:15]
	v_add_co_u32_e32 v46, vcc, 0x2000, v86
	s_nop 1
	v_addc_co_u32_e32 v47, vcc, 0, v87, vcc
	global_load_dwordx4 v[46:49], v[46:47], off offset:2048
	;; [unrolled: 22-line block ×3, first 2 shown]
	s_and_saveexec_b64 s[14:15], s[0:1]
	s_cbranch_execz .LBB43_72
; %bb.71:                               ;   in Loop: Header=BB43_50 Depth=1
	v_cmp_gt_i32_e32 vcc, s30, v106
	s_waitcnt vmcnt(0)
	s_nop 0
	v_cndmask_b32_e32 v51, 0, v51, vcc
	v_cmp_gt_i32_e32 vcc, s33, v1
	s_nop 1
	v_cndmask_b32_e32 v50, 0, v50, vcc
	v_cmp_gt_i32_e32 vcc, s30, v105
	;; [unrolled: 3-line block ×3, first 2 shown]
	s_nop 1
	v_cndmask_b32_e32 v52, 0, v52, vcc
.LBB43_72:                              ;   in Loop: Header=BB43_50 Depth=1
	s_or_b64 exec, exec, s[14:15]
	v_add_co_u32_e32 v54, vcc, 0x3000, v86
	s_nop 1
	v_addc_co_u32_e32 v55, vcc, 0, v87, vcc
	global_load_dwordx4 v[54:57], v[54:55], off
	s_and_saveexec_b64 s[14:15], s[0:1]
	s_cbranch_execz .LBB43_74
; %bb.73:                               ;   in Loop: Header=BB43_50 Depth=1
	v_cmp_gt_i32_e32 vcc, s30, v106
	s_waitcnt vmcnt(0)
	s_nop 0
	v_cndmask_b32_e32 v55, 0, v55, vcc
	v_cmp_gt_i32_e32 vcc, s33, v1
	s_nop 1
	v_cndmask_b32_e32 v54, 0, v54, vcc
	v_cmp_gt_i32_e32 vcc, s30, v105
	;; [unrolled: 3-line block ×3, first 2 shown]
	s_nop 1
	v_cndmask_b32_e32 v56, 0, v56, vcc
.LBB43_74:                              ;   in Loop: Header=BB43_50 Depth=1
	s_or_b64 exec, exec, s[14:15]
	v_add_co_u32_e32 v58, vcc, 0x3000, v86
	s_nop 1
	v_addc_co_u32_e32 v59, vcc, 0, v87, vcc
	global_load_dwordx4 v[58:61], v[58:59], off offset:1024
	s_and_saveexec_b64 s[14:15], s[0:1]
	s_cbranch_execz .LBB43_76
; %bb.75:                               ;   in Loop: Header=BB43_50 Depth=1
	v_cmp_gt_i32_e32 vcc, s30, v106
	s_waitcnt vmcnt(0)
	s_nop 0
	v_cndmask_b32_e32 v59, 0, v59, vcc
	v_cmp_gt_i32_e32 vcc, s33, v1
	s_nop 1
	v_cndmask_b32_e32 v58, 0, v58, vcc
	v_cmp_gt_i32_e32 vcc, s30, v105
	;; [unrolled: 3-line block ×3, first 2 shown]
	s_nop 1
	v_cndmask_b32_e32 v60, 0, v60, vcc
.LBB43_76:                              ;   in Loop: Header=BB43_50 Depth=1
	s_or_b64 exec, exec, s[14:15]
	v_add_co_u32_e32 v62, vcc, 0x3000, v86
	s_nop 1
	v_addc_co_u32_e32 v63, vcc, 0, v87, vcc
	global_load_dwordx4 v[62:65], v[62:63], off offset:2048
	s_and_saveexec_b64 s[14:15], s[0:1]
	s_cbranch_execz .LBB43_78
; %bb.77:                               ;   in Loop: Header=BB43_50 Depth=1
	v_cmp_gt_i32_e32 vcc, s30, v106
	s_waitcnt vmcnt(0)
	s_nop 0
	v_cndmask_b32_e32 v63, 0, v63, vcc
	v_cmp_gt_i32_e32 vcc, s33, v1
	s_nop 1
	v_cndmask_b32_e32 v62, 0, v62, vcc
	v_cmp_gt_i32_e32 vcc, s30, v105
	;; [unrolled: 3-line block ×3, first 2 shown]
	s_nop 1
	v_cndmask_b32_e32 v64, 0, v64, vcc
.LBB43_78:                              ;   in Loop: Header=BB43_50 Depth=1
	s_or_b64 exec, exec, s[14:15]
	scratch_load_dwordx2 v[68:69], off, off offset:24 ; 8-byte Folded Reload
	s_waitcnt vmcnt(0)
	v_lshl_add_u64 v[66:67], v[66:67], 0, v[68:69]
	global_load_dwordx4 v[66:69], v[66:67], off
	s_and_saveexec_b64 s[14:15], s[0:1]
	s_cbranch_execz .LBB43_80
; %bb.79:                               ;   in Loop: Header=BB43_50 Depth=1
	v_cmp_gt_i32_e32 vcc, s30, v106
	s_waitcnt vmcnt(0)
	s_nop 0
	v_cndmask_b32_e32 v67, 0, v67, vcc
	v_cmp_gt_i32_e32 vcc, s33, v1
	s_nop 1
	v_cndmask_b32_e32 v66, 0, v66, vcc
	v_cmp_gt_i32_e32 vcc, s30, v105
	s_nop 1
	v_cndmask_b32_e32 v69, 0, v69, vcc
	v_cmp_gt_i32_e32 vcc, s33, v104
	s_nop 1
	v_cndmask_b32_e32 v68, 0, v68, vcc
.LBB43_80:                              ;   in Loop: Header=BB43_50 Depth=1
	s_or_b64 exec, exec, s[14:15]
	v_add_co_u32_e32 v70, vcc, 0x4000, v86
	s_nop 1
	v_addc_co_u32_e32 v71, vcc, 0, v87, vcc
	global_load_dwordx4 v[70:73], v[70:71], off
	s_and_saveexec_b64 s[14:15], s[0:1]
	s_cbranch_execz .LBB43_82
; %bb.81:                               ;   in Loop: Header=BB43_50 Depth=1
	v_cmp_gt_i32_e32 vcc, s30, v106
	s_waitcnt vmcnt(0)
	s_nop 0
	v_cndmask_b32_e32 v71, 0, v71, vcc
	v_cmp_gt_i32_e32 vcc, s33, v1
	s_nop 1
	v_cndmask_b32_e32 v70, 0, v70, vcc
	v_cmp_gt_i32_e32 vcc, s30, v105
	s_nop 1
	v_cndmask_b32_e32 v73, 0, v73, vcc
	v_cmp_gt_i32_e32 vcc, s33, v104
	s_nop 1
	v_cndmask_b32_e32 v72, 0, v72, vcc
.LBB43_82:                              ;   in Loop: Header=BB43_50 Depth=1
	s_or_b64 exec, exec, s[14:15]
	v_add_co_u32_e32 v74, vcc, 0x4000, v86
	s_nop 1
	v_addc_co_u32_e32 v75, vcc, 0, v87, vcc
	global_load_dwordx4 v[74:77], v[74:75], off offset:1024
	s_and_saveexec_b64 s[14:15], s[0:1]
	s_cbranch_execz .LBB43_84
; %bb.83:                               ;   in Loop: Header=BB43_50 Depth=1
	v_cmp_gt_i32_e32 vcc, s30, v106
	s_waitcnt vmcnt(0)
	s_nop 0
	v_cndmask_b32_e32 v75, 0, v75, vcc
	v_cmp_gt_i32_e32 vcc, s33, v1
	s_nop 1
	v_cndmask_b32_e32 v74, 0, v74, vcc
	v_cmp_gt_i32_e32 vcc, s30, v105
	s_nop 1
	v_cndmask_b32_e32 v77, 0, v77, vcc
	v_cmp_gt_i32_e32 vcc, s33, v104
	s_nop 1
	v_cndmask_b32_e32 v76, 0, v76, vcc
.LBB43_84:                              ;   in Loop: Header=BB43_50 Depth=1
	s_or_b64 exec, exec, s[14:15]
	v_add_co_u32_e32 v78, vcc, 0x4000, v86
	s_nop 1
	v_addc_co_u32_e32 v79, vcc, 0, v87, vcc
	global_load_dwordx4 v[78:81], v[78:79], off offset:2048
	;; [unrolled: 22-line block ×3, first 2 shown]
	s_and_saveexec_b64 s[14:15], s[0:1]
	s_cbranch_execz .LBB43_88
; %bb.87:                               ;   in Loop: Header=BB43_50 Depth=1
	v_cmp_gt_i32_e32 vcc, s30, v106
	s_waitcnt vmcnt(0)
	s_nop 0
	v_cndmask_b32_e32 v83, 0, v83, vcc
	v_cmp_gt_i32_e32 vcc, s33, v1
	s_nop 1
	v_cndmask_b32_e32 v82, 0, v82, vcc
	v_cmp_gt_i32_e32 vcc, s30, v105
	;; [unrolled: 3-line block ×3, first 2 shown]
	s_nop 1
	v_cndmask_b32_e32 v84, 0, v84, vcc
.LBB43_88:                              ;   in Loop: Header=BB43_50 Depth=1
	s_or_b64 exec, exec, s[14:15]
	v_add_co_u32_e32 v88, vcc, 0x5000, v86
	s_nop 1
	v_addc_co_u32_e32 v89, vcc, 0, v87, vcc
	global_load_dwordx4 v[90:93], v[88:89], off
	s_and_saveexec_b64 s[14:15], s[0:1]
	s_cbranch_execz .LBB43_90
; %bb.89:                               ;   in Loop: Header=BB43_50 Depth=1
	v_cmp_gt_i32_e32 vcc, s30, v106
	s_waitcnt vmcnt(0)
	s_nop 0
	v_cndmask_b32_e32 v91, 0, v91, vcc
	v_cmp_gt_i32_e32 vcc, s33, v1
	s_nop 1
	v_cndmask_b32_e32 v90, 0, v90, vcc
	v_cmp_gt_i32_e32 vcc, s30, v105
	s_nop 1
	v_cndmask_b32_e32 v93, 0, v93, vcc
	v_cmp_gt_i32_e32 vcc, s33, v104
	s_nop 1
	v_cndmask_b32_e32 v92, 0, v92, vcc
.LBB43_90:                              ;   in Loop: Header=BB43_50 Depth=1
	s_or_b64 exec, exec, s[14:15]
	v_add_co_u32_e32 v88, vcc, 0x5000, v86
	s_nop 1
	v_addc_co_u32_e32 v89, vcc, 0, v87, vcc
	global_load_dwordx4 v[94:97], v[88:89], off offset:1024
	s_and_saveexec_b64 s[14:15], s[0:1]
	s_cbranch_execz .LBB43_92
; %bb.91:                               ;   in Loop: Header=BB43_50 Depth=1
	v_cmp_gt_i32_e32 vcc, s30, v106
	s_waitcnt vmcnt(0)
	s_nop 0
	v_cndmask_b32_e32 v95, 0, v95, vcc
	v_cmp_gt_i32_e32 vcc, s33, v1
	s_nop 1
	v_cndmask_b32_e32 v94, 0, v94, vcc
	v_cmp_gt_i32_e32 vcc, s30, v105
	s_nop 1
	v_cndmask_b32_e32 v97, 0, v97, vcc
	v_cmp_gt_i32_e32 vcc, s33, v104
	s_nop 1
	v_cndmask_b32_e32 v96, 0, v96, vcc
.LBB43_92:                              ;   in Loop: Header=BB43_50 Depth=1
	s_or_b64 exec, exec, s[14:15]
	v_add_co_u32_e32 v88, vcc, 0x5000, v86
	s_nop 1
	v_addc_co_u32_e32 v89, vcc, 0, v87, vcc
	global_load_dwordx4 v[98:101], v[88:89], off offset:2048
	;; [unrolled: 22-line block ×3, first 2 shown]
	s_and_saveexec_b64 s[14:15], s[0:1]
	s_cbranch_execz .LBB43_48
; %bb.95:                               ;   in Loop: Header=BB43_50 Depth=1
	v_cmp_gt_i32_e32 vcc, s30, v106
	s_waitcnt vmcnt(0)
	s_nop 0
	v_cndmask_b32_e32 v87, 0, v87, vcc
	v_cmp_gt_i32_e32 vcc, s33, v1
	s_nop 1
	v_cndmask_b32_e32 v86, 0, v86, vcc
	v_cmp_gt_i32_e32 vcc, s30, v105
	;; [unrolled: 3-line block ×3, first 2 shown]
	s_nop 1
	v_cndmask_b32_e32 v88, 0, v88, vcc
	s_branch .LBB43_48
.LBB43_96:                              ;   in Loop: Header=BB43_50 Depth=1
	v_cmp_gt_i32_e32 vcc, s30, v106
	s_nop 1
	v_cndmask_b32_e32 v7, 0, v7, vcc
	v_cmp_gt_i32_e32 vcc, s33, v1
	s_nop 1
	v_cndmask_b32_e32 v6, 0, v6, vcc
	;; [unrolled: 3-line block ×4, first 2 shown]
	s_or_b64 exec, exec, s[14:15]
	global_load_dwordx4 v[10:13], v[86:87], off offset:1024
	s_and_saveexec_b64 s[14:15], s[0:1]
	s_cbranch_execz .LBB43_53
.LBB43_97:                              ;   in Loop: Header=BB43_50 Depth=1
	v_cmp_gt_i32_e32 vcc, s30, v106
	s_waitcnt vmcnt(0)
	s_nop 0
	v_cndmask_b32_e32 v11, 0, v11, vcc
	v_cmp_gt_i32_e32 vcc, s33, v1
	s_nop 1
	v_cndmask_b32_e32 v10, 0, v10, vcc
	v_cmp_gt_i32_e32 vcc, s30, v105
	;; [unrolled: 3-line block ×3, first 2 shown]
	s_nop 1
	v_cndmask_b32_e32 v12, 0, v12, vcc
	s_or_b64 exec, exec, s[14:15]
	global_load_dwordx4 v[14:17], v[86:87], off offset:2048
	s_and_saveexec_b64 s[14:15], s[0:1]
	s_cbranch_execz .LBB43_54
.LBB43_98:                              ;   in Loop: Header=BB43_50 Depth=1
	v_cmp_gt_i32_e32 vcc, s30, v106
	s_waitcnt vmcnt(0)
	s_nop 0
	v_cndmask_b32_e32 v15, 0, v15, vcc
	v_cmp_gt_i32_e32 vcc, s33, v1
	s_nop 1
	v_cndmask_b32_e32 v14, 0, v14, vcc
	v_cmp_gt_i32_e32 vcc, s30, v105
	;; [unrolled: 3-line block ×3, first 2 shown]
	s_nop 1
	v_cndmask_b32_e32 v16, 0, v16, vcc
	s_or_b64 exec, exec, s[14:15]
	global_load_dwordx4 v[18:21], v[86:87], off offset:3072
	s_and_saveexec_b64 s[14:15], s[0:1]
	s_cbranch_execnz .LBB43_55
	s_branch .LBB43_56
.LBB43_99:
	s_or_b64 exec, exec, s[8:9]
	scratch_load_dword v31, off, off offset:52 ; 4-byte Folded Reload
	scratch_load_dword v37, off, off offset:56 ; 4-byte Folded Reload
	;; [unrolled: 1-line block ×3, first 2 shown]
	scratch_load_dwordx2 v[40:41], off, off ; 8-byte Folded Reload
	scratch_load_dwordx2 v[32:33], off, off offset:8 ; 8-byte Folded Reload
	scratch_load_dwordx2 v[34:35], off, off offset:16 ; 8-byte Folded Reload
	v_and_b32_e32 v38, 63, v107
.LBB43_100:
	s_or_b64 exec, exec, s[2:3]
	s_waitcnt vmcnt(5)
	ds_bpermute_b32 v2, v31, v122
	ds_bpermute_b32 v3, v31, v123
	;; [unrolled: 1-line block ×6, first 2 shown]
	s_waitcnt lgkmcnt(4)
	v_pk_add_f32 v[2:3], v[122:123], v[2:3]
	s_waitcnt vmcnt(4)
	ds_bpermute_b32 v6, v37, v2
	ds_bpermute_b32 v7, v37, v3
	;; [unrolled: 1-line block ×3, first 2 shown]
	s_waitcnt lgkmcnt(3)
	v_pk_add_f32 v[0:1], v[124:125], v[0:1]
	ds_bpermute_b32 v4, v37, v0
	ds_bpermute_b32 v5, v37, v1
	s_waitcnt lgkmcnt(3)
	v_pk_add_f32 v[2:3], v[2:3], v[6:7]
	v_pk_add_f32 v[6:7], v[120:121], v[8:9]
	ds_bpermute_b32 v8, v37, v6
	ds_bpermute_b32 v9, v37, v7
	s_waitcnt vmcnt(3)
	ds_bpermute_b32 v10, v39, v2
	ds_bpermute_b32 v13, v31, v119
	;; [unrolled: 1-line block ×3, first 2 shown]
	s_waitcnt lgkmcnt(5)
	v_pk_add_f32 v[0:1], v[0:1], v[4:5]
	s_waitcnt lgkmcnt(3)
	v_pk_add_f32 v[6:7], v[6:7], v[8:9]
	ds_bpermute_b32 v8, v39, v6
	ds_bpermute_b32 v9, v39, v7
	s_waitcnt lgkmcnt(3)
	v_pk_add_f32 v[12:13], v[118:119], v[12:13]
	s_waitcnt lgkmcnt(2)
	v_pk_add_f32 v[2:3], v[2:3], v[10:11]
	ds_bpermute_b32 v10, v31, v114
	ds_bpermute_b32 v11, v31, v115
	s_waitcnt lgkmcnt(2)
	v_pk_add_f32 v[26:27], v[6:7], v[8:9]
	ds_bpermute_b32 v6, v31, v116
	ds_bpermute_b32 v7, v31, v117
	;; [unrolled: 1-line block ×6, first 2 shown]
	s_waitcnt lgkmcnt(4)
	v_pk_add_f32 v[6:7], v[116:117], v[6:7]
	v_pk_add_f32 v[10:11], v[114:115], v[10:11]
	s_waitcnt lgkmcnt(2)
	v_pk_add_f32 v[4:5], v[0:1], v[4:5]
	ds_bpermute_b32 v16, v31, v112
	s_waitcnt lgkmcnt(1)
	v_pk_add_f32 v[0:1], v[12:13], v[14:15]
	ds_bpermute_b32 v12, v37, v6
	ds_bpermute_b32 v13, v37, v7
	ds_bpermute_b32 v14, v37, v10
	ds_bpermute_b32 v15, v37, v11
	ds_bpermute_b32 v17, v31, v113
	ds_bpermute_b32 v8, v39, v0
	s_waitcnt lgkmcnt(4)
	v_pk_add_f32 v[6:7], v[6:7], v[12:13]
	ds_bpermute_b32 v18, v39, v6
	s_waitcnt lgkmcnt(3)
	v_pk_add_f32 v[14:15], v[10:11], v[14:15]
	s_waitcnt lgkmcnt(2)
	v_pk_add_f32 v[10:11], v[112:113], v[16:17]
	ds_bpermute_b32 v19, v39, v7
	ds_bpermute_b32 v12, v37, v10
	;; [unrolled: 1-line block ×8, first 2 shown]
	s_waitcnt lgkmcnt(5)
	v_pk_add_f32 v[22:23], v[10:11], v[12:13]
	v_pk_add_f32 v[10:11], v[6:7], v[18:19]
	s_waitcnt vmcnt(0)
	ds_bpermute_b32 v18, v31, v34
	ds_bpermute_b32 v19, v31, v35
	;; [unrolled: 1-line block ×4, first 2 shown]
	s_waitcnt lgkmcnt(5)
	v_pk_add_f32 v[20:21], v[110:111], v[20:21]
	v_pk_add_f32 v[12:13], v[0:1], v[8:9]
	s_waitcnt lgkmcnt(4)
	v_pk_add_f32 v[8:9], v[14:15], v[16:17]
	ds_bpermute_b32 v14, v31, v108
	ds_bpermute_b32 v15, v31, v109
	;; [unrolled: 1-line block ×4, first 2 shown]
	s_waitcnt lgkmcnt(6)
	v_pk_add_f32 v[18:19], v[34:35], v[18:19]
	s_waitcnt lgkmcnt(4)
	v_pk_add_f32 v[6:7], v[22:23], v[24:25]
	;; [unrolled: 2-line block ×3, first 2 shown]
	ds_bpermute_b32 v22, v37, v18
	ds_bpermute_b32 v23, v37, v19
	;; [unrolled: 1-line block ×4, first 2 shown]
	s_waitcnt lgkmcnt(4)
	v_pk_add_f32 v[0:1], v[20:21], v[28:29]
	ds_bpermute_b32 v20, v37, v14
	ds_bpermute_b32 v21, v37, v15
	;; [unrolled: 1-line block ×4, first 2 shown]
	s_waitcnt lgkmcnt(6)
	v_pk_add_f32 v[22:23], v[18:19], v[22:23]
	s_waitcnt lgkmcnt(4)
	v_pk_add_f32 v[18:19], v[32:33], v[24:25]
	;; [unrolled: 2-line block ×3, first 2 shown]
	ds_bpermute_b32 v20, v37, v18
	ds_bpermute_b32 v21, v37, v19
	s_waitcnt lgkmcnt(2)
	v_pk_add_f32 v[30:31], v[40:41], v[30:31]
	ds_bpermute_b32 v16, v39, v0
	ds_bpermute_b32 v17, v39, v1
	;; [unrolled: 1-line block ×6, first 2 shown]
	s_waitcnt lgkmcnt(6)
	v_pk_add_f32 v[32:33], v[18:19], v[20:21]
	ds_bpermute_b32 v28, v39, v14
	ds_bpermute_b32 v29, v39, v15
	;; [unrolled: 1-line block ×4, first 2 shown]
	s_waitcnt lgkmcnt(8)
	v_pk_add_f32 v[20:21], v[0:1], v[16:17]
	s_waitcnt lgkmcnt(6)
	v_pk_add_f32 v[16:17], v[22:23], v[24:25]
	;; [unrolled: 2-line block ×3, first 2 shown]
	ds_bpermute_b32 v24, v39, v22
	ds_bpermute_b32 v25, v39, v23
	v_and_b32_e32 v0, 0x3c7, v107
	s_waitcnt lgkmcnt(4)
	v_pk_add_f32 v[18:19], v[14:15], v[28:29]
	s_waitcnt lgkmcnt(2)
	v_pk_add_f32 v[14:15], v[32:33], v[34:35]
	v_cmp_ne_u32_e32 vcc, 64, v0
	s_waitcnt lgkmcnt(0)
	s_barrier
	s_and_saveexec_b64 s[0:1], vcc
	s_xor_b64 s[0:1], exec, s[0:1]
; %bb.101:
                                        ; implicit-def: $vgpr38
; %bb.102:
	s_or_saveexec_b64 s[0:1], s[0:1]
	v_pk_add_f32 v[22:23], v[22:23], v[24:25]
	s_xor_b64 exec, exec, s[0:1]
	s_cbranch_execz .LBB43_104
; %bb.103:
	v_lshrrev_b32_e32 v1, 1, v38
	v_add_u32_e32 v1, 0x310, v1
	ds_write2_b32 v1, v4, v5 offset1:8
	ds_write2_b32 v1, v2, v3 offset0:16 offset1:24
	ds_write2_b32 v1, v26, v27 offset0:32 offset1:40
	;; [unrolled: 1-line block ×11, first 2 shown]
.LBB43_104:
	s_or_b64 exec, exec, s[0:1]
	v_cmp_gt_u32_e32 vcc, 64, v107
	v_lshrrev_b32_e32 v1, 3, v107
	s_waitcnt lgkmcnt(0)
	s_barrier
	s_and_saveexec_b64 s[0:1], vcc
	s_cbranch_execz .LBB43_131
; %bb.105:
	scratch_load_dword v24, off, off offset:48 ; 4-byte Folded Reload
	s_waitcnt vmcnt(0)
	v_cmp_eq_u32_e32 vcc, 0, v24
	v_mov_b32_e32 v24, 0x310
	v_lshl_add_u32 v24, v1, 2, v24
	s_and_saveexec_b64 s[2:3], vcc
	s_cbranch_execnz .LBB43_134
; %bb.106:
	s_or_b64 exec, exec, s[2:3]
	s_and_saveexec_b64 s[2:3], vcc
	s_cbranch_execnz .LBB43_135
.LBB43_107:
	s_or_b64 exec, exec, s[2:3]
	s_and_saveexec_b64 s[2:3], vcc
	s_cbranch_execnz .LBB43_136
.LBB43_108:
	s_or_b64 exec, exec, s[2:3]
	s_and_saveexec_b64 s[2:3], vcc
	s_cbranch_execnz .LBB43_137
.LBB43_109:
	s_or_b64 exec, exec, s[2:3]
	s_and_saveexec_b64 s[2:3], vcc
	s_cbranch_execnz .LBB43_138
.LBB43_110:
	s_or_b64 exec, exec, s[2:3]
	s_and_saveexec_b64 s[2:3], vcc
	s_cbranch_execnz .LBB43_139
.LBB43_111:
	s_or_b64 exec, exec, s[2:3]
	s_and_saveexec_b64 s[2:3], vcc
	s_cbranch_execnz .LBB43_140
.LBB43_112:
	s_or_b64 exec, exec, s[2:3]
	s_and_saveexec_b64 s[2:3], vcc
	s_cbranch_execnz .LBB43_141
.LBB43_113:
	s_or_b64 exec, exec, s[2:3]
	s_and_saveexec_b64 s[2:3], vcc
	s_cbranch_execnz .LBB43_142
.LBB43_114:
	s_or_b64 exec, exec, s[2:3]
	s_and_saveexec_b64 s[2:3], vcc
	s_cbranch_execnz .LBB43_143
.LBB43_115:
	s_or_b64 exec, exec, s[2:3]
	s_and_saveexec_b64 s[2:3], vcc
	s_cbranch_execnz .LBB43_144
.LBB43_116:
	s_or_b64 exec, exec, s[2:3]
	s_and_saveexec_b64 s[2:3], vcc
	s_cbranch_execnz .LBB43_145
.LBB43_117:
	s_or_b64 exec, exec, s[2:3]
	s_and_saveexec_b64 s[2:3], vcc
	s_cbranch_execnz .LBB43_146
.LBB43_118:
	s_or_b64 exec, exec, s[2:3]
	s_and_saveexec_b64 s[2:3], vcc
	s_cbranch_execnz .LBB43_147
.LBB43_119:
	s_or_b64 exec, exec, s[2:3]
	s_and_saveexec_b64 s[2:3], vcc
	s_cbranch_execnz .LBB43_148
.LBB43_120:
	s_or_b64 exec, exec, s[2:3]
	s_and_saveexec_b64 s[2:3], vcc
	s_cbranch_execnz .LBB43_149
.LBB43_121:
	s_or_b64 exec, exec, s[2:3]
	s_and_saveexec_b64 s[2:3], vcc
	s_cbranch_execnz .LBB43_150
.LBB43_122:
	s_or_b64 exec, exec, s[2:3]
	s_and_saveexec_b64 s[2:3], vcc
	s_cbranch_execnz .LBB43_151
.LBB43_123:
	s_or_b64 exec, exec, s[2:3]
	s_and_saveexec_b64 s[2:3], vcc
	s_cbranch_execnz .LBB43_152
.LBB43_124:
	s_or_b64 exec, exec, s[2:3]
	s_and_saveexec_b64 s[2:3], vcc
	s_cbranch_execnz .LBB43_153
.LBB43_125:
	s_or_b64 exec, exec, s[2:3]
	s_and_saveexec_b64 s[2:3], vcc
	s_cbranch_execnz .LBB43_154
.LBB43_126:
	s_or_b64 exec, exec, s[2:3]
	s_and_saveexec_b64 s[2:3], vcc
	s_cbranch_execnz .LBB43_155
.LBB43_127:
	s_or_b64 exec, exec, s[2:3]
	s_and_saveexec_b64 s[2:3], vcc
	s_cbranch_execnz .LBB43_156
.LBB43_128:
	s_or_b64 exec, exec, s[2:3]
	s_and_saveexec_b64 s[2:3], vcc
	s_cbranch_execz .LBB43_130
.LBB43_129:
	ds_read_b32 v24, v24 offset:736
	s_waitcnt lgkmcnt(0)
	v_add_f32_e32 v23, v23, v24
.LBB43_130:
	s_or_b64 exec, exec, s[2:3]
.LBB43_131:
	s_or_b64 exec, exec, s[0:1]
	v_cmp_eq_u32_e32 vcc, 0, v0
	s_barrier
	s_and_saveexec_b64 s[0:1], vcc
	s_cbranch_execz .LBB43_133
; %bb.132:
	s_mul_i32 s0, s10, s11
	s_mul_i32 s0, s0, s5
	s_mulk_i32 s0, 0xc0
	s_ashr_i32 s1, s0, 31
	s_lshl_b64 s[0:1], s[0:1], 2
	s_add_u32 s2, s22, s0
	s_mul_i32 s0, s11, s20
	s_addc_u32 s3, s23, s1
	s_ashr_i32 s1, s0, 31
	s_lshl_b64 s[0:1], s[0:1], 2
	s_add_u32 s2, s2, s0
	s_mul_i32 s0, s4, 0xc0
	s_addc_u32 s3, s3, s1
	s_ashr_i32 s1, s0, 31
	s_lshl_b64 s[0:1], s[0:1], 2
	s_add_u32 s0, s2, s0
	s_addc_u32 s1, s3, s1
	v_lshlrev_b32_e32 v0, 2, v1
	global_store_dword v0, v4, s[0:1]
	global_store_dword v0, v5, s[0:1] offset:32
	global_store_dword v0, v2, s[0:1] offset:64
	;; [unrolled: 1-line block ×23, first 2 shown]
.LBB43_133:
	s_endpgm
.LBB43_134:
	ds_read_b32 v25, v24
	s_waitcnt lgkmcnt(0)
	v_add_f32_e32 v4, v4, v25
	s_or_b64 exec, exec, s[2:3]
	s_and_saveexec_b64 s[2:3], vcc
	s_cbranch_execz .LBB43_107
.LBB43_135:
	ds_read_b32 v25, v24 offset:32
	s_waitcnt lgkmcnt(0)
	v_add_f32_e32 v5, v5, v25
	s_or_b64 exec, exec, s[2:3]
	s_and_saveexec_b64 s[2:3], vcc
	s_cbranch_execz .LBB43_108
.LBB43_136:
	ds_read_b32 v25, v24 offset:64
	s_waitcnt lgkmcnt(0)
	v_add_f32_e32 v2, v2, v25
	s_or_b64 exec, exec, s[2:3]
	s_and_saveexec_b64 s[2:3], vcc
	s_cbranch_execz .LBB43_109
.LBB43_137:
	ds_read_b32 v25, v24 offset:96
	s_waitcnt lgkmcnt(0)
	v_add_f32_e32 v3, v3, v25
	s_or_b64 exec, exec, s[2:3]
	s_and_saveexec_b64 s[2:3], vcc
	s_cbranch_execz .LBB43_110
.LBB43_138:
	ds_read_b32 v25, v24 offset:128
	s_waitcnt lgkmcnt(0)
	v_add_f32_e32 v26, v26, v25
	s_or_b64 exec, exec, s[2:3]
	s_and_saveexec_b64 s[2:3], vcc
	s_cbranch_execz .LBB43_111
.LBB43_139:
	ds_read_b32 v25, v24 offset:160
	s_waitcnt lgkmcnt(0)
	v_add_f32_e32 v27, v27, v25
	s_or_b64 exec, exec, s[2:3]
	s_and_saveexec_b64 s[2:3], vcc
	s_cbranch_execz .LBB43_112
.LBB43_140:
	ds_read_b32 v25, v24 offset:192
	s_waitcnt lgkmcnt(0)
	v_add_f32_e32 v12, v12, v25
	s_or_b64 exec, exec, s[2:3]
	s_and_saveexec_b64 s[2:3], vcc
	s_cbranch_execz .LBB43_113
.LBB43_141:
	ds_read_b32 v25, v24 offset:224
	s_waitcnt lgkmcnt(0)
	v_add_f32_e32 v13, v13, v25
	s_or_b64 exec, exec, s[2:3]
	s_and_saveexec_b64 s[2:3], vcc
	s_cbranch_execz .LBB43_114
.LBB43_142:
	ds_read_b32 v25, v24 offset:256
	s_waitcnt lgkmcnt(0)
	v_add_f32_e32 v10, v10, v25
	s_or_b64 exec, exec, s[2:3]
	s_and_saveexec_b64 s[2:3], vcc
	s_cbranch_execz .LBB43_115
.LBB43_143:
	ds_read_b32 v25, v24 offset:288
	s_waitcnt lgkmcnt(0)
	v_add_f32_e32 v11, v11, v25
	s_or_b64 exec, exec, s[2:3]
	s_and_saveexec_b64 s[2:3], vcc
	s_cbranch_execz .LBB43_116
.LBB43_144:
	ds_read_b32 v25, v24 offset:320
	s_waitcnt lgkmcnt(0)
	v_add_f32_e32 v8, v8, v25
	s_or_b64 exec, exec, s[2:3]
	s_and_saveexec_b64 s[2:3], vcc
	s_cbranch_execz .LBB43_117
.LBB43_145:
	ds_read_b32 v25, v24 offset:352
	s_waitcnt lgkmcnt(0)
	v_add_f32_e32 v9, v9, v25
	s_or_b64 exec, exec, s[2:3]
	s_and_saveexec_b64 s[2:3], vcc
	s_cbranch_execz .LBB43_118
.LBB43_146:
	ds_read_b32 v25, v24 offset:384
	s_waitcnt lgkmcnt(0)
	v_add_f32_e32 v6, v6, v25
	s_or_b64 exec, exec, s[2:3]
	s_and_saveexec_b64 s[2:3], vcc
	s_cbranch_execz .LBB43_119
.LBB43_147:
	ds_read_b32 v25, v24 offset:416
	s_waitcnt lgkmcnt(0)
	v_add_f32_e32 v7, v7, v25
	s_or_b64 exec, exec, s[2:3]
	s_and_saveexec_b64 s[2:3], vcc
	s_cbranch_execz .LBB43_120
.LBB43_148:
	ds_read_b32 v25, v24 offset:448
	s_waitcnt lgkmcnt(0)
	v_add_f32_e32 v20, v20, v25
	s_or_b64 exec, exec, s[2:3]
	s_and_saveexec_b64 s[2:3], vcc
	s_cbranch_execz .LBB43_121
.LBB43_149:
	ds_read_b32 v25, v24 offset:480
	s_waitcnt lgkmcnt(0)
	v_add_f32_e32 v21, v21, v25
	s_or_b64 exec, exec, s[2:3]
	s_and_saveexec_b64 s[2:3], vcc
	s_cbranch_execz .LBB43_122
.LBB43_150:
	ds_read_b32 v25, v24 offset:512
	s_waitcnt lgkmcnt(0)
	v_add_f32_e32 v18, v18, v25
	s_or_b64 exec, exec, s[2:3]
	s_and_saveexec_b64 s[2:3], vcc
	s_cbranch_execz .LBB43_123
.LBB43_151:
	ds_read_b32 v25, v24 offset:544
	s_waitcnt lgkmcnt(0)
	v_add_f32_e32 v19, v19, v25
	s_or_b64 exec, exec, s[2:3]
	s_and_saveexec_b64 s[2:3], vcc
	s_cbranch_execz .LBB43_124
.LBB43_152:
	ds_read_b32 v25, v24 offset:576
	s_waitcnt lgkmcnt(0)
	v_add_f32_e32 v16, v16, v25
	s_or_b64 exec, exec, s[2:3]
	s_and_saveexec_b64 s[2:3], vcc
	s_cbranch_execz .LBB43_125
.LBB43_153:
	ds_read_b32 v25, v24 offset:608
	s_waitcnt lgkmcnt(0)
	v_add_f32_e32 v17, v17, v25
	s_or_b64 exec, exec, s[2:3]
	s_and_saveexec_b64 s[2:3], vcc
	s_cbranch_execz .LBB43_126
.LBB43_154:
	ds_read_b32 v25, v24 offset:640
	s_waitcnt lgkmcnt(0)
	v_add_f32_e32 v14, v14, v25
	s_or_b64 exec, exec, s[2:3]
	s_and_saveexec_b64 s[2:3], vcc
	s_cbranch_execz .LBB43_127
.LBB43_155:
	ds_read_b32 v25, v24 offset:672
	s_waitcnt lgkmcnt(0)
	v_add_f32_e32 v15, v15, v25
	s_or_b64 exec, exec, s[2:3]
	s_and_saveexec_b64 s[2:3], vcc
	s_cbranch_execz .LBB43_128
.LBB43_156:
	ds_read_b32 v25, v24 offset:704
	s_waitcnt lgkmcnt(0)
	v_add_f32_e32 v22, v22, v25
	s_or_b64 exec, exec, s[2:3]
	s_and_saveexec_b64 s[2:3], vcc
	s_cbranch_execnz .LBB43_129
	s_branch .LBB43_130
	.section	.rodata,"a",@progbits
	.p2align	6, 0x0
	.amdhsa_kernel _ZN4vllm25paged_attention_v1_kernelIffLi192ELi32ELi128ELNS_18Fp8KVCacheDataTypeE0ELb1EEEvPT_PKS2_PKT0_S8_ifPKiSA_iPKfiiiSC_SC_iiiii
		.amdhsa_group_segment_fixed_size 784
		.amdhsa_private_segment_fixed_size 68
		.amdhsa_kernarg_size 384
		.amdhsa_user_sgpr_count 2
		.amdhsa_user_sgpr_dispatch_ptr 0
		.amdhsa_user_sgpr_queue_ptr 0
		.amdhsa_user_sgpr_kernarg_segment_ptr 1
		.amdhsa_user_sgpr_dispatch_id 0
		.amdhsa_user_sgpr_kernarg_preload_length 0
		.amdhsa_user_sgpr_kernarg_preload_offset 0
		.amdhsa_user_sgpr_private_segment_size 0
		.amdhsa_uses_dynamic_stack 0
		.amdhsa_enable_private_segment 1
		.amdhsa_system_sgpr_workgroup_id_x 1
		.amdhsa_system_sgpr_workgroup_id_y 1
		.amdhsa_system_sgpr_workgroup_id_z 1
		.amdhsa_system_sgpr_workgroup_info 0
		.amdhsa_system_vgpr_workitem_id 0
		.amdhsa_next_free_vgpr 128
		.amdhsa_next_free_sgpr 49
		.amdhsa_accum_offset 128
		.amdhsa_reserve_vcc 1
		.amdhsa_float_round_mode_32 0
		.amdhsa_float_round_mode_16_64 0
		.amdhsa_float_denorm_mode_32 3
		.amdhsa_float_denorm_mode_16_64 3
		.amdhsa_dx10_clamp 1
		.amdhsa_ieee_mode 1
		.amdhsa_fp16_overflow 0
		.amdhsa_tg_split 0
		.amdhsa_exception_fp_ieee_invalid_op 0
		.amdhsa_exception_fp_denorm_src 0
		.amdhsa_exception_fp_ieee_div_zero 0
		.amdhsa_exception_fp_ieee_overflow 0
		.amdhsa_exception_fp_ieee_underflow 0
		.amdhsa_exception_fp_ieee_inexact 0
		.amdhsa_exception_int_div_zero 0
	.end_amdhsa_kernel
	.section	.text._ZN4vllm25paged_attention_v1_kernelIffLi192ELi32ELi128ELNS_18Fp8KVCacheDataTypeE0ELb1EEEvPT_PKS2_PKT0_S8_ifPKiSA_iPKfiiiSC_SC_iiiii,"axG",@progbits,_ZN4vllm25paged_attention_v1_kernelIffLi192ELi32ELi128ELNS_18Fp8KVCacheDataTypeE0ELb1EEEvPT_PKS2_PKT0_S8_ifPKiSA_iPKfiiiSC_SC_iiiii,comdat
.Lfunc_end43:
	.size	_ZN4vllm25paged_attention_v1_kernelIffLi192ELi32ELi128ELNS_18Fp8KVCacheDataTypeE0ELb1EEEvPT_PKS2_PKT0_S8_ifPKiSA_iPKfiiiSC_SC_iiiii, .Lfunc_end43-_ZN4vllm25paged_attention_v1_kernelIffLi192ELi32ELi128ELNS_18Fp8KVCacheDataTypeE0ELb1EEEvPT_PKS2_PKT0_S8_ifPKiSA_iPKfiiiSC_SC_iiiii
                                        ; -- End function
	.set _ZN4vllm25paged_attention_v1_kernelIffLi192ELi32ELi128ELNS_18Fp8KVCacheDataTypeE0ELb1EEEvPT_PKS2_PKT0_S8_ifPKiSA_iPKfiiiSC_SC_iiiii.num_vgpr, 128
	.set _ZN4vllm25paged_attention_v1_kernelIffLi192ELi32ELi128ELNS_18Fp8KVCacheDataTypeE0ELb1EEEvPT_PKS2_PKT0_S8_ifPKiSA_iPKfiiiSC_SC_iiiii.num_agpr, 0
	.set _ZN4vllm25paged_attention_v1_kernelIffLi192ELi32ELi128ELNS_18Fp8KVCacheDataTypeE0ELb1EEEvPT_PKS2_PKT0_S8_ifPKiSA_iPKfiiiSC_SC_iiiii.numbered_sgpr, 49
	.set _ZN4vllm25paged_attention_v1_kernelIffLi192ELi32ELi128ELNS_18Fp8KVCacheDataTypeE0ELb1EEEvPT_PKS2_PKT0_S8_ifPKiSA_iPKfiiiSC_SC_iiiii.num_named_barrier, 0
	.set _ZN4vllm25paged_attention_v1_kernelIffLi192ELi32ELi128ELNS_18Fp8KVCacheDataTypeE0ELb1EEEvPT_PKS2_PKT0_S8_ifPKiSA_iPKfiiiSC_SC_iiiii.private_seg_size, 68
	.set _ZN4vllm25paged_attention_v1_kernelIffLi192ELi32ELi128ELNS_18Fp8KVCacheDataTypeE0ELb1EEEvPT_PKS2_PKT0_S8_ifPKiSA_iPKfiiiSC_SC_iiiii.uses_vcc, 1
	.set _ZN4vllm25paged_attention_v1_kernelIffLi192ELi32ELi128ELNS_18Fp8KVCacheDataTypeE0ELb1EEEvPT_PKS2_PKT0_S8_ifPKiSA_iPKfiiiSC_SC_iiiii.uses_flat_scratch, 0
	.set _ZN4vllm25paged_attention_v1_kernelIffLi192ELi32ELi128ELNS_18Fp8KVCacheDataTypeE0ELb1EEEvPT_PKS2_PKT0_S8_ifPKiSA_iPKfiiiSC_SC_iiiii.has_dyn_sized_stack, 0
	.set _ZN4vllm25paged_attention_v1_kernelIffLi192ELi32ELi128ELNS_18Fp8KVCacheDataTypeE0ELb1EEEvPT_PKS2_PKT0_S8_ifPKiSA_iPKfiiiSC_SC_iiiii.has_recursion, 0
	.set _ZN4vllm25paged_attention_v1_kernelIffLi192ELi32ELi128ELNS_18Fp8KVCacheDataTypeE0ELb1EEEvPT_PKS2_PKT0_S8_ifPKiSA_iPKfiiiSC_SC_iiiii.has_indirect_call, 0
	.section	.AMDGPU.csdata,"",@progbits
; Kernel info:
; codeLenInByte = 10072
; TotalNumSgprs: 55
; NumVgprs: 128
; NumAgprs: 0
; TotalNumVgprs: 128
; ScratchSize: 68
; MemoryBound: 0
; FloatMode: 240
; IeeeMode: 1
; LDSByteSize: 784 bytes/workgroup (compile time only)
; SGPRBlocks: 6
; VGPRBlocks: 15
; NumSGPRsForWavesPerEU: 55
; NumVGPRsForWavesPerEU: 128
; AccumOffset: 128
; Occupancy: 4
; WaveLimiterHint : 1
; COMPUTE_PGM_RSRC2:SCRATCH_EN: 1
; COMPUTE_PGM_RSRC2:USER_SGPR: 2
; COMPUTE_PGM_RSRC2:TRAP_HANDLER: 0
; COMPUTE_PGM_RSRC2:TGID_X_EN: 1
; COMPUTE_PGM_RSRC2:TGID_Y_EN: 1
; COMPUTE_PGM_RSRC2:TGID_Z_EN: 1
; COMPUTE_PGM_RSRC2:TIDIG_COMP_CNT: 0
; COMPUTE_PGM_RSRC3_GFX90A:ACCUM_OFFSET: 31
; COMPUTE_PGM_RSRC3_GFX90A:TG_SPLIT: 0
	.section	.text._ZN4vllm25paged_attention_v1_kernelIffLi256ELi32ELi128ELNS_18Fp8KVCacheDataTypeE0ELb1EEEvPT_PKS2_PKT0_S8_ifPKiSA_iPKfiiiSC_SC_iiiii,"axG",@progbits,_ZN4vllm25paged_attention_v1_kernelIffLi256ELi32ELi128ELNS_18Fp8KVCacheDataTypeE0ELb1EEEvPT_PKS2_PKT0_S8_ifPKiSA_iPKfiiiSC_SC_iiiii,comdat
	.protected	_ZN4vllm25paged_attention_v1_kernelIffLi256ELi32ELi128ELNS_18Fp8KVCacheDataTypeE0ELb1EEEvPT_PKS2_PKT0_S8_ifPKiSA_iPKfiiiSC_SC_iiiii ; -- Begin function _ZN4vllm25paged_attention_v1_kernelIffLi256ELi32ELi128ELNS_18Fp8KVCacheDataTypeE0ELb1EEEvPT_PKS2_PKT0_S8_ifPKiSA_iPKfiiiSC_SC_iiiii
	.globl	_ZN4vllm25paged_attention_v1_kernelIffLi256ELi32ELi128ELNS_18Fp8KVCacheDataTypeE0ELb1EEEvPT_PKS2_PKT0_S8_ifPKiSA_iPKfiiiSC_SC_iiiii
	.p2align	8
	.type	_ZN4vllm25paged_attention_v1_kernelIffLi256ELi32ELi128ELNS_18Fp8KVCacheDataTypeE0ELb1EEEvPT_PKS2_PKT0_S8_ifPKiSA_iPKfiiiSC_SC_iiiii,@function
_ZN4vllm25paged_attention_v1_kernelIffLi256ELi32ELi128ELNS_18Fp8KVCacheDataTypeE0ELb1EEEvPT_PKS2_PKT0_S8_ifPKiSA_iPKfiiiSC_SC_iiiii: ; @_ZN4vllm25paged_attention_v1_kernelIffLi256ELi32ELi128ELNS_18Fp8KVCacheDataTypeE0ELb1EEEvPT_PKS2_PKT0_S8_ifPKiSA_iPKfiiiSC_SC_iiiii
; %bb.0:
	s_load_dword s5, s[0:1], 0x80
	s_load_dwordx2 s[6:7], s[0:1], 0x30
	s_load_dwordx2 s[30:31], s[0:1], 0x20
	s_mov_b32 s10, s3
	s_ashr_i32 s11, s3, 31
	s_lshl_b64 s[8:9], s[10:11], 2
	s_waitcnt lgkmcnt(0)
	s_add_u32 s6, s6, s8
	s_addc_u32 s7, s7, s9
	s_abs_i32 s3, s30
	v_mov_b32_e32 v75, v0
	v_cvt_f32_u32_e32 v0, s3
	s_sub_i32 s11, 0, s3
	s_abs_i32 s9, s5
	s_xor_b32 s8, s5, s30
	v_rcp_iflag_f32_e32 v0, v0
	s_ashr_i32 s8, s8, 31
	s_mov_b32 s42, 0
	v_mul_f32_e32 v0, 0x4f7ffffe, v0
	v_cvt_u32_f32_e32 v0, v0
	s_nop 0
	v_readfirstlane_b32 s12, v0
	s_mul_i32 s11, s11, s12
	s_mul_hi_u32 s11, s12, s11
	s_add_i32 s12, s12, s11
	s_mul_hi_u32 s11, s9, s12
	s_mul_i32 s12, s11, s3
	s_sub_i32 s9, s9, s12
	s_add_i32 s12, s11, 1
	s_sub_i32 s13, s9, s3
	s_cmp_ge_u32 s9, s3
	s_cselect_b32 s11, s12, s11
	s_cselect_b32 s9, s13, s9
	s_add_i32 s12, s11, 1
	s_cmp_ge_u32 s9, s3
	s_cselect_b32 s3, s12, s11
	s_xor_b32 s3, s3, s8
	s_sub_i32 s12, s3, s8
	s_abs_i32 s11, s12
	v_cvt_f32_u32_e32 v0, s11
	s_load_dwordx2 s[8:9], s[0:1], 0x40
	s_sub_i32 s3, 0, s11
	s_abs_i32 s22, s2
	v_rcp_iflag_f32_e32 v0, v0
	s_nop 0
	v_mul_f32_e32 v0, 0x4f7ffffe, v0
	v_cvt_u32_f32_e32 v0, v0
	s_nop 0
	v_readfirstlane_b32 s13, v0
	s_mul_i32 s3, s3, s13
	s_mul_hi_u32 s3, s13, s3
	s_add_i32 s13, s13, s3
	s_waitcnt lgkmcnt(0)
	s_cmp_eq_u64 s[8:9], 0
	s_mul_hi_u32 s23, s22, s13
	s_cbranch_scc1 .LBB44_2
; %bb.1:
	s_ashr_i32 s3, s2, 31
	s_lshl_b64 s[14:15], s[2:3], 2
	s_add_u32 s8, s8, s14
	s_addc_u32 s9, s9, s15
	s_load_dword s42, s[8:9], 0x0
.LBB44_2:
	s_load_dword s33, s[6:7], 0x0
	s_ashr_i32 s9, s12, 31
	s_load_dwordx4 s[12:15], s[0:1], 0x48
	s_movk_i32 s6, 0x80
	s_ashr_i32 s3, s2, 31
	v_and_b32_e32 v2, 1, v75
	s_lshl_b32 s20, s2, 8
	v_cmp_gt_u32_e32 vcc, s6, v75
	v_lshlrev_b32_e32 v0, 3, v75
	v_lshlrev_b32_e32 v58, 2, v75
	s_and_saveexec_b64 s[6:7], vcc
	s_cbranch_execz .LBB44_4
; %bb.3:
	s_load_dwordx2 s[16:17], s[0:1], 0x8
	s_waitcnt lgkmcnt(0)
	s_mul_i32 s18, s12, s10
	s_ashr_i32 s19, s18, 31
	s_lshl_b64 s[18:19], s[18:19], 2
	v_and_b32_e32 v1, 0xff8, v58
	s_add_u32 s8, s16, s18
	s_addc_u32 s12, s17, s19
	s_ashr_i32 s21, s20, 31
	s_lshl_b64 s[16:17], s[20:21], 2
	s_add_u32 s16, s8, s16
	s_addc_u32 s17, s12, s17
	global_load_dwordx2 v[4:5], v0, s[16:17]
	v_lshl_add_u32 v1, v2, 9, v1
	s_waitcnt vmcnt(0)
	ds_write_b64 v1, v[4:5]
.LBB44_4:
	s_or_b64 exec, exec, s[6:7]
	s_mul_i32 s6, s23, s11
	s_sub_i32 s6, s22, s6
	s_xor_b32 s3, s3, s9
	s_add_i32 s7, s23, 1
	s_sub_i32 s9, s6, s11
	s_load_dwordx4 s[16:19], s[0:1], 0x68
	s_load_dword s8, s[0:1], 0x78
	s_cmp_ge_u32 s6, s11
	s_cselect_b32 s7, s7, s23
	s_cselect_b32 s6, s9, s6
	s_add_i32 s9, s7, 1
	s_cmp_ge_u32 s6, s11
	s_cselect_b32 s6, s9, s7
	s_waitcnt lgkmcnt(0)
	s_abs_i32 s21, s19
	v_cvt_f32_u32_e32 v1, s21
	s_xor_b32 s6, s6, s3
	s_sub_i32 s3, s6, s3
	s_sub_i32 s6, 0, s21
	v_rcp_iflag_f32_e32 v1, v1
	s_add_i32 s11, s33, -1
	s_abs_i32 s9, s11
	v_mul_f32_e32 v1, 0x4f7ffffe, v1
	v_cvt_u32_f32_e32 v1, v1
	s_barrier
	v_readfirstlane_b32 s40, v1
	s_mul_i32 s6, s6, s40
	s_mul_hi_u32 s6, s40, s6
	s_add_i32 s40, s40, s6
	s_cmp_lt_i32 s8, 0
	s_mul_hi_u32 s12, s9, s40
	s_cbranch_scc0 .LBB44_6
; %bb.5:
	s_mul_i32 s6, s16, s30
	s_add_i32 s6, s3, s6
	s_mul_i32 s6, s6, s8
	s_sub_i32 s41, 1, s6
	s_mov_b64 s[6:7], 0
	s_branch .LBB44_7
.LBB44_6:
	s_mov_b64 s[6:7], -1
                                        ; implicit-def: $sgpr41
.LBB44_7:
	s_load_dwordx2 s[24:25], s[0:1], 0x28
	s_ashr_i32 s15, s11, 31
	s_andn2_b64 vcc, exec, s[6:7]
	s_ashr_i32 s19, s19, 31
	s_cbranch_vccnz .LBB44_9
; %bb.8:
	s_mul_i32 s6, s5, s16
	s_add_i32 s2, s6, s2
	s_mul_i32 s2, s2, s8
	s_add_i32 s41, s2, 1
.LBB44_9:
	s_load_dword s2, s[0:1], 0x38
	s_load_dwordx2 s[22:23], s[0:1], 0x0
	s_load_dwordx2 s[28:29], s[0:1], 0x18
	s_load_dword s11, s[0:1], 0x88
	s_xor_b32 s6, s15, s19
	s_waitcnt lgkmcnt(0)
	s_mul_i32 s26, s2, s10
	s_mul_i32 s2, s12, s21
	s_sub_i32 s2, s9, s2
	s_ashr_i32 s27, s26, 31
	s_add_i32 s7, s12, 1
	s_sub_i32 s8, s2, s21
	s_cmp_ge_u32 s2, s21
	s_cselect_b32 s7, s7, s12
	s_cselect_b32 s2, s8, s2
	s_add_i32 s8, s7, 1
	s_cmp_ge_u32 s2, s21
	s_cselect_b32 s2, s8, s7
	s_xor_b32 s2, s2, s6
	s_sub_i32 s12, s2, s6
	s_add_i32 s2, s33, 31
	s_ashr_i32 s6, s2, 31
	s_lshr_b32 s6, s6, 27
	s_add_i32 s2, s2, s6
	s_ashr_i32 s16, s2, 5
	v_lshrrev_b32_e32 v1, 6, v75
	v_cmp_gt_i32_e64 s[6:7], s16, v1
	v_mov_b32_e32 v64, 0xff7fffff
	s_mul_i32 s14, s3, s14
	v_lshrrev_b32_e32 v59, 4, v75
	v_lshlrev_b32_e32 v80, 5, v1
	v_mbcnt_lo_u32_b32 v60, -1, 0
	scratch_store_dword off, v1, off        ; 4-byte Folded Spill
	s_and_saveexec_b64 s[34:35], s[6:7]
	s_cbranch_execz .LBB44_21
; %bb.10:
	s_load_dwordx2 s[0:1], s[0:1], 0x10
	s_ashr_i32 s15, s14, 31
	s_sub_i32 s30, s12, s17
	s_lshl_b64 s[2:3], s[14:15], 2
	v_bfe_u32 v61, v75, 1, 5
	s_waitcnt lgkmcnt(0)
	s_add_u32 s0, s0, s2
	s_addc_u32 s1, s1, s3
	s_abs_i32 s15, s18
	v_cvt_f32_u32_e32 v1, s15
	v_lshlrev_b32_e32 v4, 4, v61
	v_mov_b32_e32 v5, 0
	v_lshl_add_u64 v[6:7], s[0:1], 0, v[4:5]
	v_rcp_iflag_f32_e32 v8, v1
	v_and_b32_e32 v4, 8, v0
	v_lshl_add_u64 v[0:1], v[6:7], 0, v[4:5]
	s_sub_i32 s0, 0, s15
	v_mul_f32_e32 v4, 0x4f7ffffe, v8
	v_cvt_u32_f32_e32 v4, v4
	v_cmp_eq_u32_e32 vcc, 0, v2
	v_lshlrev_b32_e32 v62, 9, v2
	v_lshlrev_b32_e32 v3, 2, v61
	v_mul_lo_u32 v2, s0, v4
	v_mul_hi_u32 v2, v4, v2
	v_add_u32_e32 v63, v4, v2
	s_lshl_b64 s[0:1], s[26:27], 2
	v_lshrrev_b32_e32 v72, 6, v75
	v_subrev_u32_e32 v2, s33, v61
	s_add_u32 s0, s24, s0
	v_add_u32_e32 v66, 1, v2
	v_lshl_or_b32 v2, v72, 7, v3
	v_mbcnt_hi_u32_b32 v69, -1, v60
	v_and_b32_e32 v4, 60, v59
	s_addc_u32 s1, s25, s1
	v_add_u32_e32 v67, 0x410, v2
	v_and_b32_e32 v2, 64, v69
	s_mov_b32 s43, s13
	v_cmp_neq_f32_e64 s[2:3], s42, 0
	v_lshl_add_u64 v[6:7], s[0:1], 0, v[4:5]
	v_lshlrev_b32_e32 v65, 5, v72
	v_mov_b32_e32 v68, 0xff7fffff
	s_mov_b64 s[36:37], 0
	s_movk_i32 s44, 0x1000
	s_movk_i32 s45, 0x2000
	;; [unrolled: 1-line block ×7, first 2 shown]
	v_xor_b32_e32 v70, 1, v69
	v_add_u32_e32 v71, 64, v2
	v_mov_b32_e32 v64, 0xff7fffff
	s_branch .LBB44_13
.LBB44_11:                              ;   in Loop: Header=BB44_13 Depth=1
	s_or_b64 exec, exec, s[38:39]
.LBB44_12:                              ;   in Loop: Header=BB44_13 Depth=1
	s_or_b64 exec, exec, s[8:9]
	v_add_u32_e32 v72, 2, v72
	v_cmp_le_i32_e64 s[0:1], s16, v72
	v_lshl_add_u64 v[6:7], v[6:7], 0, 8
	v_add_u32_e32 v65, 64, v65
	s_or_b64 s[36:37], s[0:1], s[36:37]
	v_add_u32_e32 v67, 0x100, v67
	s_andn2_b64 exec, exec, s[36:37]
	s_cbranch_execz .LBB44_20
.LBB44_13:                              ; =>This Inner Loop Header: Depth=1
	v_mul_hi_u32 v2, v65, s40
	s_waitcnt lgkmcnt(0)
	v_mul_lo_u32 v3, v2, s21
	v_sub_u32_e32 v3, v65, v3
	v_add_u32_e32 v4, 1, v2
	v_cmp_le_u32_e64 s[0:1], s21, v3
	s_nop 1
	v_cndmask_b32_e64 v2, v2, v4, s[0:1]
	v_subrev_u32_e32 v4, s21, v3
	v_cndmask_b32_e64 v3, v3, v4, s[0:1]
	v_add_u32_e32 v4, 1, v2
	v_cmp_le_u32_e64 s[0:1], s21, v3
	s_nop 1
	v_cndmask_b32_e64 v2, v2, v4, s[0:1]
	v_xor_b32_e32 v2, s19, v2
	v_subrev_u32_e32 v2, s19, v2
	v_add_u32_e32 v3, s41, v2
	v_sub_u32_e32 v5, 0, v3
	v_ashrrev_i32_e32 v4, 31, v3
	v_max_i32_e32 v3, v3, v5
	v_mul_hi_u32 v5, v3, v63
	v_mul_lo_u32 v5, v5, s15
	v_sub_u32_e32 v3, v3, v5
	v_subrev_u32_e32 v5, s15, v3
	v_cmp_le_u32_e64 s[0:1], s15, v3
	v_cmp_ge_i32_e64 s[8:9], s30, v2
	s_nop 0
	v_cndmask_b32_e64 v3, v3, v5, s[0:1]
	v_subrev_u32_e32 v5, s15, v3
	v_cmp_le_u32_e64 s[0:1], s15, v3
	s_nop 1
	v_cndmask_b32_e64 v3, v3, v5, s[0:1]
	v_xor_b32_e32 v3, v3, v4
	v_sub_u32_e32 v3, v3, v4
	v_cmp_ne_u32_e64 s[0:1], 0, v3
	s_and_b64 s[0:1], s[0:1], s[8:9]
	s_and_saveexec_b64 s[8:9], s[0:1]
	s_xor_b64 s[0:1], exec, s[8:9]
	s_cbranch_execz .LBB44_17
; %bb.14:                               ;   in Loop: Header=BB44_13 Depth=1
	s_and_saveexec_b64 s[8:9], vcc
; %bb.15:                               ;   in Loop: Header=BB44_13 Depth=1
	ds_write_b32 v67, v68
; %bb.16:                               ;   in Loop: Header=BB44_13 Depth=1
	s_or_b64 exec, exec, s[8:9]
.LBB44_17:                              ;   in Loop: Header=BB44_13 Depth=1
	s_andn2_saveexec_b64 s[8:9], s[0:1]
	s_cbranch_execz .LBB44_12
; %bb.18:                               ;   in Loop: Header=BB44_13 Depth=1
	global_load_dword v2, v[6:7], off
	s_waitcnt vmcnt(0)
	v_mad_i64_i32 v[2:3], s[0:1], v2, s43, 0
	v_lshl_add_u64 v[2:3], v[2:3], 2, v[0:1]
	global_load_dwordx2 v[4:5], v[2:3], off offset:512
	global_load_dwordx2 v[16:17], v[2:3], off
	global_load_dwordx2 v[50:51], v[2:3], off offset:1024
	global_load_dwordx2 v[52:53], v[2:3], off offset:1536
	;; [unrolled: 1-line block ×6, first 2 shown]
	v_add_co_u32_e64 v54, s[0:1], s45, v2
	s_nop 1
	v_addc_co_u32_e64 v55, s[0:1], 0, v3, s[0:1]
	global_load_dwordx2 v[40:41], v[54:55], off offset:-4096
	v_add_co_u32_e64 v12, s[0:1], s44, v2
	s_nop 1
	v_addc_co_u32_e64 v13, s[0:1], 0, v3, s[0:1]
	global_load_dwordx2 v[44:45], v[12:13], off offset:512
	global_load_dwordx2 v[38:39], v[12:13], off offset:1024
	global_load_dwordx2 v[36:37], v[12:13], off offset:1536
	global_load_dwordx2 v[32:33], v[12:13], off offset:2048
	global_load_dwordx2 v[30:31], v[12:13], off offset:2560
	global_load_dwordx2 v[28:29], v[12:13], off offset:3072
	global_load_dwordx2 v[26:27], v[12:13], off offset:3584
	global_load_dwordx2 v[20:21], v[54:55], off
	ds_read_b128 v[12:15], v62
	global_load_dwordx2 v[24:25], v[54:55], off offset:512
	global_load_dwordx2 v[22:23], v[54:55], off offset:1024
	;; [unrolled: 1-line block ×3, first 2 shown]
	ds_read_b128 v[46:49], v62 offset:16
	s_waitcnt vmcnt(19) lgkmcnt(1)
	v_mul_f32_e32 v73, v14, v4
	v_mul_f32_e32 v74, v15, v5
	s_waitcnt vmcnt(18)
	v_fmac_f32_e32 v73, v12, v16
	v_fmac_f32_e32 v74, v13, v17
	global_load_dwordx2 v[16:17], v[54:55], off offset:2048
	global_load_dwordx2 v[14:15], v[54:55], off offset:2560
	;; [unrolled: 1-line block ×4, first 2 shown]
	s_waitcnt vmcnt(21) lgkmcnt(0)
	v_fmac_f32_e32 v73, v46, v50
	v_fmac_f32_e32 v74, v47, v51
	s_waitcnt vmcnt(20)
	v_fmac_f32_e32 v73, v48, v52
	v_fmac_f32_e32 v74, v49, v53
	ds_read_b128 v[46:49], v62 offset:32
	ds_read_b128 v[50:53], v62 offset:48
	s_waitcnt vmcnt(19) lgkmcnt(1)
	v_fmac_f32_e32 v73, v46, v34
	v_add_co_u32_e64 v34, s[0:1], s47, v2
	v_fmac_f32_e32 v74, v47, v35
	s_nop 0
	v_addc_co_u32_e64 v35, s[0:1], 0, v3, s[0:1]
	s_waitcnt vmcnt(18)
	v_fmac_f32_e32 v73, v48, v42
	v_fmac_f32_e32 v74, v49, v43
	global_load_dwordx2 v[42:43], v[34:35], off offset:-4096
	s_waitcnt vmcnt(18) lgkmcnt(0)
	v_fmac_f32_e32 v73, v50, v10
	v_fmac_f32_e32 v74, v51, v11
	s_waitcnt vmcnt(17)
	v_fmac_f32_e32 v73, v52, v8
	v_fmac_f32_e32 v74, v53, v9
	ds_read_b128 v[46:49], v62 offset:64
	ds_read_b128 v[50:53], v62 offset:80
	v_add_co_u32_e64 v10, s[0:1], s50, v2
	s_waitcnt vmcnt(16) lgkmcnt(1)
	v_fmac_f32_e32 v73, v46, v40
	v_addc_co_u32_e64 v11, s[0:1], 0, v3, s[0:1]
	v_add_co_u32_e64 v40, s[0:1], s46, v2
	v_fmac_f32_e32 v74, v47, v41
	s_nop 0
	v_addc_co_u32_e64 v41, s[0:1], 0, v3, s[0:1]
	global_load_dwordx2 v[8:9], v[10:11], off offset:3584
	global_load_dwordx2 v[54:55], v[40:41], off offset:512
	;; [unrolled: 1-line block ×3, first 2 shown]
	s_waitcnt vmcnt(18)
	v_fmac_f32_e32 v73, v48, v44
	v_fmac_f32_e32 v74, v49, v45
	ds_read_b128 v[44:47], v62 offset:96
	s_waitcnt vmcnt(17) lgkmcnt(1)
	v_fmac_f32_e32 v73, v50, v38
	v_fmac_f32_e32 v74, v51, v39
	s_waitcnt vmcnt(16)
	v_fmac_f32_e32 v73, v52, v36
	v_fmac_f32_e32 v74, v53, v37
	ds_read_b128 v[36:39], v62 offset:112
	global_load_dwordx2 v[48:49], v[40:41], off offset:1536
	s_waitcnt vmcnt(16) lgkmcnt(1)
	v_fmac_f32_e32 v73, v44, v32
	v_fmac_f32_e32 v74, v45, v33
	s_waitcnt vmcnt(15)
	v_fmac_f32_e32 v73, v46, v30
	v_fmac_f32_e32 v74, v47, v31
	ds_read_b128 v[30:33], v62 offset:128
	global_load_dwordx2 v[52:53], v[40:41], off offset:2048
	global_load_dwordx2 v[50:51], v[40:41], off offset:2560
	s_waitcnt vmcnt(16) lgkmcnt(1)
	v_fmac_f32_e32 v73, v36, v28
	v_fmac_f32_e32 v74, v37, v29
	global_load_dwordx2 v[28:29], v[40:41], off offset:3072
	s_waitcnt vmcnt(16)
	v_fmac_f32_e32 v73, v38, v26
	v_fmac_f32_e32 v74, v39, v27
	ds_read_b128 v[36:39], v62 offset:144
	global_load_dwordx2 v[26:27], v[40:41], off offset:3584
	global_load_dwordx2 v[44:45], v[34:35], off
	s_waitcnt vmcnt(17) lgkmcnt(1)
	v_fmac_f32_e32 v73, v30, v20
	v_fmac_f32_e32 v74, v31, v21
	global_load_dwordx2 v[46:47], v[34:35], off offset:512
	s_waitcnt vmcnt(17)
	v_fmac_f32_e32 v73, v32, v24
	v_fmac_f32_e32 v74, v33, v25
	s_waitcnt vmcnt(16) lgkmcnt(0)
	v_fmac_f32_e32 v73, v36, v22
	v_fmac_f32_e32 v74, v37, v23
	ds_read_b128 v[20:23], v62 offset:160
	ds_read_b128 v[76:79], v62 offset:176
	s_waitcnt vmcnt(15)
	v_fmac_f32_e32 v73, v38, v18
	v_fmac_f32_e32 v74, v39, v19
	global_load_dwordx2 v[32:33], v[34:35], off offset:1024
	global_load_dwordx2 v[30:31], v[34:35], off offset:1536
	global_load_dwordx2 v[24:25], v[34:35], off offset:2048
	s_waitcnt vmcnt(17) lgkmcnt(1)
	v_fmac_f32_e32 v73, v20, v16
	v_fmac_f32_e32 v74, v21, v17
	s_waitcnt vmcnt(16)
	v_fmac_f32_e32 v73, v22, v14
	v_fmac_f32_e32 v74, v23, v15
	s_waitcnt vmcnt(15) lgkmcnt(0)
	v_fmac_f32_e32 v73, v76, v12
	v_add_co_u32_e64 v76, s[0:1], s48, v2
	v_fmac_f32_e32 v74, v77, v13
	s_nop 0
	v_addc_co_u32_e64 v77, s[0:1], 0, v3, s[0:1]
	ds_read_b128 v[14:17], v62 offset:192
	ds_read_b128 v[20:23], v62 offset:208
	global_load_dwordx2 v[40:41], v[34:35], off offset:2560
	global_load_dwordx2 v[36:37], v[34:35], off offset:3072
	v_add_co_u32_e64 v38, s[0:1], s49, v2
	s_waitcnt vmcnt(16)
	v_fmac_f32_e32 v73, v78, v4
	v_addc_co_u32_e64 v39, s[0:1], 0, v3, s[0:1]
	global_load_dwordx2 v[18:19], v[38:39], off offset:-4096
	v_fmac_f32_e32 v74, v79, v5
	global_load_dwordx2 v[34:35], v[34:35], off offset:3584
	s_waitcnt vmcnt(17) lgkmcnt(1)
	v_fmac_f32_e32 v73, v14, v42
	v_fmac_f32_e32 v74, v15, v43
	global_load_dwordx2 v[14:15], v[76:77], off offset:512
	v_cmp_lt_i32_e64 s[0:1], v70, v71
	s_waitcnt vmcnt(16)
	v_fmac_f32_e32 v73, v54, v16
	v_fmac_f32_e32 v74, v55, v17
	s_waitcnt vmcnt(15) lgkmcnt(0)
	v_fmac_f32_e32 v73, v56, v20
	v_fmac_f32_e32 v74, v57, v21
	ds_read_b128 v[2:5], v62 offset:224
	ds_read_b128 v[54:57], v62 offset:240
	global_load_dwordx2 v[16:17], v[76:77], off offset:1024
	global_load_dwordx2 v[12:13], v[76:77], off offset:1536
	s_waitcnt vmcnt(16)
	v_fmac_f32_e32 v73, v48, v22
	v_fmac_f32_e32 v74, v49, v23
	s_waitcnt vmcnt(15) lgkmcnt(1)
	v_fmac_f32_e32 v73, v52, v2
	v_fmac_f32_e32 v74, v53, v3
	s_waitcnt vmcnt(14)
	v_fmac_f32_e32 v73, v50, v4
	v_fmac_f32_e32 v74, v51, v5
	ds_read_b128 v[48:51], v62 offset:256
	ds_read_b128 v[2:5], v62 offset:272
	s_waitcnt vmcnt(13) lgkmcnt(2)
	v_fmac_f32_e32 v73, v28, v54
	v_fmac_f32_e32 v74, v29, v55
	s_waitcnt vmcnt(12)
	v_fmac_f32_e32 v73, v26, v56
	v_fmac_f32_e32 v74, v27, v57
	global_load_dwordx2 v[28:29], v[76:77], off offset:2048
	global_load_dwordx2 v[26:27], v[76:77], off offset:2560
	;; [unrolled: 1-line block ×4, first 2 shown]
	s_waitcnt vmcnt(15) lgkmcnt(1)
	v_fmac_f32_e32 v73, v44, v48
	v_fmac_f32_e32 v74, v45, v49
	s_waitcnt vmcnt(14)
	v_fmac_f32_e32 v73, v46, v50
	v_fmac_f32_e32 v74, v47, v51
	ds_read_b128 v[50:53], v62 offset:288
	ds_read_b128 v[54:57], v62 offset:304
	global_load_dwordx2 v[48:49], v[38:39], off
	global_load_dwordx2 v[46:47], v[38:39], off offset:512
	global_load_dwordx2 v[42:43], v[38:39], off offset:1024
	;; [unrolled: 1-line block ×3, first 2 shown]
	s_waitcnt vmcnt(17) lgkmcnt(2)
	v_fmac_f32_e32 v73, v32, v2
	v_fmac_f32_e32 v74, v33, v3
	s_waitcnt vmcnt(16)
	v_fmac_f32_e32 v73, v30, v4
	v_fmac_f32_e32 v74, v31, v5
	s_waitcnt vmcnt(15) lgkmcnt(1)
	v_fmac_f32_e32 v73, v24, v50
	v_fmac_f32_e32 v74, v25, v51
	global_load_dwordx2 v[24:25], v[38:39], off offset:2048
	global_load_dwordx2 v[4:5], v[38:39], off offset:2560
	;; [unrolled: 1-line block ×3, first 2 shown]
	s_waitcnt vmcnt(17)
	v_fmac_f32_e32 v73, v40, v52
	global_load_dwordx2 v[38:39], v[38:39], off offset:3584
	v_fmac_f32_e32 v74, v41, v53
	ds_read_b128 v[50:53], v62 offset:320
	s_waitcnt vmcnt(17) lgkmcnt(1)
	v_fmac_f32_e32 v73, v36, v54
	v_fmac_f32_e32 v74, v37, v55
	global_load_dwordx2 v[32:33], v[10:11], off
	global_load_dwordx2 v[30:31], v[10:11], off offset:512
	global_load_dwordx2 v[36:37], v[10:11], off offset:1536
	s_waitcnt vmcnt(18)
	v_fmac_f32_e32 v73, v34, v56
	v_fmac_f32_e32 v74, v35, v57
	global_load_dwordx2 v[34:35], v[10:11], off offset:1024
	s_waitcnt lgkmcnt(0)
	v_fmac_f32_e32 v73, v18, v50
	v_fmac_f32_e32 v74, v19, v51
	ds_read_b128 v[54:57], v62 offset:336
	s_waitcnt vmcnt(18)
	v_fmac_f32_e32 v73, v14, v52
	v_fmac_f32_e32 v74, v15, v53
	global_load_dwordx2 v[18:19], v[10:11], off offset:2048
	global_load_dwordx2 v[14:15], v[10:11], off offset:2560
	s_nop 0
	global_load_dwordx2 v[10:11], v[10:11], off offset:3072
	ds_read_b128 v[50:53], v62 offset:352
	s_waitcnt vmcnt(20) lgkmcnt(1)
	v_fmac_f32_e32 v73, v16, v54
	v_fmac_f32_e32 v74, v17, v55
	s_waitcnt vmcnt(19)
	v_fmac_f32_e32 v73, v12, v56
	v_fmac_f32_e32 v74, v13, v57
	ds_read_b128 v[54:57], v62 offset:368
	v_cndmask_b32_e64 v12, v69, v70, s[0:1]
	v_lshlrev_b32_e32 v12, 2, v12
	s_waitcnt vmcnt(18) lgkmcnt(1)
	v_fmac_f32_e32 v73, v28, v50
	v_fmac_f32_e32 v74, v29, v51
	s_waitcnt vmcnt(17)
	v_fmac_f32_e32 v73, v26, v52
	v_fmac_f32_e32 v74, v27, v53
	ds_read_b128 v[26:29], v62 offset:384
	s_waitcnt vmcnt(16) lgkmcnt(1)
	v_fmac_f32_e32 v73, v22, v54
	v_fmac_f32_e32 v74, v23, v55
	s_waitcnt vmcnt(15)
	v_fmac_f32_e32 v73, v20, v56
	v_fmac_f32_e32 v74, v21, v57
	ds_read_b128 v[20:23], v62 offset:400
	;; [unrolled: 7-line block ×4, first 2 shown]
	s_waitcnt vmcnt(10) lgkmcnt(1)
	v_fmac_f32_e32 v73, v24, v26
	v_fmac_f32_e32 v74, v25, v27
	ds_read_b128 v[24:27], v62 offset:448
	s_waitcnt vmcnt(9)
	v_fmac_f32_e32 v73, v4, v28
	v_fmac_f32_e32 v74, v5, v29
	s_waitcnt vmcnt(8) lgkmcnt(1)
	v_fmac_f32_e32 v73, v2, v20
	v_fmac_f32_e32 v74, v3, v21
	ds_read_b128 v[2:5], v62 offset:464
	s_waitcnt vmcnt(7)
	v_fmac_f32_e32 v73, v38, v22
	v_fmac_f32_e32 v74, v39, v23
	ds_read_b128 v[20:23], v62 offset:480
	s_waitcnt vmcnt(6) lgkmcnt(2)
	v_fmac_f32_e32 v73, v32, v24
	v_fmac_f32_e32 v74, v33, v25
	s_waitcnt vmcnt(5)
	v_fmac_f32_e32 v73, v30, v26
	v_fmac_f32_e32 v74, v31, v27
	s_waitcnt vmcnt(3) lgkmcnt(1)
	v_fmac_f32_e32 v73, v34, v2
	v_fmac_f32_e32 v74, v35, v3
	;; [unrolled: 1-line block ×4, first 2 shown]
	ds_read_b128 v[2:5], v62 offset:496
	s_waitcnt vmcnt(2) lgkmcnt(1)
	v_fmac_f32_e32 v73, v18, v20
	v_fmac_f32_e32 v74, v19, v21
	s_waitcnt vmcnt(1)
	v_fmac_f32_e32 v73, v14, v22
	v_fmac_f32_e32 v74, v15, v23
	s_waitcnt vmcnt(0) lgkmcnt(0)
	v_fmac_f32_e32 v73, v10, v2
	v_fmac_f32_e32 v74, v11, v3
	;; [unrolled: 1-line block ×4, first 2 shown]
	v_add_f32_e32 v2, v73, v74
	ds_bpermute_b32 v3, v12, v2
	s_and_saveexec_b64 s[38:39], vcc
	s_cbranch_execz .LBB44_11
; %bb.19:                               ;   in Loop: Header=BB44_13 Depth=1
	v_add_u32_e32 v4, v66, v65
	v_cvt_f32_i32_e32 v4, v4
	s_waitcnt lgkmcnt(0)
	v_add_f32_e32 v2, v2, v3
	v_add_u32_e32 v5, v61, v65
	v_cmp_gt_i32_e64 s[0:1], s33, v5
	v_mul_f32_e32 v3, s42, v4
	v_cndmask_b32_e64 v3, 0, v3, s[2:3]
	v_fmac_f32_e32 v3, s31, v2
	v_cndmask_b32_e64 v2, 0, v3, s[0:1]
	ds_write_b32 v67, v2
	v_max_f32_e32 v2, v64, v64
	v_max_f32_e32 v2, v2, v3
	v_cndmask_b32_e64 v64, v64, v2, s[0:1]
	s_branch .LBB44_11
.LBB44_20:
	s_or_b64 exec, exec, s[36:37]
.LBB44_21:
	s_or_b64 exec, exec, s[34:35]
	v_mbcnt_hi_u32_b32 v0, -1, v60
	v_and_b32_e32 v6, 64, v0
	v_add_u32_e32 v7, 64, v6
	v_xor_b32_e32 v1, 32, v0
	v_cmp_lt_i32_e32 vcc, v1, v7
	v_xor_b32_e32 v4, 16, v0
	s_waitcnt lgkmcnt(0)
	v_max_f32_e32 v3, v64, v64
	v_cndmask_b32_e32 v1, v0, v1, vcc
	v_lshlrev_b32_e32 v1, 2, v1
	ds_bpermute_b32 v2, v1, v64
	v_cmp_lt_i32_e32 vcc, v4, v7
	v_xor_b32_e32 v5, 8, v0
	v_xor_b32_e32 v8, 4, v0
	v_and_b32_e32 v44, 63, v75
	s_waitcnt lgkmcnt(0)
	v_max_f32_e32 v2, v2, v2
	v_max_f32_e32 v3, v3, v2
	v_cndmask_b32_e32 v2, v0, v4, vcc
	v_lshlrev_b32_e32 v2, 2, v2
	ds_bpermute_b32 v4, v2, v3
	v_cmp_lt_i32_e32 vcc, v5, v7
	s_waitcnt lgkmcnt(0)
	v_max_f32_e32 v4, v4, v4
	v_max_f32_e32 v4, v3, v4
	v_cndmask_b32_e32 v3, v0, v5, vcc
	v_lshlrev_b32_e32 v3, 2, v3
	ds_bpermute_b32 v5, v3, v4
	v_cmp_lt_i32_e32 vcc, v8, v7
	s_waitcnt lgkmcnt(0)
	v_max_f32_e32 v5, v5, v5
	v_max_f32_e32 v4, v4, v5
	v_cndmask_b32_e32 v5, v0, v8, vcc
	v_lshlrev_b32_e32 v37, 2, v5
	ds_bpermute_b32 v5, v37, v4
	v_xor_b32_e32 v8, 2, v0
	v_cmp_lt_i32_e32 vcc, v8, v7
	s_waitcnt lgkmcnt(0)
	v_max_f32_e32 v5, v5, v5
	v_max_f32_e32 v5, v4, v5
	v_cndmask_b32_e32 v4, v0, v8, vcc
	v_lshlrev_b32_e32 v43, 2, v4
	ds_bpermute_b32 v8, v43, v5
	v_lshrrev_b32_e32 v4, 6, v75
	v_cmp_eq_u32_e32 vcc, 0, v44
	v_lshlrev_b32_e32 v4, 2, v4
	s_and_saveexec_b64 s[0:1], vcc
	s_cbranch_execz .LBB44_23
; %bb.22:
	s_waitcnt lgkmcnt(0)
	v_max_f32_e32 v8, v8, v8
	v_max_f32_e32 v5, v5, v5
	;; [unrolled: 1-line block ×3, first 2 shown]
	ds_write_b32 v4, v5 offset:1024
.LBB44_23:
	s_or_b64 exec, exec, s[0:1]
	v_cmp_gt_u32_e64 s[0:1], 2, v44
	s_waitcnt lgkmcnt(0)
	v_mov_b32_e32 v8, 0xff7fffff
	v_lshlrev_b32_e32 v5, 2, v44
	s_barrier
	s_and_saveexec_b64 s[2:3], s[0:1]
; %bb.24:
	ds_read_b32 v8, v5 offset:1024
; %bb.25:
	s_or_b64 exec, exec, s[2:3]
	v_xor_b32_e32 v9, 1, v0
	v_cmp_lt_i32_e64 s[2:3], v9, v7
	v_lshlrev_b32_e32 v6, 2, v6
	s_nop 0
	v_cndmask_b32_e64 v7, v0, v9, s[2:3]
	v_lshlrev_b32_e32 v45, 2, v7
	s_waitcnt lgkmcnt(0)
	ds_bpermute_b32 v7, v45, v8
	v_max_f32_e32 v8, v8, v8
	s_lshl_b32 s2, s16, 5
	s_min_i32 s15, s2, s33
	v_cmp_gt_i32_e64 s[2:3], s15, v75
	s_waitcnt lgkmcnt(0)
	v_max_f32_e32 v7, v7, v7
	v_max_f32_e32 v7, v8, v7
	ds_bpermute_b32 v7, v6, v7
	v_mov_b32_e32 v6, 0
	s_and_saveexec_b64 s[30:31], s[2:3]
	s_cbranch_execz .LBB44_29
; %bb.26:
	v_mov_b32_e32 v6, 0x410
	v_lshl_add_u32 v8, v75, 2, v6
	v_mov_b32_e32 v6, 0
	s_mov_b64 s[34:35], 0
	v_mov_b32_e32 v9, v75
.LBB44_27:                              ; =>This Inner Loop Header: Depth=1
	ds_read_b32 v10, v8
	v_add_u32_e32 v9, 0x80, v9
	v_cmp_le_i32_e64 s[8:9], s15, v9
	s_or_b64 s[34:35], s[8:9], s[34:35]
	s_waitcnt lgkmcnt(0)
	v_sub_f32_e32 v10, v10, v7
	v_mul_f32_e32 v10, 0x3fb8aa3b, v10
	v_exp_f32_e32 v10, v10
	ds_write_b32 v8, v10
	v_add_f32_e32 v6, v6, v10
	v_add_u32_e32 v8, 0x200, v8
	s_andn2_b64 exec, exec, s[34:35]
	s_cbranch_execnz .LBB44_27
; %bb.28:
	s_or_b64 exec, exec, s[34:35]
.LBB44_29:
	s_or_b64 exec, exec, s[30:31]
	ds_bpermute_b32 v1, v1, v6
	s_waitcnt lgkmcnt(0)
	v_add_f32_e32 v1, v6, v1
	ds_bpermute_b32 v2, v2, v1
	s_waitcnt lgkmcnt(0)
	v_add_f32_e32 v1, v1, v2
	;; [unrolled: 3-line block ×6, first 2 shown]
	s_and_saveexec_b64 s[8:9], vcc
; %bb.30:
	ds_write_b32 v4, v1 offset:1032
; %bb.31:
	s_or_b64 exec, exec, s[8:9]
	s_waitcnt lgkmcnt(0)
	s_barrier
	s_and_saveexec_b64 s[8:9], s[0:1]
; %bb.32:
	ds_read_b32 v1, v5 offset:1032
; %bb.33:
	s_or_b64 exec, exec, s[8:9]
	s_waitcnt lgkmcnt(0)
	ds_bpermute_b32 v2, v45, v1
	v_lshlrev_b32_e32 v0, 2, v0
	v_and_b32_e32 v0, 0x100, v0
	s_waitcnt lgkmcnt(0)
	v_add_f32_e32 v1, v1, v2
	ds_bpermute_b32 v0, v0, v1
	s_and_saveexec_b64 s[0:1], s[2:3]
	s_cbranch_execz .LBB44_46
; %bb.34:
	s_waitcnt lgkmcnt(0)
	v_add_f32_e32 v0, 0x358637bd, v0
	v_div_scale_f32 v1, s[2:3], v0, v0, 1.0
	v_rcp_f32_e32 v2, v1
	v_div_scale_f32 v3, vcc, 1.0, v0, 1.0
	s_movk_i32 s2, 0x7f
	v_fma_f32 v4, -v1, v2, 1.0
	v_fmac_f32_e32 v2, v4, v2
	v_mul_f32_e32 v4, v3, v2
	v_fma_f32 v5, -v1, v4, v3
	v_fmac_f32_e32 v4, v5, v2
	v_fma_f32 v1, -v1, v4, v3
	v_div_fmas_f32 v1, v1, v2, v4
	v_xad_u32 v2, v75, -1, s15
	v_div_fixup_f32 v0, v1, v0, 1.0
	v_cmp_lt_u32_e32 vcc, s2, v2
	s_mov_b64 s[8:9], -1
	v_mov_b32_e32 v1, v75
	s_and_saveexec_b64 s[2:3], vcc
	s_cbranch_execz .LBB44_43
; %bb.35:
	v_lshrrev_b32_e32 v2, 7, v2
	v_add_u32_e32 v4, -1, v2
	v_lshrrev_b32_e32 v3, 1, v4
	v_mov_b32_e32 v1, v0
	v_add_u32_e32 v3, 1, v3
	v_cmp_lt_u32_e32 vcc, 13, v4
	v_mov_b32_e32 v6, 0
	s_and_saveexec_b64 s[8:9], vcc
	s_cbranch_execz .LBB44_39
; %bb.36:
	v_mov_b32_e32 v5, 0x410
	v_and_b32_e32 v4, -8, v3
	v_lshl_add_u32 v5, v75, 2, v5
	s_mov_b32 s34, 0
	s_mov_b64 s[30:31], 0
.LBB44_37:                              ; =>This Inner Loop Header: Depth=1
	ds_read2st64_b32 v[6:7], v5 offset1:2
	ds_read2st64_b32 v[8:9], v5 offset0:4 offset1:6
	ds_read2st64_b32 v[10:11], v5 offset0:8 offset1:10
	;; [unrolled: 1-line block ×3, first 2 shown]
	v_add_u32_e32 v4, -8, v4
	s_waitcnt lgkmcnt(3)
	v_pk_mul_f32 v[6:7], v[0:1], v[6:7]
	s_waitcnt lgkmcnt(2)
	v_pk_mul_f32 v[8:9], v[0:1], v[8:9]
	ds_write2st64_b32 v5, v6, v7 offset1:2
	ds_write2st64_b32 v5, v8, v9 offset0:4 offset1:6
	ds_read2st64_b32 v[8:9], v5 offset0:16 offset1:18
	s_waitcnt lgkmcnt(4)
	v_pk_mul_f32 v[6:7], v[0:1], v[10:11]
	ds_write2st64_b32 v5, v6, v7 offset0:8 offset1:10
	s_waitcnt lgkmcnt(4)
	v_pk_mul_f32 v[6:7], v[0:1], v[12:13]
	ds_write2st64_b32 v5, v6, v7 offset0:12 offset1:14
	ds_read2st64_b32 v[6:7], v5 offset0:20 offset1:22
	s_waitcnt lgkmcnt(3)
	v_pk_mul_f32 v[8:9], v[0:1], v[8:9]
	ds_read2st64_b32 v[10:11], v5 offset0:24 offset1:26
	ds_write2st64_b32 v5, v8, v9 offset0:16 offset1:18
	ds_read2st64_b32 v[8:9], v5 offset0:28 offset1:30
	s_waitcnt lgkmcnt(3)
	v_pk_mul_f32 v[6:7], v[0:1], v[6:7]
	ds_write2st64_b32 v5, v6, v7 offset0:20 offset1:22
	s_waitcnt lgkmcnt(3)
	v_pk_mul_f32 v[6:7], v[0:1], v[10:11]
	ds_write2st64_b32 v5, v6, v7 offset0:24 offset1:26
	s_waitcnt lgkmcnt(2)
	v_pk_mul_f32 v[6:7], v[0:1], v[8:9]
	s_add_i32 s34, s34, 16
	v_cmp_eq_u32_e32 vcc, 0, v4
	ds_write2st64_b32 v5, v6, v7 offset0:28 offset1:30
	v_add_u32_e32 v5, 0x2000, v5
	s_or_b64 s[30:31], vcc, s[30:31]
	v_mov_b32_e32 v6, s34
	s_andn2_b64 exec, exec, s[30:31]
	s_cbranch_execnz .LBB44_37
; %bb.38:
	s_or_b64 exec, exec, s[30:31]
.LBB44_39:
	s_or_b64 exec, exec, s[8:9]
	v_and_b32_e32 v3, 7, v3
	v_cmp_ne_u32_e32 vcc, 0, v3
	s_and_saveexec_b64 s[8:9], vcc
	s_cbranch_execz .LBB44_42
; %bb.40:
	v_lshlrev_b32_e32 v4, 9, v6
	s_movk_i32 s30, 0x410
	v_add3_u32 v4, v4, v58, s30
	s_mov_b64 s[30:31], 0
.LBB44_41:                              ; =>This Inner Loop Header: Depth=1
	ds_read2st64_b32 v[6:7], v4 offset1:2
	v_add_u32_e32 v3, -1, v3
	v_cmp_eq_u32_e32 vcc, 0, v3
	s_or_b64 s[30:31], vcc, s[30:31]
	s_waitcnt lgkmcnt(0)
	v_pk_mul_f32 v[6:7], v[0:1], v[6:7]
	ds_write2st64_b32 v4, v6, v7 offset1:2
	v_add_u32_e32 v4, 0x400, v4
	s_andn2_b64 exec, exec, s[30:31]
	s_cbranch_execnz .LBB44_41
.LBB44_42:
	s_or_b64 exec, exec, s[8:9]
	v_add_u32_e32 v2, 1, v2
	v_and_b32_e32 v3, 0x3fffffe, v2
	v_cmp_ne_u32_e32 vcc, v2, v3
	v_lshl_add_u32 v1, v3, 7, v75
	s_orn2_b64 s[8:9], vcc, exec
.LBB44_43:
	s_or_b64 exec, exec, s[2:3]
	s_and_b64 exec, exec, s[8:9]
	s_cbranch_execz .LBB44_46
; %bb.44:
	v_mov_b32_e32 v2, 0x410
	v_lshl_add_u32 v2, v1, 2, v2
	s_mov_b64 s[2:3], 0
.LBB44_45:                              ; =>This Inner Loop Header: Depth=1
	ds_read_b32 v3, v2
	v_add_u32_e32 v1, 0x80, v1
	v_cmp_le_i32_e32 vcc, s15, v1
	s_or_b64 s[2:3], vcc, s[2:3]
	s_waitcnt lgkmcnt(0)
	v_mul_f32_e32 v3, v0, v3
	ds_write_b32 v2, v3
	v_add_u32_e32 v2, 0x200, v2
	s_andn2_b64 exec, exec, s[2:3]
	s_cbranch_execnz .LBB44_45
.LBB44_46:
	s_or_b64 exec, exec, s[0:1]
	v_mov_b32_e32 v49, 0
	v_and_b32_e32 v46, 7, v75
	v_mov_b32_e32 v48, 0
	v_mov_b32_e32 v39, 0
	;; [unrolled: 1-line block ×31, first 2 shown]
	s_waitcnt lgkmcnt(0)
	s_barrier
	s_and_saveexec_b64 s[2:3], s[6:7]
	s_cbranch_execz .LBB44_116
; %bb.47:
	scratch_store_dword off, v45, off offset:236 ; 4-byte Folded Spill
	scratch_store_dword off, v43, off offset:232 ; 4-byte Folded Spill
	scratch_store_dword off, v37, off offset:228 ; 4-byte Folded Spill
	scratch_store_dword off, v44, off offset:224 ; 4-byte Folded Spill
	scratch_store_dword off, v75, off offset:220 ; 4-byte Folded Spill
	scratch_load_dword v5, off, off         ; 4-byte Folded Reload
	s_ashr_i32 s15, s14, 31
	s_sub_i32 s17, s12, s17
	s_lshl_b64 s[0:1], s[14:15], 2
	s_add_u32 s6, s28, s0
	s_addc_u32 s7, s29, s1
	s_abs_i32 s18, s18
	v_cvt_f32_u32_e32 v0, s18
	v_and_b32_e32 v1, 28, v58
	s_sub_i32 s0, 0, s18
	scratch_store_dword off, v1, off offset:216 ; 4-byte Folded Spill
	v_rcp_iflag_f32_e32 v0, v0
	v_and_b32_e32 v2, 0xfc, v58
	s_add_i32 s29, s16, -1
	v_lshlrev_b32_e32 v3, 4, v46
	v_mul_f32_e32 v0, 0x4f7ffffe, v0
	v_cvt_u32_f32_e32 v0, v0
	v_or_b32_e32 v6, 0x1f00, v58
	v_lshlrev_b32_e32 v2, 2, v2
	v_mov_b32_e32 v9, 0
	v_mul_lo_u32 v1, s0, v0
	s_lshl_b64 s[0:1], s[26:27], 2
	v_mul_hi_u32 v1, v0, v1
	s_add_u32 s0, s24, s0
	v_or_b32_e32 v4, 0xf00, v58
	v_add_u32_e32 v0, v0, v1
	v_and_b32_e32 v8, 60, v59
	s_addc_u32 s1, s25, s1
	s_mov_b32 s28, s13
	s_mov_b32 s30, s33
	scratch_store_dword off, v0, off offset:172 ; 4-byte Folded Spill
	v_lshl_add_u64 v[0:1], s[0:1], 0, v[8:9]
	s_mov_b64 s[8:9], 0
	v_lshlrev_b32_e32 v8, 2, v4
	v_mov_b32_e32 v10, v9
	v_mov_b32_e32 v11, v9
	;; [unrolled: 1-line block ×5, first 2 shown]
	scratch_store_dword off, v46, off offset:240 ; 4-byte Folded Spill
	s_waitcnt vmcnt(3)
	v_lshl_or_b32 v3, v5, 7, v3
	scratch_store_dwordx2 off, v[2:3], off offset:176 ; 8-byte Folded Spill
	v_lshlrev_b32_e32 v2, 2, v6
	v_add_u32_e32 v126, 0x410, v3
	scratch_store_dwordx2 off, v[2:3], off offset:184 ; 8-byte Folded Spill
	v_mov_b32_e32 v2, v9
	v_mov_b32_e32 v3, v9
	scratch_store_dwordx2 off, v[2:3], off offset:164 ; 8-byte Folded Spill
	scratch_store_dwordx2 off, v[2:3], off offset:156 ; 8-byte Folded Spill
	;; [unrolled: 1-line block ×15, first 2 shown]
	s_branch .LBB44_50
.LBB44_48:                              ;   in Loop: Header=BB44_50 Depth=1
	s_or_b64 exec, exec, s[14:15]
	s_waitcnt lgkmcnt(0)
	v_mul_f32_e32 v16, v2, v86
	v_fmac_f32_e32 v16, v3, v87
	v_fmac_f32_e32 v16, v4, v88
	;; [unrolled: 1-line block ×3, first 2 shown]
	scratch_load_dwordx2 v[86:87], off, off offset:60 ; 8-byte Folded Reload
	scratch_load_dwordx2 v[88:89], off, off offset:68 ; 8-byte Folded Reload
	v_mul_f32_e32 v6, v2, v6
	v_fmac_f32_e32 v6, v3, v7
	v_mul_f32_e32 v7, v2, v122
	v_fmac_f32_e32 v7, v3, v123
	v_fmac_f32_e32 v6, v4, v8
	v_fmac_f32_e32 v7, v4, v124
	v_fmac_f32_e32 v6, v5, v9
	v_fmac_f32_e32 v7, v5, v125
	v_mul_f32_e32 v8, v2, v118
	v_mul_f32_e32 v9, v2, v114
	v_fmac_f32_e32 v8, v3, v119
	v_fmac_f32_e32 v9, v3, v115
	;; [unrolled: 1-line block ×6, first 2 shown]
	v_mul_f32_e32 v10, v2, v10
	v_fmac_f32_e32 v10, v3, v11
	v_fmac_f32_e32 v10, v4, v12
	v_mul_f32_e32 v11, v2, v106
	v_mul_f32_e32 v12, v2, v102
	v_fmac_f32_e32 v11, v3, v107
	v_fmac_f32_e32 v12, v3, v103
	;; [unrolled: 1-line block ×7, first 2 shown]
	v_mul_f32_e32 v13, v2, v98
	v_mul_f32_e32 v14, v2, v94
	v_fmac_f32_e32 v13, v3, v99
	v_fmac_f32_e32 v14, v3, v95
	;; [unrolled: 1-line block ×6, first 2 shown]
	v_mul_f32_e32 v15, v2, v90
	v_fmac_f32_e32 v15, v3, v91
	v_fmac_f32_e32 v15, v4, v92
	;; [unrolled: 1-line block ×3, first 2 shown]
	s_waitcnt vmcnt(1)
	v_add_f32_e32 v86, v86, v10
	s_waitcnt vmcnt(0)
	v_add_f32_e32 v89, v89, v6
	v_add_f32_e32 v88, v88, v7
	scratch_load_dwordx2 v[6:7], off, off offset:76 ; 8-byte Folded Reload
	s_waitcnt vmcnt(0)
	v_add_f32_e32 v7, v7, v8
	v_add_f32_e32 v6, v6, v9
	scratch_store_dwordx2 off, v[6:7], off offset:76 ; 8-byte Folded Spill
	scratch_load_dwordx2 v[6:7], off, off offset:84 ; 8-byte Folded Reload
	s_nop 0
	scratch_load_dwordx2 v[8:9], off, off offset:108 ; 8-byte Folded Reload
	s_waitcnt vmcnt(1)
	v_add_f32_e32 v7, v7, v11
	v_add_f32_e32 v6, v6, v12
	scratch_store_dwordx2 off, v[6:7], off offset:84 ; 8-byte Folded Spill
	scratch_load_dwordx2 v[6:7], off, off offset:92 ; 8-byte Folded Reload
	s_nop 0
	scratch_load_dwordx2 v[10:11], off, off offset:200 ; 8-byte Folded Reload
	s_waitcnt vmcnt(1)
	v_add_f32_e32 v7, v7, v13
	v_add_f32_e32 v6, v6, v14
	scratch_store_dwordx2 off, v[6:7], off offset:92 ; 8-byte Folded Spill
	scratch_load_dwordx2 v[6:7], off, off offset:100 ; 8-byte Folded Reload
	s_waitcnt vmcnt(0)
	v_add_f32_e32 v7, v7, v15
	v_add_f32_e32 v6, v6, v16
	scratch_store_dwordx2 off, v[6:7], off offset:100 ; 8-byte Folded Spill
	v_mul_f32_e32 v6, v2, v82
	v_fmac_f32_e32 v6, v3, v83
	v_fmac_f32_e32 v6, v4, v84
	;; [unrolled: 1-line block ×3, first 2 shown]
	v_add_f32_e32 v9, v9, v6
	v_mul_f32_e32 v6, v2, v78
	v_fmac_f32_e32 v6, v3, v79
	v_fmac_f32_e32 v6, v4, v80
	;; [unrolled: 1-line block ×3, first 2 shown]
	v_add_f32_e32 v8, v8, v6
	scratch_store_dwordx2 off, v[8:9], off offset:108 ; 8-byte Folded Spill
	scratch_load_dwordx2 v[8:9], off, off offset:116 ; 8-byte Folded Reload
	v_mul_f32_e32 v6, v2, v74
	v_fmac_f32_e32 v6, v3, v75
	v_fmac_f32_e32 v6, v4, v76
	;; [unrolled: 1-line block ×3, first 2 shown]
	scratch_load_dwordx2 v[14:15], off, off offset:192 ; 8-byte Folded Reload
	s_waitcnt vmcnt(1)
	v_add_f32_e32 v9, v9, v6
	v_mul_f32_e32 v6, v2, v70
	v_fmac_f32_e32 v6, v3, v71
	v_fmac_f32_e32 v6, v4, v72
	;; [unrolled: 1-line block ×3, first 2 shown]
	v_add_f32_e32 v8, v8, v6
	scratch_store_dwordx2 off, v[8:9], off offset:116 ; 8-byte Folded Spill
	scratch_load_dwordx2 v[8:9], off, off offset:124 ; 8-byte Folded Reload
	v_mul_f32_e32 v6, v2, v66
	v_fmac_f32_e32 v6, v3, v67
	v_fmac_f32_e32 v6, v4, v68
	;; [unrolled: 1-line block ×3, first 2 shown]
	scratch_store_dwordx2 off, v[88:89], off offset:68 ; 8-byte Folded Spill
	s_waitcnt vmcnt(1)
	v_add_f32_e32 v9, v9, v6
	v_mul_f32_e32 v6, v2, v62
	v_fmac_f32_e32 v6, v3, v63
	v_fmac_f32_e32 v6, v4, v64
	v_fmac_f32_e32 v6, v5, v65
	v_add_f32_e32 v8, v8, v6
	scratch_store_dwordx2 off, v[8:9], off offset:124 ; 8-byte Folded Spill
	scratch_load_dwordx2 v[8:9], off, off offset:132 ; 8-byte Folded Reload
	v_mul_f32_e32 v6, v2, v58
	v_fmac_f32_e32 v6, v3, v59
	v_fmac_f32_e32 v6, v4, v60
	v_fmac_f32_e32 v6, v5, v61
	s_waitcnt vmcnt(0)
	v_add_f32_e32 v9, v9, v6
	v_mul_f32_e32 v6, v2, v54
	v_fmac_f32_e32 v6, v3, v55
	v_fmac_f32_e32 v6, v4, v56
	v_fmac_f32_e32 v6, v5, v57
	v_add_f32_e32 v8, v8, v6
	scratch_store_dwordx2 off, v[8:9], off offset:132 ; 8-byte Folded Spill
	scratch_load_dwordx2 v[8:9], off, off offset:140 ; 8-byte Folded Reload
	v_mul_f32_e32 v6, v2, v50
	v_fmac_f32_e32 v6, v3, v51
	v_fmac_f32_e32 v6, v4, v52
	v_fmac_f32_e32 v6, v5, v53
	;; [unrolled: 13-line block ×3, first 2 shown]
	s_waitcnt vmcnt(0)
	v_add_f32_e32 v9, v9, v6
	v_mul_f32_e32 v6, v2, v38
	v_fmac_f32_e32 v6, v3, v39
	v_fmac_f32_e32 v6, v4, v40
	v_fmac_f32_e32 v6, v5, v41
	v_add_f32_e32 v8, v8, v6
	v_mul_f32_e32 v6, v2, v34
	v_fmac_f32_e32 v6, v3, v35
	v_fmac_f32_e32 v6, v4, v36
	v_fmac_f32_e32 v6, v5, v37
	;; [unrolled: 5-line block ×5, first 2 shown]
	v_add_f32_e32 v10, v10, v6
	v_mul_f32_e32 v6, v2, v18
	v_fmac_f32_e32 v6, v3, v19
	v_fmac_f32_e32 v6, v4, v20
	scratch_store_dwordx2 off, v[8:9], off offset:148 ; 8-byte Folded Spill
	v_fmac_f32_e32 v6, v5, v21
	scratch_load_dwordx2 v[8:9], off, off offset:156 ; 8-byte Folded Reload
	scratch_load_dwordx4 v[18:21], off, off offset:44 ; 16-byte Folded Reload
	s_waitcnt vmcnt(1)
	v_add_f32_e32 v9, v9, v6
	s_waitcnt vmcnt(0)
	v_mul_f32_e32 v6, v2, v18
	v_fmac_f32_e32 v6, v3, v19
	v_fmac_f32_e32 v6, v4, v20
	;; [unrolled: 1-line block ×3, first 2 shown]
	v_add_f32_e32 v8, v8, v6
	scratch_store_dwordx2 off, v[8:9], off offset:156 ; 8-byte Folded Spill
	scratch_load_dwordx4 v[6:9], off, off offset:28 ; 16-byte Folded Reload
	s_nop 0
	scratch_load_dwordx4 v[18:21], off, off offset:12 ; 16-byte Folded Reload
	s_waitcnt vmcnt(1)
	v_mul_f32_e32 v6, v2, v6
	v_fmac_f32_e32 v6, v3, v7
	v_fmac_f32_e32 v6, v4, v8
	;; [unrolled: 1-line block ×3, first 2 shown]
	scratch_load_dwordx2 v[8:9], off, off offset:164 ; 8-byte Folded Reload
	s_waitcnt vmcnt(0)
	v_add_f32_e32 v9, v9, v6
	v_mul_f32_e32 v6, v2, v18
	v_fmac_f32_e32 v6, v3, v19
	v_fmac_f32_e32 v6, v4, v20
	v_pk_mul_f32 v[2:3], v[2:3], v[110:111]
	v_fmac_f32_e32 v6, v5, v21
	v_pk_mul_f32 v[4:5], v[4:5], v[112:113]
	v_add_f32_e32 v2, v3, v2
	v_add_f32_e32 v2, v4, v2
	;; [unrolled: 1-line block ×5, first 2 shown]
	scratch_store_dwordx2 off, v[8:9], off offset:164 ; 8-byte Folded Spill
	scratch_store_dwordx2 off, v[86:87], off offset:60 ; 8-byte Folded Spill
.LBB44_49:                              ;   in Loop: Header=BB44_50 Depth=1
	s_or_b64 exec, exec, s[12:13]
	scratch_load_dword v2, off, off         ; 4-byte Folded Reload
	v_mov_b32_e32 v4, v17
	v_lshl_add_u64 v[0:1], v[0:1], 0, 8
	v_add_u32_e32 v4, 64, v4
	v_add_u32_e32 v126, 0x100, v126
	s_waitcnt vmcnt(0)
	v_add_u32_e32 v2, 2, v2
	v_cmp_le_i32_e32 vcc, s16, v2
	s_or_b64 s[8:9], vcc, s[8:9]
	scratch_store_dword off, v2, off        ; 4-byte Folded Spill
	s_andn2_b64 exec, exec, s[8:9]
	s_cbranch_execz .LBB44_115
.LBB44_50:                              ; =>This Inner Loop Header: Depth=1
	v_mul_hi_u32 v2, v4, s40
	v_mul_lo_u32 v3, v2, s21
	v_sub_u32_e32 v3, v4, v3
	v_mov_b32_e32 v17, v4
	v_add_u32_e32 v4, 1, v2
	v_cmp_le_u32_e32 vcc, s21, v3
	s_nop 1
	v_cndmask_b32_e32 v2, v2, v4, vcc
	v_subrev_u32_e32 v4, s21, v3
	v_cndmask_b32_e32 v3, v3, v4, vcc
	v_add_u32_e32 v4, 1, v2
	v_cmp_le_u32_e32 vcc, s21, v3
	s_nop 1
	v_cndmask_b32_e32 v2, v2, v4, vcc
	v_xor_b32_e32 v2, s19, v2
	v_subrev_u32_e32 v2, s19, v2
	v_add_u32_e32 v3, s41, v2
	v_sub_u32_e32 v5, 0, v3
	v_ashrrev_i32_e32 v4, 31, v3
	v_max_i32_e32 v3, v3, v5
	scratch_load_dword v5, off, off offset:172 ; 4-byte Folded Reload
	v_cmp_lt_i32_e64 s[0:1], s17, v2
	s_waitcnt vmcnt(0)
	v_mul_hi_u32 v5, v3, v5
	v_mul_lo_u32 v5, v5, s18
	v_sub_u32_e32 v3, v3, v5
	v_subrev_u32_e32 v5, s18, v3
	v_cmp_le_u32_e32 vcc, s18, v3
	s_nop 1
	v_cndmask_b32_e32 v3, v3, v5, vcc
	v_subrev_u32_e32 v5, s18, v3
	v_cmp_le_u32_e32 vcc, s18, v3
	s_nop 1
	v_cndmask_b32_e32 v3, v3, v5, vcc
	v_xor_b32_e32 v3, v3, v4
	v_sub_u32_e32 v3, v3, v4
	v_cmp_eq_u32_e32 vcc, 0, v3
	s_or_b64 s[0:1], vcc, s[0:1]
	s_and_saveexec_b64 s[12:13], s[0:1]
	s_cbranch_execz .LBB44_49
; %bb.51:                               ;   in Loop: Header=BB44_50 Depth=1
	scratch_store_dwordx2 off, v[10:11], off offset:200 ; 8-byte Folded Spill
	scratch_store_dwordx2 off, v[14:15], off offset:192 ; 8-byte Folded Spill
	global_load_dword v2, v[0:1], off
	s_waitcnt vmcnt(0)
	v_mad_i64_i32 v[2:3], s[0:1], v2, s28, 0
	v_lshl_add_u64 v[12:13], v[2:3], 2, s[6:7]
	scratch_load_dwordx2 v[2:3], off, off offset:4 ; 8-byte Folded Reload
	scratch_load_dwordx2 v[4:5], off, off offset:176 ; 8-byte Folded Reload
	scratch_load_dword v6, off, off         ; 4-byte Folded Reload
	s_waitcnt vmcnt(1)
	v_mov_b32_e32 v2, v4
	v_lshl_add_u64 v[10:11], v[12:13], 0, v[2:3]
	scratch_store_dwordx2 off, v[4:5], off offset:176 ; 8-byte Folded Spill
	global_load_dwordx4 v[2:5], v[10:11], off
	s_waitcnt vmcnt(2)
	v_cmp_eq_u32_e64 s[0:1], s29, v6
	s_waitcnt vmcnt(0)
	scratch_store_dwordx4 off, v[2:5], off offset:12 ; 16-byte Folded Spill
	scratch_load_dword v2, off, off offset:216 ; 4-byte Folded Reload
	s_waitcnt vmcnt(0)
	v_add_u32_e32 v127, v2, v17
	ds_read_b128 v[2:5], v126
	v_add_u32_e32 v16, 1, v127
	v_or_b32_e32 v15, 3, v127
	v_or_b32_e32 v14, 2, v127
	s_and_saveexec_b64 s[14:15], s[0:1]
	s_cbranch_execz .LBB44_53
; %bb.52:                               ;   in Loop: Header=BB44_50 Depth=1
	scratch_load_dwordx4 v[6:9], off, off offset:12 ; 16-byte Folded Reload
	v_cmp_gt_i32_e32 vcc, s30, v16
	s_waitcnt vmcnt(0)
	s_nop 0
	v_cndmask_b32_e32 v7, 0, v7, vcc
	v_cmp_gt_i32_e32 vcc, s33, v127
	s_nop 1
	v_cndmask_b32_e32 v6, 0, v6, vcc
	v_cmp_gt_i32_e32 vcc, s30, v15
	;; [unrolled: 3-line block ×3, first 2 shown]
	s_nop 1
	v_cndmask_b32_e32 v8, 0, v8, vcc
	scratch_store_dwordx4 off, v[6:9], off offset:12 ; 16-byte Folded Spill
.LBB44_53:                              ;   in Loop: Header=BB44_50 Depth=1
	s_or_b64 exec, exec, s[14:15]
	global_load_dwordx4 v[6:9], v[10:11], off offset:1024
	s_waitcnt vmcnt(0)
	scratch_store_dwordx4 off, v[6:9], off offset:28 ; 16-byte Folded Spill
	s_and_saveexec_b64 s[14:15], s[0:1]
	s_cbranch_execz .LBB44_55
; %bb.54:                               ;   in Loop: Header=BB44_50 Depth=1
	scratch_load_dwordx4 v[6:9], off, off offset:28 ; 16-byte Folded Reload
	v_cmp_gt_i32_e32 vcc, s30, v16
	s_waitcnt vmcnt(0)
	s_nop 0
	v_cndmask_b32_e32 v7, 0, v7, vcc
	v_cmp_gt_i32_e32 vcc, s33, v127
	s_nop 1
	v_cndmask_b32_e32 v6, 0, v6, vcc
	v_cmp_gt_i32_e32 vcc, s30, v15
	;; [unrolled: 3-line block ×3, first 2 shown]
	s_nop 1
	v_cndmask_b32_e32 v8, 0, v8, vcc
	scratch_store_dwordx4 off, v[6:9], off offset:28 ; 16-byte Folded Spill
.LBB44_55:                              ;   in Loop: Header=BB44_50 Depth=1
	s_or_b64 exec, exec, s[14:15]
	global_load_dwordx4 v[6:9], v[10:11], off offset:2048
	s_waitcnt vmcnt(0)
	scratch_store_dwordx4 off, v[6:9], off offset:44 ; 16-byte Folded Spill
	s_and_saveexec_b64 s[14:15], s[0:1]
	s_cbranch_execz .LBB44_57
; %bb.56:                               ;   in Loop: Header=BB44_50 Depth=1
	scratch_load_dwordx4 v[6:9], off, off offset:44 ; 16-byte Folded Reload
	v_cmp_gt_i32_e32 vcc, s30, v16
	s_waitcnt vmcnt(0)
	s_nop 0
	v_cndmask_b32_e32 v7, 0, v7, vcc
	v_cmp_gt_i32_e32 vcc, s33, v127
	s_nop 1
	v_cndmask_b32_e32 v6, 0, v6, vcc
	v_cmp_gt_i32_e32 vcc, s30, v15
	;; [unrolled: 3-line block ×3, first 2 shown]
	s_nop 1
	v_cndmask_b32_e32 v8, 0, v8, vcc
	scratch_store_dwordx4 off, v[6:9], off offset:44 ; 16-byte Folded Spill
.LBB44_57:                              ;   in Loop: Header=BB44_50 Depth=1
	s_or_b64 exec, exec, s[14:15]
	global_load_dwordx4 v[18:21], v[10:11], off offset:3072
	s_and_saveexec_b64 s[14:15], s[0:1]
	s_cbranch_execz .LBB44_59
; %bb.58:                               ;   in Loop: Header=BB44_50 Depth=1
	v_cmp_gt_i32_e32 vcc, s30, v16
	s_waitcnt vmcnt(0)
	s_nop 0
	v_cndmask_b32_e32 v19, 0, v19, vcc
	v_cmp_gt_i32_e32 vcc, s33, v127
	s_nop 1
	v_cndmask_b32_e32 v18, 0, v18, vcc
	v_cmp_gt_i32_e32 vcc, s30, v15
	s_nop 1
	v_cndmask_b32_e32 v21, 0, v21, vcc
	v_cmp_gt_i32_e32 vcc, s33, v14
	s_nop 1
	v_cndmask_b32_e32 v20, 0, v20, vcc
.LBB44_59:                              ;   in Loop: Header=BB44_50 Depth=1
	s_or_b64 exec, exec, s[14:15]
	v_add_co_u32_e32 v6, vcc, 0x1000, v10
	s_nop 1
	v_addc_co_u32_e32 v7, vcc, 0, v11, vcc
	global_load_dwordx4 v[22:25], v[6:7], off
	s_and_saveexec_b64 s[14:15], s[0:1]
	s_cbranch_execz .LBB44_61
; %bb.60:                               ;   in Loop: Header=BB44_50 Depth=1
	v_cmp_gt_i32_e32 vcc, s30, v16
	s_waitcnt vmcnt(0)
	s_nop 0
	v_cndmask_b32_e32 v23, 0, v23, vcc
	v_cmp_gt_i32_e32 vcc, s33, v127
	s_nop 1
	v_cndmask_b32_e32 v22, 0, v22, vcc
	v_cmp_gt_i32_e32 vcc, s30, v15
	s_nop 1
	v_cndmask_b32_e32 v25, 0, v25, vcc
	v_cmp_gt_i32_e32 vcc, s33, v14
	s_nop 1
	v_cndmask_b32_e32 v24, 0, v24, vcc
.LBB44_61:                              ;   in Loop: Header=BB44_50 Depth=1
	s_or_b64 exec, exec, s[14:15]
	v_add_co_u32_e32 v6, vcc, 0x1000, v10
	s_nop 1
	v_addc_co_u32_e32 v7, vcc, 0, v11, vcc
	global_load_dwordx4 v[26:29], v[6:7], off offset:1024
	s_and_saveexec_b64 s[14:15], s[0:1]
	s_cbranch_execz .LBB44_63
; %bb.62:                               ;   in Loop: Header=BB44_50 Depth=1
	v_cmp_gt_i32_e32 vcc, s30, v16
	s_waitcnt vmcnt(0)
	s_nop 0
	v_cndmask_b32_e32 v27, 0, v27, vcc
	v_cmp_gt_i32_e32 vcc, s33, v127
	s_nop 1
	v_cndmask_b32_e32 v26, 0, v26, vcc
	v_cmp_gt_i32_e32 vcc, s30, v15
	s_nop 1
	v_cndmask_b32_e32 v29, 0, v29, vcc
	v_cmp_gt_i32_e32 vcc, s33, v14
	s_nop 1
	v_cndmask_b32_e32 v28, 0, v28, vcc
.LBB44_63:                              ;   in Loop: Header=BB44_50 Depth=1
	s_or_b64 exec, exec, s[14:15]
	v_add_co_u32_e32 v6, vcc, 0x1000, v10
	s_nop 1
	v_addc_co_u32_e32 v7, vcc, 0, v11, vcc
	global_load_dwordx4 v[30:33], v[6:7], off offset:2048
	;; [unrolled: 22-line block ×3, first 2 shown]
	s_and_saveexec_b64 s[14:15], s[0:1]
	s_cbranch_execz .LBB44_67
; %bb.66:                               ;   in Loop: Header=BB44_50 Depth=1
	v_cmp_gt_i32_e32 vcc, s30, v16
	s_waitcnt vmcnt(0)
	s_nop 0
	v_cndmask_b32_e32 v35, 0, v35, vcc
	v_cmp_gt_i32_e32 vcc, s33, v127
	s_nop 1
	v_cndmask_b32_e32 v34, 0, v34, vcc
	v_cmp_gt_i32_e32 vcc, s30, v15
	;; [unrolled: 3-line block ×3, first 2 shown]
	s_nop 1
	v_cndmask_b32_e32 v36, 0, v36, vcc
.LBB44_67:                              ;   in Loop: Header=BB44_50 Depth=1
	s_or_b64 exec, exec, s[14:15]
	v_add_co_u32_e32 v6, vcc, 0x2000, v10
	s_nop 1
	v_addc_co_u32_e32 v7, vcc, 0, v11, vcc
	global_load_dwordx4 v[38:41], v[6:7], off
	s_and_saveexec_b64 s[14:15], s[0:1]
	s_cbranch_execz .LBB44_69
; %bb.68:                               ;   in Loop: Header=BB44_50 Depth=1
	v_cmp_gt_i32_e32 vcc, s30, v16
	s_waitcnt vmcnt(0)
	s_nop 0
	v_cndmask_b32_e32 v39, 0, v39, vcc
	v_cmp_gt_i32_e32 vcc, s33, v127
	s_nop 1
	v_cndmask_b32_e32 v38, 0, v38, vcc
	v_cmp_gt_i32_e32 vcc, s30, v15
	s_nop 1
	v_cndmask_b32_e32 v41, 0, v41, vcc
	v_cmp_gt_i32_e32 vcc, s33, v14
	s_nop 1
	v_cndmask_b32_e32 v40, 0, v40, vcc
.LBB44_69:                              ;   in Loop: Header=BB44_50 Depth=1
	s_or_b64 exec, exec, s[14:15]
	v_add_co_u32_e32 v6, vcc, 0x2000, v10
	s_nop 1
	v_addc_co_u32_e32 v7, vcc, 0, v11, vcc
	global_load_dwordx4 v[42:45], v[6:7], off offset:1024
	s_and_saveexec_b64 s[14:15], s[0:1]
	s_cbranch_execz .LBB44_71
; %bb.70:                               ;   in Loop: Header=BB44_50 Depth=1
	v_cmp_gt_i32_e32 vcc, s30, v16
	s_waitcnt vmcnt(0)
	s_nop 0
	v_cndmask_b32_e32 v43, 0, v43, vcc
	v_cmp_gt_i32_e32 vcc, s33, v127
	s_nop 1
	v_cndmask_b32_e32 v42, 0, v42, vcc
	v_cmp_gt_i32_e32 vcc, s30, v15
	s_nop 1
	v_cndmask_b32_e32 v45, 0, v45, vcc
	v_cmp_gt_i32_e32 vcc, s33, v14
	s_nop 1
	v_cndmask_b32_e32 v44, 0, v44, vcc
.LBB44_71:                              ;   in Loop: Header=BB44_50 Depth=1
	s_or_b64 exec, exec, s[14:15]
	v_add_co_u32_e32 v6, vcc, 0x2000, v10
	s_nop 1
	v_addc_co_u32_e32 v7, vcc, 0, v11, vcc
	global_load_dwordx4 v[46:49], v[6:7], off offset:2048
	s_and_saveexec_b64 s[14:15], s[0:1]
	s_cbranch_execz .LBB44_73
; %bb.72:                               ;   in Loop: Header=BB44_50 Depth=1
	v_cmp_gt_i32_e32 vcc, s30, v16
	s_waitcnt vmcnt(0)
	s_nop 0
	v_cndmask_b32_e32 v47, 0, v47, vcc
	v_cmp_gt_i32_e32 vcc, s33, v127
	s_nop 1
	v_cndmask_b32_e32 v46, 0, v46, vcc
	v_cmp_gt_i32_e32 vcc, s30, v15
	s_nop 1
	v_cndmask_b32_e32 v49, 0, v49, vcc
	v_cmp_gt_i32_e32 vcc, s33, v14
	s_nop 1
	v_cndmask_b32_e32 v48, 0, v48, vcc
.LBB44_73:                              ;   in Loop: Header=BB44_50 Depth=1
	s_or_b64 exec, exec, s[14:15]
	v_add_co_u32_e32 v6, vcc, 0x2000, v10
	s_nop 1
	v_addc_co_u32_e32 v7, vcc, 0, v11, vcc
	global_load_dwordx4 v[50:53], v[6:7], off offset:3072
	s_and_saveexec_b64 s[14:15], s[0:1]
	s_cbranch_execz .LBB44_75
; %bb.74:                               ;   in Loop: Header=BB44_50 Depth=1
	v_cmp_gt_i32_e32 vcc, s30, v16
	s_waitcnt vmcnt(0)
	s_nop 0
	v_cndmask_b32_e32 v51, 0, v51, vcc
	v_cmp_gt_i32_e32 vcc, s33, v127
	s_nop 1
	v_cndmask_b32_e32 v50, 0, v50, vcc
	v_cmp_gt_i32_e32 vcc, s30, v15
	;; [unrolled: 3-line block ×3, first 2 shown]
	s_nop 1
	v_cndmask_b32_e32 v52, 0, v52, vcc
.LBB44_75:                              ;   in Loop: Header=BB44_50 Depth=1
	s_or_b64 exec, exec, s[14:15]
	v_add_co_u32_e32 v6, vcc, 0x3000, v10
	s_nop 1
	v_addc_co_u32_e32 v7, vcc, 0, v11, vcc
	global_load_dwordx4 v[54:57], v[6:7], off
	s_and_saveexec_b64 s[14:15], s[0:1]
	s_cbranch_execz .LBB44_77
; %bb.76:                               ;   in Loop: Header=BB44_50 Depth=1
	v_cmp_gt_i32_e32 vcc, s30, v16
	s_waitcnt vmcnt(0)
	s_nop 0
	v_cndmask_b32_e32 v55, 0, v55, vcc
	v_cmp_gt_i32_e32 vcc, s33, v127
	s_nop 1
	v_cndmask_b32_e32 v54, 0, v54, vcc
	v_cmp_gt_i32_e32 vcc, s30, v15
	;; [unrolled: 3-line block ×3, first 2 shown]
	s_nop 1
	v_cndmask_b32_e32 v56, 0, v56, vcc
.LBB44_77:                              ;   in Loop: Header=BB44_50 Depth=1
	s_or_b64 exec, exec, s[14:15]
	v_add_co_u32_e32 v6, vcc, 0x3000, v10
	s_nop 1
	v_addc_co_u32_e32 v7, vcc, 0, v11, vcc
	global_load_dwordx4 v[58:61], v[6:7], off offset:1024
	s_and_saveexec_b64 s[14:15], s[0:1]
	s_cbranch_execz .LBB44_79
; %bb.78:                               ;   in Loop: Header=BB44_50 Depth=1
	v_cmp_gt_i32_e32 vcc, s30, v16
	s_waitcnt vmcnt(0)
	s_nop 0
	v_cndmask_b32_e32 v59, 0, v59, vcc
	v_cmp_gt_i32_e32 vcc, s33, v127
	s_nop 1
	v_cndmask_b32_e32 v58, 0, v58, vcc
	v_cmp_gt_i32_e32 vcc, s30, v15
	;; [unrolled: 3-line block ×3, first 2 shown]
	s_nop 1
	v_cndmask_b32_e32 v60, 0, v60, vcc
.LBB44_79:                              ;   in Loop: Header=BB44_50 Depth=1
	s_or_b64 exec, exec, s[14:15]
	v_add_co_u32_e32 v6, vcc, 0x3000, v10
	s_nop 1
	v_addc_co_u32_e32 v7, vcc, 0, v11, vcc
	global_load_dwordx4 v[62:65], v[6:7], off offset:2048
	s_and_saveexec_b64 s[14:15], s[0:1]
	s_cbranch_execz .LBB44_81
; %bb.80:                               ;   in Loop: Header=BB44_50 Depth=1
	v_cmp_gt_i32_e32 vcc, s30, v16
	s_waitcnt vmcnt(0)
	s_nop 0
	v_cndmask_b32_e32 v63, 0, v63, vcc
	v_cmp_gt_i32_e32 vcc, s33, v127
	s_nop 1
	v_cndmask_b32_e32 v62, 0, v62, vcc
	v_cmp_gt_i32_e32 vcc, s30, v15
	;; [unrolled: 3-line block ×3, first 2 shown]
	s_nop 1
	v_cndmask_b32_e32 v64, 0, v64, vcc
.LBB44_81:                              ;   in Loop: Header=BB44_50 Depth=1
	s_or_b64 exec, exec, s[14:15]
	scratch_load_dwordx2 v[6:7], off, off offset:4 ; 8-byte Folded Reload
	s_waitcnt vmcnt(0)
	v_lshl_add_u64 v[6:7], v[12:13], 0, v[6:7]
	global_load_dwordx4 v[66:69], v[6:7], off
	s_nop 0
	scratch_store_dwordx2 off, v[12:13], off offset:208 ; 8-byte Folded Spill
	s_and_saveexec_b64 s[14:15], s[0:1]
	s_cbranch_execz .LBB44_83
; %bb.82:                               ;   in Loop: Header=BB44_50 Depth=1
	v_cmp_gt_i32_e32 vcc, s30, v16
	s_waitcnt vmcnt(1)
	s_nop 0
	v_cndmask_b32_e32 v67, 0, v67, vcc
	v_cmp_gt_i32_e32 vcc, s33, v127
	s_nop 1
	v_cndmask_b32_e32 v66, 0, v66, vcc
	v_cmp_gt_i32_e32 vcc, s30, v15
	;; [unrolled: 3-line block ×3, first 2 shown]
	s_nop 1
	v_cndmask_b32_e32 v68, 0, v68, vcc
.LBB44_83:                              ;   in Loop: Header=BB44_50 Depth=1
	s_or_b64 exec, exec, s[14:15]
	v_add_co_u32_e32 v6, vcc, 0x4000, v10
	s_nop 1
	v_addc_co_u32_e32 v7, vcc, 0, v11, vcc
	global_load_dwordx4 v[70:73], v[6:7], off
	s_and_saveexec_b64 s[14:15], s[0:1]
	s_cbranch_execz .LBB44_85
; %bb.84:                               ;   in Loop: Header=BB44_50 Depth=1
	v_cmp_gt_i32_e32 vcc, s30, v16
	s_waitcnt vmcnt(0)
	s_nop 0
	v_cndmask_b32_e32 v71, 0, v71, vcc
	v_cmp_gt_i32_e32 vcc, s33, v127
	s_nop 1
	v_cndmask_b32_e32 v70, 0, v70, vcc
	v_cmp_gt_i32_e32 vcc, s30, v15
	s_nop 1
	v_cndmask_b32_e32 v73, 0, v73, vcc
	v_cmp_gt_i32_e32 vcc, s33, v14
	s_nop 1
	v_cndmask_b32_e32 v72, 0, v72, vcc
.LBB44_85:                              ;   in Loop: Header=BB44_50 Depth=1
	s_or_b64 exec, exec, s[14:15]
	v_add_co_u32_e32 v6, vcc, 0x4000, v10
	s_nop 1
	v_addc_co_u32_e32 v7, vcc, 0, v11, vcc
	global_load_dwordx4 v[74:77], v[6:7], off offset:1024
	s_and_saveexec_b64 s[14:15], s[0:1]
	s_cbranch_execz .LBB44_87
; %bb.86:                               ;   in Loop: Header=BB44_50 Depth=1
	v_cmp_gt_i32_e32 vcc, s30, v16
	s_waitcnt vmcnt(0)
	s_nop 0
	v_cndmask_b32_e32 v75, 0, v75, vcc
	v_cmp_gt_i32_e32 vcc, s33, v127
	s_nop 1
	v_cndmask_b32_e32 v74, 0, v74, vcc
	v_cmp_gt_i32_e32 vcc, s30, v15
	s_nop 1
	v_cndmask_b32_e32 v77, 0, v77, vcc
	v_cmp_gt_i32_e32 vcc, s33, v14
	s_nop 1
	v_cndmask_b32_e32 v76, 0, v76, vcc
.LBB44_87:                              ;   in Loop: Header=BB44_50 Depth=1
	s_or_b64 exec, exec, s[14:15]
	v_add_co_u32_e32 v6, vcc, 0x4000, v10
	s_nop 1
	v_addc_co_u32_e32 v7, vcc, 0, v11, vcc
	global_load_dwordx4 v[78:81], v[6:7], off offset:2048
	;; [unrolled: 22-line block ×3, first 2 shown]
	s_and_saveexec_b64 s[14:15], s[0:1]
	s_cbranch_execz .LBB44_91
; %bb.90:                               ;   in Loop: Header=BB44_50 Depth=1
	v_cmp_gt_i32_e32 vcc, s30, v16
	s_waitcnt vmcnt(0)
	s_nop 0
	v_cndmask_b32_e32 v83, 0, v83, vcc
	v_cmp_gt_i32_e32 vcc, s33, v127
	s_nop 1
	v_cndmask_b32_e32 v82, 0, v82, vcc
	v_cmp_gt_i32_e32 vcc, s30, v15
	;; [unrolled: 3-line block ×3, first 2 shown]
	s_nop 1
	v_cndmask_b32_e32 v84, 0, v84, vcc
.LBB44_91:                              ;   in Loop: Header=BB44_50 Depth=1
	s_or_b64 exec, exec, s[14:15]
	v_add_co_u32_e32 v6, vcc, 0x5000, v10
	s_nop 1
	v_addc_co_u32_e32 v7, vcc, 0, v11, vcc
	global_load_dwordx4 v[86:89], v[6:7], off
	s_and_saveexec_b64 s[14:15], s[0:1]
	s_cbranch_execz .LBB44_93
; %bb.92:                               ;   in Loop: Header=BB44_50 Depth=1
	v_cmp_gt_i32_e32 vcc, s30, v16
	s_waitcnt vmcnt(0)
	s_nop 0
	v_cndmask_b32_e32 v87, 0, v87, vcc
	v_cmp_gt_i32_e32 vcc, s33, v127
	s_nop 1
	v_cndmask_b32_e32 v86, 0, v86, vcc
	v_cmp_gt_i32_e32 vcc, s30, v15
	s_nop 1
	v_cndmask_b32_e32 v89, 0, v89, vcc
	v_cmp_gt_i32_e32 vcc, s33, v14
	s_nop 1
	v_cndmask_b32_e32 v88, 0, v88, vcc
.LBB44_93:                              ;   in Loop: Header=BB44_50 Depth=1
	s_or_b64 exec, exec, s[14:15]
	v_add_co_u32_e32 v6, vcc, 0x5000, v10
	s_nop 1
	v_addc_co_u32_e32 v7, vcc, 0, v11, vcc
	global_load_dwordx4 v[90:93], v[6:7], off offset:1024
	s_and_saveexec_b64 s[14:15], s[0:1]
	s_cbranch_execz .LBB44_95
; %bb.94:                               ;   in Loop: Header=BB44_50 Depth=1
	v_cmp_gt_i32_e32 vcc, s30, v16
	s_waitcnt vmcnt(0)
	s_nop 0
	v_cndmask_b32_e32 v91, 0, v91, vcc
	v_cmp_gt_i32_e32 vcc, s33, v127
	s_nop 1
	v_cndmask_b32_e32 v90, 0, v90, vcc
	v_cmp_gt_i32_e32 vcc, s30, v15
	s_nop 1
	v_cndmask_b32_e32 v93, 0, v93, vcc
	v_cmp_gt_i32_e32 vcc, s33, v14
	s_nop 1
	v_cndmask_b32_e32 v92, 0, v92, vcc
.LBB44_95:                              ;   in Loop: Header=BB44_50 Depth=1
	s_or_b64 exec, exec, s[14:15]
	v_add_co_u32_e32 v6, vcc, 0x5000, v10
	s_nop 1
	v_addc_co_u32_e32 v7, vcc, 0, v11, vcc
	global_load_dwordx4 v[94:97], v[6:7], off offset:2048
	s_and_saveexec_b64 s[14:15], s[0:1]
	s_cbranch_execz .LBB44_97
; %bb.96:                               ;   in Loop: Header=BB44_50 Depth=1
	v_cmp_gt_i32_e32 vcc, s30, v16
	s_waitcnt vmcnt(0)
	s_nop 0
	v_cndmask_b32_e32 v95, 0, v95, vcc
	v_cmp_gt_i32_e32 vcc, s33, v127
	s_nop 1
	v_cndmask_b32_e32 v94, 0, v94, vcc
	v_cmp_gt_i32_e32 vcc, s30, v15
	s_nop 1
	v_cndmask_b32_e32 v97, 0, v97, vcc
	v_cmp_gt_i32_e32 vcc, s33, v14
	s_nop 1
	v_cndmask_b32_e32 v96, 0, v96, vcc
.LBB44_97:                              ;   in Loop: Header=BB44_50 Depth=1
	s_or_b64 exec, exec, s[14:15]
	v_add_co_u32_e32 v6, vcc, 0x5000, v10
	s_nop 1
	v_addc_co_u32_e32 v7, vcc, 0, v11, vcc
	global_load_dwordx4 v[98:101], v[6:7], off offset:3072
	s_and_saveexec_b64 s[14:15], s[0:1]
	s_cbranch_execz .LBB44_99
; %bb.98:                               ;   in Loop: Header=BB44_50 Depth=1
	v_cmp_gt_i32_e32 vcc, s30, v16
	s_waitcnt vmcnt(0)
	s_nop 0
	v_cndmask_b32_e32 v99, 0, v99, vcc
	v_cmp_gt_i32_e32 vcc, s33, v127
	s_nop 1
	v_cndmask_b32_e32 v98, 0, v98, vcc
	v_cmp_gt_i32_e32 vcc, s30, v15
	s_nop 1
	v_cndmask_b32_e32 v101, 0, v101, vcc
	v_cmp_gt_i32_e32 vcc, s33, v14
	s_nop 1
	v_cndmask_b32_e32 v100, 0, v100, vcc
.LBB44_99:                              ;   in Loop: Header=BB44_50 Depth=1
	s_or_b64 exec, exec, s[14:15]
	v_add_co_u32_e32 v6, vcc, 0x6000, v10
	s_nop 1
	v_addc_co_u32_e32 v7, vcc, 0, v11, vcc
	global_load_dwordx4 v[102:105], v[6:7], off
	s_and_saveexec_b64 s[14:15], s[0:1]
	s_cbranch_execz .LBB44_101
; %bb.100:                              ;   in Loop: Header=BB44_50 Depth=1
	v_cmp_gt_i32_e32 vcc, s30, v16
	s_waitcnt vmcnt(0)
	s_nop 0
	v_cndmask_b32_e32 v103, 0, v103, vcc
	v_cmp_gt_i32_e32 vcc, s33, v127
	s_nop 1
	v_cndmask_b32_e32 v102, 0, v102, vcc
	v_cmp_gt_i32_e32 vcc, s30, v15
	s_nop 1
	v_cndmask_b32_e32 v105, 0, v105, vcc
	v_cmp_gt_i32_e32 vcc, s33, v14
	s_nop 1
	v_cndmask_b32_e32 v104, 0, v104, vcc
.LBB44_101:                             ;   in Loop: Header=BB44_50 Depth=1
	s_or_b64 exec, exec, s[14:15]
	v_add_co_u32_e32 v6, vcc, 0x6000, v10
	s_nop 1
	v_addc_co_u32_e32 v7, vcc, 0, v11, vcc
	global_load_dwordx4 v[106:109], v[6:7], off offset:1024
	s_and_saveexec_b64 s[14:15], s[0:1]
	s_cbranch_execz .LBB44_103
; %bb.102:                              ;   in Loop: Header=BB44_50 Depth=1
	v_cmp_gt_i32_e32 vcc, s30, v16
	s_waitcnt vmcnt(0)
	s_nop 0
	v_cndmask_b32_e32 v107, 0, v107, vcc
	v_cmp_gt_i32_e32 vcc, s33, v127
	s_nop 1
	v_cndmask_b32_e32 v106, 0, v106, vcc
	v_cmp_gt_i32_e32 vcc, s30, v15
	s_nop 1
	v_cndmask_b32_e32 v109, 0, v109, vcc
	v_cmp_gt_i32_e32 vcc, s33, v14
	s_nop 1
	v_cndmask_b32_e32 v108, 0, v108, vcc
.LBB44_103:                             ;   in Loop: Header=BB44_50 Depth=1
	s_or_b64 exec, exec, s[14:15]
	v_add_co_u32_e32 v6, vcc, 0x6000, v10
	s_nop 1
	v_addc_co_u32_e32 v7, vcc, 0, v11, vcc
	global_load_dwordx4 v[114:117], v[6:7], off offset:2048
	;; [unrolled: 22-line block ×3, first 2 shown]
	s_and_saveexec_b64 s[14:15], s[0:1]
	s_cbranch_execz .LBB44_107
; %bb.106:                              ;   in Loop: Header=BB44_50 Depth=1
	v_cmp_gt_i32_e32 vcc, s30, v16
	s_waitcnt vmcnt(0)
	s_nop 0
	v_cndmask_b32_e32 v119, 0, v119, vcc
	v_cmp_gt_i32_e32 vcc, s33, v127
	s_nop 1
	v_cndmask_b32_e32 v118, 0, v118, vcc
	v_cmp_gt_i32_e32 vcc, s30, v15
	;; [unrolled: 3-line block ×3, first 2 shown]
	s_nop 1
	v_cndmask_b32_e32 v120, 0, v120, vcc
.LBB44_107:                             ;   in Loop: Header=BB44_50 Depth=1
	s_or_b64 exec, exec, s[14:15]
	v_add_co_u32_e32 v6, vcc, 0x7000, v10
	s_nop 1
	v_addc_co_u32_e32 v7, vcc, 0, v11, vcc
	global_load_dwordx4 v[122:125], v[6:7], off
	s_and_saveexec_b64 s[14:15], s[0:1]
	s_cbranch_execz .LBB44_109
; %bb.108:                              ;   in Loop: Header=BB44_50 Depth=1
	v_cmp_gt_i32_e32 vcc, s30, v16
	s_waitcnt vmcnt(0)
	s_nop 0
	v_cndmask_b32_e32 v123, 0, v123, vcc
	v_cmp_gt_i32_e32 vcc, s33, v127
	s_nop 1
	v_cndmask_b32_e32 v122, 0, v122, vcc
	v_cmp_gt_i32_e32 vcc, s30, v15
	s_nop 1
	v_cndmask_b32_e32 v125, 0, v125, vcc
	v_cmp_gt_i32_e32 vcc, s33, v14
	s_nop 1
	v_cndmask_b32_e32 v124, 0, v124, vcc
.LBB44_109:                             ;   in Loop: Header=BB44_50 Depth=1
	s_or_b64 exec, exec, s[14:15]
	v_add_co_u32_e32 v6, vcc, 0x7000, v10
	s_nop 1
	v_addc_co_u32_e32 v7, vcc, 0, v11, vcc
	global_load_dwordx4 v[6:9], v[6:7], off offset:1024
	s_and_saveexec_b64 s[14:15], s[0:1]
	s_cbranch_execz .LBB44_111
; %bb.110:                              ;   in Loop: Header=BB44_50 Depth=1
	v_cmp_gt_i32_e32 vcc, s30, v16
	s_waitcnt vmcnt(0)
	s_nop 0
	v_cndmask_b32_e32 v7, 0, v7, vcc
	v_cmp_gt_i32_e32 vcc, s33, v127
	s_nop 1
	v_cndmask_b32_e32 v6, 0, v6, vcc
	v_cmp_gt_i32_e32 vcc, s30, v15
	;; [unrolled: 3-line block ×3, first 2 shown]
	s_nop 1
	v_cndmask_b32_e32 v8, 0, v8, vcc
.LBB44_111:                             ;   in Loop: Header=BB44_50 Depth=1
	s_or_b64 exec, exec, s[14:15]
	v_add_co_u32_e32 v10, vcc, 0x7000, v10
	s_nop 1
	v_addc_co_u32_e32 v11, vcc, 0, v11, vcc
	global_load_dwordx4 v[10:13], v[10:11], off offset:2048
	s_and_saveexec_b64 s[14:15], s[0:1]
	s_cbranch_execz .LBB44_113
; %bb.112:                              ;   in Loop: Header=BB44_50 Depth=1
	v_cmp_gt_i32_e32 vcc, s30, v16
	s_waitcnt vmcnt(0)
	s_nop 0
	v_cndmask_b32_e32 v11, 0, v11, vcc
	v_cmp_gt_i32_e32 vcc, s33, v127
	s_nop 1
	v_cndmask_b32_e32 v10, 0, v10, vcc
	v_cmp_gt_i32_e32 vcc, s30, v15
	;; [unrolled: 3-line block ×3, first 2 shown]
	s_nop 1
	v_cndmask_b32_e32 v12, 0, v12, vcc
.LBB44_113:                             ;   in Loop: Header=BB44_50 Depth=1
	s_or_b64 exec, exec, s[14:15]
	scratch_load_dwordx2 v[112:113], off, off offset:4 ; 8-byte Folded Reload
	scratch_load_dwordx2 v[110:111], off, off offset:184 ; 8-byte Folded Reload
	s_waitcnt vmcnt(0)
	v_mov_b32_e32 v112, v110
	scratch_store_dwordx2 off, v[110:111], off offset:184 ; 8-byte Folded Spill
	scratch_load_dwordx2 v[110:111], off, off offset:208 ; 8-byte Folded Reload
	s_waitcnt vmcnt(0)
	v_lshl_add_u64 v[110:111], v[110:111], 0, v[112:113]
	global_load_dwordx4 v[110:113], v[110:111], off
	s_and_saveexec_b64 s[14:15], s[0:1]
	s_cbranch_execz .LBB44_48
; %bb.114:                              ;   in Loop: Header=BB44_50 Depth=1
	v_cmp_gt_i32_e32 vcc, s30, v16
	s_waitcnt vmcnt(0)
	s_nop 0
	v_cndmask_b32_e32 v111, 0, v111, vcc
	v_cmp_gt_i32_e32 vcc, s33, v127
	s_nop 1
	v_cndmask_b32_e32 v110, 0, v110, vcc
	v_cmp_gt_i32_e32 vcc, s30, v15
	s_nop 1
	v_cndmask_b32_e32 v113, 0, v113, vcc
	v_cmp_gt_i32_e32 vcc, s33, v14
	s_nop 1
	v_cndmask_b32_e32 v112, 0, v112, vcc
	s_branch .LBB44_48
.LBB44_115:
	s_or_b64 exec, exec, s[8:9]
	scratch_load_dword v75, off, off offset:220 ; 4-byte Folded Reload
	scratch_load_dword v44, off, off offset:224 ; 4-byte Folded Reload
	;; [unrolled: 1-line block ×6, first 2 shown]
	scratch_load_dwordx2 v[48:49], off, off offset:60 ; 8-byte Folded Reload
	scratch_load_dwordx2 v[38:39], off, off offset:68 ; 8-byte Folded Reload
	;; [unrolled: 1-line block ×14, first 2 shown]
.LBB44_116:
	s_or_b64 exec, exec, s[2:3]
	s_waitcnt vmcnt(1)
	ds_bpermute_b32 v2, v37, v6
	ds_bpermute_b32 v3, v37, v7
	s_waitcnt vmcnt(0)
	ds_bpermute_b32 v0, v37, v4
	ds_bpermute_b32 v1, v37, v5
	;; [unrolled: 1-line block ×4, first 2 shown]
	s_waitcnt lgkmcnt(4)
	v_pk_add_f32 v[2:3], v[6:7], v[2:3]
	ds_bpermute_b32 v6, v43, v2
	ds_bpermute_b32 v7, v43, v3
	s_waitcnt lgkmcnt(4)
	v_pk_add_f32 v[0:1], v[4:5], v[0:1]
	ds_bpermute_b32 v4, v43, v0
	ds_bpermute_b32 v5, v43, v1
	;; [unrolled: 1-line block ×3, first 2 shown]
	s_waitcnt lgkmcnt(3)
	v_pk_add_f32 v[2:3], v[2:3], v[6:7]
	v_pk_add_f32 v[6:7], v[10:11], v[8:9]
	ds_bpermute_b32 v8, v43, v6
	ds_bpermute_b32 v9, v43, v7
	;; [unrolled: 1-line block ×3, first 2 shown]
	s_waitcnt lgkmcnt(4)
	v_pk_add_f32 v[0:1], v[0:1], v[4:5]
	ds_bpermute_b32 v4, v45, v0
	ds_bpermute_b32 v5, v45, v1
	s_waitcnt lgkmcnt(3)
	v_pk_add_f32 v[6:7], v[6:7], v[8:9]
	s_waitcnt lgkmcnt(2)
	v_pk_add_f32 v[12:13], v[14:15], v[12:13]
	ds_bpermute_b32 v8, v45, v6
	ds_bpermute_b32 v9, v45, v7
	;; [unrolled: 1-line block ×4, first 2 shown]
	s_waitcnt lgkmcnt(4)
	v_pk_add_f32 v[4:5], v[0:1], v[4:5]
	ds_bpermute_b32 v10, v45, v2
	s_waitcnt lgkmcnt(3)
	v_pk_add_f32 v[0:1], v[6:7], v[8:9]
	ds_bpermute_b32 v8, v37, v18
	;; [unrolled: 3-line block ×3, first 2 shown]
	ds_bpermute_b32 v12, v37, v16
	ds_bpermute_b32 v13, v37, v17
	;; [unrolled: 1-line block ×4, first 2 shown]
	s_waitcnt lgkmcnt(4)
	v_pk_add_f32 v[8:9], v[18:19], v[8:9]
	ds_bpermute_b32 v14, v43, v8
	s_waitcnt lgkmcnt(3)
	v_pk_add_f32 v[12:13], v[16:17], v[12:13]
	ds_bpermute_b32 v15, v43, v9
	ds_bpermute_b32 v16, v43, v12
	;; [unrolled: 1-line block ×5, first 2 shown]
	s_waitcnt lgkmcnt(4)
	v_pk_add_f32 v[8:9], v[8:9], v[14:15]
	v_pk_add_f32 v[2:3], v[2:3], v[10:11]
	s_waitcnt lgkmcnt(2)
	v_pk_add_f32 v[16:17], v[12:13], v[16:17]
	ds_bpermute_b32 v10, v45, v6
	s_waitcnt lgkmcnt(1)
	v_pk_add_f32 v[12:13], v[20:21], v[18:19]
	ds_bpermute_b32 v11, v45, v7
	ds_bpermute_b32 v14, v45, v8
	;; [unrolled: 1-line block ×8, first 2 shown]
	s_waitcnt lgkmcnt(0)
	v_pk_add_f32 v[18:19], v[12:13], v[18:19]
	v_pk_add_f32 v[12:13], v[6:7], v[10:11]
	;; [unrolled: 1-line block ×5, first 2 shown]
	ds_bpermute_b32 v16, v37, v32
	ds_bpermute_b32 v17, v37, v33
	ds_bpermute_b32 v20, v37, v30
	ds_bpermute_b32 v21, v37, v31
	ds_bpermute_b32 v24, v45, v18
	ds_bpermute_b32 v25, v45, v19
	ds_bpermute_b32 v26, v43, v22
	ds_bpermute_b32 v27, v43, v23
	s_waitcnt lgkmcnt(6)
	v_pk_add_f32 v[16:17], v[32:33], v[16:17]
	s_waitcnt lgkmcnt(4)
	v_pk_add_f32 v[20:21], v[30:31], v[20:21]
	;; [unrolled: 2-line block ×3, first 2 shown]
	ds_bpermute_b32 v24, v43, v20
	s_waitcnt lgkmcnt(1)
	v_pk_add_f32 v[14:15], v[22:23], v[26:27]
	ds_bpermute_b32 v22, v43, v16
	ds_bpermute_b32 v23, v43, v17
	;; [unrolled: 1-line block ×6, first 2 shown]
	s_waitcnt lgkmcnt(4)
	v_pk_add_f32 v[16:17], v[16:17], v[22:23]
	s_waitcnt lgkmcnt(3)
	v_pk_add_f32 v[24:25], v[20:21], v[24:25]
	ds_bpermute_b32 v19, v45, v15
	s_waitcnt lgkmcnt(2)
	v_pk_add_f32 v[20:21], v[28:29], v[26:27]
	ds_bpermute_b32 v22, v45, v16
	ds_bpermute_b32 v23, v45, v17
	;; [unrolled: 1-line block ×8, first 2 shown]
	s_waitcnt lgkmcnt(4)
	v_pk_add_f32 v[26:27], v[20:21], v[26:27]
	v_pk_add_f32 v[20:21], v[14:15], v[18:19]
	;; [unrolled: 1-line block ×3, first 2 shown]
	s_waitcnt lgkmcnt(1)
	v_pk_add_f32 v[30:31], v[34:35], v[30:31]
	s_waitcnt lgkmcnt(0)
	v_pk_add_f32 v[16:17], v[24:25], v[28:29]
	ds_bpermute_b32 v28, v37, v40
	ds_bpermute_b32 v29, v37, v41
	;; [unrolled: 1-line block ×8, first 2 shown]
	s_waitcnt lgkmcnt(6)
	v_pk_add_f32 v[28:29], v[40:41], v[28:29]
	s_waitcnt lgkmcnt(4)
	v_pk_add_f32 v[14:15], v[26:27], v[32:33]
	;; [unrolled: 2-line block ×3, first 2 shown]
	ds_bpermute_b32 v32, v43, v28
	ds_bpermute_b32 v33, v43, v29
	ds_bpermute_b32 v34, v37, v38
	ds_bpermute_b32 v35, v37, v39
	s_waitcnt lgkmcnt(4)
	v_pk_add_f32 v[24:25], v[50:51], v[24:25]
	ds_bpermute_b32 v30, v43, v24
	ds_bpermute_b32 v31, v43, v25
	s_waitcnt lgkmcnt(4)
	v_pk_add_f32 v[32:33], v[28:29], v[32:33]
	s_waitcnt lgkmcnt(2)
	v_pk_add_f32 v[28:29], v[38:39], v[34:35]
	ds_bpermute_b32 v38, v37, v48
	ds_bpermute_b32 v39, v37, v49
	ds_bpermute_b32 v34, v43, v28
	ds_bpermute_b32 v35, v43, v29
	s_waitcnt lgkmcnt(4)
	v_pk_add_f32 v[24:25], v[24:25], v[30:31]
	ds_bpermute_b32 v26, v45, v22
	s_waitcnt lgkmcnt(3)
	v_pk_add_f32 v[38:39], v[48:49], v[38:39]
	ds_bpermute_b32 v27, v45, v23
	ds_bpermute_b32 v30, v45, v24
	;; [unrolled: 1-line block ×7, first 2 shown]
	s_waitcnt lgkmcnt(8)
	v_pk_add_f32 v[34:35], v[28:29], v[34:35]
	ds_bpermute_b32 v40, v45, v34
	ds_bpermute_b32 v41, v45, v35
	s_waitcnt lgkmcnt(8)
	v_pk_add_f32 v[28:29], v[22:23], v[26:27]
	s_waitcnt lgkmcnt(6)
	v_pk_add_f32 v[26:27], v[24:25], v[30:31]
	;; [unrolled: 2-line block ×4, first 2 shown]
	ds_bpermute_b32 v32, v45, v30
	ds_bpermute_b32 v33, v45, v31
	s_waitcnt lgkmcnt(2)
	v_pk_add_f32 v[22:23], v[34:35], v[40:41]
	v_and_b32_e32 v34, 0x3c7, v75
	v_cmp_ne_u32_e32 vcc, 64, v34
	s_barrier
	s_waitcnt lgkmcnt(0)
	s_and_saveexec_b64 s[0:1], vcc
	s_xor_b64 s[0:1], exec, s[0:1]
; %bb.117:
                                        ; implicit-def: $vgpr44
; %bb.118:
	s_or_saveexec_b64 s[0:1], s[0:1]
	v_pk_add_f32 v[30:31], v[30:31], v[32:33]
	s_xor_b64 exec, exec, s[0:1]
	s_cbranch_execz .LBB44_120
; %bb.119:
	v_lshrrev_b32_e32 v32, 1, v44
	v_add_u32_e32 v32, 0x410, v32
	ds_write2_b32 v32, v4, v5 offset1:8
	ds_write2_b32 v32, v2, v3 offset0:16 offset1:24
	ds_write2_b32 v32, v0, v1 offset0:32 offset1:40
	;; [unrolled: 1-line block ×15, first 2 shown]
.LBB44_120:
	s_or_b64 exec, exec, s[0:1]
	v_cmp_gt_u32_e32 vcc, 64, v75
	v_lshrrev_b32_e32 v32, 3, v75
	s_waitcnt lgkmcnt(0)
	s_barrier
	s_and_saveexec_b64 s[0:1], vcc
	s_cbranch_execz .LBB44_155
; %bb.121:
	v_mov_b32_e32 v33, 0x410
	v_cmp_eq_u32_e32 vcc, 0, v46
	v_lshl_add_u32 v33, v32, 2, v33
	s_and_saveexec_b64 s[2:3], vcc
	s_cbranch_execnz .LBB44_158
; %bb.122:
	s_or_b64 exec, exec, s[2:3]
	s_and_saveexec_b64 s[2:3], vcc
	s_cbranch_execnz .LBB44_159
.LBB44_123:
	s_or_b64 exec, exec, s[2:3]
	s_and_saveexec_b64 s[2:3], vcc
	s_cbranch_execnz .LBB44_160
.LBB44_124:
	s_or_b64 exec, exec, s[2:3]
	s_and_saveexec_b64 s[2:3], vcc
	s_cbranch_execnz .LBB44_161
.LBB44_125:
	s_or_b64 exec, exec, s[2:3]
	s_and_saveexec_b64 s[2:3], vcc
	s_cbranch_execnz .LBB44_162
.LBB44_126:
	s_or_b64 exec, exec, s[2:3]
	s_and_saveexec_b64 s[2:3], vcc
	s_cbranch_execnz .LBB44_163
.LBB44_127:
	s_or_b64 exec, exec, s[2:3]
	s_and_saveexec_b64 s[2:3], vcc
	s_cbranch_execnz .LBB44_164
.LBB44_128:
	s_or_b64 exec, exec, s[2:3]
	s_and_saveexec_b64 s[2:3], vcc
	s_cbranch_execnz .LBB44_165
.LBB44_129:
	s_or_b64 exec, exec, s[2:3]
	s_and_saveexec_b64 s[2:3], vcc
	s_cbranch_execnz .LBB44_166
.LBB44_130:
	s_or_b64 exec, exec, s[2:3]
	s_and_saveexec_b64 s[2:3], vcc
	s_cbranch_execnz .LBB44_167
.LBB44_131:
	s_or_b64 exec, exec, s[2:3]
	s_and_saveexec_b64 s[2:3], vcc
	s_cbranch_execnz .LBB44_168
.LBB44_132:
	s_or_b64 exec, exec, s[2:3]
	s_and_saveexec_b64 s[2:3], vcc
	s_cbranch_execnz .LBB44_169
.LBB44_133:
	s_or_b64 exec, exec, s[2:3]
	s_and_saveexec_b64 s[2:3], vcc
	s_cbranch_execnz .LBB44_170
.LBB44_134:
	s_or_b64 exec, exec, s[2:3]
	s_and_saveexec_b64 s[2:3], vcc
	s_cbranch_execnz .LBB44_171
.LBB44_135:
	s_or_b64 exec, exec, s[2:3]
	s_and_saveexec_b64 s[2:3], vcc
	s_cbranch_execnz .LBB44_172
.LBB44_136:
	s_or_b64 exec, exec, s[2:3]
	s_and_saveexec_b64 s[2:3], vcc
	s_cbranch_execnz .LBB44_173
.LBB44_137:
	s_or_b64 exec, exec, s[2:3]
	s_and_saveexec_b64 s[2:3], vcc
	s_cbranch_execnz .LBB44_174
.LBB44_138:
	s_or_b64 exec, exec, s[2:3]
	s_and_saveexec_b64 s[2:3], vcc
	s_cbranch_execnz .LBB44_175
.LBB44_139:
	s_or_b64 exec, exec, s[2:3]
	s_and_saveexec_b64 s[2:3], vcc
	s_cbranch_execnz .LBB44_176
.LBB44_140:
	s_or_b64 exec, exec, s[2:3]
	s_and_saveexec_b64 s[2:3], vcc
	s_cbranch_execnz .LBB44_177
.LBB44_141:
	s_or_b64 exec, exec, s[2:3]
	s_and_saveexec_b64 s[2:3], vcc
	s_cbranch_execnz .LBB44_178
.LBB44_142:
	s_or_b64 exec, exec, s[2:3]
	s_and_saveexec_b64 s[2:3], vcc
	s_cbranch_execnz .LBB44_179
.LBB44_143:
	s_or_b64 exec, exec, s[2:3]
	s_and_saveexec_b64 s[2:3], vcc
	s_cbranch_execnz .LBB44_180
.LBB44_144:
	s_or_b64 exec, exec, s[2:3]
	s_and_saveexec_b64 s[2:3], vcc
	s_cbranch_execnz .LBB44_181
.LBB44_145:
	s_or_b64 exec, exec, s[2:3]
	s_and_saveexec_b64 s[2:3], vcc
	s_cbranch_execnz .LBB44_182
.LBB44_146:
	s_or_b64 exec, exec, s[2:3]
	s_and_saveexec_b64 s[2:3], vcc
	s_cbranch_execnz .LBB44_183
.LBB44_147:
	s_or_b64 exec, exec, s[2:3]
	s_and_saveexec_b64 s[2:3], vcc
	s_cbranch_execnz .LBB44_184
.LBB44_148:
	s_or_b64 exec, exec, s[2:3]
	s_and_saveexec_b64 s[2:3], vcc
	s_cbranch_execnz .LBB44_185
.LBB44_149:
	s_or_b64 exec, exec, s[2:3]
	s_and_saveexec_b64 s[2:3], vcc
	s_cbranch_execnz .LBB44_186
.LBB44_150:
	s_or_b64 exec, exec, s[2:3]
	s_and_saveexec_b64 s[2:3], vcc
	s_cbranch_execnz .LBB44_187
.LBB44_151:
	s_or_b64 exec, exec, s[2:3]
	s_and_saveexec_b64 s[2:3], vcc
	s_cbranch_execnz .LBB44_188
.LBB44_152:
	s_or_b64 exec, exec, s[2:3]
	s_and_saveexec_b64 s[2:3], vcc
	s_cbranch_execz .LBB44_154
.LBB44_153:
	ds_read_b32 v33, v33 offset:992
	s_waitcnt lgkmcnt(0)
	v_add_f32_e32 v31, v31, v33
.LBB44_154:
	s_or_b64 exec, exec, s[2:3]
.LBB44_155:
	s_or_b64 exec, exec, s[0:1]
	v_cmp_eq_u32_e32 vcc, 0, v34
	s_barrier
	s_and_saveexec_b64 s[0:1], vcc
	s_cbranch_execz .LBB44_157
; %bb.156:
	s_mul_i32 s0, s10, s11
	s_mul_i32 s0, s0, s5
	s_lshl_b32 s0, s0, 8
	s_ashr_i32 s1, s0, 31
	s_lshl_b64 s[0:1], s[0:1], 2
	s_add_u32 s2, s22, s0
	s_mul_i32 s0, s11, s20
	s_addc_u32 s3, s23, s1
	s_ashr_i32 s1, s0, 31
	s_lshl_b64 s[0:1], s[0:1], 2
	s_add_u32 s2, s2, s0
	s_addc_u32 s3, s3, s1
	s_lshl_b32 s0, s4, 8
	s_ashr_i32 s1, s0, 31
	s_lshl_b64 s[0:1], s[0:1], 2
	s_add_u32 s0, s2, s0
	s_addc_u32 s1, s3, s1
	v_lshlrev_b32_e32 v32, 2, v32
	global_store_dword v32, v4, s[0:1]
	global_store_dword v32, v5, s[0:1] offset:32
	global_store_dword v32, v2, s[0:1] offset:64
	;; [unrolled: 1-line block ×31, first 2 shown]
.LBB44_157:
	s_endpgm
.LBB44_158:
	ds_read_b32 v35, v33
	s_waitcnt lgkmcnt(0)
	v_add_f32_e32 v4, v4, v35
	s_or_b64 exec, exec, s[2:3]
	s_and_saveexec_b64 s[2:3], vcc
	s_cbranch_execz .LBB44_123
.LBB44_159:
	ds_read_b32 v35, v33 offset:32
	s_waitcnt lgkmcnt(0)
	v_add_f32_e32 v5, v5, v35
	s_or_b64 exec, exec, s[2:3]
	s_and_saveexec_b64 s[2:3], vcc
	s_cbranch_execz .LBB44_124
.LBB44_160:
	ds_read_b32 v35, v33 offset:64
	s_waitcnt lgkmcnt(0)
	v_add_f32_e32 v2, v2, v35
	s_or_b64 exec, exec, s[2:3]
	s_and_saveexec_b64 s[2:3], vcc
	s_cbranch_execz .LBB44_125
.LBB44_161:
	ds_read_b32 v35, v33 offset:96
	s_waitcnt lgkmcnt(0)
	v_add_f32_e32 v3, v3, v35
	s_or_b64 exec, exec, s[2:3]
	s_and_saveexec_b64 s[2:3], vcc
	s_cbranch_execz .LBB44_126
.LBB44_162:
	ds_read_b32 v35, v33 offset:128
	s_waitcnt lgkmcnt(0)
	v_add_f32_e32 v0, v0, v35
	s_or_b64 exec, exec, s[2:3]
	s_and_saveexec_b64 s[2:3], vcc
	s_cbranch_execz .LBB44_127
.LBB44_163:
	ds_read_b32 v35, v33 offset:160
	s_waitcnt lgkmcnt(0)
	v_add_f32_e32 v1, v1, v35
	s_or_b64 exec, exec, s[2:3]
	s_and_saveexec_b64 s[2:3], vcc
	s_cbranch_execz .LBB44_128
.LBB44_164:
	ds_read_b32 v35, v33 offset:192
	s_waitcnt lgkmcnt(0)
	v_add_f32_e32 v12, v12, v35
	s_or_b64 exec, exec, s[2:3]
	s_and_saveexec_b64 s[2:3], vcc
	s_cbranch_execz .LBB44_129
.LBB44_165:
	ds_read_b32 v35, v33 offset:224
	s_waitcnt lgkmcnt(0)
	v_add_f32_e32 v13, v13, v35
	s_or_b64 exec, exec, s[2:3]
	s_and_saveexec_b64 s[2:3], vcc
	s_cbranch_execz .LBB44_130
.LBB44_166:
	ds_read_b32 v35, v33 offset:256
	s_waitcnt lgkmcnt(0)
	v_add_f32_e32 v10, v10, v35
	s_or_b64 exec, exec, s[2:3]
	s_and_saveexec_b64 s[2:3], vcc
	s_cbranch_execz .LBB44_131
.LBB44_167:
	ds_read_b32 v35, v33 offset:288
	s_waitcnt lgkmcnt(0)
	v_add_f32_e32 v11, v11, v35
	s_or_b64 exec, exec, s[2:3]
	s_and_saveexec_b64 s[2:3], vcc
	s_cbranch_execz .LBB44_132
.LBB44_168:
	ds_read_b32 v35, v33 offset:320
	s_waitcnt lgkmcnt(0)
	v_add_f32_e32 v8, v8, v35
	s_or_b64 exec, exec, s[2:3]
	s_and_saveexec_b64 s[2:3], vcc
	s_cbranch_execz .LBB44_133
.LBB44_169:
	ds_read_b32 v35, v33 offset:352
	s_waitcnt lgkmcnt(0)
	v_add_f32_e32 v9, v9, v35
	s_or_b64 exec, exec, s[2:3]
	s_and_saveexec_b64 s[2:3], vcc
	s_cbranch_execz .LBB44_134
.LBB44_170:
	ds_read_b32 v35, v33 offset:384
	s_waitcnt lgkmcnt(0)
	v_add_f32_e32 v6, v6, v35
	s_or_b64 exec, exec, s[2:3]
	s_and_saveexec_b64 s[2:3], vcc
	s_cbranch_execz .LBB44_135
.LBB44_171:
	ds_read_b32 v35, v33 offset:416
	s_waitcnt lgkmcnt(0)
	v_add_f32_e32 v7, v7, v35
	s_or_b64 exec, exec, s[2:3]
	s_and_saveexec_b64 s[2:3], vcc
	s_cbranch_execz .LBB44_136
.LBB44_172:
	ds_read_b32 v35, v33 offset:448
	s_waitcnt lgkmcnt(0)
	v_add_f32_e32 v20, v20, v35
	s_or_b64 exec, exec, s[2:3]
	s_and_saveexec_b64 s[2:3], vcc
	s_cbranch_execz .LBB44_137
.LBB44_173:
	ds_read_b32 v35, v33 offset:480
	s_waitcnt lgkmcnt(0)
	v_add_f32_e32 v21, v21, v35
	s_or_b64 exec, exec, s[2:3]
	s_and_saveexec_b64 s[2:3], vcc
	s_cbranch_execz .LBB44_138
.LBB44_174:
	ds_read_b32 v35, v33 offset:512
	s_waitcnt lgkmcnt(0)
	v_add_f32_e32 v18, v18, v35
	s_or_b64 exec, exec, s[2:3]
	s_and_saveexec_b64 s[2:3], vcc
	s_cbranch_execz .LBB44_139
.LBB44_175:
	ds_read_b32 v35, v33 offset:544
	s_waitcnt lgkmcnt(0)
	v_add_f32_e32 v19, v19, v35
	s_or_b64 exec, exec, s[2:3]
	s_and_saveexec_b64 s[2:3], vcc
	s_cbranch_execz .LBB44_140
.LBB44_176:
	ds_read_b32 v35, v33 offset:576
	s_waitcnt lgkmcnt(0)
	v_add_f32_e32 v16, v16, v35
	s_or_b64 exec, exec, s[2:3]
	s_and_saveexec_b64 s[2:3], vcc
	s_cbranch_execz .LBB44_141
.LBB44_177:
	ds_read_b32 v35, v33 offset:608
	s_waitcnt lgkmcnt(0)
	v_add_f32_e32 v17, v17, v35
	s_or_b64 exec, exec, s[2:3]
	s_and_saveexec_b64 s[2:3], vcc
	s_cbranch_execz .LBB44_142
.LBB44_178:
	ds_read_b32 v35, v33 offset:640
	s_waitcnt lgkmcnt(0)
	v_add_f32_e32 v14, v14, v35
	s_or_b64 exec, exec, s[2:3]
	s_and_saveexec_b64 s[2:3], vcc
	s_cbranch_execz .LBB44_143
.LBB44_179:
	ds_read_b32 v35, v33 offset:672
	s_waitcnt lgkmcnt(0)
	v_add_f32_e32 v15, v15, v35
	s_or_b64 exec, exec, s[2:3]
	s_and_saveexec_b64 s[2:3], vcc
	s_cbranch_execz .LBB44_144
.LBB44_180:
	ds_read_b32 v35, v33 offset:704
	s_waitcnt lgkmcnt(0)
	v_add_f32_e32 v28, v28, v35
	s_or_b64 exec, exec, s[2:3]
	s_and_saveexec_b64 s[2:3], vcc
	s_cbranch_execz .LBB44_145
.LBB44_181:
	ds_read_b32 v35, v33 offset:736
	s_waitcnt lgkmcnt(0)
	v_add_f32_e32 v29, v29, v35
	s_or_b64 exec, exec, s[2:3]
	s_and_saveexec_b64 s[2:3], vcc
	s_cbranch_execz .LBB44_146
.LBB44_182:
	ds_read_b32 v35, v33 offset:768
	s_waitcnt lgkmcnt(0)
	v_add_f32_e32 v26, v26, v35
	s_or_b64 exec, exec, s[2:3]
	s_and_saveexec_b64 s[2:3], vcc
	s_cbranch_execz .LBB44_147
.LBB44_183:
	ds_read_b32 v35, v33 offset:800
	s_waitcnt lgkmcnt(0)
	v_add_f32_e32 v27, v27, v35
	s_or_b64 exec, exec, s[2:3]
	s_and_saveexec_b64 s[2:3], vcc
	s_cbranch_execz .LBB44_148
.LBB44_184:
	ds_read_b32 v35, v33 offset:832
	s_waitcnt lgkmcnt(0)
	v_add_f32_e32 v24, v24, v35
	s_or_b64 exec, exec, s[2:3]
	s_and_saveexec_b64 s[2:3], vcc
	s_cbranch_execz .LBB44_149
.LBB44_185:
	ds_read_b32 v35, v33 offset:864
	s_waitcnt lgkmcnt(0)
	v_add_f32_e32 v25, v25, v35
	s_or_b64 exec, exec, s[2:3]
	s_and_saveexec_b64 s[2:3], vcc
	s_cbranch_execz .LBB44_150
.LBB44_186:
	ds_read_b32 v35, v33 offset:896
	s_waitcnt lgkmcnt(0)
	v_add_f32_e32 v22, v22, v35
	s_or_b64 exec, exec, s[2:3]
	s_and_saveexec_b64 s[2:3], vcc
	s_cbranch_execz .LBB44_151
.LBB44_187:
	ds_read_b32 v35, v33 offset:928
	s_waitcnt lgkmcnt(0)
	v_add_f32_e32 v23, v23, v35
	s_or_b64 exec, exec, s[2:3]
	s_and_saveexec_b64 s[2:3], vcc
	s_cbranch_execz .LBB44_152
.LBB44_188:
	ds_read_b32 v35, v33 offset:960
	s_waitcnt lgkmcnt(0)
	v_add_f32_e32 v30, v30, v35
	s_or_b64 exec, exec, s[2:3]
	s_and_saveexec_b64 s[2:3], vcc
	s_cbranch_execnz .LBB44_153
	s_branch .LBB44_154
	.section	.rodata,"a",@progbits
	.p2align	6, 0x0
	.amdhsa_kernel _ZN4vllm25paged_attention_v1_kernelIffLi256ELi32ELi128ELNS_18Fp8KVCacheDataTypeE0ELb1EEEvPT_PKS2_PKT0_S8_ifPKiSA_iPKfiiiSC_SC_iiiii
		.amdhsa_group_segment_fixed_size 1040
		.amdhsa_private_segment_fixed_size 248
		.amdhsa_kernarg_size 384
		.amdhsa_user_sgpr_count 2
		.amdhsa_user_sgpr_dispatch_ptr 0
		.amdhsa_user_sgpr_queue_ptr 0
		.amdhsa_user_sgpr_kernarg_segment_ptr 1
		.amdhsa_user_sgpr_dispatch_id 0
		.amdhsa_user_sgpr_kernarg_preload_length 0
		.amdhsa_user_sgpr_kernarg_preload_offset 0
		.amdhsa_user_sgpr_private_segment_size 0
		.amdhsa_uses_dynamic_stack 0
		.amdhsa_enable_private_segment 1
		.amdhsa_system_sgpr_workgroup_id_x 1
		.amdhsa_system_sgpr_workgroup_id_y 1
		.amdhsa_system_sgpr_workgroup_id_z 1
		.amdhsa_system_sgpr_workgroup_info 0
		.amdhsa_system_vgpr_workitem_id 0
		.amdhsa_next_free_vgpr 128
		.amdhsa_next_free_sgpr 51
		.amdhsa_accum_offset 128
		.amdhsa_reserve_vcc 1
		.amdhsa_float_round_mode_32 0
		.amdhsa_float_round_mode_16_64 0
		.amdhsa_float_denorm_mode_32 3
		.amdhsa_float_denorm_mode_16_64 3
		.amdhsa_dx10_clamp 1
		.amdhsa_ieee_mode 1
		.amdhsa_fp16_overflow 0
		.amdhsa_tg_split 0
		.amdhsa_exception_fp_ieee_invalid_op 0
		.amdhsa_exception_fp_denorm_src 0
		.amdhsa_exception_fp_ieee_div_zero 0
		.amdhsa_exception_fp_ieee_overflow 0
		.amdhsa_exception_fp_ieee_underflow 0
		.amdhsa_exception_fp_ieee_inexact 0
		.amdhsa_exception_int_div_zero 0
	.end_amdhsa_kernel
	.section	.text._ZN4vllm25paged_attention_v1_kernelIffLi256ELi32ELi128ELNS_18Fp8KVCacheDataTypeE0ELb1EEEvPT_PKS2_PKT0_S8_ifPKiSA_iPKfiiiSC_SC_iiiii,"axG",@progbits,_ZN4vllm25paged_attention_v1_kernelIffLi256ELi32ELi128ELNS_18Fp8KVCacheDataTypeE0ELb1EEEvPT_PKS2_PKT0_S8_ifPKiSA_iPKfiiiSC_SC_iiiii,comdat
.Lfunc_end44:
	.size	_ZN4vllm25paged_attention_v1_kernelIffLi256ELi32ELi128ELNS_18Fp8KVCacheDataTypeE0ELb1EEEvPT_PKS2_PKT0_S8_ifPKiSA_iPKfiiiSC_SC_iiiii, .Lfunc_end44-_ZN4vllm25paged_attention_v1_kernelIffLi256ELi32ELi128ELNS_18Fp8KVCacheDataTypeE0ELb1EEEvPT_PKS2_PKT0_S8_ifPKiSA_iPKfiiiSC_SC_iiiii
                                        ; -- End function
	.set _ZN4vllm25paged_attention_v1_kernelIffLi256ELi32ELi128ELNS_18Fp8KVCacheDataTypeE0ELb1EEEvPT_PKS2_PKT0_S8_ifPKiSA_iPKfiiiSC_SC_iiiii.num_vgpr, 128
	.set _ZN4vllm25paged_attention_v1_kernelIffLi256ELi32ELi128ELNS_18Fp8KVCacheDataTypeE0ELb1EEEvPT_PKS2_PKT0_S8_ifPKiSA_iPKfiiiSC_SC_iiiii.num_agpr, 0
	.set _ZN4vllm25paged_attention_v1_kernelIffLi256ELi32ELi128ELNS_18Fp8KVCacheDataTypeE0ELb1EEEvPT_PKS2_PKT0_S8_ifPKiSA_iPKfiiiSC_SC_iiiii.numbered_sgpr, 51
	.set _ZN4vllm25paged_attention_v1_kernelIffLi256ELi32ELi128ELNS_18Fp8KVCacheDataTypeE0ELb1EEEvPT_PKS2_PKT0_S8_ifPKiSA_iPKfiiiSC_SC_iiiii.num_named_barrier, 0
	.set _ZN4vllm25paged_attention_v1_kernelIffLi256ELi32ELi128ELNS_18Fp8KVCacheDataTypeE0ELb1EEEvPT_PKS2_PKT0_S8_ifPKiSA_iPKfiiiSC_SC_iiiii.private_seg_size, 248
	.set _ZN4vllm25paged_attention_v1_kernelIffLi256ELi32ELi128ELNS_18Fp8KVCacheDataTypeE0ELb1EEEvPT_PKS2_PKT0_S8_ifPKiSA_iPKfiiiSC_SC_iiiii.uses_vcc, 1
	.set _ZN4vllm25paged_attention_v1_kernelIffLi256ELi32ELi128ELNS_18Fp8KVCacheDataTypeE0ELb1EEEvPT_PKS2_PKT0_S8_ifPKiSA_iPKfiiiSC_SC_iiiii.uses_flat_scratch, 0
	.set _ZN4vllm25paged_attention_v1_kernelIffLi256ELi32ELi128ELNS_18Fp8KVCacheDataTypeE0ELb1EEEvPT_PKS2_PKT0_S8_ifPKiSA_iPKfiiiSC_SC_iiiii.has_dyn_sized_stack, 0
	.set _ZN4vllm25paged_attention_v1_kernelIffLi256ELi32ELi128ELNS_18Fp8KVCacheDataTypeE0ELb1EEEvPT_PKS2_PKT0_S8_ifPKiSA_iPKfiiiSC_SC_iiiii.has_recursion, 0
	.set _ZN4vllm25paged_attention_v1_kernelIffLi256ELi32ELi128ELNS_18Fp8KVCacheDataTypeE0ELb1EEEvPT_PKS2_PKT0_S8_ifPKiSA_iPKfiiiSC_SC_iiiii.has_indirect_call, 0
	.section	.AMDGPU.csdata,"",@progbits
; Kernel info:
; codeLenInByte = 12696
; TotalNumSgprs: 57
; NumVgprs: 128
; NumAgprs: 0
; TotalNumVgprs: 128
; ScratchSize: 248
; MemoryBound: 0
; FloatMode: 240
; IeeeMode: 1
; LDSByteSize: 1040 bytes/workgroup (compile time only)
; SGPRBlocks: 7
; VGPRBlocks: 15
; NumSGPRsForWavesPerEU: 57
; NumVGPRsForWavesPerEU: 128
; AccumOffset: 128
; Occupancy: 4
; WaveLimiterHint : 1
; COMPUTE_PGM_RSRC2:SCRATCH_EN: 1
; COMPUTE_PGM_RSRC2:USER_SGPR: 2
; COMPUTE_PGM_RSRC2:TRAP_HANDLER: 0
; COMPUTE_PGM_RSRC2:TGID_X_EN: 1
; COMPUTE_PGM_RSRC2:TGID_Y_EN: 1
; COMPUTE_PGM_RSRC2:TGID_Z_EN: 1
; COMPUTE_PGM_RSRC2:TIDIG_COMP_CNT: 0
; COMPUTE_PGM_RSRC3_GFX90A:ACCUM_OFFSET: 31
; COMPUTE_PGM_RSRC3_GFX90A:TG_SPLIT: 0
	.section	.text._ZN4vllm25paged_attention_v1_kernelIffLi32ELi32ELi128ELNS_18Fp8KVCacheDataTypeE0ELb0EEEvPT_PKS2_PKT0_S8_ifPKiSA_iPKfiiiSC_SC_iiiii,"axG",@progbits,_ZN4vllm25paged_attention_v1_kernelIffLi32ELi32ELi128ELNS_18Fp8KVCacheDataTypeE0ELb0EEEvPT_PKS2_PKT0_S8_ifPKiSA_iPKfiiiSC_SC_iiiii,comdat
	.protected	_ZN4vllm25paged_attention_v1_kernelIffLi32ELi32ELi128ELNS_18Fp8KVCacheDataTypeE0ELb0EEEvPT_PKS2_PKT0_S8_ifPKiSA_iPKfiiiSC_SC_iiiii ; -- Begin function _ZN4vllm25paged_attention_v1_kernelIffLi32ELi32ELi128ELNS_18Fp8KVCacheDataTypeE0ELb0EEEvPT_PKS2_PKT0_S8_ifPKiSA_iPKfiiiSC_SC_iiiii
	.globl	_ZN4vllm25paged_attention_v1_kernelIffLi32ELi32ELi128ELNS_18Fp8KVCacheDataTypeE0ELb0EEEvPT_PKS2_PKT0_S8_ifPKiSA_iPKfiiiSC_SC_iiiii
	.p2align	8
	.type	_ZN4vllm25paged_attention_v1_kernelIffLi32ELi32ELi128ELNS_18Fp8KVCacheDataTypeE0ELb0EEEvPT_PKS2_PKT0_S8_ifPKiSA_iPKfiiiSC_SC_iiiii,@function
_ZN4vllm25paged_attention_v1_kernelIffLi32ELi32ELi128ELNS_18Fp8KVCacheDataTypeE0ELb0EEEvPT_PKS2_PKT0_S8_ifPKiSA_iPKfiiiSC_SC_iiiii: ; @_ZN4vllm25paged_attention_v1_kernelIffLi32ELi32ELi128ELNS_18Fp8KVCacheDataTypeE0ELb0EEEvPT_PKS2_PKT0_S8_ifPKiSA_iPKfiiiSC_SC_iiiii
; %bb.0:
	s_load_dword s5, s[0:1], 0x80
	s_load_dwordx2 s[6:7], s[0:1], 0x30
	s_load_dwordx2 s[8:9], s[0:1], 0x20
	s_mov_b32 s10, s3
	s_ashr_i32 s11, s3, 31
	s_lshl_b64 s[12:13], s[10:11], 2
	s_waitcnt lgkmcnt(0)
	s_add_u32 s6, s6, s12
	s_addc_u32 s7, s7, s13
	s_abs_i32 s3, s8
	v_cvt_f32_u32_e32 v1, s3
	s_sub_i32 s12, 0, s3
	s_abs_i32 s11, s5
	s_xor_b32 s8, s5, s8
	v_rcp_iflag_f32_e32 v1, v1
	s_ashr_i32 s8, s8, 31
	v_mul_f32_e32 v1, 0x4f7ffffe, v1
	v_cvt_u32_f32_e32 v1, v1
	s_nop 0
	v_readfirstlane_b32 s13, v1
	s_mul_i32 s12, s12, s13
	s_mul_hi_u32 s12, s13, s12
	s_add_i32 s13, s13, s12
	s_mul_hi_u32 s12, s11, s13
	s_mul_i32 s13, s12, s3
	s_sub_i32 s11, s11, s13
	s_add_i32 s13, s12, 1
	s_sub_i32 s14, s11, s3
	s_cmp_ge_u32 s11, s3
	s_cselect_b32 s12, s13, s12
	s_cselect_b32 s11, s14, s11
	s_add_i32 s13, s12, 1
	s_cmp_ge_u32 s11, s3
	s_cselect_b32 s3, s13, s12
	s_xor_b32 s3, s3, s8
	s_sub_i32 s14, s3, s8
	s_abs_i32 s11, s14
	v_cvt_f32_u32_e32 v1, s11
	s_load_dwordx2 s[12:13], s[0:1], 0x40
	s_sub_i32 s3, 0, s11
	s_abs_i32 s18, s2
	v_rcp_iflag_f32_e32 v1, v1
	s_mov_b32 s8, 0
	v_mul_f32_e32 v1, 0x4f7ffffe, v1
	v_cvt_u32_f32_e32 v1, v1
	s_nop 0
	v_readfirstlane_b32 s15, v1
	s_mul_i32 s3, s3, s15
	s_mul_hi_u32 s3, s15, s3
	s_add_i32 s15, s15, s3
	s_waitcnt lgkmcnt(0)
	s_cmp_eq_u64 s[12:13], 0
	s_mul_hi_u32 s19, s18, s15
	s_cbranch_scc1 .LBB45_2
; %bb.1:
	s_ashr_i32 s3, s2, 31
	s_lshl_b64 s[16:17], s[2:3], 2
	s_add_u32 s12, s12, s16
	s_addc_u32 s13, s13, s17
	s_load_dword s8, s[12:13], 0x0
.LBB45_2:
	s_load_dword s33, s[6:7], 0x0
	s_ashr_i32 s7, s14, 31
	s_load_dwordx4 s[12:15], s[0:1], 0x48
	s_ashr_i32 s6, s2, 31
	v_and_b32_e32 v20, 1, v0
	s_lshl_b32 s16, s2, 5
	v_cmp_gt_u32_e32 vcc, 16, v0
	v_lshlrev_b32_e32 v2, 3, v0
	v_lshlrev_b32_e32 v26, 2, v0
	s_and_saveexec_b64 s[2:3], vcc
	s_cbranch_execz .LBB45_4
; %bb.3:
	s_load_dwordx2 s[20:21], s[0:1], 0x8
	s_waitcnt lgkmcnt(0)
	s_mul_i32 s22, s12, s10
	s_ashr_i32 s23, s22, 31
	s_lshl_b64 s[22:23], s[22:23], 2
	v_and_b32_e32 v1, 0xff8, v26
	s_add_u32 s12, s20, s22
	s_addc_u32 s15, s21, s23
	s_ashr_i32 s17, s16, 31
	s_lshl_b64 s[20:21], s[16:17], 2
	s_add_u32 s20, s12, s20
	s_addc_u32 s21, s15, s21
	global_load_dwordx2 v[4:5], v2, s[20:21]
	v_lshl_add_u32 v1, v20, 6, v1
	s_waitcnt vmcnt(0)
	ds_write_b64 v1, v[4:5]
.LBB45_4:
	s_or_b64 exec, exec, s[2:3]
	s_waitcnt lgkmcnt(0)
	s_add_i32 s3, s33, 31
	s_ashr_i32 s12, s3, 31
	s_lshr_b32 s12, s12, 27
	s_add_i32 s3, s3, s12
	s_ashr_i32 s12, s3, 5
	s_xor_b32 s3, s6, s7
	s_mul_i32 s6, s19, s11
	s_sub_i32 s6, s18, s6
	s_add_i32 s7, s19, 1
	s_sub_i32 s15, s6, s11
	s_load_dwordx2 s[20:21], s[0:1], 0x28
	s_load_dword s2, s[0:1], 0x38
	s_cmp_ge_u32 s6, s11
	s_cselect_b32 s7, s7, s19
	s_cselect_b32 s6, s15, s6
	s_add_i32 s15, s7, 1
	s_cmp_ge_u32 s6, s11
	s_cselect_b32 s6, s15, s7
	v_lshrrev_b32_e32 v1, 6, v0
	s_xor_b32 s6, s6, s3
	s_waitcnt lgkmcnt(0)
	s_mul_i32 s22, s2, s10
	s_sub_i32 s15, s6, s3
	s_ashr_i32 s23, s22, 31
	v_cmp_gt_i32_e64 s[2:3], s12, v1
	v_cmp_le_i32_e32 vcc, s12, v1
	v_mbcnt_lo_u32_b32 v21, -1, 0
	s_barrier
                                        ; implicit-def: $vgpr22
                                        ; implicit-def: $vgpr23
                                        ; implicit-def: $vgpr24
	s_and_saveexec_b64 s[6:7], vcc
	s_xor_b64 s[6:7], exec, s[6:7]
; %bb.5:
	v_mbcnt_hi_u32_b32 v22, -1, v21
	v_and_b32_e32 v23, 64, v22
	v_add_u32_e32 v24, 64, v23
                                        ; implicit-def: $vgpr2
                                        ; implicit-def: $vgpr20
                                        ; implicit-def: $vgpr21
; %bb.6:
	s_or_saveexec_b64 s[26:27], s[6:7]
	s_load_dwordx2 s[18:19], s[0:1], 0x0
	s_load_dwordx2 s[24:25], s[0:1], 0x18
	s_load_dword s11, s[0:1], 0x88
	v_mov_b32_e32 v25, 0xff7fffff
	s_mul_i32 s14, s15, s14
	v_lshrrev_b32_e32 v28, 4, v0
	s_xor_b64 exec, exec, s[26:27]
	s_cbranch_execz .LBB45_12
; %bb.7:
	s_load_dwordx2 s[0:1], s[0:1], 0x10
	s_ashr_i32 s15, s14, 31
	s_lshl_b64 s[6:7], s[14:15], 2
	v_bfe_u32 v25, v0, 1, 5
	v_lshlrev_b32_e32 v32, 4, v25
	s_waitcnt lgkmcnt(0)
	s_add_u32 s0, s0, s6
	s_addc_u32 s1, s1, s7
	v_mov_b32_e32 v33, 0
	v_lshl_add_u64 v[4:5], s[0:1], 0, v[32:33]
	v_and_b32_e32 v32, 8, v2
	v_lshlrev_b32_e32 v14, 6, v20
	v_lshl_add_u64 v[18:19], v[4:5], 0, v[32:33]
	ds_read_b128 v[2:5], v14
	ds_read_b128 v[6:9], v14 offset:16
	ds_read_b128 v[10:13], v14 offset:32
	;; [unrolled: 1-line block ×3, first 2 shown]
	v_mbcnt_hi_u32_b32 v22, -1, v21
	v_and_b32_e32 v23, 64, v22
	v_xor_b32_e32 v21, 1, v22
	v_add_u32_e32 v24, 64, v23
	s_sub_i32 s15, 1, s33
	s_lshl_b64 s[6:7], s[22:23], 2
	v_lshlrev_b32_e32 v30, 2, v25
	v_cmp_lt_i32_e32 vcc, v21, v24
	s_add_u32 s6, s20, s6
	v_and_b32_e32 v32, 60, v28
	v_cndmask_b32_e32 v21, v22, v21, vcc
	v_cmp_eq_u32_e32 vcc, 0, v20
	v_lshl_or_b32 v20, v1, 7, v30
	s_addc_u32 s7, s21, s7
	s_mov_b32 s17, s13
	v_lshlrev_b32_e32 v27, 2, v21
	v_cmp_neq_f32_e64 s[0:1], s8, 0
	v_lshl_or_b32 v29, v1, 5, v25
	v_add_u32_e32 v30, 0x90, v20
	v_lshl_add_u64 v[20:21], s[6:7], 0, v[32:33]
	v_mov_b32_e32 v25, 0xff7fffff
	s_mov_b64 s[28:29], 0
	v_mov_b32_e32 v31, v1
	s_branch .LBB45_9
.LBB45_8:                               ;   in Loop: Header=BB45_9 Depth=1
	s_or_b64 exec, exec, s[30:31]
	v_add_u32_e32 v31, 2, v31
	v_cmp_le_i32_e64 s[6:7], s12, v31
	v_add_u32_e32 v29, 64, v29
	v_add_u32_e32 v30, 0x100, v30
	s_or_b64 s[28:29], s[6:7], s[28:29]
	v_lshl_add_u64 v[20:21], v[20:21], 0, 8
	s_andn2_b64 exec, exec, s[28:29]
	s_cbranch_execz .LBB45_11
.LBB45_9:                               ; =>This Inner Loop Header: Depth=1
	global_load_dword v32, v[20:21], off
	s_waitcnt vmcnt(0) lgkmcnt(0)
	v_mad_i64_i32 v[32:33], s[6:7], v32, s17, 0
	v_lshl_add_u64 v[32:33], v[32:33], 2, v[18:19]
	global_load_dwordx2 v[34:35], v[32:33], off offset:512
	global_load_dwordx2 v[36:37], v[32:33], off
	global_load_dwordx2 v[38:39], v[32:33], off offset:1024
	global_load_dwordx2 v[40:41], v[32:33], off offset:1536
	global_load_dwordx2 v[42:43], v[32:33], off offset:2048
	global_load_dwordx2 v[44:45], v[32:33], off offset:2560
	global_load_dwordx2 v[46:47], v[32:33], off offset:3072
	global_load_dwordx2 v[48:49], v[32:33], off offset:3584
	s_waitcnt vmcnt(7) lgkmcnt(3)
	v_mul_f32_e32 v32, v4, v34
	v_mul_f32_e32 v33, v5, v35
	s_waitcnt vmcnt(6)
	v_fmac_f32_e32 v32, v2, v36
	v_fmac_f32_e32 v33, v3, v37
	s_waitcnt vmcnt(5) lgkmcnt(2)
	v_fmac_f32_e32 v32, v6, v38
	v_fmac_f32_e32 v33, v7, v39
	s_waitcnt vmcnt(4)
	v_fmac_f32_e32 v32, v8, v40
	v_fmac_f32_e32 v33, v9, v41
	s_waitcnt vmcnt(3) lgkmcnt(1)
	v_fmac_f32_e32 v32, v10, v42
	v_fmac_f32_e32 v33, v11, v43
	;; [unrolled: 6-line block ×3, first 2 shown]
	s_waitcnt vmcnt(0)
	v_fmac_f32_e32 v32, v16, v48
	v_fmac_f32_e32 v33, v17, v49
	v_add_f32_e32 v32, v32, v33
	ds_bpermute_b32 v33, v27, v32
	s_and_saveexec_b64 s[30:31], vcc
	s_cbranch_execz .LBB45_8
; %bb.10:                               ;   in Loop: Header=BB45_9 Depth=1
	v_add_u32_e32 v34, s15, v29
	v_cvt_f32_i32_e32 v34, v34
	s_waitcnt lgkmcnt(0)
	v_add_f32_e32 v32, v32, v33
	v_cmp_gt_i32_e64 s[6:7], s33, v29
	v_max_f32_e32 v33, v25, v25
	v_mul_f32_e32 v34, s8, v34
	v_cndmask_b32_e64 v34, 0, v34, s[0:1]
	v_fmac_f32_e32 v34, s9, v32
	v_cndmask_b32_e64 v32, 0, v34, s[6:7]
	ds_write_b32 v30, v32
	v_max_f32_e32 v32, v33, v34
	v_cndmask_b32_e64 v25, v25, v32, s[6:7]
	s_branch .LBB45_8
.LBB45_11:
	s_or_b64 exec, exec, s[28:29]
.LBB45_12:
	s_or_b64 exec, exec, s[26:27]
	v_xor_b32_e32 v2, 32, v22
	v_cmp_lt_i32_e32 vcc, v2, v24
	v_xor_b32_e32 v5, 16, v22
	v_max_f32_e32 v4, v25, v25
	v_cndmask_b32_e32 v2, v22, v2, vcc
	v_lshlrev_b32_e32 v2, 2, v2
	ds_bpermute_b32 v3, v2, v25
	v_cmp_lt_i32_e32 vcc, v5, v24
	v_xor_b32_e32 v6, 8, v22
	v_xor_b32_e32 v7, 4, v22
	v_and_b32_e32 v30, 63, v0
	s_waitcnt lgkmcnt(0)
	v_max_f32_e32 v3, v3, v3
	v_max_f32_e32 v4, v4, v3
	v_cndmask_b32_e32 v3, v22, v5, vcc
	v_lshlrev_b32_e32 v3, 2, v3
	ds_bpermute_b32 v5, v3, v4
	v_cmp_lt_i32_e32 vcc, v6, v24
	s_waitcnt lgkmcnt(0)
	v_max_f32_e32 v5, v5, v5
	v_max_f32_e32 v5, v4, v5
	v_cndmask_b32_e32 v4, v22, v6, vcc
	v_lshlrev_b32_e32 v4, 2, v4
	ds_bpermute_b32 v6, v4, v5
	v_cmp_lt_i32_e32 vcc, v7, v24
	s_waitcnt lgkmcnt(0)
	v_max_f32_e32 v6, v6, v6
	v_max_f32_e32 v5, v5, v6
	v_cndmask_b32_e32 v6, v22, v7, vcc
	v_lshlrev_b32_e32 v31, 2, v6
	ds_bpermute_b32 v6, v31, v5
	v_xor_b32_e32 v7, 2, v22
	v_cmp_lt_i32_e32 vcc, v7, v24
	s_waitcnt lgkmcnt(0)
	v_max_f32_e32 v6, v6, v6
	v_max_f32_e32 v6, v5, v6
	v_cndmask_b32_e32 v5, v22, v7, vcc
	v_lshlrev_b32_e32 v32, 2, v5
	ds_bpermute_b32 v7, v32, v6
	v_cmp_eq_u32_e32 vcc, 0, v30
	v_lshlrev_b32_e32 v5, 2, v1
	s_and_saveexec_b64 s[0:1], vcc
	s_cbranch_execz .LBB45_14
; %bb.13:
	s_waitcnt lgkmcnt(0)
	v_max_f32_e32 v7, v7, v7
	v_max_f32_e32 v6, v6, v6
	;; [unrolled: 1-line block ×3, first 2 shown]
	ds_write_b32 v5, v6 offset:128
.LBB45_14:
	s_or_b64 exec, exec, s[0:1]
	v_cmp_gt_u32_e64 s[0:1], 2, v30
	s_waitcnt lgkmcnt(0)
	v_mov_b32_e32 v7, 0xff7fffff
	v_lshlrev_b32_e32 v6, 2, v30
	s_barrier
	s_and_saveexec_b64 s[6:7], s[0:1]
; %bb.15:
	ds_read_b32 v7, v6 offset:128
; %bb.16:
	s_or_b64 exec, exec, s[6:7]
	v_xor_b32_e32 v8, 1, v22
	v_cmp_lt_i32_e64 s[6:7], v8, v24
	s_nop 1
	v_cndmask_b32_e64 v8, v22, v8, s[6:7]
	v_lshlrev_b32_e32 v33, 2, v8
	s_waitcnt lgkmcnt(0)
	ds_bpermute_b32 v8, v33, v7
	v_max_f32_e32 v7, v7, v7
	s_lshl_b32 s6, s12, 5
	s_min_i32 s15, s6, s33
	v_cmp_gt_i32_e64 s[6:7], s15, v0
	s_waitcnt lgkmcnt(0)
	v_max_f32_e32 v8, v8, v8
	v_max_f32_e32 v7, v7, v8
	v_lshlrev_b32_e32 v8, 2, v23
	ds_bpermute_b32 v8, v8, v7
	v_mov_b32_e32 v7, 0
	s_and_saveexec_b64 s[26:27], s[6:7]
	s_cbranch_execz .LBB45_20
; %bb.17:
	v_mov_b32_e32 v7, 0x90
	v_lshl_add_u32 v9, v0, 2, v7
	v_mov_b32_e32 v7, 0
	s_mov_b64 s[28:29], 0
	v_mov_b32_e32 v10, v0
.LBB45_18:                              ; =>This Inner Loop Header: Depth=1
	ds_read_b32 v11, v9
	v_add_u32_e32 v10, 0x80, v10
	v_cmp_le_i32_e64 s[8:9], s15, v10
	s_or_b64 s[28:29], s[8:9], s[28:29]
	s_waitcnt lgkmcnt(0)
	v_sub_f32_e32 v11, v11, v8
	v_mul_f32_e32 v11, 0x3fb8aa3b, v11
	v_exp_f32_e32 v11, v11
	ds_write_b32 v9, v11
	v_add_f32_e32 v7, v7, v11
	v_add_u32_e32 v9, 0x200, v9
	s_andn2_b64 exec, exec, s[28:29]
	s_cbranch_execnz .LBB45_18
; %bb.19:
	s_or_b64 exec, exec, s[28:29]
.LBB45_20:
	s_or_b64 exec, exec, s[26:27]
	ds_bpermute_b32 v2, v2, v7
	s_waitcnt lgkmcnt(0)
	v_add_f32_e32 v2, v7, v2
	ds_bpermute_b32 v3, v3, v2
	s_waitcnt lgkmcnt(0)
	v_add_f32_e32 v2, v2, v3
	;; [unrolled: 3-line block ×6, first 2 shown]
	s_and_saveexec_b64 s[8:9], vcc
; %bb.21:
	ds_write_b32 v5, v2 offset:136
; %bb.22:
	s_or_b64 exec, exec, s[8:9]
	s_waitcnt lgkmcnt(0)
	s_barrier
	s_and_saveexec_b64 s[8:9], s[0:1]
; %bb.23:
	ds_read_b32 v2, v6 offset:136
; %bb.24:
	s_or_b64 exec, exec, s[8:9]
	s_waitcnt lgkmcnt(0)
	ds_bpermute_b32 v3, v33, v2
	v_lshlrev_b32_e32 v4, 2, v22
	s_waitcnt lgkmcnt(0)
	v_add_f32_e32 v2, v2, v3
	v_and_b32_e32 v3, 0xffffff00, v4
	ds_bpermute_b32 v2, v3, v2
	s_and_saveexec_b64 s[0:1], s[6:7]
	s_cbranch_execz .LBB45_37
; %bb.25:
	s_waitcnt lgkmcnt(0)
	v_add_f32_e32 v2, 0x358637bd, v2
	v_div_scale_f32 v3, s[6:7], v2, v2, 1.0
	v_rcp_f32_e32 v4, v3
	v_div_scale_f32 v5, vcc, 1.0, v2, 1.0
	s_movk_i32 s6, 0x7f
	v_fma_f32 v6, -v3, v4, 1.0
	v_fmac_f32_e32 v4, v6, v4
	v_mul_f32_e32 v6, v5, v4
	v_fma_f32 v7, -v3, v6, v5
	v_fmac_f32_e32 v6, v7, v4
	v_fma_f32 v3, -v3, v6, v5
	v_div_fmas_f32 v3, v3, v4, v6
	v_xad_u32 v4, v0, -1, s15
	v_div_fixup_f32 v2, v3, v2, 1.0
	v_cmp_lt_u32_e32 vcc, s6, v4
	s_mov_b64 s[8:9], -1
	v_mov_b32_e32 v3, v0
	s_and_saveexec_b64 s[6:7], vcc
	s_cbranch_execz .LBB45_34
; %bb.26:
	v_lshrrev_b32_e32 v4, 7, v4
	v_add_u32_e32 v6, -1, v4
	v_lshrrev_b32_e32 v5, 1, v6
	v_mov_b32_e32 v3, v2
	v_add_u32_e32 v5, 1, v5
	v_cmp_lt_u32_e32 vcc, 13, v6
	v_mov_b32_e32 v8, 0
	s_and_saveexec_b64 s[8:9], vcc
	s_cbranch_execz .LBB45_30
; %bb.27:
	v_mov_b32_e32 v7, 0x90
	v_and_b32_e32 v6, -8, v5
	v_lshl_add_u32 v7, v0, 2, v7
	s_mov_b32 s17, 0
	s_mov_b64 s[26:27], 0
.LBB45_28:                              ; =>This Inner Loop Header: Depth=1
	ds_read2st64_b32 v[8:9], v7 offset1:2
	ds_read2st64_b32 v[10:11], v7 offset0:4 offset1:6
	ds_read2st64_b32 v[12:13], v7 offset0:8 offset1:10
	;; [unrolled: 1-line block ×3, first 2 shown]
	v_add_u32_e32 v6, -8, v6
	s_waitcnt lgkmcnt(3)
	v_pk_mul_f32 v[8:9], v[2:3], v[8:9]
	s_waitcnt lgkmcnt(2)
	v_pk_mul_f32 v[10:11], v[2:3], v[10:11]
	ds_write2st64_b32 v7, v8, v9 offset1:2
	ds_write2st64_b32 v7, v10, v11 offset0:4 offset1:6
	ds_read2st64_b32 v[10:11], v7 offset0:16 offset1:18
	s_waitcnt lgkmcnt(4)
	v_pk_mul_f32 v[8:9], v[2:3], v[12:13]
	ds_write2st64_b32 v7, v8, v9 offset0:8 offset1:10
	s_waitcnt lgkmcnt(4)
	v_pk_mul_f32 v[8:9], v[2:3], v[14:15]
	ds_write2st64_b32 v7, v8, v9 offset0:12 offset1:14
	ds_read2st64_b32 v[8:9], v7 offset0:20 offset1:22
	s_waitcnt lgkmcnt(3)
	v_pk_mul_f32 v[10:11], v[2:3], v[10:11]
	ds_read2st64_b32 v[12:13], v7 offset0:24 offset1:26
	ds_write2st64_b32 v7, v10, v11 offset0:16 offset1:18
	ds_read2st64_b32 v[10:11], v7 offset0:28 offset1:30
	s_waitcnt lgkmcnt(3)
	v_pk_mul_f32 v[8:9], v[2:3], v[8:9]
	ds_write2st64_b32 v7, v8, v9 offset0:20 offset1:22
	s_waitcnt lgkmcnt(3)
	v_pk_mul_f32 v[8:9], v[2:3], v[12:13]
	ds_write2st64_b32 v7, v8, v9 offset0:24 offset1:26
	s_waitcnt lgkmcnt(2)
	v_pk_mul_f32 v[8:9], v[2:3], v[10:11]
	s_add_i32 s17, s17, 16
	v_cmp_eq_u32_e32 vcc, 0, v6
	ds_write2st64_b32 v7, v8, v9 offset0:28 offset1:30
	v_add_u32_e32 v7, 0x2000, v7
	s_or_b64 s[26:27], vcc, s[26:27]
	v_mov_b32_e32 v8, s17
	s_andn2_b64 exec, exec, s[26:27]
	s_cbranch_execnz .LBB45_28
; %bb.29:
	s_or_b64 exec, exec, s[26:27]
.LBB45_30:
	s_or_b64 exec, exec, s[8:9]
	v_and_b32_e32 v5, 7, v5
	v_cmp_ne_u32_e32 vcc, 0, v5
	s_and_saveexec_b64 s[8:9], vcc
	s_cbranch_execz .LBB45_33
; %bb.31:
	v_lshlrev_b32_e32 v6, 9, v8
	s_movk_i32 s17, 0x90
	v_add3_u32 v6, v6, v26, s17
	s_mov_b64 s[26:27], 0
.LBB45_32:                              ; =>This Inner Loop Header: Depth=1
	ds_read2st64_b32 v[8:9], v6 offset1:2
	v_add_u32_e32 v5, -1, v5
	v_cmp_eq_u32_e32 vcc, 0, v5
	s_or_b64 s[26:27], vcc, s[26:27]
	s_waitcnt lgkmcnt(0)
	v_pk_mul_f32 v[8:9], v[2:3], v[8:9]
	ds_write2st64_b32 v6, v8, v9 offset1:2
	v_add_u32_e32 v6, 0x400, v6
	s_andn2_b64 exec, exec, s[26:27]
	s_cbranch_execnz .LBB45_32
.LBB45_33:
	s_or_b64 exec, exec, s[8:9]
	v_add_u32_e32 v4, 1, v4
	v_and_b32_e32 v5, 0x3fffffe, v4
	v_cmp_ne_u32_e32 vcc, v4, v5
	v_lshl_add_u32 v3, v5, 7, v0
	s_orn2_b64 s[8:9], vcc, exec
.LBB45_34:
	s_or_b64 exec, exec, s[6:7]
	s_and_b64 exec, exec, s[8:9]
	s_cbranch_execz .LBB45_37
; %bb.35:
	v_mov_b32_e32 v4, 0x90
	v_lshl_add_u32 v4, v3, 2, v4
	s_mov_b64 s[6:7], 0
.LBB45_36:                              ; =>This Inner Loop Header: Depth=1
	ds_read_b32 v5, v4
	v_add_u32_e32 v3, 0x80, v3
	v_cmp_le_i32_e32 vcc, s15, v3
	s_or_b64 s[6:7], vcc, s[6:7]
	s_waitcnt lgkmcnt(0)
	v_mul_f32_e32 v5, v2, v5
	ds_write_b32 v4, v5
	v_add_u32_e32 v4, 0x200, v4
	s_andn2_b64 exec, exec, s[6:7]
	s_cbranch_execnz .LBB45_36
.LBB45_37:
	s_or_b64 exec, exec, s[0:1]
	v_mov_b32_e32 v23, 0
	v_and_b32_e32 v34, 7, v0
	v_mov_b32_e32 v22, 0
	v_mov_b32_e32 v25, 0
	;; [unrolled: 1-line block ×3, first 2 shown]
	s_waitcnt lgkmcnt(0)
	s_barrier
	s_and_saveexec_b64 s[6:7], s[2:3]
	s_cbranch_execz .LBB45_49
; %bb.38:
	s_ashr_i32 s15, s14, 31
	s_lshl_b64 s[0:1], s[14:15], 2
	s_add_u32 s0, s24, s0
	v_lshlrev_b32_e32 v3, 4, v0
	s_addc_u32 s1, s25, s1
	v_and_b32_e32 v22, 0x3f0, v3
	v_mov_b32_e32 v23, 0
	v_and_b32_e32 v2, 28, v26
	s_add_i32 s14, s12, -1
	v_lshl_add_u64 v[26:27], s[0:1], 0, v[22:23]
	s_lshl_b64 s[0:1], s[22:23], 2
	v_lshl_or_b32 v35, v1, 5, v2
	v_lshlrev_b32_e32 v2, 4, v34
	s_add_u32 s0, s20, s0
	v_lshl_or_b32 v2, v1, 7, v2
	v_and_b32_e32 v22, 60, v28
	s_addc_u32 s1, s21, s1
	s_mov_b32 s15, s33
	v_add_u32_e32 v36, 0x90, v2
	v_lshl_add_u64 v[28:29], s[0:1], 0, v[22:23]
	s_mov_b64 s[2:3], 0
	v_mov_b32_e32 v22, v23
	v_mov_b32_e32 v25, v23
	;; [unrolled: 1-line block ×3, first 2 shown]
	s_branch .LBB45_40
.LBB45_39:                              ;   in Loop: Header=BB45_40 Depth=1
	s_or_b64 exec, exec, s[0:1]
	s_waitcnt vmcnt(1) lgkmcnt(0)
	v_mul_f32_e32 v14, v2, v14
	v_mul_f32_e32 v10, v2, v10
	;; [unrolled: 1-line block ×3, first 2 shown]
	v_fmac_f32_e32 v14, v3, v15
	v_fmac_f32_e32 v10, v3, v11
	;; [unrolled: 1-line block ×6, first 2 shown]
	s_waitcnt vmcnt(0)
	v_pk_mul_f32 v[2:3], v[2:3], v[18:19]
	v_fmac_f32_e32 v14, v5, v17
	v_fmac_f32_e32 v10, v5, v13
	;; [unrolled: 1-line block ×3, first 2 shown]
	v_pk_mul_f32 v[4:5], v[4:5], v[20:21]
	v_add_f32_e32 v2, v3, v2
	v_add_f32_e32 v2, v4, v2
	v_add_u32_e32 v1, 2, v1
	v_add_f32_e32 v2, v5, v2
	v_cmp_le_i32_e32 vcc, s12, v1
	v_add_f32_e32 v22, v22, v14
	v_add_f32_e32 v25, v25, v10
	;; [unrolled: 1-line block ×4, first 2 shown]
	v_add_u32_e32 v35, 64, v35
	v_add_u32_e32 v36, 0x100, v36
	s_or_b64 s[2:3], vcc, s[2:3]
	v_lshl_add_u64 v[28:29], v[28:29], 0, 8
	s_andn2_b64 exec, exec, s[2:3]
	s_cbranch_execz .LBB45_48
.LBB45_40:                              ; =>This Inner Loop Header: Depth=1
	global_load_dword v2, v[28:29], off
	v_cmp_eq_u32_e32 vcc, s14, v1
	v_add_u32_e32 v39, 1, v35
	v_or_b32_e32 v38, 3, v35
	v_or_b32_e32 v37, 2, v35
	s_waitcnt vmcnt(0)
	v_mad_i64_i32 v[2:3], s[0:1], v2, s13, 0
	v_lshl_add_u64 v[18:19], v[2:3], 2, v[26:27]
	global_load_dwordx4 v[6:9], v[18:19], off
	ds_read_b128 v[2:5], v36
	s_and_saveexec_b64 s[8:9], vcc
	s_cbranch_execnz .LBB45_44
; %bb.41:                               ;   in Loop: Header=BB45_40 Depth=1
	s_or_b64 exec, exec, s[8:9]
	global_load_dwordx4 v[10:13], v[18:19], off offset:1024
	s_and_saveexec_b64 s[8:9], vcc
	s_cbranch_execnz .LBB45_45
.LBB45_42:                              ;   in Loop: Header=BB45_40 Depth=1
	s_or_b64 exec, exec, s[8:9]
	global_load_dwordx4 v[14:17], v[18:19], off offset:2048
	s_and_saveexec_b64 s[8:9], vcc
	s_cbranch_execnz .LBB45_46
.LBB45_43:                              ;   in Loop: Header=BB45_40 Depth=1
	s_or_b64 exec, exec, s[8:9]
	global_load_dwordx4 v[18:21], v[18:19], off offset:3072
	s_and_saveexec_b64 s[0:1], vcc
	s_cbranch_execz .LBB45_39
	s_branch .LBB45_47
.LBB45_44:                              ;   in Loop: Header=BB45_40 Depth=1
	v_cmp_gt_i32_e64 s[0:1], s15, v39
	s_waitcnt vmcnt(0)
	s_nop 0
	v_cndmask_b32_e64 v7, 0, v7, s[0:1]
	v_cmp_gt_i32_e64 s[0:1], s33, v35
	s_nop 1
	v_cndmask_b32_e64 v6, 0, v6, s[0:1]
	v_cmp_gt_i32_e64 s[0:1], s15, v38
	;; [unrolled: 3-line block ×3, first 2 shown]
	s_nop 1
	v_cndmask_b32_e64 v8, 0, v8, s[0:1]
	s_or_b64 exec, exec, s[8:9]
	global_load_dwordx4 v[10:13], v[18:19], off offset:1024
	s_and_saveexec_b64 s[8:9], vcc
	s_cbranch_execz .LBB45_42
.LBB45_45:                              ;   in Loop: Header=BB45_40 Depth=1
	v_cmp_gt_i32_e64 s[0:1], s15, v39
	s_waitcnt vmcnt(0)
	s_nop 0
	v_cndmask_b32_e64 v11, 0, v11, s[0:1]
	v_cmp_gt_i32_e64 s[0:1], s33, v35
	s_nop 1
	v_cndmask_b32_e64 v10, 0, v10, s[0:1]
	v_cmp_gt_i32_e64 s[0:1], s15, v38
	;; [unrolled: 3-line block ×3, first 2 shown]
	s_nop 1
	v_cndmask_b32_e64 v12, 0, v12, s[0:1]
	s_or_b64 exec, exec, s[8:9]
	global_load_dwordx4 v[14:17], v[18:19], off offset:2048
	s_and_saveexec_b64 s[8:9], vcc
	s_cbranch_execz .LBB45_43
.LBB45_46:                              ;   in Loop: Header=BB45_40 Depth=1
	v_cmp_gt_i32_e64 s[0:1], s15, v39
	s_waitcnt vmcnt(0)
	s_nop 0
	v_cndmask_b32_e64 v15, 0, v15, s[0:1]
	v_cmp_gt_i32_e64 s[0:1], s33, v35
	s_nop 1
	v_cndmask_b32_e64 v14, 0, v14, s[0:1]
	v_cmp_gt_i32_e64 s[0:1], s15, v38
	;; [unrolled: 3-line block ×3, first 2 shown]
	s_nop 1
	v_cndmask_b32_e64 v16, 0, v16, s[0:1]
	s_or_b64 exec, exec, s[8:9]
	global_load_dwordx4 v[18:21], v[18:19], off offset:3072
	s_and_saveexec_b64 s[0:1], vcc
	s_cbranch_execz .LBB45_39
.LBB45_47:                              ;   in Loop: Header=BB45_40 Depth=1
	v_cmp_gt_i32_e32 vcc, s15, v39
	s_waitcnt vmcnt(0)
	s_nop 0
	v_cndmask_b32_e32 v19, 0, v19, vcc
	v_cmp_gt_i32_e32 vcc, s33, v35
	s_nop 1
	v_cndmask_b32_e32 v18, 0, v18, vcc
	v_cmp_gt_i32_e32 vcc, s15, v38
	;; [unrolled: 3-line block ×3, first 2 shown]
	s_nop 1
	v_cndmask_b32_e32 v20, 0, v20, vcc
	s_branch .LBB45_39
.LBB45_48:
	s_or_b64 exec, exec, s[2:3]
.LBB45_49:
	s_or_b64 exec, exec, s[6:7]
	ds_bpermute_b32 v2, v31, v24
	ds_bpermute_b32 v3, v31, v25
	;; [unrolled: 1-line block ×4, first 2 shown]
	v_and_b32_e32 v1, 0x3c7, v0
	v_cmp_ne_u32_e32 vcc, 64, v1
	s_waitcnt lgkmcnt(2)
	v_pk_add_f32 v[2:3], v[24:25], v[2:3]
	ds_bpermute_b32 v6, v32, v2
	ds_bpermute_b32 v7, v32, v3
	s_waitcnt lgkmcnt(2)
	v_pk_add_f32 v[4:5], v[22:23], v[4:5]
	ds_bpermute_b32 v8, v32, v4
	ds_bpermute_b32 v9, v32, v5
	;; [unrolled: 4-line block ×3, first 2 shown]
	v_pk_add_f32 v[4:5], v[4:5], v[8:9]
	ds_bpermute_b32 v6, v33, v4
	ds_bpermute_b32 v7, v33, v5
	s_barrier
	s_waitcnt lgkmcnt(2)
	v_pk_add_f32 v[2:3], v[2:3], v[10:11]
	s_waitcnt lgkmcnt(0)
	s_and_saveexec_b64 s[0:1], vcc
	s_xor_b64 s[0:1], exec, s[0:1]
; %bb.50:
                                        ; implicit-def: $vgpr30
; %bb.51:
	s_or_saveexec_b64 s[0:1], s[0:1]
	v_pk_add_f32 v[4:5], v[4:5], v[6:7]
	s_xor_b64 exec, exec, s[0:1]
	s_cbranch_execz .LBB45_53
; %bb.52:
	v_lshrrev_b32_e32 v6, 1, v30
	v_add_u32_e32 v6, 0x90, v6
	ds_write2_b32 v6, v2, v3 offset1:8
	ds_write2_b32 v6, v4, v5 offset0:16 offset1:24
.LBB45_53:
	s_or_b64 exec, exec, s[0:1]
	v_cmp_gt_u32_e32 vcc, 64, v0
	v_lshrrev_b32_e32 v0, 3, v0
	s_waitcnt lgkmcnt(0)
	s_barrier
	s_and_saveexec_b64 s[0:1], vcc
	s_cbranch_execz .LBB45_60
; %bb.54:
	v_mov_b32_e32 v6, 0x90
	v_cmp_eq_u32_e32 vcc, 0, v34
	v_lshl_add_u32 v6, v0, 2, v6
	s_and_saveexec_b64 s[2:3], vcc
	s_cbranch_execnz .LBB45_63
; %bb.55:
	s_or_b64 exec, exec, s[2:3]
	s_and_saveexec_b64 s[2:3], vcc
	s_cbranch_execnz .LBB45_64
.LBB45_56:
	s_or_b64 exec, exec, s[2:3]
	s_and_saveexec_b64 s[2:3], vcc
	s_cbranch_execnz .LBB45_65
.LBB45_57:
	s_or_b64 exec, exec, s[2:3]
	s_and_saveexec_b64 s[2:3], vcc
	s_cbranch_execz .LBB45_59
.LBB45_58:
	ds_read_b32 v6, v6 offset:96
	s_waitcnt lgkmcnt(0)
	v_add_f32_e32 v5, v5, v6
.LBB45_59:
	s_or_b64 exec, exec, s[2:3]
.LBB45_60:
	s_or_b64 exec, exec, s[0:1]
	v_cmp_eq_u32_e32 vcc, 0, v1
	s_barrier
	s_and_saveexec_b64 s[0:1], vcc
	s_cbranch_execz .LBB45_62
; %bb.61:
	s_mul_i32 s0, s10, s11
	s_mul_i32 s0, s0, s5
	s_lshl_b32 s0, s0, 5
	s_ashr_i32 s1, s0, 31
	s_lshl_b64 s[0:1], s[0:1], 2
	s_add_u32 s2, s18, s0
	s_mul_i32 s0, s11, s16
	s_addc_u32 s3, s19, s1
	s_ashr_i32 s1, s0, 31
	s_lshl_b64 s[0:1], s[0:1], 2
	s_add_u32 s2, s2, s0
	s_addc_u32 s3, s3, s1
	s_lshl_b32 s0, s4, 5
	s_ashr_i32 s1, s0, 31
	s_lshl_b64 s[0:1], s[0:1], 2
	s_add_u32 s0, s2, s0
	s_addc_u32 s1, s3, s1
	v_lshlrev_b32_e32 v0, 2, v0
	global_store_dword v0, v2, s[0:1]
	global_store_dword v0, v3, s[0:1] offset:32
	global_store_dword v0, v4, s[0:1] offset:64
	;; [unrolled: 1-line block ×3, first 2 shown]
.LBB45_62:
	s_endpgm
.LBB45_63:
	ds_read_b32 v7, v6
	s_waitcnt lgkmcnt(0)
	v_add_f32_e32 v2, v2, v7
	s_or_b64 exec, exec, s[2:3]
	s_and_saveexec_b64 s[2:3], vcc
	s_cbranch_execz .LBB45_56
.LBB45_64:
	ds_read_b32 v7, v6 offset:32
	s_waitcnt lgkmcnt(0)
	v_add_f32_e32 v3, v3, v7
	s_or_b64 exec, exec, s[2:3]
	s_and_saveexec_b64 s[2:3], vcc
	s_cbranch_execz .LBB45_57
.LBB45_65:
	ds_read_b32 v7, v6 offset:64
	s_waitcnt lgkmcnt(0)
	v_add_f32_e32 v4, v4, v7
	s_or_b64 exec, exec, s[2:3]
	s_and_saveexec_b64 s[2:3], vcc
	s_cbranch_execnz .LBB45_58
	s_branch .LBB45_59
	.section	.rodata,"a",@progbits
	.p2align	6, 0x0
	.amdhsa_kernel _ZN4vllm25paged_attention_v1_kernelIffLi32ELi32ELi128ELNS_18Fp8KVCacheDataTypeE0ELb0EEEvPT_PKS2_PKT0_S8_ifPKiSA_iPKfiiiSC_SC_iiiii
		.amdhsa_group_segment_fixed_size 144
		.amdhsa_private_segment_fixed_size 0
		.amdhsa_kernarg_size 384
		.amdhsa_user_sgpr_count 2
		.amdhsa_user_sgpr_dispatch_ptr 0
		.amdhsa_user_sgpr_queue_ptr 0
		.amdhsa_user_sgpr_kernarg_segment_ptr 1
		.amdhsa_user_sgpr_dispatch_id 0
		.amdhsa_user_sgpr_kernarg_preload_length 0
		.amdhsa_user_sgpr_kernarg_preload_offset 0
		.amdhsa_user_sgpr_private_segment_size 0
		.amdhsa_uses_dynamic_stack 0
		.amdhsa_enable_private_segment 0
		.amdhsa_system_sgpr_workgroup_id_x 1
		.amdhsa_system_sgpr_workgroup_id_y 1
		.amdhsa_system_sgpr_workgroup_id_z 1
		.amdhsa_system_sgpr_workgroup_info 0
		.amdhsa_system_vgpr_workitem_id 0
		.amdhsa_next_free_vgpr 50
		.amdhsa_next_free_sgpr 34
		.amdhsa_accum_offset 52
		.amdhsa_reserve_vcc 1
		.amdhsa_float_round_mode_32 0
		.amdhsa_float_round_mode_16_64 0
		.amdhsa_float_denorm_mode_32 3
		.amdhsa_float_denorm_mode_16_64 3
		.amdhsa_dx10_clamp 1
		.amdhsa_ieee_mode 1
		.amdhsa_fp16_overflow 0
		.amdhsa_tg_split 0
		.amdhsa_exception_fp_ieee_invalid_op 0
		.amdhsa_exception_fp_denorm_src 0
		.amdhsa_exception_fp_ieee_div_zero 0
		.amdhsa_exception_fp_ieee_overflow 0
		.amdhsa_exception_fp_ieee_underflow 0
		.amdhsa_exception_fp_ieee_inexact 0
		.amdhsa_exception_int_div_zero 0
	.end_amdhsa_kernel
	.section	.text._ZN4vllm25paged_attention_v1_kernelIffLi32ELi32ELi128ELNS_18Fp8KVCacheDataTypeE0ELb0EEEvPT_PKS2_PKT0_S8_ifPKiSA_iPKfiiiSC_SC_iiiii,"axG",@progbits,_ZN4vllm25paged_attention_v1_kernelIffLi32ELi32ELi128ELNS_18Fp8KVCacheDataTypeE0ELb0EEEvPT_PKS2_PKT0_S8_ifPKiSA_iPKfiiiSC_SC_iiiii,comdat
.Lfunc_end45:
	.size	_ZN4vllm25paged_attention_v1_kernelIffLi32ELi32ELi128ELNS_18Fp8KVCacheDataTypeE0ELb0EEEvPT_PKS2_PKT0_S8_ifPKiSA_iPKfiiiSC_SC_iiiii, .Lfunc_end45-_ZN4vllm25paged_attention_v1_kernelIffLi32ELi32ELi128ELNS_18Fp8KVCacheDataTypeE0ELb0EEEvPT_PKS2_PKT0_S8_ifPKiSA_iPKfiiiSC_SC_iiiii
                                        ; -- End function
	.set _ZN4vllm25paged_attention_v1_kernelIffLi32ELi32ELi128ELNS_18Fp8KVCacheDataTypeE0ELb0EEEvPT_PKS2_PKT0_S8_ifPKiSA_iPKfiiiSC_SC_iiiii.num_vgpr, 50
	.set _ZN4vllm25paged_attention_v1_kernelIffLi32ELi32ELi128ELNS_18Fp8KVCacheDataTypeE0ELb0EEEvPT_PKS2_PKT0_S8_ifPKiSA_iPKfiiiSC_SC_iiiii.num_agpr, 0
	.set _ZN4vllm25paged_attention_v1_kernelIffLi32ELi32ELi128ELNS_18Fp8KVCacheDataTypeE0ELb0EEEvPT_PKS2_PKT0_S8_ifPKiSA_iPKfiiiSC_SC_iiiii.numbered_sgpr, 34
	.set _ZN4vllm25paged_attention_v1_kernelIffLi32ELi32ELi128ELNS_18Fp8KVCacheDataTypeE0ELb0EEEvPT_PKS2_PKT0_S8_ifPKiSA_iPKfiiiSC_SC_iiiii.num_named_barrier, 0
	.set _ZN4vllm25paged_attention_v1_kernelIffLi32ELi32ELi128ELNS_18Fp8KVCacheDataTypeE0ELb0EEEvPT_PKS2_PKT0_S8_ifPKiSA_iPKfiiiSC_SC_iiiii.private_seg_size, 0
	.set _ZN4vllm25paged_attention_v1_kernelIffLi32ELi32ELi128ELNS_18Fp8KVCacheDataTypeE0ELb0EEEvPT_PKS2_PKT0_S8_ifPKiSA_iPKfiiiSC_SC_iiiii.uses_vcc, 1
	.set _ZN4vllm25paged_attention_v1_kernelIffLi32ELi32ELi128ELNS_18Fp8KVCacheDataTypeE0ELb0EEEvPT_PKS2_PKT0_S8_ifPKiSA_iPKfiiiSC_SC_iiiii.uses_flat_scratch, 0
	.set _ZN4vllm25paged_attention_v1_kernelIffLi32ELi32ELi128ELNS_18Fp8KVCacheDataTypeE0ELb0EEEvPT_PKS2_PKT0_S8_ifPKiSA_iPKfiiiSC_SC_iiiii.has_dyn_sized_stack, 0
	.set _ZN4vllm25paged_attention_v1_kernelIffLi32ELi32ELi128ELNS_18Fp8KVCacheDataTypeE0ELb0EEEvPT_PKS2_PKT0_S8_ifPKiSA_iPKfiiiSC_SC_iiiii.has_recursion, 0
	.set _ZN4vllm25paged_attention_v1_kernelIffLi32ELi32ELi128ELNS_18Fp8KVCacheDataTypeE0ELb0EEEvPT_PKS2_PKT0_S8_ifPKiSA_iPKfiiiSC_SC_iiiii.has_indirect_call, 0
	.section	.AMDGPU.csdata,"",@progbits
; Kernel info:
; codeLenInByte = 3864
; TotalNumSgprs: 40
; NumVgprs: 50
; NumAgprs: 0
; TotalNumVgprs: 50
; ScratchSize: 0
; MemoryBound: 0
; FloatMode: 240
; IeeeMode: 1
; LDSByteSize: 144 bytes/workgroup (compile time only)
; SGPRBlocks: 4
; VGPRBlocks: 6
; NumSGPRsForWavesPerEU: 40
; NumVGPRsForWavesPerEU: 50
; AccumOffset: 52
; Occupancy: 8
; WaveLimiterHint : 1
; COMPUTE_PGM_RSRC2:SCRATCH_EN: 0
; COMPUTE_PGM_RSRC2:USER_SGPR: 2
; COMPUTE_PGM_RSRC2:TRAP_HANDLER: 0
; COMPUTE_PGM_RSRC2:TGID_X_EN: 1
; COMPUTE_PGM_RSRC2:TGID_Y_EN: 1
; COMPUTE_PGM_RSRC2:TGID_Z_EN: 1
; COMPUTE_PGM_RSRC2:TIDIG_COMP_CNT: 0
; COMPUTE_PGM_RSRC3_GFX90A:ACCUM_OFFSET: 12
; COMPUTE_PGM_RSRC3_GFX90A:TG_SPLIT: 0
	.section	.text._ZN4vllm25paged_attention_v1_kernelIffLi64ELi32ELi128ELNS_18Fp8KVCacheDataTypeE0ELb0EEEvPT_PKS2_PKT0_S8_ifPKiSA_iPKfiiiSC_SC_iiiii,"axG",@progbits,_ZN4vllm25paged_attention_v1_kernelIffLi64ELi32ELi128ELNS_18Fp8KVCacheDataTypeE0ELb0EEEvPT_PKS2_PKT0_S8_ifPKiSA_iPKfiiiSC_SC_iiiii,comdat
	.protected	_ZN4vllm25paged_attention_v1_kernelIffLi64ELi32ELi128ELNS_18Fp8KVCacheDataTypeE0ELb0EEEvPT_PKS2_PKT0_S8_ifPKiSA_iPKfiiiSC_SC_iiiii ; -- Begin function _ZN4vllm25paged_attention_v1_kernelIffLi64ELi32ELi128ELNS_18Fp8KVCacheDataTypeE0ELb0EEEvPT_PKS2_PKT0_S8_ifPKiSA_iPKfiiiSC_SC_iiiii
	.globl	_ZN4vllm25paged_attention_v1_kernelIffLi64ELi32ELi128ELNS_18Fp8KVCacheDataTypeE0ELb0EEEvPT_PKS2_PKT0_S8_ifPKiSA_iPKfiiiSC_SC_iiiii
	.p2align	8
	.type	_ZN4vllm25paged_attention_v1_kernelIffLi64ELi32ELi128ELNS_18Fp8KVCacheDataTypeE0ELb0EEEvPT_PKS2_PKT0_S8_ifPKiSA_iPKfiiiSC_SC_iiiii,@function
_ZN4vllm25paged_attention_v1_kernelIffLi64ELi32ELi128ELNS_18Fp8KVCacheDataTypeE0ELb0EEEvPT_PKS2_PKT0_S8_ifPKiSA_iPKfiiiSC_SC_iiiii: ; @_ZN4vllm25paged_attention_v1_kernelIffLi64ELi32ELi128ELNS_18Fp8KVCacheDataTypeE0ELb0EEEvPT_PKS2_PKT0_S8_ifPKiSA_iPKfiiiSC_SC_iiiii
; %bb.0:
	s_load_dword s5, s[0:1], 0x80
	s_load_dwordx2 s[6:7], s[0:1], 0x30
	s_load_dwordx2 s[8:9], s[0:1], 0x20
	s_mov_b32 s10, s3
	s_ashr_i32 s11, s3, 31
	s_lshl_b64 s[12:13], s[10:11], 2
	s_waitcnt lgkmcnt(0)
	s_add_u32 s6, s6, s12
	s_addc_u32 s7, s7, s13
	s_abs_i32 s3, s8
	v_cvt_f32_u32_e32 v1, s3
	s_sub_i32 s12, 0, s3
	s_abs_i32 s11, s5
	s_xor_b32 s8, s5, s8
	v_rcp_iflag_f32_e32 v1, v1
	s_ashr_i32 s8, s8, 31
	v_mul_f32_e32 v1, 0x4f7ffffe, v1
	v_cvt_u32_f32_e32 v1, v1
	s_nop 0
	v_readfirstlane_b32 s13, v1
	s_mul_i32 s12, s12, s13
	s_mul_hi_u32 s12, s13, s12
	s_add_i32 s13, s13, s12
	s_mul_hi_u32 s12, s11, s13
	s_mul_i32 s13, s12, s3
	s_sub_i32 s11, s11, s13
	s_add_i32 s13, s12, 1
	s_sub_i32 s14, s11, s3
	s_cmp_ge_u32 s11, s3
	s_cselect_b32 s12, s13, s12
	s_cselect_b32 s11, s14, s11
	s_add_i32 s13, s12, 1
	s_cmp_ge_u32 s11, s3
	s_cselect_b32 s3, s13, s12
	s_xor_b32 s3, s3, s8
	s_sub_i32 s14, s3, s8
	s_abs_i32 s11, s14
	v_cvt_f32_u32_e32 v1, s11
	s_load_dwordx2 s[12:13], s[0:1], 0x40
	s_sub_i32 s3, 0, s11
	s_abs_i32 s18, s2
	v_rcp_iflag_f32_e32 v1, v1
	s_mov_b32 s8, 0
	v_mul_f32_e32 v1, 0x4f7ffffe, v1
	v_cvt_u32_f32_e32 v1, v1
	s_nop 0
	v_readfirstlane_b32 s15, v1
	s_mul_i32 s3, s3, s15
	s_mul_hi_u32 s3, s15, s3
	s_add_i32 s15, s15, s3
	s_waitcnt lgkmcnt(0)
	s_cmp_eq_u64 s[12:13], 0
	s_mul_hi_u32 s19, s18, s15
	s_cbranch_scc1 .LBB46_2
; %bb.1:
	s_ashr_i32 s3, s2, 31
	s_lshl_b64 s[16:17], s[2:3], 2
	s_add_u32 s12, s12, s16
	s_addc_u32 s13, s13, s17
	s_load_dword s8, s[12:13], 0x0
.LBB46_2:
	s_load_dword s33, s[6:7], 0x0
	s_ashr_i32 s7, s14, 31
	s_load_dwordx4 s[12:15], s[0:1], 0x48
	s_ashr_i32 s6, s2, 31
	v_and_b32_e32 v36, 1, v0
	s_lshl_b32 s16, s2, 6
	v_cmp_gt_u32_e32 vcc, 32, v0
	v_lshlrev_b32_e32 v2, 3, v0
	v_lshlrev_b32_e32 v46, 2, v0
	s_and_saveexec_b64 s[2:3], vcc
	s_cbranch_execz .LBB46_4
; %bb.3:
	s_load_dwordx2 s[20:21], s[0:1], 0x8
	s_waitcnt lgkmcnt(0)
	s_mul_i32 s22, s12, s10
	s_ashr_i32 s23, s22, 31
	s_lshl_b64 s[22:23], s[22:23], 2
	v_and_b32_e32 v1, 0xff8, v46
	s_add_u32 s12, s20, s22
	s_addc_u32 s15, s21, s23
	s_ashr_i32 s17, s16, 31
	s_lshl_b64 s[20:21], s[16:17], 2
	s_add_u32 s20, s12, s20
	s_addc_u32 s21, s15, s21
	global_load_dwordx2 v[4:5], v2, s[20:21]
	v_lshl_add_u32 v1, v36, 7, v1
	s_waitcnt vmcnt(0)
	ds_write_b64 v1, v[4:5]
.LBB46_4:
	s_or_b64 exec, exec, s[2:3]
	s_waitcnt lgkmcnt(0)
	s_add_i32 s3, s33, 31
	s_ashr_i32 s12, s3, 31
	s_lshr_b32 s12, s12, 27
	s_add_i32 s3, s3, s12
	s_ashr_i32 s12, s3, 5
	s_xor_b32 s3, s6, s7
	s_mul_i32 s6, s19, s11
	s_sub_i32 s6, s18, s6
	s_add_i32 s7, s19, 1
	s_sub_i32 s15, s6, s11
	s_load_dwordx2 s[20:21], s[0:1], 0x28
	s_load_dword s2, s[0:1], 0x38
	s_cmp_ge_u32 s6, s11
	s_cselect_b32 s7, s7, s19
	s_cselect_b32 s6, s15, s6
	s_add_i32 s15, s7, 1
	s_cmp_ge_u32 s6, s11
	s_cselect_b32 s6, s15, s7
	v_lshrrev_b32_e32 v1, 6, v0
	s_xor_b32 s6, s6, s3
	s_waitcnt lgkmcnt(0)
	s_mul_i32 s22, s2, s10
	s_sub_i32 s15, s6, s3
	s_ashr_i32 s23, s22, 31
	v_cmp_gt_i32_e64 s[6:7], s12, v1
	v_cmp_le_i32_e32 vcc, s12, v1
	v_mbcnt_lo_u32_b32 v37, -1, 0
	s_barrier
                                        ; implicit-def: $vgpr38
                                        ; implicit-def: $vgpr39
                                        ; implicit-def: $vgpr40
	s_and_saveexec_b64 s[2:3], vcc
	s_xor_b64 s[2:3], exec, s[2:3]
; %bb.5:
	v_mbcnt_hi_u32_b32 v38, -1, v37
	v_and_b32_e32 v39, 64, v38
	v_add_u32_e32 v40, 64, v39
                                        ; implicit-def: $vgpr2
                                        ; implicit-def: $vgpr36
                                        ; implicit-def: $vgpr37
; %bb.6:
	s_or_saveexec_b64 s[26:27], s[2:3]
	s_load_dwordx2 s[18:19], s[0:1], 0x0
	s_load_dwordx2 s[24:25], s[0:1], 0x18
	s_load_dword s11, s[0:1], 0x88
	v_mov_b32_e32 v41, 0xff7fffff
	s_mul_i32 s14, s15, s14
	v_lshrrev_b32_e32 v48, 4, v0
	s_xor_b64 exec, exec, s[26:27]
	s_cbranch_execz .LBB46_12
; %bb.7:
	s_load_dwordx2 s[0:1], s[0:1], 0x10
	s_ashr_i32 s15, s14, 31
	s_lshl_b64 s[2:3], s[14:15], 2
	v_bfe_u32 v41, v0, 1, 5
	v_lshlrev_b32_e32 v50, 4, v41
	s_waitcnt lgkmcnt(0)
	s_add_u32 s0, s0, s2
	s_addc_u32 s1, s1, s3
	v_mov_b32_e32 v51, 0
	v_lshl_add_u64 v[4:5], s[0:1], 0, v[50:51]
	v_and_b32_e32 v50, 8, v2
	v_lshlrev_b32_e32 v30, 7, v36
	v_lshl_add_u64 v[34:35], v[4:5], 0, v[50:51]
	ds_read_b128 v[2:5], v30
	ds_read_b128 v[6:9], v30 offset:16
	ds_read_b128 v[10:13], v30 offset:32
	;; [unrolled: 1-line block ×7, first 2 shown]
	v_mbcnt_hi_u32_b32 v38, -1, v37
	v_and_b32_e32 v39, 64, v38
	v_xor_b32_e32 v37, 1, v38
	v_add_u32_e32 v40, 64, v39
	s_sub_i32 s15, 1, s33
	s_lshl_b64 s[0:1], s[22:23], 2
	v_lshlrev_b32_e32 v44, 2, v41
	v_cmp_lt_i32_e32 vcc, v37, v40
	s_add_u32 s0, s20, s0
	v_and_b32_e32 v50, 60, v48
	v_cndmask_b32_e32 v37, v38, v37, vcc
	v_cmp_eq_u32_e32 vcc, 0, v36
	v_lshl_or_b32 v36, v1, 7, v44
	s_addc_u32 s1, s21, s1
	s_mov_b32 s17, s13
	v_lshlrev_b32_e32 v42, 2, v37
	v_cmp_neq_f32_e64 s[2:3], s8, 0
	v_lshl_or_b32 v43, v1, 5, v41
	v_add_u32_e32 v44, 0x110, v36
	v_lshl_add_u64 v[36:37], s[0:1], 0, v[50:51]
	v_mov_b32_e32 v41, 0xff7fffff
	s_mov_b64 s[28:29], 0
	s_movk_i32 s34, 0x1000
	v_mov_b32_e32 v45, v1
	s_branch .LBB46_9
.LBB46_8:                               ;   in Loop: Header=BB46_9 Depth=1
	s_or_b64 exec, exec, s[30:31]
	v_add_u32_e32 v45, 2, v45
	v_cmp_le_i32_e64 s[0:1], s12, v45
	v_add_u32_e32 v43, 64, v43
	v_add_u32_e32 v44, 0x100, v44
	s_or_b64 s[28:29], s[0:1], s[28:29]
	v_lshl_add_u64 v[36:37], v[36:37], 0, 8
	s_andn2_b64 exec, exec, s[28:29]
	s_cbranch_execz .LBB46_11
.LBB46_9:                               ; =>This Inner Loop Header: Depth=1
	global_load_dword v47, v[36:37], off
	s_waitcnt vmcnt(0)
	v_mad_i64_i32 v[50:51], s[0:1], v47, s17, 0
	v_lshl_add_u64 v[50:51], v[50:51], 2, v[34:35]
	global_load_dwordx2 v[52:53], v[50:51], off offset:512
	global_load_dwordx2 v[54:55], v[50:51], off offset:1024
	;; [unrolled: 1-line block ×3, first 2 shown]
	global_load_dwordx2 v[58:59], v[50:51], off
	global_load_dwordx2 v[60:61], v[50:51], off offset:2048
	global_load_dwordx2 v[62:63], v[50:51], off offset:2560
	;; [unrolled: 1-line block ×4, first 2 shown]
	v_add_co_u32_e64 v50, s[0:1], s34, v50
	s_waitcnt vmcnt(7) lgkmcnt(7)
	v_mul_f32_e32 v47, v4, v52
	v_addc_co_u32_e64 v51, s[0:1], 0, v51, s[0:1]
	global_load_dwordx2 v[68:69], v[50:51], off
	global_load_dwordx2 v[70:71], v[50:51], off offset:512
	global_load_dwordx2 v[72:73], v[50:51], off offset:1024
	;; [unrolled: 1-line block ×5, first 2 shown]
	s_waitcnt lgkmcnt(0)
	v_mul_f32_e32 v49, v5, v53
	global_load_dwordx2 v[52:53], v[50:51], off offset:3072
	s_nop 0
	global_load_dwordx2 v[50:51], v[50:51], off offset:3584
	s_waitcnt vmcnt(12)
	v_fmac_f32_e32 v47, v2, v58
	v_fmac_f32_e32 v49, v3, v59
	s_waitcnt lgkmcnt(6)
	v_fmac_f32_e32 v47, v6, v54
	v_fmac_f32_e32 v49, v7, v55
	;; [unrolled: 1-line block ×4, first 2 shown]
	s_waitcnt vmcnt(11) lgkmcnt(5)
	v_fmac_f32_e32 v47, v10, v60
	v_fmac_f32_e32 v49, v11, v61
	s_waitcnt vmcnt(10)
	v_fmac_f32_e32 v47, v12, v62
	v_fmac_f32_e32 v49, v13, v63
	s_waitcnt vmcnt(9) lgkmcnt(4)
	v_fmac_f32_e32 v47, v14, v64
	v_fmac_f32_e32 v49, v15, v65
	s_waitcnt vmcnt(8)
	v_fmac_f32_e32 v47, v16, v66
	v_fmac_f32_e32 v49, v17, v67
	;; [unrolled: 6-line block ×6, first 2 shown]
	v_add_f32_e32 v47, v47, v49
	ds_bpermute_b32 v49, v42, v47
	s_and_saveexec_b64 s[30:31], vcc
	s_cbranch_execz .LBB46_8
; %bb.10:                               ;   in Loop: Header=BB46_9 Depth=1
	v_add_u32_e32 v50, s15, v43
	v_cvt_f32_i32_e32 v50, v50
	s_waitcnt lgkmcnt(0)
	v_add_f32_e32 v47, v47, v49
	v_cmp_gt_i32_e64 s[0:1], s33, v43
	v_max_f32_e32 v49, v41, v41
	v_mul_f32_e32 v50, s8, v50
	v_cndmask_b32_e64 v50, 0, v50, s[2:3]
	v_fmac_f32_e32 v50, s9, v47
	v_cndmask_b32_e64 v47, 0, v50, s[0:1]
	ds_write_b32 v44, v47
	v_max_f32_e32 v47, v49, v50
	v_cndmask_b32_e64 v41, v41, v47, s[0:1]
	s_branch .LBB46_8
.LBB46_11:
	s_or_b64 exec, exec, s[28:29]
.LBB46_12:
	s_or_b64 exec, exec, s[26:27]
	v_xor_b32_e32 v2, 32, v38
	v_cmp_lt_i32_e32 vcc, v2, v40
	v_xor_b32_e32 v5, 16, v38
	v_max_f32_e32 v4, v41, v41
	v_cndmask_b32_e32 v2, v38, v2, vcc
	v_lshlrev_b32_e32 v2, 2, v2
	ds_bpermute_b32 v3, v2, v41
	v_cmp_lt_i32_e32 vcc, v5, v40
	v_xor_b32_e32 v6, 8, v38
	v_xor_b32_e32 v7, 4, v38
	v_and_b32_e32 v50, 63, v0
	s_waitcnt lgkmcnt(0)
	v_max_f32_e32 v3, v3, v3
	v_max_f32_e32 v4, v4, v3
	v_cndmask_b32_e32 v3, v38, v5, vcc
	v_lshlrev_b32_e32 v3, 2, v3
	ds_bpermute_b32 v5, v3, v4
	v_cmp_lt_i32_e32 vcc, v6, v40
	s_waitcnt lgkmcnt(0)
	v_max_f32_e32 v5, v5, v5
	v_max_f32_e32 v5, v4, v5
	v_cndmask_b32_e32 v4, v38, v6, vcc
	v_lshlrev_b32_e32 v4, 2, v4
	ds_bpermute_b32 v6, v4, v5
	v_cmp_lt_i32_e32 vcc, v7, v40
	s_waitcnt lgkmcnt(0)
	v_max_f32_e32 v6, v6, v6
	v_max_f32_e32 v5, v5, v6
	v_cndmask_b32_e32 v6, v38, v7, vcc
	v_lshlrev_b32_e32 v51, 2, v6
	ds_bpermute_b32 v6, v51, v5
	v_xor_b32_e32 v7, 2, v38
	v_cmp_lt_i32_e32 vcc, v7, v40
	s_waitcnt lgkmcnt(0)
	v_max_f32_e32 v6, v6, v6
	v_max_f32_e32 v6, v5, v6
	v_cndmask_b32_e32 v5, v38, v7, vcc
	v_lshlrev_b32_e32 v52, 2, v5
	ds_bpermute_b32 v7, v52, v6
	v_cmp_eq_u32_e32 vcc, 0, v50
	v_lshlrev_b32_e32 v5, 2, v1
	s_and_saveexec_b64 s[0:1], vcc
	s_cbranch_execz .LBB46_14
; %bb.13:
	s_waitcnt lgkmcnt(0)
	v_max_f32_e32 v7, v7, v7
	v_max_f32_e32 v6, v6, v6
	;; [unrolled: 1-line block ×3, first 2 shown]
	ds_write_b32 v5, v6 offset:256
.LBB46_14:
	s_or_b64 exec, exec, s[0:1]
	v_cmp_gt_u32_e64 s[0:1], 2, v50
	s_waitcnt lgkmcnt(0)
	v_mov_b32_e32 v7, 0xff7fffff
	v_lshlrev_b32_e32 v6, 2, v50
	s_barrier
	s_and_saveexec_b64 s[2:3], s[0:1]
; %bb.15:
	ds_read_b32 v7, v6 offset:256
; %bb.16:
	s_or_b64 exec, exec, s[2:3]
	v_xor_b32_e32 v8, 1, v38
	v_cmp_lt_i32_e64 s[2:3], v8, v40
	s_nop 1
	v_cndmask_b32_e64 v8, v38, v8, s[2:3]
	v_lshlrev_b32_e32 v53, 2, v8
	s_waitcnt lgkmcnt(0)
	ds_bpermute_b32 v8, v53, v7
	v_max_f32_e32 v7, v7, v7
	s_lshl_b32 s2, s12, 5
	s_min_i32 s15, s2, s33
	v_cmp_gt_i32_e64 s[2:3], s15, v0
	s_waitcnt lgkmcnt(0)
	v_max_f32_e32 v8, v8, v8
	v_max_f32_e32 v7, v7, v8
	v_lshlrev_b32_e32 v8, 2, v39
	ds_bpermute_b32 v8, v8, v7
	v_mov_b32_e32 v7, 0
	s_and_saveexec_b64 s[26:27], s[2:3]
	s_cbranch_execz .LBB46_20
; %bb.17:
	v_mov_b32_e32 v7, 0x110
	v_lshl_add_u32 v9, v0, 2, v7
	v_mov_b32_e32 v7, 0
	s_mov_b64 s[28:29], 0
	v_mov_b32_e32 v10, v0
.LBB46_18:                              ; =>This Inner Loop Header: Depth=1
	ds_read_b32 v11, v9
	v_add_u32_e32 v10, 0x80, v10
	v_cmp_le_i32_e64 s[8:9], s15, v10
	s_or_b64 s[28:29], s[8:9], s[28:29]
	s_waitcnt lgkmcnt(0)
	v_sub_f32_e32 v11, v11, v8
	v_mul_f32_e32 v11, 0x3fb8aa3b, v11
	v_exp_f32_e32 v11, v11
	ds_write_b32 v9, v11
	v_add_f32_e32 v7, v7, v11
	v_add_u32_e32 v9, 0x200, v9
	s_andn2_b64 exec, exec, s[28:29]
	s_cbranch_execnz .LBB46_18
; %bb.19:
	s_or_b64 exec, exec, s[28:29]
.LBB46_20:
	s_or_b64 exec, exec, s[26:27]
	ds_bpermute_b32 v2, v2, v7
	s_waitcnt lgkmcnt(0)
	v_add_f32_e32 v2, v7, v2
	ds_bpermute_b32 v3, v3, v2
	s_waitcnt lgkmcnt(0)
	v_add_f32_e32 v2, v2, v3
	;; [unrolled: 3-line block ×6, first 2 shown]
	s_and_saveexec_b64 s[8:9], vcc
; %bb.21:
	ds_write_b32 v5, v2 offset:264
; %bb.22:
	s_or_b64 exec, exec, s[8:9]
	s_waitcnt lgkmcnt(0)
	s_barrier
	s_and_saveexec_b64 s[8:9], s[0:1]
; %bb.23:
	ds_read_b32 v2, v6 offset:264
; %bb.24:
	s_or_b64 exec, exec, s[8:9]
	s_waitcnt lgkmcnt(0)
	ds_bpermute_b32 v3, v53, v2
	v_lshlrev_b32_e32 v4, 2, v38
	s_waitcnt lgkmcnt(0)
	v_add_f32_e32 v2, v2, v3
	v_and_b32_e32 v3, 0xffffff00, v4
	ds_bpermute_b32 v2, v3, v2
	s_and_saveexec_b64 s[0:1], s[2:3]
	s_cbranch_execz .LBB46_37
; %bb.25:
	s_waitcnt lgkmcnt(0)
	v_add_f32_e32 v2, 0x358637bd, v2
	v_div_scale_f32 v3, s[2:3], v2, v2, 1.0
	v_rcp_f32_e32 v4, v3
	v_div_scale_f32 v5, vcc, 1.0, v2, 1.0
	s_movk_i32 s2, 0x7f
	v_fma_f32 v6, -v3, v4, 1.0
	v_fmac_f32_e32 v4, v6, v4
	v_mul_f32_e32 v6, v5, v4
	v_fma_f32 v7, -v3, v6, v5
	v_fmac_f32_e32 v6, v7, v4
	v_fma_f32 v3, -v3, v6, v5
	v_div_fmas_f32 v3, v3, v4, v6
	v_xad_u32 v4, v0, -1, s15
	v_div_fixup_f32 v2, v3, v2, 1.0
	v_cmp_lt_u32_e32 vcc, s2, v4
	s_mov_b64 s[8:9], -1
	v_mov_b32_e32 v3, v0
	s_and_saveexec_b64 s[2:3], vcc
	s_cbranch_execz .LBB46_34
; %bb.26:
	v_lshrrev_b32_e32 v4, 7, v4
	v_add_u32_e32 v6, -1, v4
	v_lshrrev_b32_e32 v5, 1, v6
	v_mov_b32_e32 v3, v2
	v_add_u32_e32 v5, 1, v5
	v_cmp_lt_u32_e32 vcc, 13, v6
	v_mov_b32_e32 v8, 0
	s_and_saveexec_b64 s[8:9], vcc
	s_cbranch_execz .LBB46_30
; %bb.27:
	v_mov_b32_e32 v7, 0x110
	v_and_b32_e32 v6, -8, v5
	v_lshl_add_u32 v7, v0, 2, v7
	s_mov_b32 s17, 0
	s_mov_b64 s[26:27], 0
.LBB46_28:                              ; =>This Inner Loop Header: Depth=1
	ds_read2st64_b32 v[8:9], v7 offset1:2
	ds_read2st64_b32 v[10:11], v7 offset0:4 offset1:6
	ds_read2st64_b32 v[12:13], v7 offset0:8 offset1:10
	;; [unrolled: 1-line block ×3, first 2 shown]
	v_add_u32_e32 v6, -8, v6
	s_waitcnt lgkmcnt(3)
	v_pk_mul_f32 v[8:9], v[2:3], v[8:9]
	s_waitcnt lgkmcnt(2)
	v_pk_mul_f32 v[10:11], v[2:3], v[10:11]
	ds_write2st64_b32 v7, v8, v9 offset1:2
	ds_write2st64_b32 v7, v10, v11 offset0:4 offset1:6
	ds_read2st64_b32 v[10:11], v7 offset0:16 offset1:18
	s_waitcnt lgkmcnt(4)
	v_pk_mul_f32 v[8:9], v[2:3], v[12:13]
	ds_write2st64_b32 v7, v8, v9 offset0:8 offset1:10
	s_waitcnt lgkmcnt(4)
	v_pk_mul_f32 v[8:9], v[2:3], v[14:15]
	ds_write2st64_b32 v7, v8, v9 offset0:12 offset1:14
	ds_read2st64_b32 v[8:9], v7 offset0:20 offset1:22
	s_waitcnt lgkmcnt(3)
	v_pk_mul_f32 v[10:11], v[2:3], v[10:11]
	ds_read2st64_b32 v[12:13], v7 offset0:24 offset1:26
	ds_write2st64_b32 v7, v10, v11 offset0:16 offset1:18
	ds_read2st64_b32 v[10:11], v7 offset0:28 offset1:30
	s_waitcnt lgkmcnt(3)
	v_pk_mul_f32 v[8:9], v[2:3], v[8:9]
	ds_write2st64_b32 v7, v8, v9 offset0:20 offset1:22
	s_waitcnt lgkmcnt(3)
	v_pk_mul_f32 v[8:9], v[2:3], v[12:13]
	ds_write2st64_b32 v7, v8, v9 offset0:24 offset1:26
	s_waitcnt lgkmcnt(2)
	v_pk_mul_f32 v[8:9], v[2:3], v[10:11]
	s_add_i32 s17, s17, 16
	v_cmp_eq_u32_e32 vcc, 0, v6
	ds_write2st64_b32 v7, v8, v9 offset0:28 offset1:30
	v_add_u32_e32 v7, 0x2000, v7
	s_or_b64 s[26:27], vcc, s[26:27]
	v_mov_b32_e32 v8, s17
	s_andn2_b64 exec, exec, s[26:27]
	s_cbranch_execnz .LBB46_28
; %bb.29:
	s_or_b64 exec, exec, s[26:27]
.LBB46_30:
	s_or_b64 exec, exec, s[8:9]
	v_and_b32_e32 v5, 7, v5
	v_cmp_ne_u32_e32 vcc, 0, v5
	s_and_saveexec_b64 s[8:9], vcc
	s_cbranch_execz .LBB46_33
; %bb.31:
	v_lshlrev_b32_e32 v6, 9, v8
	s_movk_i32 s17, 0x110
	v_add3_u32 v6, v6, v46, s17
	s_mov_b64 s[26:27], 0
.LBB46_32:                              ; =>This Inner Loop Header: Depth=1
	ds_read2st64_b32 v[8:9], v6 offset1:2
	v_add_u32_e32 v5, -1, v5
	v_cmp_eq_u32_e32 vcc, 0, v5
	s_or_b64 s[26:27], vcc, s[26:27]
	s_waitcnt lgkmcnt(0)
	v_pk_mul_f32 v[8:9], v[2:3], v[8:9]
	ds_write2st64_b32 v6, v8, v9 offset1:2
	v_add_u32_e32 v6, 0x400, v6
	s_andn2_b64 exec, exec, s[26:27]
	s_cbranch_execnz .LBB46_32
.LBB46_33:
	s_or_b64 exec, exec, s[8:9]
	v_add_u32_e32 v4, 1, v4
	v_and_b32_e32 v5, 0x3fffffe, v4
	v_cmp_ne_u32_e32 vcc, v4, v5
	v_lshl_add_u32 v3, v5, 7, v0
	s_orn2_b64 s[8:9], vcc, exec
.LBB46_34:
	s_or_b64 exec, exec, s[2:3]
	s_and_b64 exec, exec, s[8:9]
	s_cbranch_execz .LBB46_37
; %bb.35:
	v_mov_b32_e32 v4, 0x110
	v_lshl_add_u32 v4, v3, 2, v4
	s_mov_b64 s[2:3], 0
.LBB46_36:                              ; =>This Inner Loop Header: Depth=1
	ds_read_b32 v5, v4
	v_add_u32_e32 v3, 0x80, v3
	v_cmp_le_i32_e32 vcc, s15, v3
	s_or_b64 s[2:3], vcc, s[2:3]
	s_waitcnt lgkmcnt(0)
	v_mul_f32_e32 v5, v2, v5
	ds_write_b32 v4, v5
	v_add_u32_e32 v4, 0x200, v4
	s_andn2_b64 exec, exec, s[2:3]
	s_cbranch_execnz .LBB46_36
.LBB46_37:
	s_or_b64 exec, exec, s[0:1]
	v_mov_b32_e32 v39, 0
	v_and_b32_e32 v54, 7, v0
	v_mov_b32_e32 v38, 0
	v_mov_b32_e32 v41, 0
	;; [unrolled: 1-line block ×7, first 2 shown]
	s_waitcnt lgkmcnt(0)
	s_barrier
	s_and_saveexec_b64 s[2:3], s[6:7]
	s_cbranch_execz .LBB46_57
; %bb.38:
	s_ashr_i32 s15, s14, 31
	s_lshl_b64 s[0:1], s[14:15], 2
	s_add_u32 s0, s24, s0
	v_lshlrev_b32_e32 v3, 4, v0
	s_addc_u32 s1, s25, s1
	v_and_b32_e32 v38, 0x3f0, v3
	v_mov_b32_e32 v39, 0
	v_and_b32_e32 v2, 28, v46
	s_add_i32 s14, s12, -1
	v_lshl_add_u64 v[46:47], s[0:1], 0, v[38:39]
	s_lshl_b64 s[0:1], s[22:23], 2
	v_lshl_or_b32 v55, v1, 5, v2
	v_lshlrev_b32_e32 v2, 4, v54
	s_add_u32 s0, s20, s0
	v_lshl_or_b32 v2, v1, 7, v2
	v_and_b32_e32 v38, 60, v48
	s_addc_u32 s1, s21, s1
	s_mov_b32 s15, s33
	v_add_u32_e32 v56, 0x110, v2
	v_lshl_add_u64 v[48:49], s[0:1], 0, v[38:39]
	s_mov_b64 s[6:7], 0
	v_mov_b32_e32 v38, v39
	v_mov_b32_e32 v41, v39
	;; [unrolled: 1-line block ×7, first 2 shown]
	s_branch .LBB46_40
.LBB46_39:                              ;   in Loop: Header=BB46_40 Depth=1
	s_or_b64 exec, exec, s[8:9]
	s_waitcnt vmcnt(1) lgkmcnt(0)
	v_mul_f32_e32 v34, v2, v34
	v_mul_f32_e32 v26, v2, v26
	;; [unrolled: 1-line block ×7, first 2 shown]
	v_fmac_f32_e32 v34, v3, v35
	v_fmac_f32_e32 v26, v3, v27
	;; [unrolled: 1-line block ×14, first 2 shown]
	s_waitcnt vmcnt(0)
	v_pk_mul_f32 v[2:3], v[2:3], v[30:31]
	v_fmac_f32_e32 v34, v5, v37
	v_fmac_f32_e32 v26, v5, v29
	v_fmac_f32_e32 v22, v5, v25
	v_fmac_f32_e32 v18, v5, v21
	v_fmac_f32_e32 v14, v5, v17
	v_fmac_f32_e32 v10, v5, v13
	v_fmac_f32_e32 v6, v5, v9
	v_pk_mul_f32 v[4:5], v[4:5], v[32:33]
	v_add_f32_e32 v2, v3, v2
	v_add_f32_e32 v2, v4, v2
	v_add_u32_e32 v1, 2, v1
	v_add_f32_e32 v2, v5, v2
	v_cmp_le_i32_e32 vcc, s12, v1
	v_add_f32_e32 v38, v38, v34
	v_add_f32_e32 v41, v41, v26
	;; [unrolled: 1-line block ×8, first 2 shown]
	v_add_u32_e32 v55, 64, v55
	v_add_u32_e32 v56, 0x100, v56
	s_or_b64 s[6:7], vcc, s[6:7]
	v_lshl_add_u64 v[48:49], v[48:49], 0, 8
	s_andn2_b64 exec, exec, s[6:7]
	s_cbranch_execz .LBB46_56
.LBB46_40:                              ; =>This Inner Loop Header: Depth=1
	global_load_dword v2, v[48:49], off
	v_add_u32_e32 v59, 1, v55
	v_or_b32_e32 v58, 3, v55
	v_or_b32_e32 v57, 2, v55
	s_waitcnt vmcnt(0)
	v_mad_i64_i32 v[2:3], s[0:1], v2, s13, 0
	v_lshl_add_u64 v[30:31], v[2:3], 2, v[46:47]
	global_load_dwordx4 v[6:9], v[30:31], off
	ds_read_b128 v[2:5], v56
	v_cmp_eq_u32_e64 s[0:1], s14, v1
	s_and_saveexec_b64 s[8:9], s[0:1]
	s_cbranch_execnz .LBB46_53
; %bb.41:                               ;   in Loop: Header=BB46_40 Depth=1
	s_or_b64 exec, exec, s[8:9]
	global_load_dwordx4 v[10:13], v[30:31], off offset:1024
	s_and_saveexec_b64 s[8:9], s[0:1]
	s_cbranch_execnz .LBB46_54
.LBB46_42:                              ;   in Loop: Header=BB46_40 Depth=1
	s_or_b64 exec, exec, s[8:9]
	global_load_dwordx4 v[14:17], v[30:31], off offset:2048
	s_and_saveexec_b64 s[8:9], s[0:1]
	s_cbranch_execnz .LBB46_55
.LBB46_43:                              ;   in Loop: Header=BB46_40 Depth=1
	s_or_b64 exec, exec, s[8:9]
	global_load_dwordx4 v[18:21], v[30:31], off offset:3072
	s_and_saveexec_b64 s[8:9], s[0:1]
	s_cbranch_execz .LBB46_45
.LBB46_44:                              ;   in Loop: Header=BB46_40 Depth=1
	v_cmp_gt_i32_e32 vcc, s15, v59
	s_waitcnt vmcnt(0)
	s_nop 0
	v_cndmask_b32_e32 v19, 0, v19, vcc
	v_cmp_gt_i32_e32 vcc, s33, v55
	s_nop 1
	v_cndmask_b32_e32 v18, 0, v18, vcc
	v_cmp_gt_i32_e32 vcc, s15, v58
	;; [unrolled: 3-line block ×3, first 2 shown]
	s_nop 1
	v_cndmask_b32_e32 v20, 0, v20, vcc
.LBB46_45:                              ;   in Loop: Header=BB46_40 Depth=1
	s_or_b64 exec, exec, s[8:9]
	v_add_co_u32_e32 v22, vcc, 0x1000, v30
	s_nop 1
	v_addc_co_u32_e32 v23, vcc, 0, v31, vcc
	global_load_dwordx4 v[22:25], v[22:23], off
	s_and_saveexec_b64 s[8:9], s[0:1]
	s_cbranch_execz .LBB46_47
; %bb.46:                               ;   in Loop: Header=BB46_40 Depth=1
	v_cmp_gt_i32_e32 vcc, s15, v59
	s_waitcnt vmcnt(0)
	s_nop 0
	v_cndmask_b32_e32 v23, 0, v23, vcc
	v_cmp_gt_i32_e32 vcc, s33, v55
	s_nop 1
	v_cndmask_b32_e32 v22, 0, v22, vcc
	v_cmp_gt_i32_e32 vcc, s15, v58
	s_nop 1
	v_cndmask_b32_e32 v25, 0, v25, vcc
	v_cmp_gt_i32_e32 vcc, s33, v57
	s_nop 1
	v_cndmask_b32_e32 v24, 0, v24, vcc
.LBB46_47:                              ;   in Loop: Header=BB46_40 Depth=1
	s_or_b64 exec, exec, s[8:9]
	v_add_co_u32_e32 v26, vcc, 0x1000, v30
	s_nop 1
	v_addc_co_u32_e32 v27, vcc, 0, v31, vcc
	global_load_dwordx4 v[26:29], v[26:27], off offset:1024
	s_and_saveexec_b64 s[8:9], s[0:1]
	s_cbranch_execz .LBB46_49
; %bb.48:                               ;   in Loop: Header=BB46_40 Depth=1
	v_cmp_gt_i32_e32 vcc, s15, v59
	s_waitcnt vmcnt(0)
	s_nop 0
	v_cndmask_b32_e32 v27, 0, v27, vcc
	v_cmp_gt_i32_e32 vcc, s33, v55
	s_nop 1
	v_cndmask_b32_e32 v26, 0, v26, vcc
	v_cmp_gt_i32_e32 vcc, s15, v58
	s_nop 1
	v_cndmask_b32_e32 v29, 0, v29, vcc
	v_cmp_gt_i32_e32 vcc, s33, v57
	s_nop 1
	v_cndmask_b32_e32 v28, 0, v28, vcc
.LBB46_49:                              ;   in Loop: Header=BB46_40 Depth=1
	s_or_b64 exec, exec, s[8:9]
	v_add_co_u32_e32 v32, vcc, 0x1000, v30
	s_nop 1
	v_addc_co_u32_e32 v33, vcc, 0, v31, vcc
	global_load_dwordx4 v[34:37], v[32:33], off offset:2048
	s_and_saveexec_b64 s[8:9], s[0:1]
	s_cbranch_execz .LBB46_51
; %bb.50:                               ;   in Loop: Header=BB46_40 Depth=1
	v_cmp_gt_i32_e32 vcc, s15, v59
	s_waitcnt vmcnt(0)
	s_nop 0
	v_cndmask_b32_e32 v35, 0, v35, vcc
	v_cmp_gt_i32_e32 vcc, s33, v55
	s_nop 1
	v_cndmask_b32_e32 v34, 0, v34, vcc
	v_cmp_gt_i32_e32 vcc, s15, v58
	s_nop 1
	v_cndmask_b32_e32 v37, 0, v37, vcc
	v_cmp_gt_i32_e32 vcc, s33, v57
	s_nop 1
	v_cndmask_b32_e32 v36, 0, v36, vcc
.LBB46_51:                              ;   in Loop: Header=BB46_40 Depth=1
	s_or_b64 exec, exec, s[8:9]
	v_add_co_u32_e32 v30, vcc, 0x1000, v30
	s_nop 1
	v_addc_co_u32_e32 v31, vcc, 0, v31, vcc
	global_load_dwordx4 v[30:33], v[30:31], off offset:3072
	s_and_saveexec_b64 s[8:9], s[0:1]
	s_cbranch_execz .LBB46_39
; %bb.52:                               ;   in Loop: Header=BB46_40 Depth=1
	v_cmp_gt_i32_e32 vcc, s15, v59
	s_waitcnt vmcnt(0)
	s_nop 0
	v_cndmask_b32_e32 v31, 0, v31, vcc
	v_cmp_gt_i32_e32 vcc, s33, v55
	s_nop 1
	v_cndmask_b32_e32 v30, 0, v30, vcc
	v_cmp_gt_i32_e32 vcc, s15, v58
	;; [unrolled: 3-line block ×3, first 2 shown]
	s_nop 1
	v_cndmask_b32_e32 v32, 0, v32, vcc
	s_branch .LBB46_39
.LBB46_53:                              ;   in Loop: Header=BB46_40 Depth=1
	v_cmp_gt_i32_e32 vcc, s15, v59
	s_waitcnt vmcnt(0)
	s_nop 0
	v_cndmask_b32_e32 v7, 0, v7, vcc
	v_cmp_gt_i32_e32 vcc, s33, v55
	s_nop 1
	v_cndmask_b32_e32 v6, 0, v6, vcc
	v_cmp_gt_i32_e32 vcc, s15, v58
	;; [unrolled: 3-line block ×3, first 2 shown]
	s_nop 1
	v_cndmask_b32_e32 v8, 0, v8, vcc
	s_or_b64 exec, exec, s[8:9]
	global_load_dwordx4 v[10:13], v[30:31], off offset:1024
	s_and_saveexec_b64 s[8:9], s[0:1]
	s_cbranch_execz .LBB46_42
.LBB46_54:                              ;   in Loop: Header=BB46_40 Depth=1
	v_cmp_gt_i32_e32 vcc, s15, v59
	s_waitcnt vmcnt(0)
	s_nop 0
	v_cndmask_b32_e32 v11, 0, v11, vcc
	v_cmp_gt_i32_e32 vcc, s33, v55
	s_nop 1
	v_cndmask_b32_e32 v10, 0, v10, vcc
	v_cmp_gt_i32_e32 vcc, s15, v58
	;; [unrolled: 3-line block ×3, first 2 shown]
	s_nop 1
	v_cndmask_b32_e32 v12, 0, v12, vcc
	s_or_b64 exec, exec, s[8:9]
	global_load_dwordx4 v[14:17], v[30:31], off offset:2048
	s_and_saveexec_b64 s[8:9], s[0:1]
	s_cbranch_execz .LBB46_43
.LBB46_55:                              ;   in Loop: Header=BB46_40 Depth=1
	v_cmp_gt_i32_e32 vcc, s15, v59
	s_waitcnt vmcnt(0)
	s_nop 0
	v_cndmask_b32_e32 v15, 0, v15, vcc
	v_cmp_gt_i32_e32 vcc, s33, v55
	s_nop 1
	v_cndmask_b32_e32 v14, 0, v14, vcc
	v_cmp_gt_i32_e32 vcc, s15, v58
	s_nop 1
	v_cndmask_b32_e32 v17, 0, v17, vcc
	v_cmp_gt_i32_e32 vcc, s33, v57
	s_nop 1
	v_cndmask_b32_e32 v16, 0, v16, vcc
	s_or_b64 exec, exec, s[8:9]
	global_load_dwordx4 v[18:21], v[30:31], off offset:3072
	s_and_saveexec_b64 s[8:9], s[0:1]
	s_cbranch_execnz .LBB46_44
	s_branch .LBB46_45
.LBB46_56:
	s_or_b64 exec, exec, s[6:7]
.LBB46_57:
	s_or_b64 exec, exec, s[2:3]
	ds_bpermute_b32 v4, v51, v42
	ds_bpermute_b32 v5, v51, v43
	;; [unrolled: 1-line block ×6, first 2 shown]
	s_waitcnt lgkmcnt(4)
	v_pk_add_f32 v[4:5], v[42:43], v[4:5]
	ds_bpermute_b32 v8, v52, v4
	ds_bpermute_b32 v9, v52, v5
	s_waitcnt lgkmcnt(4)
	v_pk_add_f32 v[2:3], v[44:45], v[2:3]
	ds_bpermute_b32 v6, v52, v2
	ds_bpermute_b32 v7, v52, v3
	;; [unrolled: 1-line block ×3, first 2 shown]
	s_waitcnt lgkmcnt(3)
	v_pk_add_f32 v[4:5], v[4:5], v[8:9]
	v_pk_add_f32 v[8:9], v[40:41], v[10:11]
	ds_bpermute_b32 v10, v52, v8
	ds_bpermute_b32 v11, v52, v9
	;; [unrolled: 1-line block ×3, first 2 shown]
	s_waitcnt lgkmcnt(4)
	v_pk_add_f32 v[2:3], v[2:3], v[6:7]
	ds_bpermute_b32 v6, v53, v2
	ds_bpermute_b32 v7, v53, v3
	s_waitcnt lgkmcnt(3)
	v_pk_add_f32 v[8:9], v[8:9], v[10:11]
	s_waitcnt lgkmcnt(2)
	v_pk_add_f32 v[14:15], v[38:39], v[14:15]
	ds_bpermute_b32 v10, v53, v8
	ds_bpermute_b32 v11, v53, v9
	;; [unrolled: 1-line block ×6, first 2 shown]
	s_waitcnt lgkmcnt(6)
	v_pk_add_f32 v[6:7], v[2:3], v[6:7]
	s_waitcnt lgkmcnt(4)
	v_pk_add_f32 v[2:3], v[8:9], v[10:11]
	;; [unrolled: 2-line block ×3, first 2 shown]
	ds_bpermute_b32 v10, v53, v8
	ds_bpermute_b32 v11, v53, v9
	v_and_b32_e32 v1, 0x3c7, v0
	s_waitcnt lgkmcnt(2)
	v_pk_add_f32 v[4:5], v[4:5], v[12:13]
	v_cmp_ne_u32_e32 vcc, 64, v1
	s_waitcnt lgkmcnt(0)
	s_barrier
	s_and_saveexec_b64 s[0:1], vcc
	s_xor_b64 s[0:1], exec, s[0:1]
; %bb.58:
                                        ; implicit-def: $vgpr50
; %bb.59:
	s_or_saveexec_b64 s[0:1], s[0:1]
	v_pk_add_f32 v[8:9], v[8:9], v[10:11]
	s_xor_b64 exec, exec, s[0:1]
	s_cbranch_execz .LBB46_61
; %bb.60:
	v_lshrrev_b32_e32 v10, 1, v50
	v_add_u32_e32 v10, 0x110, v10
	ds_write2_b32 v10, v6, v7 offset1:8
	ds_write2_b32 v10, v4, v5 offset0:16 offset1:24
	ds_write2_b32 v10, v2, v3 offset0:32 offset1:40
	;; [unrolled: 1-line block ×3, first 2 shown]
.LBB46_61:
	s_or_b64 exec, exec, s[0:1]
	v_cmp_gt_u32_e32 vcc, 64, v0
	v_lshrrev_b32_e32 v0, 3, v0
	s_waitcnt lgkmcnt(0)
	s_barrier
	s_and_saveexec_b64 s[0:1], vcc
	s_cbranch_execz .LBB46_72
; %bb.62:
	v_mov_b32_e32 v10, 0x110
	v_cmp_eq_u32_e32 vcc, 0, v54
	v_lshl_add_u32 v10, v0, 2, v10
	s_and_saveexec_b64 s[2:3], vcc
	s_cbranch_execnz .LBB46_75
; %bb.63:
	s_or_b64 exec, exec, s[2:3]
	s_and_saveexec_b64 s[2:3], vcc
	s_cbranch_execnz .LBB46_76
.LBB46_64:
	s_or_b64 exec, exec, s[2:3]
	s_and_saveexec_b64 s[2:3], vcc
	s_cbranch_execnz .LBB46_77
.LBB46_65:
	s_or_b64 exec, exec, s[2:3]
	s_and_saveexec_b64 s[2:3], vcc
	s_cbranch_execnz .LBB46_78
.LBB46_66:
	s_or_b64 exec, exec, s[2:3]
	s_and_saveexec_b64 s[2:3], vcc
	s_cbranch_execnz .LBB46_79
.LBB46_67:
	s_or_b64 exec, exec, s[2:3]
	s_and_saveexec_b64 s[2:3], vcc
	s_cbranch_execnz .LBB46_80
.LBB46_68:
	s_or_b64 exec, exec, s[2:3]
	s_and_saveexec_b64 s[2:3], vcc
	s_cbranch_execnz .LBB46_81
.LBB46_69:
	s_or_b64 exec, exec, s[2:3]
	s_and_saveexec_b64 s[2:3], vcc
	s_cbranch_execz .LBB46_71
.LBB46_70:
	ds_read_b32 v10, v10 offset:224
	s_waitcnt lgkmcnt(0)
	v_add_f32_e32 v9, v9, v10
.LBB46_71:
	s_or_b64 exec, exec, s[2:3]
.LBB46_72:
	s_or_b64 exec, exec, s[0:1]
	v_cmp_eq_u32_e32 vcc, 0, v1
	s_barrier
	s_and_saveexec_b64 s[0:1], vcc
	s_cbranch_execz .LBB46_74
; %bb.73:
	s_mul_i32 s0, s10, s11
	s_mul_i32 s0, s0, s5
	s_lshl_b32 s0, s0, 6
	s_ashr_i32 s1, s0, 31
	s_lshl_b64 s[0:1], s[0:1], 2
	s_add_u32 s2, s18, s0
	s_mul_i32 s0, s11, s16
	s_addc_u32 s3, s19, s1
	s_ashr_i32 s1, s0, 31
	s_lshl_b64 s[0:1], s[0:1], 2
	s_add_u32 s2, s2, s0
	s_addc_u32 s3, s3, s1
	s_lshl_b32 s0, s4, 6
	s_ashr_i32 s1, s0, 31
	s_lshl_b64 s[0:1], s[0:1], 2
	s_add_u32 s0, s2, s0
	s_addc_u32 s1, s3, s1
	v_lshlrev_b32_e32 v0, 2, v0
	global_store_dword v0, v6, s[0:1]
	global_store_dword v0, v7, s[0:1] offset:32
	global_store_dword v0, v4, s[0:1] offset:64
	;; [unrolled: 1-line block ×7, first 2 shown]
.LBB46_74:
	s_endpgm
.LBB46_75:
	ds_read_b32 v11, v10
	s_waitcnt lgkmcnt(0)
	v_add_f32_e32 v6, v6, v11
	s_or_b64 exec, exec, s[2:3]
	s_and_saveexec_b64 s[2:3], vcc
	s_cbranch_execz .LBB46_64
.LBB46_76:
	ds_read_b32 v11, v10 offset:32
	s_waitcnt lgkmcnt(0)
	v_add_f32_e32 v7, v7, v11
	s_or_b64 exec, exec, s[2:3]
	s_and_saveexec_b64 s[2:3], vcc
	s_cbranch_execz .LBB46_65
.LBB46_77:
	ds_read_b32 v11, v10 offset:64
	s_waitcnt lgkmcnt(0)
	v_add_f32_e32 v4, v4, v11
	s_or_b64 exec, exec, s[2:3]
	s_and_saveexec_b64 s[2:3], vcc
	s_cbranch_execz .LBB46_66
.LBB46_78:
	ds_read_b32 v11, v10 offset:96
	s_waitcnt lgkmcnt(0)
	v_add_f32_e32 v5, v5, v11
	s_or_b64 exec, exec, s[2:3]
	s_and_saveexec_b64 s[2:3], vcc
	s_cbranch_execz .LBB46_67
.LBB46_79:
	ds_read_b32 v11, v10 offset:128
	s_waitcnt lgkmcnt(0)
	v_add_f32_e32 v2, v2, v11
	s_or_b64 exec, exec, s[2:3]
	s_and_saveexec_b64 s[2:3], vcc
	s_cbranch_execz .LBB46_68
.LBB46_80:
	ds_read_b32 v11, v10 offset:160
	s_waitcnt lgkmcnt(0)
	v_add_f32_e32 v3, v3, v11
	s_or_b64 exec, exec, s[2:3]
	s_and_saveexec_b64 s[2:3], vcc
	s_cbranch_execz .LBB46_69
.LBB46_81:
	ds_read_b32 v11, v10 offset:192
	s_waitcnt lgkmcnt(0)
	v_add_f32_e32 v8, v8, v11
	s_or_b64 exec, exec, s[2:3]
	s_and_saveexec_b64 s[2:3], vcc
	s_cbranch_execnz .LBB46_70
	s_branch .LBB46_71
	.section	.rodata,"a",@progbits
	.p2align	6, 0x0
	.amdhsa_kernel _ZN4vllm25paged_attention_v1_kernelIffLi64ELi32ELi128ELNS_18Fp8KVCacheDataTypeE0ELb0EEEvPT_PKS2_PKT0_S8_ifPKiSA_iPKfiiiSC_SC_iiiii
		.amdhsa_group_segment_fixed_size 272
		.amdhsa_private_segment_fixed_size 0
		.amdhsa_kernarg_size 384
		.amdhsa_user_sgpr_count 2
		.amdhsa_user_sgpr_dispatch_ptr 0
		.amdhsa_user_sgpr_queue_ptr 0
		.amdhsa_user_sgpr_kernarg_segment_ptr 1
		.amdhsa_user_sgpr_dispatch_id 0
		.amdhsa_user_sgpr_kernarg_preload_length 0
		.amdhsa_user_sgpr_kernarg_preload_offset 0
		.amdhsa_user_sgpr_private_segment_size 0
		.amdhsa_uses_dynamic_stack 0
		.amdhsa_enable_private_segment 0
		.amdhsa_system_sgpr_workgroup_id_x 1
		.amdhsa_system_sgpr_workgroup_id_y 1
		.amdhsa_system_sgpr_workgroup_id_z 1
		.amdhsa_system_sgpr_workgroup_info 0
		.amdhsa_system_vgpr_workitem_id 0
		.amdhsa_next_free_vgpr 80
		.amdhsa_next_free_sgpr 35
		.amdhsa_accum_offset 80
		.amdhsa_reserve_vcc 1
		.amdhsa_float_round_mode_32 0
		.amdhsa_float_round_mode_16_64 0
		.amdhsa_float_denorm_mode_32 3
		.amdhsa_float_denorm_mode_16_64 3
		.amdhsa_dx10_clamp 1
		.amdhsa_ieee_mode 1
		.amdhsa_fp16_overflow 0
		.amdhsa_tg_split 0
		.amdhsa_exception_fp_ieee_invalid_op 0
		.amdhsa_exception_fp_denorm_src 0
		.amdhsa_exception_fp_ieee_div_zero 0
		.amdhsa_exception_fp_ieee_overflow 0
		.amdhsa_exception_fp_ieee_underflow 0
		.amdhsa_exception_fp_ieee_inexact 0
		.amdhsa_exception_int_div_zero 0
	.end_amdhsa_kernel
	.section	.text._ZN4vllm25paged_attention_v1_kernelIffLi64ELi32ELi128ELNS_18Fp8KVCacheDataTypeE0ELb0EEEvPT_PKS2_PKT0_S8_ifPKiSA_iPKfiiiSC_SC_iiiii,"axG",@progbits,_ZN4vllm25paged_attention_v1_kernelIffLi64ELi32ELi128ELNS_18Fp8KVCacheDataTypeE0ELb0EEEvPT_PKS2_PKT0_S8_ifPKiSA_iPKfiiiSC_SC_iiiii,comdat
.Lfunc_end46:
	.size	_ZN4vllm25paged_attention_v1_kernelIffLi64ELi32ELi128ELNS_18Fp8KVCacheDataTypeE0ELb0EEEvPT_PKS2_PKT0_S8_ifPKiSA_iPKfiiiSC_SC_iiiii, .Lfunc_end46-_ZN4vllm25paged_attention_v1_kernelIffLi64ELi32ELi128ELNS_18Fp8KVCacheDataTypeE0ELb0EEEvPT_PKS2_PKT0_S8_ifPKiSA_iPKfiiiSC_SC_iiiii
                                        ; -- End function
	.set _ZN4vllm25paged_attention_v1_kernelIffLi64ELi32ELi128ELNS_18Fp8KVCacheDataTypeE0ELb0EEEvPT_PKS2_PKT0_S8_ifPKiSA_iPKfiiiSC_SC_iiiii.num_vgpr, 80
	.set _ZN4vllm25paged_attention_v1_kernelIffLi64ELi32ELi128ELNS_18Fp8KVCacheDataTypeE0ELb0EEEvPT_PKS2_PKT0_S8_ifPKiSA_iPKfiiiSC_SC_iiiii.num_agpr, 0
	.set _ZN4vllm25paged_attention_v1_kernelIffLi64ELi32ELi128ELNS_18Fp8KVCacheDataTypeE0ELb0EEEvPT_PKS2_PKT0_S8_ifPKiSA_iPKfiiiSC_SC_iiiii.numbered_sgpr, 35
	.set _ZN4vllm25paged_attention_v1_kernelIffLi64ELi32ELi128ELNS_18Fp8KVCacheDataTypeE0ELb0EEEvPT_PKS2_PKT0_S8_ifPKiSA_iPKfiiiSC_SC_iiiii.num_named_barrier, 0
	.set _ZN4vllm25paged_attention_v1_kernelIffLi64ELi32ELi128ELNS_18Fp8KVCacheDataTypeE0ELb0EEEvPT_PKS2_PKT0_S8_ifPKiSA_iPKfiiiSC_SC_iiiii.private_seg_size, 0
	.set _ZN4vllm25paged_attention_v1_kernelIffLi64ELi32ELi128ELNS_18Fp8KVCacheDataTypeE0ELb0EEEvPT_PKS2_PKT0_S8_ifPKiSA_iPKfiiiSC_SC_iiiii.uses_vcc, 1
	.set _ZN4vllm25paged_attention_v1_kernelIffLi64ELi32ELi128ELNS_18Fp8KVCacheDataTypeE0ELb0EEEvPT_PKS2_PKT0_S8_ifPKiSA_iPKfiiiSC_SC_iiiii.uses_flat_scratch, 0
	.set _ZN4vllm25paged_attention_v1_kernelIffLi64ELi32ELi128ELNS_18Fp8KVCacheDataTypeE0ELb0EEEvPT_PKS2_PKT0_S8_ifPKiSA_iPKfiiiSC_SC_iiiii.has_dyn_sized_stack, 0
	.set _ZN4vllm25paged_attention_v1_kernelIffLi64ELi32ELi128ELNS_18Fp8KVCacheDataTypeE0ELb0EEEvPT_PKS2_PKT0_S8_ifPKiSA_iPKfiiiSC_SC_iiiii.has_recursion, 0
	.set _ZN4vllm25paged_attention_v1_kernelIffLi64ELi32ELi128ELNS_18Fp8KVCacheDataTypeE0ELb0EEEvPT_PKS2_PKT0_S8_ifPKiSA_iPKfiiiSC_SC_iiiii.has_indirect_call, 0
	.section	.AMDGPU.csdata,"",@progbits
; Kernel info:
; codeLenInByte = 4828
; TotalNumSgprs: 41
; NumVgprs: 80
; NumAgprs: 0
; TotalNumVgprs: 80
; ScratchSize: 0
; MemoryBound: 0
; FloatMode: 240
; IeeeMode: 1
; LDSByteSize: 272 bytes/workgroup (compile time only)
; SGPRBlocks: 5
; VGPRBlocks: 9
; NumSGPRsForWavesPerEU: 41
; NumVGPRsForWavesPerEU: 80
; AccumOffset: 80
; Occupancy: 6
; WaveLimiterHint : 1
; COMPUTE_PGM_RSRC2:SCRATCH_EN: 0
; COMPUTE_PGM_RSRC2:USER_SGPR: 2
; COMPUTE_PGM_RSRC2:TRAP_HANDLER: 0
; COMPUTE_PGM_RSRC2:TGID_X_EN: 1
; COMPUTE_PGM_RSRC2:TGID_Y_EN: 1
; COMPUTE_PGM_RSRC2:TGID_Z_EN: 1
; COMPUTE_PGM_RSRC2:TIDIG_COMP_CNT: 0
; COMPUTE_PGM_RSRC3_GFX90A:ACCUM_OFFSET: 19
; COMPUTE_PGM_RSRC3_GFX90A:TG_SPLIT: 0
	.section	.text._ZN4vllm25paged_attention_v1_kernelIffLi80ELi32ELi128ELNS_18Fp8KVCacheDataTypeE0ELb0EEEvPT_PKS2_PKT0_S8_ifPKiSA_iPKfiiiSC_SC_iiiii,"axG",@progbits,_ZN4vllm25paged_attention_v1_kernelIffLi80ELi32ELi128ELNS_18Fp8KVCacheDataTypeE0ELb0EEEvPT_PKS2_PKT0_S8_ifPKiSA_iPKfiiiSC_SC_iiiii,comdat
	.protected	_ZN4vllm25paged_attention_v1_kernelIffLi80ELi32ELi128ELNS_18Fp8KVCacheDataTypeE0ELb0EEEvPT_PKS2_PKT0_S8_ifPKiSA_iPKfiiiSC_SC_iiiii ; -- Begin function _ZN4vllm25paged_attention_v1_kernelIffLi80ELi32ELi128ELNS_18Fp8KVCacheDataTypeE0ELb0EEEvPT_PKS2_PKT0_S8_ifPKiSA_iPKfiiiSC_SC_iiiii
	.globl	_ZN4vllm25paged_attention_v1_kernelIffLi80ELi32ELi128ELNS_18Fp8KVCacheDataTypeE0ELb0EEEvPT_PKS2_PKT0_S8_ifPKiSA_iPKfiiiSC_SC_iiiii
	.p2align	8
	.type	_ZN4vllm25paged_attention_v1_kernelIffLi80ELi32ELi128ELNS_18Fp8KVCacheDataTypeE0ELb0EEEvPT_PKS2_PKT0_S8_ifPKiSA_iPKfiiiSC_SC_iiiii,@function
_ZN4vllm25paged_attention_v1_kernelIffLi80ELi32ELi128ELNS_18Fp8KVCacheDataTypeE0ELb0EEEvPT_PKS2_PKT0_S8_ifPKiSA_iPKfiiiSC_SC_iiiii: ; @_ZN4vllm25paged_attention_v1_kernelIffLi80ELi32ELi128ELNS_18Fp8KVCacheDataTypeE0ELb0EEEvPT_PKS2_PKT0_S8_ifPKiSA_iPKfiiiSC_SC_iiiii
; %bb.0:
	s_load_dword s5, s[0:1], 0x80
	s_load_dwordx2 s[6:7], s[0:1], 0x30
	s_load_dwordx2 s[8:9], s[0:1], 0x20
	s_mov_b32 s10, s3
	s_ashr_i32 s11, s3, 31
	s_lshl_b64 s[12:13], s[10:11], 2
	s_waitcnt lgkmcnt(0)
	s_add_u32 s6, s6, s12
	s_addc_u32 s7, s7, s13
	s_abs_i32 s3, s8
	v_cvt_f32_u32_e32 v1, s3
	s_sub_i32 s12, 0, s3
	s_abs_i32 s11, s5
	s_xor_b32 s8, s5, s8
	v_rcp_iflag_f32_e32 v1, v1
	s_ashr_i32 s8, s8, 31
	v_mul_f32_e32 v1, 0x4f7ffffe, v1
	v_cvt_u32_f32_e32 v1, v1
	s_nop 0
	v_readfirstlane_b32 s13, v1
	s_mul_i32 s12, s12, s13
	s_mul_hi_u32 s12, s13, s12
	s_add_i32 s13, s13, s12
	s_mul_hi_u32 s12, s11, s13
	s_mul_i32 s13, s12, s3
	s_sub_i32 s11, s11, s13
	s_add_i32 s13, s12, 1
	s_sub_i32 s14, s11, s3
	s_cmp_ge_u32 s11, s3
	s_cselect_b32 s12, s13, s12
	s_cselect_b32 s11, s14, s11
	s_add_i32 s13, s12, 1
	s_cmp_ge_u32 s11, s3
	s_cselect_b32 s3, s13, s12
	s_xor_b32 s3, s3, s8
	s_sub_i32 s14, s3, s8
	s_abs_i32 s11, s14
	v_cvt_f32_u32_e32 v1, s11
	s_load_dwordx2 s[12:13], s[0:1], 0x40
	s_sub_i32 s3, 0, s11
	s_abs_i32 s18, s2
	v_rcp_iflag_f32_e32 v1, v1
	s_mov_b32 s8, 0
	v_mul_f32_e32 v1, 0x4f7ffffe, v1
	v_cvt_u32_f32_e32 v1, v1
	s_nop 0
	v_readfirstlane_b32 s15, v1
	s_mul_i32 s3, s3, s15
	s_mul_hi_u32 s3, s15, s3
	s_add_i32 s15, s15, s3
	s_waitcnt lgkmcnt(0)
	s_cmp_eq_u64 s[12:13], 0
	s_mul_hi_u32 s19, s18, s15
	s_cbranch_scc1 .LBB47_2
; %bb.1:
	s_ashr_i32 s3, s2, 31
	s_lshl_b64 s[16:17], s[2:3], 2
	s_add_u32 s12, s12, s16
	s_addc_u32 s13, s13, s17
	s_load_dword s8, s[12:13], 0x0
.LBB47_2:
	s_load_dword s33, s[6:7], 0x0
	s_ashr_i32 s7, s14, 31
	s_load_dwordx4 s[12:15], s[0:1], 0x48
	s_ashr_i32 s6, s2, 31
	v_and_b32_e32 v44, 1, v0
	s_mul_i32 s16, s2, 0x50
	v_cmp_gt_u32_e32 vcc, 40, v0
	v_lshlrev_b32_e32 v2, 3, v0
	v_lshlrev_b32_e32 v56, 2, v0
	s_and_saveexec_b64 s[2:3], vcc
	s_cbranch_execz .LBB47_4
; %bb.3:
	s_load_dwordx2 s[20:21], s[0:1], 0x8
	s_waitcnt lgkmcnt(0)
	s_mul_i32 s22, s12, s10
	s_ashr_i32 s23, s22, 31
	s_lshl_b64 s[22:23], s[22:23], 2
	v_and_b32_e32 v1, 0xff8, v56
	s_add_u32 s12, s20, s22
	s_addc_u32 s15, s21, s23
	s_ashr_i32 s17, s16, 31
	s_lshl_b64 s[20:21], s[16:17], 2
	s_add_u32 s20, s12, s20
	s_addc_u32 s21, s15, s21
	global_load_dwordx2 v[4:5], v2, s[20:21]
	s_movk_i32 s12, 0xa0
	v_mad_u32_u24 v1, v44, s12, v1
	s_waitcnt vmcnt(0)
	ds_write_b64 v1, v[4:5]
.LBB47_4:
	s_or_b64 exec, exec, s[2:3]
	s_waitcnt lgkmcnt(0)
	s_add_i32 s3, s33, 31
	s_ashr_i32 s12, s3, 31
	s_lshr_b32 s12, s12, 27
	s_add_i32 s3, s3, s12
	s_ashr_i32 s12, s3, 5
	s_xor_b32 s3, s6, s7
	s_mul_i32 s6, s19, s11
	s_sub_i32 s6, s18, s6
	s_add_i32 s7, s19, 1
	s_sub_i32 s15, s6, s11
	s_load_dwordx2 s[20:21], s[0:1], 0x28
	s_load_dword s2, s[0:1], 0x38
	s_cmp_ge_u32 s6, s11
	s_cselect_b32 s7, s7, s19
	s_cselect_b32 s6, s15, s6
	s_add_i32 s15, s7, 1
	s_cmp_ge_u32 s6, s11
	s_cselect_b32 s6, s15, s7
	v_lshrrev_b32_e32 v1, 6, v0
	s_xor_b32 s6, s6, s3
	s_waitcnt lgkmcnt(0)
	s_mul_i32 s22, s2, s10
	s_sub_i32 s15, s6, s3
	s_ashr_i32 s23, s22, 31
	v_cmp_gt_i32_e64 s[6:7], s12, v1
	v_cmp_le_i32_e32 vcc, s12, v1
	v_mbcnt_lo_u32_b32 v45, -1, 0
	s_barrier
                                        ; implicit-def: $vgpr46
                                        ; implicit-def: $vgpr47
                                        ; implicit-def: $vgpr48
	s_and_saveexec_b64 s[2:3], vcc
	s_xor_b64 s[2:3], exec, s[2:3]
; %bb.5:
	v_mbcnt_hi_u32_b32 v46, -1, v45
	v_and_b32_e32 v47, 64, v46
	v_add_u32_e32 v48, 64, v47
                                        ; implicit-def: $vgpr2
                                        ; implicit-def: $vgpr44
                                        ; implicit-def: $vgpr45
; %bb.6:
	s_or_saveexec_b64 s[26:27], s[2:3]
	s_load_dwordx2 s[18:19], s[0:1], 0x0
	s_load_dwordx2 s[24:25], s[0:1], 0x18
	s_load_dword s11, s[0:1], 0x88
	v_mov_b32_e32 v49, 0xff7fffff
	s_mul_i32 s14, s15, s14
	v_lshrrev_b32_e32 v58, 4, v0
	s_xor_b64 exec, exec, s[26:27]
	s_cbranch_execz .LBB47_12
; %bb.7:
	s_load_dwordx2 s[0:1], s[0:1], 0x10
	s_ashr_i32 s15, s14, 31
	s_lshl_b64 s[2:3], s[14:15], 2
	v_bfe_u32 v49, v0, 1, 5
	v_lshlrev_b32_e32 v54, 4, v49
	s_waitcnt lgkmcnt(0)
	s_add_u32 s0, s0, s2
	s_addc_u32 s1, s1, s3
	v_mov_b32_e32 v55, 0
	v_lshl_add_u64 v[4:5], s[0:1], 0, v[54:55]
	v_and_b32_e32 v54, 8, v2
	v_mul_u32_u24_e32 v38, 0xa0, v44
	v_lshl_add_u64 v[42:43], v[4:5], 0, v[54:55]
	ds_read_b128 v[2:5], v38
	ds_read_b128 v[6:9], v38 offset:16
	ds_read_b128 v[10:13], v38 offset:32
	;; [unrolled: 1-line block ×9, first 2 shown]
	v_mbcnt_hi_u32_b32 v46, -1, v45
	v_and_b32_e32 v47, 64, v46
	v_xor_b32_e32 v45, 1, v46
	v_add_u32_e32 v48, 64, v47
	s_sub_i32 s15, 1, s33
	s_lshl_b64 s[0:1], s[22:23], 2
	v_lshlrev_b32_e32 v52, 2, v49
	v_cmp_lt_i32_e32 vcc, v45, v48
	s_add_u32 s0, s20, s0
	v_and_b32_e32 v54, 60, v58
	v_cndmask_b32_e32 v45, v46, v45, vcc
	v_cmp_eq_u32_e32 vcc, 0, v44
	v_lshl_or_b32 v44, v1, 7, v52
	s_addc_u32 s1, s21, s1
	s_mov_b32 s17, s13
	v_lshlrev_b32_e32 v50, 2, v45
	v_cmp_neq_f32_e64 s[2:3], s8, 0
	v_lshl_or_b32 v51, v1, 5, v49
	v_add_u32_e32 v52, 0x150, v44
	v_lshl_add_u64 v[44:45], s[0:1], 0, v[54:55]
	v_mov_b32_e32 v49, 0xff7fffff
	s_mov_b64 s[28:29], 0
	s_movk_i32 s34, 0x1000
	s_movk_i32 s35, 0x2000
	v_mov_b32_e32 v53, v1
	s_branch .LBB47_9
.LBB47_8:                               ;   in Loop: Header=BB47_9 Depth=1
	s_or_b64 exec, exec, s[30:31]
	v_add_u32_e32 v53, 2, v53
	v_cmp_le_i32_e64 s[0:1], s12, v53
	v_add_u32_e32 v51, 64, v51
	v_add_u32_e32 v52, 0x100, v52
	s_or_b64 s[28:29], s[0:1], s[28:29]
	v_lshl_add_u64 v[44:45], v[44:45], 0, 8
	s_andn2_b64 exec, exec, s[28:29]
	s_cbranch_execz .LBB47_11
.LBB47_9:                               ; =>This Inner Loop Header: Depth=1
	global_load_dword v54, v[44:45], off
	s_waitcnt vmcnt(0) lgkmcnt(0)
	v_mad_i64_i32 v[54:55], s[0:1], v54, s17, 0
	v_lshl_add_u64 v[54:55], v[54:55], 2, v[42:43]
	global_load_dwordx2 v[60:61], v[54:55], off offset:512
	global_load_dwordx2 v[62:63], v[54:55], off offset:1024
	;; [unrolled: 1-line block ×3, first 2 shown]
	global_load_dwordx2 v[66:67], v[54:55], off
	global_load_dwordx2 v[68:69], v[54:55], off offset:2048
	global_load_dwordx2 v[70:71], v[54:55], off offset:2560
	;; [unrolled: 1-line block ×3, first 2 shown]
	v_add_co_u32_e64 v74, s[0:1], s34, v54
	s_waitcnt vmcnt(6) lgkmcnt(9)
	v_mul_f32_e32 v57, v4, v60
	v_addc_co_u32_e64 v75, s[0:1], 0, v55, s[0:1]
	v_add_co_u32_e64 v76, s[0:1], s35, v54
	v_mul_f32_e32 v59, v5, v61
	s_nop 0
	v_addc_co_u32_e64 v77, s[0:1], 0, v55, s[0:1]
	global_load_dwordx2 v[54:55], v[54:55], off offset:3584
	s_nop 0
	global_load_dwordx2 v[78:79], v[76:77], off offset:-4096
	global_load_dwordx2 v[60:61], v[74:75], off offset:512
	s_waitcnt vmcnt(6)
	v_fmac_f32_e32 v57, v2, v66
	v_fmac_f32_e32 v59, v3, v67
	s_waitcnt lgkmcnt(8)
	v_fmac_f32_e32 v57, v6, v62
	v_fmac_f32_e32 v59, v7, v63
	;; [unrolled: 1-line block ×4, first 2 shown]
	global_load_dwordx2 v[62:63], v[74:75], off offset:1024
	global_load_dwordx2 v[64:65], v[74:75], off offset:1536
	;; [unrolled: 1-line block ×3, first 2 shown]
	s_waitcnt vmcnt(8) lgkmcnt(7)
	v_fmac_f32_e32 v57, v10, v68
	v_fmac_f32_e32 v59, v11, v69
	s_waitcnt vmcnt(7)
	v_fmac_f32_e32 v57, v12, v70
	v_fmac_f32_e32 v59, v13, v71
	s_waitcnt vmcnt(6) lgkmcnt(6)
	v_fmac_f32_e32 v57, v14, v72
	v_fmac_f32_e32 v59, v15, v73
	global_load_dwordx2 v[68:69], v[74:75], off offset:2560
	global_load_dwordx2 v[70:71], v[74:75], off offset:3072
	;; [unrolled: 1-line block ×3, first 2 shown]
	s_waitcnt vmcnt(8)
	v_fmac_f32_e32 v57, v16, v54
	v_fmac_f32_e32 v59, v17, v55
	global_load_dwordx2 v[54:55], v[76:77], off
	global_load_dwordx2 v[74:75], v[76:77], off offset:512
	s_waitcnt vmcnt(9) lgkmcnt(5)
	v_fmac_f32_e32 v57, v18, v78
	v_fmac_f32_e32 v59, v19, v79
	s_waitcnt vmcnt(8)
	v_fmac_f32_e32 v57, v20, v60
	v_fmac_f32_e32 v59, v21, v61
	global_load_dwordx2 v[60:61], v[76:77], off offset:1024
	s_nop 0
	global_load_dwordx2 v[76:77], v[76:77], off offset:1536
	s_waitcnt vmcnt(9) lgkmcnt(4)
	v_fmac_f32_e32 v57, v22, v62
	v_fmac_f32_e32 v59, v23, v63
	s_waitcnt vmcnt(8)
	v_fmac_f32_e32 v57, v24, v64
	v_fmac_f32_e32 v59, v25, v65
	s_waitcnt vmcnt(7) lgkmcnt(3)
	v_fmac_f32_e32 v57, v26, v66
	v_fmac_f32_e32 v59, v27, v67
	s_waitcnt vmcnt(6)
	v_fmac_f32_e32 v57, v28, v68
	v_fmac_f32_e32 v59, v29, v69
	;; [unrolled: 6-line block ×5, first 2 shown]
	v_add_f32_e32 v54, v57, v59
	ds_bpermute_b32 v55, v50, v54
	s_and_saveexec_b64 s[30:31], vcc
	s_cbranch_execz .LBB47_8
; %bb.10:                               ;   in Loop: Header=BB47_9 Depth=1
	v_add_u32_e32 v57, s15, v51
	v_cvt_f32_i32_e32 v57, v57
	s_waitcnt lgkmcnt(0)
	v_add_f32_e32 v54, v54, v55
	v_cmp_gt_i32_e64 s[0:1], s33, v51
	v_max_f32_e32 v55, v49, v49
	v_mul_f32_e32 v57, s8, v57
	v_cndmask_b32_e64 v57, 0, v57, s[2:3]
	v_fmac_f32_e32 v57, s9, v54
	v_cndmask_b32_e64 v54, 0, v57, s[0:1]
	ds_write_b32 v52, v54
	v_max_f32_e32 v54, v55, v57
	v_cndmask_b32_e64 v49, v49, v54, s[0:1]
	s_branch .LBB47_8
.LBB47_11:
	s_or_b64 exec, exec, s[28:29]
.LBB47_12:
	s_or_b64 exec, exec, s[26:27]
	v_xor_b32_e32 v2, 32, v46
	v_cmp_lt_i32_e32 vcc, v2, v48
	v_xor_b32_e32 v5, 16, v46
	v_max_f32_e32 v4, v49, v49
	v_cndmask_b32_e32 v2, v46, v2, vcc
	v_lshlrev_b32_e32 v2, 2, v2
	ds_bpermute_b32 v3, v2, v49
	v_cmp_lt_i32_e32 vcc, v5, v48
	v_xor_b32_e32 v6, 8, v46
	v_xor_b32_e32 v7, 4, v46
	v_and_b32_e32 v60, 63, v0
	s_waitcnt lgkmcnt(0)
	v_max_f32_e32 v3, v3, v3
	v_max_f32_e32 v4, v4, v3
	v_cndmask_b32_e32 v3, v46, v5, vcc
	v_lshlrev_b32_e32 v3, 2, v3
	ds_bpermute_b32 v5, v3, v4
	v_cmp_lt_i32_e32 vcc, v6, v48
	s_waitcnt lgkmcnt(0)
	v_max_f32_e32 v5, v5, v5
	v_max_f32_e32 v5, v4, v5
	v_cndmask_b32_e32 v4, v46, v6, vcc
	v_lshlrev_b32_e32 v4, 2, v4
	ds_bpermute_b32 v6, v4, v5
	v_cmp_lt_i32_e32 vcc, v7, v48
	s_waitcnt lgkmcnt(0)
	v_max_f32_e32 v6, v6, v6
	v_max_f32_e32 v5, v5, v6
	v_cndmask_b32_e32 v6, v46, v7, vcc
	v_lshlrev_b32_e32 v61, 2, v6
	ds_bpermute_b32 v6, v61, v5
	v_xor_b32_e32 v7, 2, v46
	v_cmp_lt_i32_e32 vcc, v7, v48
	s_waitcnt lgkmcnt(0)
	v_max_f32_e32 v6, v6, v6
	v_max_f32_e32 v6, v5, v6
	v_cndmask_b32_e32 v5, v46, v7, vcc
	v_lshlrev_b32_e32 v62, 2, v5
	ds_bpermute_b32 v7, v62, v6
	v_cmp_eq_u32_e32 vcc, 0, v60
	v_lshlrev_b32_e32 v5, 2, v1
	s_and_saveexec_b64 s[0:1], vcc
	s_cbranch_execz .LBB47_14
; %bb.13:
	s_waitcnt lgkmcnt(0)
	v_max_f32_e32 v7, v7, v7
	v_max_f32_e32 v6, v6, v6
	v_max_f32_e32 v6, v6, v7
	ds_write_b32 v5, v6 offset:320
.LBB47_14:
	s_or_b64 exec, exec, s[0:1]
	v_cmp_gt_u32_e64 s[0:1], 2, v60
	s_waitcnt lgkmcnt(0)
	v_mov_b32_e32 v7, 0xff7fffff
	v_lshlrev_b32_e32 v6, 2, v60
	s_barrier
	s_and_saveexec_b64 s[2:3], s[0:1]
; %bb.15:
	ds_read_b32 v7, v6 offset:320
; %bb.16:
	s_or_b64 exec, exec, s[2:3]
	v_xor_b32_e32 v8, 1, v46
	v_cmp_lt_i32_e64 s[2:3], v8, v48
	s_nop 1
	v_cndmask_b32_e64 v8, v46, v8, s[2:3]
	v_lshlrev_b32_e32 v63, 2, v8
	s_waitcnt lgkmcnt(0)
	ds_bpermute_b32 v8, v63, v7
	v_max_f32_e32 v7, v7, v7
	s_lshl_b32 s2, s12, 5
	s_min_i32 s15, s2, s33
	v_cmp_gt_i32_e64 s[2:3], s15, v0
	s_waitcnt lgkmcnt(0)
	v_max_f32_e32 v8, v8, v8
	v_max_f32_e32 v7, v7, v8
	v_lshlrev_b32_e32 v8, 2, v47
	ds_bpermute_b32 v8, v8, v7
	v_mov_b32_e32 v7, 0
	s_and_saveexec_b64 s[26:27], s[2:3]
	s_cbranch_execz .LBB47_20
; %bb.17:
	v_mov_b32_e32 v7, 0x150
	v_lshl_add_u32 v9, v0, 2, v7
	v_mov_b32_e32 v7, 0
	s_mov_b64 s[28:29], 0
	v_mov_b32_e32 v10, v0
.LBB47_18:                              ; =>This Inner Loop Header: Depth=1
	ds_read_b32 v11, v9
	v_add_u32_e32 v10, 0x80, v10
	v_cmp_le_i32_e64 s[8:9], s15, v10
	s_or_b64 s[28:29], s[8:9], s[28:29]
	s_waitcnt lgkmcnt(0)
	v_sub_f32_e32 v11, v11, v8
	v_mul_f32_e32 v11, 0x3fb8aa3b, v11
	v_exp_f32_e32 v11, v11
	ds_write_b32 v9, v11
	v_add_f32_e32 v7, v7, v11
	v_add_u32_e32 v9, 0x200, v9
	s_andn2_b64 exec, exec, s[28:29]
	s_cbranch_execnz .LBB47_18
; %bb.19:
	s_or_b64 exec, exec, s[28:29]
.LBB47_20:
	s_or_b64 exec, exec, s[26:27]
	ds_bpermute_b32 v2, v2, v7
	s_waitcnt lgkmcnt(0)
	v_add_f32_e32 v2, v7, v2
	ds_bpermute_b32 v3, v3, v2
	s_waitcnt lgkmcnt(0)
	v_add_f32_e32 v2, v2, v3
	ds_bpermute_b32 v3, v4, v2
	s_waitcnt lgkmcnt(0)
	v_add_f32_e32 v2, v2, v3
	ds_bpermute_b32 v3, v61, v2
	s_waitcnt lgkmcnt(0)
	v_add_f32_e32 v2, v2, v3
	ds_bpermute_b32 v3, v62, v2
	s_waitcnt lgkmcnt(0)
	v_add_f32_e32 v2, v2, v3
	ds_bpermute_b32 v3, v63, v2
	s_waitcnt lgkmcnt(0)
	v_add_f32_e32 v2, v2, v3
	s_and_saveexec_b64 s[8:9], vcc
; %bb.21:
	ds_write_b32 v5, v2 offset:328
; %bb.22:
	s_or_b64 exec, exec, s[8:9]
	s_waitcnt lgkmcnt(0)
	s_barrier
	s_and_saveexec_b64 s[8:9], s[0:1]
; %bb.23:
	ds_read_b32 v2, v6 offset:328
; %bb.24:
	s_or_b64 exec, exec, s[8:9]
	s_waitcnt lgkmcnt(0)
	ds_bpermute_b32 v3, v63, v2
	v_lshlrev_b32_e32 v4, 2, v46
	s_waitcnt lgkmcnt(0)
	v_add_f32_e32 v2, v2, v3
	v_and_b32_e32 v3, 0xffffff00, v4
	ds_bpermute_b32 v2, v3, v2
	s_and_saveexec_b64 s[0:1], s[2:3]
	s_cbranch_execz .LBB47_37
; %bb.25:
	s_waitcnt lgkmcnt(0)
	v_add_f32_e32 v2, 0x358637bd, v2
	v_div_scale_f32 v3, s[2:3], v2, v2, 1.0
	v_rcp_f32_e32 v4, v3
	v_div_scale_f32 v5, vcc, 1.0, v2, 1.0
	s_movk_i32 s2, 0x7f
	v_fma_f32 v6, -v3, v4, 1.0
	v_fmac_f32_e32 v4, v6, v4
	v_mul_f32_e32 v6, v5, v4
	v_fma_f32 v7, -v3, v6, v5
	v_fmac_f32_e32 v6, v7, v4
	v_fma_f32 v3, -v3, v6, v5
	v_div_fmas_f32 v3, v3, v4, v6
	v_xad_u32 v4, v0, -1, s15
	v_div_fixup_f32 v2, v3, v2, 1.0
	v_cmp_lt_u32_e32 vcc, s2, v4
	s_mov_b64 s[8:9], -1
	v_mov_b32_e32 v3, v0
	s_and_saveexec_b64 s[2:3], vcc
	s_cbranch_execz .LBB47_34
; %bb.26:
	v_lshrrev_b32_e32 v4, 7, v4
	v_add_u32_e32 v6, -1, v4
	v_lshrrev_b32_e32 v5, 1, v6
	v_mov_b32_e32 v3, v2
	v_add_u32_e32 v5, 1, v5
	v_cmp_lt_u32_e32 vcc, 13, v6
	v_mov_b32_e32 v8, 0
	s_and_saveexec_b64 s[8:9], vcc
	s_cbranch_execz .LBB47_30
; %bb.27:
	v_mov_b32_e32 v7, 0x150
	v_and_b32_e32 v6, -8, v5
	v_lshl_add_u32 v7, v0, 2, v7
	s_mov_b32 s17, 0
	s_mov_b64 s[26:27], 0
.LBB47_28:                              ; =>This Inner Loop Header: Depth=1
	ds_read2st64_b32 v[8:9], v7 offset1:2
	ds_read2st64_b32 v[10:11], v7 offset0:4 offset1:6
	ds_read2st64_b32 v[12:13], v7 offset0:8 offset1:10
	;; [unrolled: 1-line block ×3, first 2 shown]
	v_add_u32_e32 v6, -8, v6
	s_waitcnt lgkmcnt(3)
	v_pk_mul_f32 v[8:9], v[2:3], v[8:9]
	s_waitcnt lgkmcnt(2)
	v_pk_mul_f32 v[10:11], v[2:3], v[10:11]
	ds_write2st64_b32 v7, v8, v9 offset1:2
	ds_write2st64_b32 v7, v10, v11 offset0:4 offset1:6
	ds_read2st64_b32 v[10:11], v7 offset0:16 offset1:18
	s_waitcnt lgkmcnt(4)
	v_pk_mul_f32 v[8:9], v[2:3], v[12:13]
	ds_write2st64_b32 v7, v8, v9 offset0:8 offset1:10
	s_waitcnt lgkmcnt(4)
	v_pk_mul_f32 v[8:9], v[2:3], v[14:15]
	ds_write2st64_b32 v7, v8, v9 offset0:12 offset1:14
	ds_read2st64_b32 v[8:9], v7 offset0:20 offset1:22
	s_waitcnt lgkmcnt(3)
	v_pk_mul_f32 v[10:11], v[2:3], v[10:11]
	ds_read2st64_b32 v[12:13], v7 offset0:24 offset1:26
	ds_write2st64_b32 v7, v10, v11 offset0:16 offset1:18
	ds_read2st64_b32 v[10:11], v7 offset0:28 offset1:30
	s_waitcnt lgkmcnt(3)
	v_pk_mul_f32 v[8:9], v[2:3], v[8:9]
	ds_write2st64_b32 v7, v8, v9 offset0:20 offset1:22
	s_waitcnt lgkmcnt(3)
	v_pk_mul_f32 v[8:9], v[2:3], v[12:13]
	ds_write2st64_b32 v7, v8, v9 offset0:24 offset1:26
	s_waitcnt lgkmcnt(2)
	v_pk_mul_f32 v[8:9], v[2:3], v[10:11]
	s_add_i32 s17, s17, 16
	v_cmp_eq_u32_e32 vcc, 0, v6
	ds_write2st64_b32 v7, v8, v9 offset0:28 offset1:30
	v_add_u32_e32 v7, 0x2000, v7
	s_or_b64 s[26:27], vcc, s[26:27]
	v_mov_b32_e32 v8, s17
	s_andn2_b64 exec, exec, s[26:27]
	s_cbranch_execnz .LBB47_28
; %bb.29:
	s_or_b64 exec, exec, s[26:27]
.LBB47_30:
	s_or_b64 exec, exec, s[8:9]
	v_and_b32_e32 v5, 7, v5
	v_cmp_ne_u32_e32 vcc, 0, v5
	s_and_saveexec_b64 s[8:9], vcc
	s_cbranch_execz .LBB47_33
; %bb.31:
	v_lshlrev_b32_e32 v6, 9, v8
	s_movk_i32 s17, 0x150
	v_add3_u32 v6, v6, v56, s17
	s_mov_b64 s[26:27], 0
.LBB47_32:                              ; =>This Inner Loop Header: Depth=1
	ds_read2st64_b32 v[8:9], v6 offset1:2
	v_add_u32_e32 v5, -1, v5
	v_cmp_eq_u32_e32 vcc, 0, v5
	s_or_b64 s[26:27], vcc, s[26:27]
	s_waitcnt lgkmcnt(0)
	v_pk_mul_f32 v[8:9], v[2:3], v[8:9]
	ds_write2st64_b32 v6, v8, v9 offset1:2
	v_add_u32_e32 v6, 0x400, v6
	s_andn2_b64 exec, exec, s[26:27]
	s_cbranch_execnz .LBB47_32
.LBB47_33:
	s_or_b64 exec, exec, s[8:9]
	v_add_u32_e32 v4, 1, v4
	v_and_b32_e32 v5, 0x3fffffe, v4
	v_cmp_ne_u32_e32 vcc, v4, v5
	v_lshl_add_u32 v3, v5, 7, v0
	s_orn2_b64 s[8:9], vcc, exec
.LBB47_34:
	s_or_b64 exec, exec, s[2:3]
	s_and_b64 exec, exec, s[8:9]
	s_cbranch_execz .LBB47_37
; %bb.35:
	v_mov_b32_e32 v4, 0x150
	v_lshl_add_u32 v4, v3, 2, v4
	s_mov_b64 s[2:3], 0
.LBB47_36:                              ; =>This Inner Loop Header: Depth=1
	ds_read_b32 v5, v4
	v_add_u32_e32 v3, 0x80, v3
	v_cmp_le_i32_e32 vcc, s15, v3
	s_or_b64 s[2:3], vcc, s[2:3]
	s_waitcnt lgkmcnt(0)
	v_mul_f32_e32 v5, v2, v5
	ds_write_b32 v4, v5
	v_add_u32_e32 v4, 0x200, v4
	s_andn2_b64 exec, exec, s[2:3]
	s_cbranch_execnz .LBB47_36
.LBB47_37:
	s_or_b64 exec, exec, s[0:1]
	v_mov_b32_e32 v47, 0
	v_and_b32_e32 v64, 7, v0
	v_mov_b32_e32 v46, 0
	v_mov_b32_e32 v49, 0
	;; [unrolled: 1-line block ×9, first 2 shown]
	s_waitcnt lgkmcnt(0)
	s_barrier
	s_and_saveexec_b64 s[2:3], s[6:7]
	s_cbranch_execz .LBB47_61
; %bb.38:
	s_ashr_i32 s15, s14, 31
	s_lshl_b64 s[0:1], s[14:15], 2
	s_add_u32 s0, s24, s0
	v_lshlrev_b32_e32 v3, 4, v0
	s_addc_u32 s1, s25, s1
	v_and_b32_e32 v46, 0x3f0, v3
	v_mov_b32_e32 v47, 0
	v_and_b32_e32 v2, 28, v56
	s_add_i32 s14, s12, -1
	v_lshl_add_u64 v[56:57], s[0:1], 0, v[46:47]
	s_lshl_b64 s[0:1], s[22:23], 2
	v_lshl_or_b32 v65, v1, 5, v2
	v_lshlrev_b32_e32 v2, 4, v64
	s_add_u32 s0, s20, s0
	v_lshl_or_b32 v2, v1, 7, v2
	v_and_b32_e32 v46, 60, v58
	s_addc_u32 s1, s21, s1
	s_mov_b32 s15, s33
	v_add_u32_e32 v66, 0x150, v2
	v_lshl_add_u64 v[58:59], s[0:1], 0, v[46:47]
	s_mov_b64 s[6:7], 0
	v_mov_b32_e32 v46, v47
	v_mov_b32_e32 v49, v47
	;; [unrolled: 1-line block ×9, first 2 shown]
	s_branch .LBB47_40
.LBB47_39:                              ;   in Loop: Header=BB47_40 Depth=1
	s_or_b64 exec, exec, s[8:9]
	s_waitcnt vmcnt(1) lgkmcnt(0)
	v_mul_f32_e32 v42, v2, v42
	v_mul_f32_e32 v34, v2, v34
	;; [unrolled: 1-line block ×9, first 2 shown]
	v_fmac_f32_e32 v42, v3, v43
	v_fmac_f32_e32 v34, v3, v35
	;; [unrolled: 1-line block ×18, first 2 shown]
	s_waitcnt vmcnt(0)
	v_pk_mul_f32 v[2:3], v[2:3], v[38:39]
	v_fmac_f32_e32 v42, v5, v45
	v_fmac_f32_e32 v34, v5, v37
	;; [unrolled: 1-line block ×9, first 2 shown]
	v_pk_mul_f32 v[4:5], v[4:5], v[40:41]
	v_add_f32_e32 v2, v3, v2
	v_add_f32_e32 v2, v4, v2
	v_add_u32_e32 v1, 2, v1
	v_add_f32_e32 v2, v5, v2
	v_cmp_le_i32_e32 vcc, s12, v1
	v_add_f32_e32 v46, v46, v42
	v_add_f32_e32 v49, v49, v34
	;; [unrolled: 1-line block ×10, first 2 shown]
	v_add_u32_e32 v65, 64, v65
	v_add_u32_e32 v66, 0x100, v66
	s_or_b64 s[6:7], vcc, s[6:7]
	v_lshl_add_u64 v[58:59], v[58:59], 0, 8
	s_andn2_b64 exec, exec, s[6:7]
	s_cbranch_execz .LBB47_60
.LBB47_40:                              ; =>This Inner Loop Header: Depth=1
	global_load_dword v2, v[58:59], off
	v_add_u32_e32 v69, 1, v65
	v_or_b32_e32 v68, 3, v65
	v_or_b32_e32 v67, 2, v65
	s_waitcnt vmcnt(0)
	v_mad_i64_i32 v[2:3], s[0:1], v2, s13, 0
	v_lshl_add_u64 v[38:39], v[2:3], 2, v[56:57]
	global_load_dwordx4 v[6:9], v[38:39], off
	ds_read_b128 v[2:5], v66
	v_cmp_eq_u32_e64 s[0:1], s14, v1
	s_and_saveexec_b64 s[8:9], s[0:1]
	s_cbranch_execnz .LBB47_57
; %bb.41:                               ;   in Loop: Header=BB47_40 Depth=1
	s_or_b64 exec, exec, s[8:9]
	global_load_dwordx4 v[10:13], v[38:39], off offset:1024
	s_and_saveexec_b64 s[8:9], s[0:1]
	s_cbranch_execnz .LBB47_58
.LBB47_42:                              ;   in Loop: Header=BB47_40 Depth=1
	s_or_b64 exec, exec, s[8:9]
	global_load_dwordx4 v[14:17], v[38:39], off offset:2048
	s_and_saveexec_b64 s[8:9], s[0:1]
	s_cbranch_execnz .LBB47_59
.LBB47_43:                              ;   in Loop: Header=BB47_40 Depth=1
	s_or_b64 exec, exec, s[8:9]
	global_load_dwordx4 v[18:21], v[38:39], off offset:3072
	s_and_saveexec_b64 s[8:9], s[0:1]
	s_cbranch_execz .LBB47_45
.LBB47_44:                              ;   in Loop: Header=BB47_40 Depth=1
	v_cmp_gt_i32_e32 vcc, s15, v69
	s_waitcnt vmcnt(0)
	s_nop 0
	v_cndmask_b32_e32 v19, 0, v19, vcc
	v_cmp_gt_i32_e32 vcc, s33, v65
	s_nop 1
	v_cndmask_b32_e32 v18, 0, v18, vcc
	v_cmp_gt_i32_e32 vcc, s15, v68
	;; [unrolled: 3-line block ×3, first 2 shown]
	s_nop 1
	v_cndmask_b32_e32 v20, 0, v20, vcc
.LBB47_45:                              ;   in Loop: Header=BB47_40 Depth=1
	s_or_b64 exec, exec, s[8:9]
	v_add_co_u32_e32 v22, vcc, 0x1000, v38
	s_nop 1
	v_addc_co_u32_e32 v23, vcc, 0, v39, vcc
	global_load_dwordx4 v[22:25], v[22:23], off
	s_and_saveexec_b64 s[8:9], s[0:1]
	s_cbranch_execz .LBB47_47
; %bb.46:                               ;   in Loop: Header=BB47_40 Depth=1
	v_cmp_gt_i32_e32 vcc, s15, v69
	s_waitcnt vmcnt(0)
	s_nop 0
	v_cndmask_b32_e32 v23, 0, v23, vcc
	v_cmp_gt_i32_e32 vcc, s33, v65
	s_nop 1
	v_cndmask_b32_e32 v22, 0, v22, vcc
	v_cmp_gt_i32_e32 vcc, s15, v68
	s_nop 1
	v_cndmask_b32_e32 v25, 0, v25, vcc
	v_cmp_gt_i32_e32 vcc, s33, v67
	s_nop 1
	v_cndmask_b32_e32 v24, 0, v24, vcc
.LBB47_47:                              ;   in Loop: Header=BB47_40 Depth=1
	s_or_b64 exec, exec, s[8:9]
	v_add_co_u32_e32 v26, vcc, 0x1000, v38
	s_nop 1
	v_addc_co_u32_e32 v27, vcc, 0, v39, vcc
	global_load_dwordx4 v[26:29], v[26:27], off offset:1024
	s_and_saveexec_b64 s[8:9], s[0:1]
	s_cbranch_execz .LBB47_49
; %bb.48:                               ;   in Loop: Header=BB47_40 Depth=1
	v_cmp_gt_i32_e32 vcc, s15, v69
	s_waitcnt vmcnt(0)
	s_nop 0
	v_cndmask_b32_e32 v27, 0, v27, vcc
	v_cmp_gt_i32_e32 vcc, s33, v65
	s_nop 1
	v_cndmask_b32_e32 v26, 0, v26, vcc
	v_cmp_gt_i32_e32 vcc, s15, v68
	s_nop 1
	v_cndmask_b32_e32 v29, 0, v29, vcc
	v_cmp_gt_i32_e32 vcc, s33, v67
	s_nop 1
	v_cndmask_b32_e32 v28, 0, v28, vcc
.LBB47_49:                              ;   in Loop: Header=BB47_40 Depth=1
	s_or_b64 exec, exec, s[8:9]
	v_add_co_u32_e32 v30, vcc, 0x1000, v38
	s_nop 1
	v_addc_co_u32_e32 v31, vcc, 0, v39, vcc
	global_load_dwordx4 v[30:33], v[30:31], off offset:2048
	s_and_saveexec_b64 s[8:9], s[0:1]
	s_cbranch_execz .LBB47_51
; %bb.50:                               ;   in Loop: Header=BB47_40 Depth=1
	v_cmp_gt_i32_e32 vcc, s15, v69
	s_waitcnt vmcnt(0)
	s_nop 0
	v_cndmask_b32_e32 v31, 0, v31, vcc
	v_cmp_gt_i32_e32 vcc, s33, v65
	s_nop 1
	v_cndmask_b32_e32 v30, 0, v30, vcc
	v_cmp_gt_i32_e32 vcc, s15, v68
	s_nop 1
	v_cndmask_b32_e32 v33, 0, v33, vcc
	v_cmp_gt_i32_e32 vcc, s33, v67
	s_nop 1
	v_cndmask_b32_e32 v32, 0, v32, vcc
.LBB47_51:                              ;   in Loop: Header=BB47_40 Depth=1
	s_or_b64 exec, exec, s[8:9]
	v_add_co_u32_e32 v34, vcc, 0x1000, v38
	s_nop 1
	v_addc_co_u32_e32 v35, vcc, 0, v39, vcc
	global_load_dwordx4 v[34:37], v[34:35], off offset:3072
	s_and_saveexec_b64 s[8:9], s[0:1]
	s_cbranch_execz .LBB47_53
; %bb.52:                               ;   in Loop: Header=BB47_40 Depth=1
	v_cmp_gt_i32_e32 vcc, s15, v69
	s_waitcnt vmcnt(0)
	s_nop 0
	v_cndmask_b32_e32 v35, 0, v35, vcc
	v_cmp_gt_i32_e32 vcc, s33, v65
	s_nop 1
	v_cndmask_b32_e32 v34, 0, v34, vcc
	v_cmp_gt_i32_e32 vcc, s15, v68
	;; [unrolled: 3-line block ×3, first 2 shown]
	s_nop 1
	v_cndmask_b32_e32 v36, 0, v36, vcc
.LBB47_53:                              ;   in Loop: Header=BB47_40 Depth=1
	s_or_b64 exec, exec, s[8:9]
	v_add_co_u32_e32 v40, vcc, 0x2000, v38
	s_nop 1
	v_addc_co_u32_e32 v41, vcc, 0, v39, vcc
	global_load_dwordx4 v[42:45], v[40:41], off
	s_and_saveexec_b64 s[8:9], s[0:1]
	s_cbranch_execz .LBB47_55
; %bb.54:                               ;   in Loop: Header=BB47_40 Depth=1
	v_cmp_gt_i32_e32 vcc, s15, v69
	s_waitcnt vmcnt(0)
	s_nop 0
	v_cndmask_b32_e32 v43, 0, v43, vcc
	v_cmp_gt_i32_e32 vcc, s33, v65
	s_nop 1
	v_cndmask_b32_e32 v42, 0, v42, vcc
	v_cmp_gt_i32_e32 vcc, s15, v68
	;; [unrolled: 3-line block ×3, first 2 shown]
	s_nop 1
	v_cndmask_b32_e32 v44, 0, v44, vcc
.LBB47_55:                              ;   in Loop: Header=BB47_40 Depth=1
	s_or_b64 exec, exec, s[8:9]
	v_add_co_u32_e32 v38, vcc, 0x2000, v38
	s_nop 1
	v_addc_co_u32_e32 v39, vcc, 0, v39, vcc
	global_load_dwordx4 v[38:41], v[38:39], off offset:1024
	s_and_saveexec_b64 s[8:9], s[0:1]
	s_cbranch_execz .LBB47_39
; %bb.56:                               ;   in Loop: Header=BB47_40 Depth=1
	v_cmp_gt_i32_e32 vcc, s15, v69
	s_waitcnt vmcnt(0)
	s_nop 0
	v_cndmask_b32_e32 v39, 0, v39, vcc
	v_cmp_gt_i32_e32 vcc, s33, v65
	s_nop 1
	v_cndmask_b32_e32 v38, 0, v38, vcc
	v_cmp_gt_i32_e32 vcc, s15, v68
	;; [unrolled: 3-line block ×3, first 2 shown]
	s_nop 1
	v_cndmask_b32_e32 v40, 0, v40, vcc
	s_branch .LBB47_39
.LBB47_57:                              ;   in Loop: Header=BB47_40 Depth=1
	v_cmp_gt_i32_e32 vcc, s15, v69
	s_waitcnt vmcnt(0)
	s_nop 0
	v_cndmask_b32_e32 v7, 0, v7, vcc
	v_cmp_gt_i32_e32 vcc, s33, v65
	s_nop 1
	v_cndmask_b32_e32 v6, 0, v6, vcc
	v_cmp_gt_i32_e32 vcc, s15, v68
	;; [unrolled: 3-line block ×3, first 2 shown]
	s_nop 1
	v_cndmask_b32_e32 v8, 0, v8, vcc
	s_or_b64 exec, exec, s[8:9]
	global_load_dwordx4 v[10:13], v[38:39], off offset:1024
	s_and_saveexec_b64 s[8:9], s[0:1]
	s_cbranch_execz .LBB47_42
.LBB47_58:                              ;   in Loop: Header=BB47_40 Depth=1
	v_cmp_gt_i32_e32 vcc, s15, v69
	s_waitcnt vmcnt(0)
	s_nop 0
	v_cndmask_b32_e32 v11, 0, v11, vcc
	v_cmp_gt_i32_e32 vcc, s33, v65
	s_nop 1
	v_cndmask_b32_e32 v10, 0, v10, vcc
	v_cmp_gt_i32_e32 vcc, s15, v68
	;; [unrolled: 3-line block ×3, first 2 shown]
	s_nop 1
	v_cndmask_b32_e32 v12, 0, v12, vcc
	s_or_b64 exec, exec, s[8:9]
	global_load_dwordx4 v[14:17], v[38:39], off offset:2048
	s_and_saveexec_b64 s[8:9], s[0:1]
	s_cbranch_execz .LBB47_43
.LBB47_59:                              ;   in Loop: Header=BB47_40 Depth=1
	v_cmp_gt_i32_e32 vcc, s15, v69
	s_waitcnt vmcnt(0)
	s_nop 0
	v_cndmask_b32_e32 v15, 0, v15, vcc
	v_cmp_gt_i32_e32 vcc, s33, v65
	s_nop 1
	v_cndmask_b32_e32 v14, 0, v14, vcc
	v_cmp_gt_i32_e32 vcc, s15, v68
	;; [unrolled: 3-line block ×3, first 2 shown]
	s_nop 1
	v_cndmask_b32_e32 v16, 0, v16, vcc
	s_or_b64 exec, exec, s[8:9]
	global_load_dwordx4 v[18:21], v[38:39], off offset:3072
	s_and_saveexec_b64 s[8:9], s[0:1]
	s_cbranch_execnz .LBB47_44
	s_branch .LBB47_45
.LBB47_60:
	s_or_b64 exec, exec, s[6:7]
.LBB47_61:
	s_or_b64 exec, exec, s[2:3]
	ds_bpermute_b32 v8, v61, v50
	ds_bpermute_b32 v9, v61, v51
	;; [unrolled: 1-line block ×6, first 2 shown]
	s_waitcnt lgkmcnt(4)
	v_pk_add_f32 v[8:9], v[50:51], v[8:9]
	ds_bpermute_b32 v12, v62, v8
	s_waitcnt lgkmcnt(3)
	v_pk_add_f32 v[2:3], v[54:55], v[2:3]
	ds_bpermute_b32 v13, v62, v9
	;; [unrolled: 3-line block ×3, first 2 shown]
	ds_bpermute_b32 v15, v61, v49
	ds_bpermute_b32 v6, v62, v2
	ds_bpermute_b32 v7, v62, v3
	ds_bpermute_b32 v10, v62, v4
	ds_bpermute_b32 v11, v62, v5
	ds_bpermute_b32 v18, v61, v46
	ds_bpermute_b32 v19, v61, v47
	s_waitcnt lgkmcnt(8)
	v_pk_add_f32 v[12:13], v[8:9], v[12:13]
	s_waitcnt lgkmcnt(6)
	v_pk_add_f32 v[8:9], v[48:49], v[14:15]
	;; [unrolled: 2-line block ×4, first 2 shown]
	ds_bpermute_b32 v14, v62, v8
	ds_bpermute_b32 v15, v62, v9
	s_waitcnt lgkmcnt(2)
	v_pk_add_f32 v[18:19], v[46:47], v[18:19]
	ds_bpermute_b32 v6, v63, v2
	ds_bpermute_b32 v7, v63, v3
	;; [unrolled: 1-line block ×8, first 2 shown]
	s_waitcnt lgkmcnt(8)
	v_pk_add_f32 v[14:15], v[8:9], v[14:15]
	ds_bpermute_b32 v20, v63, v14
	ds_bpermute_b32 v21, v63, v15
	s_waitcnt lgkmcnt(8)
	v_pk_add_f32 v[8:9], v[2:3], v[6:7]
	s_waitcnt lgkmcnt(6)
	v_pk_add_f32 v[6:7], v[4:5], v[10:11]
	;; [unrolled: 2-line block ×4, first 2 shown]
	ds_bpermute_b32 v12, v63, v10
	ds_bpermute_b32 v13, v63, v11
	v_and_b32_e32 v1, 0x3c7, v0
	s_waitcnt lgkmcnt(2)
	v_pk_add_f32 v[2:3], v[14:15], v[20:21]
	v_cmp_ne_u32_e32 vcc, 64, v1
	s_waitcnt lgkmcnt(0)
	s_barrier
	s_and_saveexec_b64 s[0:1], vcc
	s_xor_b64 s[0:1], exec, s[0:1]
; %bb.62:
                                        ; implicit-def: $vgpr60
; %bb.63:
	s_or_saveexec_b64 s[0:1], s[0:1]
	v_pk_add_f32 v[10:11], v[10:11], v[12:13]
	s_xor_b64 exec, exec, s[0:1]
	s_cbranch_execz .LBB47_65
; %bb.64:
	v_lshrrev_b32_e32 v12, 1, v60
	v_add_u32_e32 v12, 0x150, v12
	ds_write2_b32 v12, v8, v9 offset1:8
	ds_write2_b32 v12, v6, v7 offset0:16 offset1:24
	ds_write2_b32 v12, v4, v5 offset0:32 offset1:40
	;; [unrolled: 1-line block ×4, first 2 shown]
.LBB47_65:
	s_or_b64 exec, exec, s[0:1]
	v_cmp_gt_u32_e32 vcc, 64, v0
	v_lshrrev_b32_e32 v0, 3, v0
	s_waitcnt lgkmcnt(0)
	s_barrier
	s_and_saveexec_b64 s[0:1], vcc
	s_cbranch_execz .LBB47_78
; %bb.66:
	v_mov_b32_e32 v12, 0x150
	v_cmp_eq_u32_e32 vcc, 0, v64
	v_lshl_add_u32 v12, v0, 2, v12
	s_and_saveexec_b64 s[2:3], vcc
	s_cbranch_execnz .LBB47_81
; %bb.67:
	s_or_b64 exec, exec, s[2:3]
	s_and_saveexec_b64 s[2:3], vcc
	s_cbranch_execnz .LBB47_82
.LBB47_68:
	s_or_b64 exec, exec, s[2:3]
	s_and_saveexec_b64 s[2:3], vcc
	s_cbranch_execnz .LBB47_83
.LBB47_69:
	s_or_b64 exec, exec, s[2:3]
	s_and_saveexec_b64 s[2:3], vcc
	s_cbranch_execnz .LBB47_84
.LBB47_70:
	s_or_b64 exec, exec, s[2:3]
	s_and_saveexec_b64 s[2:3], vcc
	s_cbranch_execnz .LBB47_85
.LBB47_71:
	s_or_b64 exec, exec, s[2:3]
	s_and_saveexec_b64 s[2:3], vcc
	s_cbranch_execnz .LBB47_86
.LBB47_72:
	s_or_b64 exec, exec, s[2:3]
	s_and_saveexec_b64 s[2:3], vcc
	s_cbranch_execnz .LBB47_87
.LBB47_73:
	s_or_b64 exec, exec, s[2:3]
	s_and_saveexec_b64 s[2:3], vcc
	s_cbranch_execnz .LBB47_88
.LBB47_74:
	s_or_b64 exec, exec, s[2:3]
	s_and_saveexec_b64 s[2:3], vcc
	s_cbranch_execnz .LBB47_89
.LBB47_75:
	s_or_b64 exec, exec, s[2:3]
	s_and_saveexec_b64 s[2:3], vcc
	s_cbranch_execz .LBB47_77
.LBB47_76:
	ds_read_b32 v12, v12 offset:288
	s_waitcnt lgkmcnt(0)
	v_add_f32_e32 v11, v11, v12
.LBB47_77:
	s_or_b64 exec, exec, s[2:3]
.LBB47_78:
	s_or_b64 exec, exec, s[0:1]
	v_cmp_eq_u32_e32 vcc, 0, v1
	s_barrier
	s_and_saveexec_b64 s[0:1], vcc
	s_cbranch_execz .LBB47_80
; %bb.79:
	s_mul_i32 s0, s10, s11
	s_mul_i32 s0, s0, s5
	s_mulk_i32 s0, 0x50
	s_ashr_i32 s1, s0, 31
	s_lshl_b64 s[0:1], s[0:1], 2
	s_add_u32 s2, s18, s0
	s_mul_i32 s0, s11, s16
	s_addc_u32 s3, s19, s1
	s_ashr_i32 s1, s0, 31
	s_lshl_b64 s[0:1], s[0:1], 2
	s_add_u32 s2, s2, s0
	s_mul_i32 s0, s4, 0x50
	s_addc_u32 s3, s3, s1
	s_ashr_i32 s1, s0, 31
	s_lshl_b64 s[0:1], s[0:1], 2
	s_add_u32 s0, s2, s0
	s_addc_u32 s1, s3, s1
	v_lshlrev_b32_e32 v0, 2, v0
	global_store_dword v0, v8, s[0:1]
	global_store_dword v0, v9, s[0:1] offset:32
	global_store_dword v0, v6, s[0:1] offset:64
	;; [unrolled: 1-line block ×9, first 2 shown]
.LBB47_80:
	s_endpgm
.LBB47_81:
	ds_read_b32 v13, v12
	s_waitcnt lgkmcnt(0)
	v_add_f32_e32 v8, v8, v13
	s_or_b64 exec, exec, s[2:3]
	s_and_saveexec_b64 s[2:3], vcc
	s_cbranch_execz .LBB47_68
.LBB47_82:
	ds_read_b32 v13, v12 offset:32
	s_waitcnt lgkmcnt(0)
	v_add_f32_e32 v9, v9, v13
	s_or_b64 exec, exec, s[2:3]
	s_and_saveexec_b64 s[2:3], vcc
	s_cbranch_execz .LBB47_69
.LBB47_83:
	ds_read_b32 v13, v12 offset:64
	s_waitcnt lgkmcnt(0)
	v_add_f32_e32 v6, v6, v13
	s_or_b64 exec, exec, s[2:3]
	s_and_saveexec_b64 s[2:3], vcc
	s_cbranch_execz .LBB47_70
.LBB47_84:
	ds_read_b32 v13, v12 offset:96
	s_waitcnt lgkmcnt(0)
	v_add_f32_e32 v7, v7, v13
	s_or_b64 exec, exec, s[2:3]
	s_and_saveexec_b64 s[2:3], vcc
	s_cbranch_execz .LBB47_71
.LBB47_85:
	ds_read_b32 v13, v12 offset:128
	s_waitcnt lgkmcnt(0)
	v_add_f32_e32 v4, v4, v13
	s_or_b64 exec, exec, s[2:3]
	s_and_saveexec_b64 s[2:3], vcc
	s_cbranch_execz .LBB47_72
.LBB47_86:
	ds_read_b32 v13, v12 offset:160
	s_waitcnt lgkmcnt(0)
	v_add_f32_e32 v5, v5, v13
	s_or_b64 exec, exec, s[2:3]
	s_and_saveexec_b64 s[2:3], vcc
	s_cbranch_execz .LBB47_73
.LBB47_87:
	ds_read_b32 v13, v12 offset:192
	s_waitcnt lgkmcnt(0)
	v_add_f32_e32 v2, v2, v13
	s_or_b64 exec, exec, s[2:3]
	s_and_saveexec_b64 s[2:3], vcc
	s_cbranch_execz .LBB47_74
.LBB47_88:
	ds_read_b32 v13, v12 offset:224
	s_waitcnt lgkmcnt(0)
	v_add_f32_e32 v3, v3, v13
	s_or_b64 exec, exec, s[2:3]
	s_and_saveexec_b64 s[2:3], vcc
	s_cbranch_execz .LBB47_75
.LBB47_89:
	ds_read_b32 v13, v12 offset:256
	s_waitcnt lgkmcnt(0)
	v_add_f32_e32 v10, v10, v13
	s_or_b64 exec, exec, s[2:3]
	s_and_saveexec_b64 s[2:3], vcc
	s_cbranch_execnz .LBB47_76
	s_branch .LBB47_77
	.section	.rodata,"a",@progbits
	.p2align	6, 0x0
	.amdhsa_kernel _ZN4vllm25paged_attention_v1_kernelIffLi80ELi32ELi128ELNS_18Fp8KVCacheDataTypeE0ELb0EEEvPT_PKS2_PKT0_S8_ifPKiSA_iPKfiiiSC_SC_iiiii
		.amdhsa_group_segment_fixed_size 336
		.amdhsa_private_segment_fixed_size 0
		.amdhsa_kernarg_size 384
		.amdhsa_user_sgpr_count 2
		.amdhsa_user_sgpr_dispatch_ptr 0
		.amdhsa_user_sgpr_queue_ptr 0
		.amdhsa_user_sgpr_kernarg_segment_ptr 1
		.amdhsa_user_sgpr_dispatch_id 0
		.amdhsa_user_sgpr_kernarg_preload_length 0
		.amdhsa_user_sgpr_kernarg_preload_offset 0
		.amdhsa_user_sgpr_private_segment_size 0
		.amdhsa_uses_dynamic_stack 0
		.amdhsa_enable_private_segment 0
		.amdhsa_system_sgpr_workgroup_id_x 1
		.amdhsa_system_sgpr_workgroup_id_y 1
		.amdhsa_system_sgpr_workgroup_id_z 1
		.amdhsa_system_sgpr_workgroup_info 0
		.amdhsa_system_vgpr_workitem_id 0
		.amdhsa_next_free_vgpr 80
		.amdhsa_next_free_sgpr 36
		.amdhsa_accum_offset 80
		.amdhsa_reserve_vcc 1
		.amdhsa_float_round_mode_32 0
		.amdhsa_float_round_mode_16_64 0
		.amdhsa_float_denorm_mode_32 3
		.amdhsa_float_denorm_mode_16_64 3
		.amdhsa_dx10_clamp 1
		.amdhsa_ieee_mode 1
		.amdhsa_fp16_overflow 0
		.amdhsa_tg_split 0
		.amdhsa_exception_fp_ieee_invalid_op 0
		.amdhsa_exception_fp_denorm_src 0
		.amdhsa_exception_fp_ieee_div_zero 0
		.amdhsa_exception_fp_ieee_overflow 0
		.amdhsa_exception_fp_ieee_underflow 0
		.amdhsa_exception_fp_ieee_inexact 0
		.amdhsa_exception_int_div_zero 0
	.end_amdhsa_kernel
	.section	.text._ZN4vllm25paged_attention_v1_kernelIffLi80ELi32ELi128ELNS_18Fp8KVCacheDataTypeE0ELb0EEEvPT_PKS2_PKT0_S8_ifPKiSA_iPKfiiiSC_SC_iiiii,"axG",@progbits,_ZN4vllm25paged_attention_v1_kernelIffLi80ELi32ELi128ELNS_18Fp8KVCacheDataTypeE0ELb0EEEvPT_PKS2_PKT0_S8_ifPKiSA_iPKfiiiSC_SC_iiiii,comdat
.Lfunc_end47:
	.size	_ZN4vllm25paged_attention_v1_kernelIffLi80ELi32ELi128ELNS_18Fp8KVCacheDataTypeE0ELb0EEEvPT_PKS2_PKT0_S8_ifPKiSA_iPKfiiiSC_SC_iiiii, .Lfunc_end47-_ZN4vllm25paged_attention_v1_kernelIffLi80ELi32ELi128ELNS_18Fp8KVCacheDataTypeE0ELb0EEEvPT_PKS2_PKT0_S8_ifPKiSA_iPKfiiiSC_SC_iiiii
                                        ; -- End function
	.set _ZN4vllm25paged_attention_v1_kernelIffLi80ELi32ELi128ELNS_18Fp8KVCacheDataTypeE0ELb0EEEvPT_PKS2_PKT0_S8_ifPKiSA_iPKfiiiSC_SC_iiiii.num_vgpr, 80
	.set _ZN4vllm25paged_attention_v1_kernelIffLi80ELi32ELi128ELNS_18Fp8KVCacheDataTypeE0ELb0EEEvPT_PKS2_PKT0_S8_ifPKiSA_iPKfiiiSC_SC_iiiii.num_agpr, 0
	.set _ZN4vllm25paged_attention_v1_kernelIffLi80ELi32ELi128ELNS_18Fp8KVCacheDataTypeE0ELb0EEEvPT_PKS2_PKT0_S8_ifPKiSA_iPKfiiiSC_SC_iiiii.numbered_sgpr, 36
	.set _ZN4vllm25paged_attention_v1_kernelIffLi80ELi32ELi128ELNS_18Fp8KVCacheDataTypeE0ELb0EEEvPT_PKS2_PKT0_S8_ifPKiSA_iPKfiiiSC_SC_iiiii.num_named_barrier, 0
	.set _ZN4vllm25paged_attention_v1_kernelIffLi80ELi32ELi128ELNS_18Fp8KVCacheDataTypeE0ELb0EEEvPT_PKS2_PKT0_S8_ifPKiSA_iPKfiiiSC_SC_iiiii.private_seg_size, 0
	.set _ZN4vllm25paged_attention_v1_kernelIffLi80ELi32ELi128ELNS_18Fp8KVCacheDataTypeE0ELb0EEEvPT_PKS2_PKT0_S8_ifPKiSA_iPKfiiiSC_SC_iiiii.uses_vcc, 1
	.set _ZN4vllm25paged_attention_v1_kernelIffLi80ELi32ELi128ELNS_18Fp8KVCacheDataTypeE0ELb0EEEvPT_PKS2_PKT0_S8_ifPKiSA_iPKfiiiSC_SC_iiiii.uses_flat_scratch, 0
	.set _ZN4vllm25paged_attention_v1_kernelIffLi80ELi32ELi128ELNS_18Fp8KVCacheDataTypeE0ELb0EEEvPT_PKS2_PKT0_S8_ifPKiSA_iPKfiiiSC_SC_iiiii.has_dyn_sized_stack, 0
	.set _ZN4vllm25paged_attention_v1_kernelIffLi80ELi32ELi128ELNS_18Fp8KVCacheDataTypeE0ELb0EEEvPT_PKS2_PKT0_S8_ifPKiSA_iPKfiiiSC_SC_iiiii.has_recursion, 0
	.set _ZN4vllm25paged_attention_v1_kernelIffLi80ELi32ELi128ELNS_18Fp8KVCacheDataTypeE0ELb0EEEvPT_PKS2_PKT0_S8_ifPKiSA_iPKfiiiSC_SC_iiiii.has_indirect_call, 0
	.section	.AMDGPU.csdata,"",@progbits
; Kernel info:
; codeLenInByte = 5388
; TotalNumSgprs: 42
; NumVgprs: 80
; NumAgprs: 0
; TotalNumVgprs: 80
; ScratchSize: 0
; MemoryBound: 0
; FloatMode: 240
; IeeeMode: 1
; LDSByteSize: 336 bytes/workgroup (compile time only)
; SGPRBlocks: 5
; VGPRBlocks: 9
; NumSGPRsForWavesPerEU: 42
; NumVGPRsForWavesPerEU: 80
; AccumOffset: 80
; Occupancy: 6
; WaveLimiterHint : 1
; COMPUTE_PGM_RSRC2:SCRATCH_EN: 0
; COMPUTE_PGM_RSRC2:USER_SGPR: 2
; COMPUTE_PGM_RSRC2:TRAP_HANDLER: 0
; COMPUTE_PGM_RSRC2:TGID_X_EN: 1
; COMPUTE_PGM_RSRC2:TGID_Y_EN: 1
; COMPUTE_PGM_RSRC2:TGID_Z_EN: 1
; COMPUTE_PGM_RSRC2:TIDIG_COMP_CNT: 0
; COMPUTE_PGM_RSRC3_GFX90A:ACCUM_OFFSET: 19
; COMPUTE_PGM_RSRC3_GFX90A:TG_SPLIT: 0
	.section	.text._ZN4vllm25paged_attention_v1_kernelIffLi96ELi32ELi128ELNS_18Fp8KVCacheDataTypeE0ELb0EEEvPT_PKS2_PKT0_S8_ifPKiSA_iPKfiiiSC_SC_iiiii,"axG",@progbits,_ZN4vllm25paged_attention_v1_kernelIffLi96ELi32ELi128ELNS_18Fp8KVCacheDataTypeE0ELb0EEEvPT_PKS2_PKT0_S8_ifPKiSA_iPKfiiiSC_SC_iiiii,comdat
	.protected	_ZN4vllm25paged_attention_v1_kernelIffLi96ELi32ELi128ELNS_18Fp8KVCacheDataTypeE0ELb0EEEvPT_PKS2_PKT0_S8_ifPKiSA_iPKfiiiSC_SC_iiiii ; -- Begin function _ZN4vllm25paged_attention_v1_kernelIffLi96ELi32ELi128ELNS_18Fp8KVCacheDataTypeE0ELb0EEEvPT_PKS2_PKT0_S8_ifPKiSA_iPKfiiiSC_SC_iiiii
	.globl	_ZN4vllm25paged_attention_v1_kernelIffLi96ELi32ELi128ELNS_18Fp8KVCacheDataTypeE0ELb0EEEvPT_PKS2_PKT0_S8_ifPKiSA_iPKfiiiSC_SC_iiiii
	.p2align	8
	.type	_ZN4vllm25paged_attention_v1_kernelIffLi96ELi32ELi128ELNS_18Fp8KVCacheDataTypeE0ELb0EEEvPT_PKS2_PKT0_S8_ifPKiSA_iPKfiiiSC_SC_iiiii,@function
_ZN4vllm25paged_attention_v1_kernelIffLi96ELi32ELi128ELNS_18Fp8KVCacheDataTypeE0ELb0EEEvPT_PKS2_PKT0_S8_ifPKiSA_iPKfiiiSC_SC_iiiii: ; @_ZN4vllm25paged_attention_v1_kernelIffLi96ELi32ELi128ELNS_18Fp8KVCacheDataTypeE0ELb0EEEvPT_PKS2_PKT0_S8_ifPKiSA_iPKfiiiSC_SC_iiiii
; %bb.0:
	s_load_dword s5, s[0:1], 0x80
	s_load_dwordx2 s[6:7], s[0:1], 0x30
	s_load_dwordx2 s[8:9], s[0:1], 0x20
	s_mov_b32 s10, s3
	s_ashr_i32 s11, s3, 31
	s_lshl_b64 s[12:13], s[10:11], 2
	s_waitcnt lgkmcnt(0)
	s_add_u32 s6, s6, s12
	s_addc_u32 s7, s7, s13
	s_abs_i32 s3, s8
	v_cvt_f32_u32_e32 v1, s3
	s_sub_i32 s12, 0, s3
	s_abs_i32 s11, s5
	s_xor_b32 s8, s5, s8
	v_rcp_iflag_f32_e32 v1, v1
	s_ashr_i32 s8, s8, 31
	v_mul_f32_e32 v1, 0x4f7ffffe, v1
	v_cvt_u32_f32_e32 v1, v1
	s_nop 0
	v_readfirstlane_b32 s13, v1
	s_mul_i32 s12, s12, s13
	s_mul_hi_u32 s12, s13, s12
	s_add_i32 s13, s13, s12
	s_mul_hi_u32 s12, s11, s13
	s_mul_i32 s13, s12, s3
	s_sub_i32 s11, s11, s13
	s_add_i32 s13, s12, 1
	s_sub_i32 s14, s11, s3
	s_cmp_ge_u32 s11, s3
	s_cselect_b32 s12, s13, s12
	s_cselect_b32 s11, s14, s11
	s_add_i32 s13, s12, 1
	s_cmp_ge_u32 s11, s3
	s_cselect_b32 s3, s13, s12
	s_xor_b32 s3, s3, s8
	s_sub_i32 s14, s3, s8
	s_abs_i32 s11, s14
	v_cvt_f32_u32_e32 v1, s11
	s_load_dwordx2 s[12:13], s[0:1], 0x40
	s_sub_i32 s3, 0, s11
	s_abs_i32 s18, s2
	v_rcp_iflag_f32_e32 v1, v1
	s_mov_b32 s8, 0
	v_mul_f32_e32 v1, 0x4f7ffffe, v1
	v_cvt_u32_f32_e32 v1, v1
	s_nop 0
	v_readfirstlane_b32 s15, v1
	s_mul_i32 s3, s3, s15
	s_mul_hi_u32 s3, s15, s3
	s_add_i32 s15, s15, s3
	s_waitcnt lgkmcnt(0)
	s_cmp_eq_u64 s[12:13], 0
	s_mul_hi_u32 s19, s18, s15
	s_cbranch_scc1 .LBB48_2
; %bb.1:
	s_ashr_i32 s3, s2, 31
	s_lshl_b64 s[16:17], s[2:3], 2
	s_add_u32 s12, s12, s16
	s_addc_u32 s13, s13, s17
	s_load_dword s8, s[12:13], 0x0
.LBB48_2:
	s_load_dword s33, s[6:7], 0x0
	s_ashr_i32 s7, s14, 31
	s_load_dwordx4 s[12:15], s[0:1], 0x48
	s_ashr_i32 s6, s2, 31
	v_and_b32_e32 v42, 1, v0
	s_mul_i32 s16, s2, 0x60
	v_cmp_gt_u32_e32 vcc, 48, v0
	v_lshlrev_b32_e32 v2, 3, v0
	v_lshlrev_b32_e32 v66, 2, v0
	s_and_saveexec_b64 s[2:3], vcc
	s_cbranch_execz .LBB48_4
; %bb.3:
	s_load_dwordx2 s[20:21], s[0:1], 0x8
	s_waitcnt lgkmcnt(0)
	s_mul_i32 s22, s12, s10
	s_ashr_i32 s23, s22, 31
	s_lshl_b64 s[22:23], s[22:23], 2
	v_and_b32_e32 v1, 0xff8, v66
	s_add_u32 s12, s20, s22
	s_addc_u32 s15, s21, s23
	s_ashr_i32 s17, s16, 31
	s_lshl_b64 s[20:21], s[16:17], 2
	s_add_u32 s20, s12, s20
	s_addc_u32 s21, s15, s21
	global_load_dwordx2 v[4:5], v2, s[20:21]
	s_movk_i32 s12, 0xc0
	v_mad_u32_u24 v1, v42, s12, v1
	s_waitcnt vmcnt(0)
	ds_write_b64 v1, v[4:5]
.LBB48_4:
	s_or_b64 exec, exec, s[2:3]
	s_waitcnt lgkmcnt(0)
	s_add_i32 s3, s33, 31
	s_ashr_i32 s12, s3, 31
	s_lshr_b32 s12, s12, 27
	s_add_i32 s3, s3, s12
	s_ashr_i32 s12, s3, 5
	s_xor_b32 s3, s6, s7
	s_mul_i32 s6, s19, s11
	s_sub_i32 s6, s18, s6
	s_add_i32 s7, s19, 1
	s_sub_i32 s15, s6, s11
	s_load_dwordx2 s[20:21], s[0:1], 0x28
	s_load_dword s2, s[0:1], 0x38
	s_cmp_ge_u32 s6, s11
	s_cselect_b32 s7, s7, s19
	s_cselect_b32 s6, s15, s6
	s_add_i32 s15, s7, 1
	s_cmp_ge_u32 s6, s11
	s_cselect_b32 s6, s15, s7
	v_lshrrev_b32_e32 v1, 6, v0
	s_xor_b32 s6, s6, s3
	s_waitcnt lgkmcnt(0)
	s_mul_i32 s22, s2, s10
	s_sub_i32 s15, s6, s3
	s_ashr_i32 s23, s22, 31
	v_cmp_gt_i32_e64 s[6:7], s12, v1
	v_cmp_le_i32_e32 vcc, s12, v1
	v_mbcnt_lo_u32_b32 v43, -1, 0
	s_barrier
                                        ; implicit-def: $vgpr54
                                        ; implicit-def: $vgpr55
                                        ; implicit-def: $vgpr56
	s_and_saveexec_b64 s[2:3], vcc
	s_xor_b64 s[2:3], exec, s[2:3]
; %bb.5:
	v_mbcnt_hi_u32_b32 v54, -1, v43
	v_and_b32_e32 v55, 64, v54
	v_add_u32_e32 v56, 64, v55
                                        ; implicit-def: $vgpr2
                                        ; implicit-def: $vgpr42
                                        ; implicit-def: $vgpr43
; %bb.6:
	s_or_saveexec_b64 s[26:27], s[2:3]
	s_load_dwordx2 s[18:19], s[0:1], 0x0
	s_load_dwordx2 s[24:25], s[0:1], 0x18
	s_load_dword s11, s[0:1], 0x88
	v_mov_b32_e32 v57, 0xff7fffff
	s_mul_i32 s14, s15, s14
	v_lshrrev_b32_e32 v68, 4, v0
	s_xor_b64 exec, exec, s[26:27]
	s_cbranch_execz .LBB48_12
; %bb.7:
	s_load_dwordx2 s[0:1], s[0:1], 0x10
	s_ashr_i32 s15, s14, 31
	s_lshl_b64 s[2:3], s[14:15], 2
	v_bfe_u32 v46, v0, 1, 5
	v_lshlrev_b32_e32 v44, 4, v46
	s_waitcnt lgkmcnt(0)
	s_add_u32 s0, s0, s2
	s_addc_u32 s1, s1, s3
	v_mov_b32_e32 v45, 0
	v_lshl_add_u64 v[4:5], s[0:1], 0, v[44:45]
	v_and_b32_e32 v44, 8, v2
	v_mul_u32_u24_e32 v48, 0xc0, v42
	v_lshl_add_u64 v[50:51], v[4:5], 0, v[44:45]
	ds_read_b128 v[2:5], v48
	ds_read_b128 v[6:9], v48 offset:16
	ds_read_b128 v[10:13], v48 offset:32
	;; [unrolled: 1-line block ×9, first 2 shown]
	v_mbcnt_hi_u32_b32 v54, -1, v43
	v_and_b32_e32 v55, 64, v54
	v_xor_b32_e32 v43, 1, v54
	v_add_u32_e32 v56, 64, v55
	s_sub_i32 s15, 1, s33
	s_lshl_b64 s[0:1], s[22:23], 2
	v_lshlrev_b32_e32 v47, 2, v46
	v_cmp_lt_i32_e32 vcc, v43, v56
	s_add_u32 s0, s20, s0
	v_and_b32_e32 v44, 60, v68
	v_cndmask_b32_e32 v43, v54, v43, vcc
	v_cmp_eq_u32_e32 vcc, 0, v42
	v_lshl_or_b32 v42, v1, 7, v47
	s_addc_u32 s1, s21, s1
	v_lshlrev_b32_e32 v58, 2, v43
	v_lshl_or_b32 v59, v1, 5, v46
	v_add_u32_e32 v60, 0x190, v42
	v_lshl_add_u64 v[52:53], s[0:1], 0, v[44:45]
	ds_read_b128 v[42:45], v48 offset:160
	ds_read_b128 v[46:49], v48 offset:176
	s_mov_b32 s17, s13
	v_cmp_neq_f32_e64 s[2:3], s8, 0
	v_mov_b32_e32 v57, 0xff7fffff
	s_mov_b64 s[28:29], 0
	s_movk_i32 s34, 0x1000
	s_movk_i32 s35, 0x2000
	v_mov_b32_e32 v61, v1
	s_branch .LBB48_9
.LBB48_8:                               ;   in Loop: Header=BB48_9 Depth=1
	s_or_b64 exec, exec, s[30:31]
	v_add_u32_e32 v61, 2, v61
	v_cmp_le_i32_e64 s[0:1], s12, v61
	v_add_u32_e32 v59, 64, v59
	v_add_u32_e32 v60, 0x100, v60
	s_or_b64 s[28:29], s[0:1], s[28:29]
	v_lshl_add_u64 v[52:53], v[52:53], 0, 8
	s_andn2_b64 exec, exec, s[28:29]
	s_cbranch_execz .LBB48_11
.LBB48_9:                               ; =>This Inner Loop Header: Depth=1
	global_load_dword v62, v[52:53], off
	s_waitcnt vmcnt(0) lgkmcnt(0)
	v_mad_i64_i32 v[62:63], s[0:1], v62, s17, 0
	v_lshl_add_u64 v[62:63], v[62:63], 2, v[50:51]
	global_load_dwordx2 v[64:65], v[62:63], off offset:512
	global_load_dwordx2 v[70:71], v[62:63], off offset:1024
	;; [unrolled: 1-line block ×3, first 2 shown]
	global_load_dwordx2 v[74:75], v[62:63], off
	global_load_dwordx2 v[76:77], v[62:63], off offset:2048
	global_load_dwordx2 v[78:79], v[62:63], off offset:2560
	v_add_co_u32_e64 v80, s[0:1], s35, v62
	s_waitcnt vmcnt(5) lgkmcnt(11)
	v_mul_f32_e32 v67, v4, v64
	v_addc_co_u32_e64 v81, s[0:1], 0, v63, s[0:1]
	global_load_dwordx2 v[82:83], v[62:63], off offset:3072
	global_load_dwordx2 v[84:85], v[62:63], off offset:3584
	global_load_dwordx2 v[86:87], v[80:81], off offset:-4096
	v_add_co_u32_e64 v62, s[0:1], s34, v62
	v_mul_f32_e32 v69, v5, v65
	s_nop 0
	v_addc_co_u32_e64 v63, s[0:1], 0, v63, s[0:1]
	global_load_dwordx2 v[88:89], v[62:63], off offset:512
	global_load_dwordx2 v[90:91], v[62:63], off offset:1024
	;; [unrolled: 1-line block ×6, first 2 shown]
	s_nop 0
	global_load_dwordx2 v[62:63], v[62:63], off offset:3072
	s_waitcnt vmcnt(12)
	v_fmac_f32_e32 v67, v2, v74
	v_fmac_f32_e32 v69, v3, v75
	s_waitcnt lgkmcnt(10)
	v_fmac_f32_e32 v67, v6, v70
	v_fmac_f32_e32 v69, v7, v71
	global_load_dwordx2 v[64:65], v[80:81], off
	global_load_dwordx2 v[70:71], v[80:81], off offset:512
	global_load_dwordx2 v[74:75], v[80:81], off offset:1024
	;; [unrolled: 1-line block ×3, first 2 shown]
	v_fmac_f32_e32 v67, v8, v72
	v_fmac_f32_e32 v69, v9, v73
	s_waitcnt vmcnt(15) lgkmcnt(9)
	v_fmac_f32_e32 v67, v10, v76
	v_fmac_f32_e32 v69, v11, v77
	global_load_dwordx2 v[72:73], v[80:81], off offset:2048
	global_load_dwordx2 v[76:77], v[80:81], off offset:2560
	s_waitcnt vmcnt(16)
	v_fmac_f32_e32 v67, v12, v78
	v_fmac_f32_e32 v69, v13, v79
	global_load_dwordx2 v[78:79], v[80:81], off offset:3072
	s_nop 0
	global_load_dwordx2 v[80:81], v[80:81], off offset:3584
	s_waitcnt vmcnt(17) lgkmcnt(8)
	v_fmac_f32_e32 v67, v14, v82
	v_fmac_f32_e32 v69, v15, v83
	s_waitcnt vmcnt(16)
	v_fmac_f32_e32 v67, v16, v84
	v_fmac_f32_e32 v69, v17, v85
	s_waitcnt vmcnt(15) lgkmcnt(7)
	v_fmac_f32_e32 v67, v18, v86
	v_fmac_f32_e32 v69, v19, v87
	s_waitcnt vmcnt(14)
	v_fmac_f32_e32 v67, v20, v88
	v_fmac_f32_e32 v69, v21, v89
	;; [unrolled: 6-line block ×4, first 2 shown]
	s_waitcnt vmcnt(8) lgkmcnt(4)
	v_fmac_f32_e32 v67, v30, v62
	v_fmac_f32_e32 v69, v31, v63
	;; [unrolled: 1-line block ×4, first 2 shown]
	s_waitcnt vmcnt(7) lgkmcnt(3)
	v_fmac_f32_e32 v67, v34, v64
	v_fmac_f32_e32 v69, v35, v65
	s_waitcnt vmcnt(6)
	v_fmac_f32_e32 v67, v36, v70
	v_fmac_f32_e32 v69, v37, v71
	s_waitcnt vmcnt(5) lgkmcnt(2)
	v_fmac_f32_e32 v67, v38, v74
	v_fmac_f32_e32 v69, v39, v75
	s_waitcnt vmcnt(4)
	v_fmac_f32_e32 v67, v40, v100
	v_fmac_f32_e32 v69, v41, v101
	;; [unrolled: 6-line block ×4, first 2 shown]
	v_add_f32_e32 v62, v67, v69
	ds_bpermute_b32 v63, v58, v62
	s_and_saveexec_b64 s[30:31], vcc
	s_cbranch_execz .LBB48_8
; %bb.10:                               ;   in Loop: Header=BB48_9 Depth=1
	v_add_u32_e32 v64, s15, v59
	v_cvt_f32_i32_e32 v64, v64
	s_waitcnt lgkmcnt(0)
	v_add_f32_e32 v62, v62, v63
	v_cmp_gt_i32_e64 s[0:1], s33, v59
	v_max_f32_e32 v63, v57, v57
	v_mul_f32_e32 v64, s8, v64
	v_cndmask_b32_e64 v64, 0, v64, s[2:3]
	v_fmac_f32_e32 v64, s9, v62
	v_cndmask_b32_e64 v62, 0, v64, s[0:1]
	ds_write_b32 v60, v62
	v_max_f32_e32 v62, v63, v64
	v_cndmask_b32_e64 v57, v57, v62, s[0:1]
	s_branch .LBB48_8
.LBB48_11:
	s_or_b64 exec, exec, s[28:29]
.LBB48_12:
	s_or_b64 exec, exec, s[26:27]
	v_xor_b32_e32 v2, 32, v54
	v_cmp_lt_i32_e32 vcc, v2, v56
	v_xor_b32_e32 v5, 16, v54
	v_max_f32_e32 v4, v57, v57
	v_cndmask_b32_e32 v2, v54, v2, vcc
	v_lshlrev_b32_e32 v2, 2, v2
	ds_bpermute_b32 v3, v2, v57
	v_cmp_lt_i32_e32 vcc, v5, v56
	v_xor_b32_e32 v6, 8, v54
	v_xor_b32_e32 v7, 4, v54
	v_and_b32_e32 v70, 63, v0
	s_waitcnt lgkmcnt(0)
	v_max_f32_e32 v3, v3, v3
	v_max_f32_e32 v4, v4, v3
	v_cndmask_b32_e32 v3, v54, v5, vcc
	v_lshlrev_b32_e32 v3, 2, v3
	ds_bpermute_b32 v5, v3, v4
	v_cmp_lt_i32_e32 vcc, v6, v56
	s_waitcnt lgkmcnt(0)
	v_max_f32_e32 v5, v5, v5
	v_max_f32_e32 v5, v4, v5
	v_cndmask_b32_e32 v4, v54, v6, vcc
	v_lshlrev_b32_e32 v4, 2, v4
	ds_bpermute_b32 v6, v4, v5
	v_cmp_lt_i32_e32 vcc, v7, v56
	s_waitcnt lgkmcnt(0)
	v_max_f32_e32 v6, v6, v6
	v_max_f32_e32 v5, v5, v6
	v_cndmask_b32_e32 v6, v54, v7, vcc
	v_lshlrev_b32_e32 v71, 2, v6
	ds_bpermute_b32 v6, v71, v5
	v_xor_b32_e32 v7, 2, v54
	v_cmp_lt_i32_e32 vcc, v7, v56
	s_waitcnt lgkmcnt(0)
	v_max_f32_e32 v6, v6, v6
	v_max_f32_e32 v6, v5, v6
	v_cndmask_b32_e32 v5, v54, v7, vcc
	v_lshlrev_b32_e32 v72, 2, v5
	ds_bpermute_b32 v7, v72, v6
	v_cmp_eq_u32_e32 vcc, 0, v70
	v_lshlrev_b32_e32 v5, 2, v1
	s_and_saveexec_b64 s[0:1], vcc
	s_cbranch_execz .LBB48_14
; %bb.13:
	s_waitcnt lgkmcnt(0)
	v_max_f32_e32 v7, v7, v7
	v_max_f32_e32 v6, v6, v6
	;; [unrolled: 1-line block ×3, first 2 shown]
	ds_write_b32 v5, v6 offset:384
.LBB48_14:
	s_or_b64 exec, exec, s[0:1]
	v_cmp_gt_u32_e64 s[0:1], 2, v70
	s_waitcnt lgkmcnt(0)
	v_mov_b32_e32 v7, 0xff7fffff
	v_lshlrev_b32_e32 v6, 2, v70
	s_barrier
	s_and_saveexec_b64 s[2:3], s[0:1]
; %bb.15:
	ds_read_b32 v7, v6 offset:384
; %bb.16:
	s_or_b64 exec, exec, s[2:3]
	v_xor_b32_e32 v8, 1, v54
	v_cmp_lt_i32_e64 s[2:3], v8, v56
	s_nop 1
	v_cndmask_b32_e64 v8, v54, v8, s[2:3]
	v_lshlrev_b32_e32 v73, 2, v8
	s_waitcnt lgkmcnt(0)
	ds_bpermute_b32 v8, v73, v7
	v_max_f32_e32 v7, v7, v7
	s_lshl_b32 s2, s12, 5
	s_min_i32 s15, s2, s33
	v_cmp_gt_i32_e64 s[2:3], s15, v0
	s_waitcnt lgkmcnt(0)
	v_max_f32_e32 v8, v8, v8
	v_max_f32_e32 v7, v7, v8
	v_lshlrev_b32_e32 v8, 2, v55
	ds_bpermute_b32 v8, v8, v7
	v_mov_b32_e32 v7, 0
	s_and_saveexec_b64 s[26:27], s[2:3]
	s_cbranch_execz .LBB48_20
; %bb.17:
	v_mov_b32_e32 v7, 0x190
	v_lshl_add_u32 v9, v0, 2, v7
	v_mov_b32_e32 v7, 0
	s_mov_b64 s[28:29], 0
	v_mov_b32_e32 v10, v0
.LBB48_18:                              ; =>This Inner Loop Header: Depth=1
	ds_read_b32 v11, v9
	v_add_u32_e32 v10, 0x80, v10
	v_cmp_le_i32_e64 s[8:9], s15, v10
	s_or_b64 s[28:29], s[8:9], s[28:29]
	s_waitcnt lgkmcnt(0)
	v_sub_f32_e32 v11, v11, v8
	v_mul_f32_e32 v11, 0x3fb8aa3b, v11
	v_exp_f32_e32 v11, v11
	ds_write_b32 v9, v11
	v_add_f32_e32 v7, v7, v11
	v_add_u32_e32 v9, 0x200, v9
	s_andn2_b64 exec, exec, s[28:29]
	s_cbranch_execnz .LBB48_18
; %bb.19:
	s_or_b64 exec, exec, s[28:29]
.LBB48_20:
	s_or_b64 exec, exec, s[26:27]
	ds_bpermute_b32 v2, v2, v7
	s_waitcnt lgkmcnt(0)
	v_add_f32_e32 v2, v7, v2
	ds_bpermute_b32 v3, v3, v2
	s_waitcnt lgkmcnt(0)
	v_add_f32_e32 v2, v2, v3
	;; [unrolled: 3-line block ×6, first 2 shown]
	s_and_saveexec_b64 s[8:9], vcc
; %bb.21:
	ds_write_b32 v5, v2 offset:392
; %bb.22:
	s_or_b64 exec, exec, s[8:9]
	s_waitcnt lgkmcnt(0)
	s_barrier
	s_and_saveexec_b64 s[8:9], s[0:1]
; %bb.23:
	ds_read_b32 v2, v6 offset:392
; %bb.24:
	s_or_b64 exec, exec, s[8:9]
	s_waitcnt lgkmcnt(0)
	ds_bpermute_b32 v3, v73, v2
	v_lshlrev_b32_e32 v4, 2, v54
	s_waitcnt lgkmcnt(0)
	v_add_f32_e32 v2, v2, v3
	v_and_b32_e32 v3, 0xffffff00, v4
	ds_bpermute_b32 v2, v3, v2
	s_and_saveexec_b64 s[0:1], s[2:3]
	s_cbranch_execz .LBB48_37
; %bb.25:
	s_waitcnt lgkmcnt(0)
	v_add_f32_e32 v2, 0x358637bd, v2
	v_div_scale_f32 v3, s[2:3], v2, v2, 1.0
	v_rcp_f32_e32 v4, v3
	v_div_scale_f32 v5, vcc, 1.0, v2, 1.0
	s_movk_i32 s2, 0x7f
	v_fma_f32 v6, -v3, v4, 1.0
	v_fmac_f32_e32 v4, v6, v4
	v_mul_f32_e32 v6, v5, v4
	v_fma_f32 v7, -v3, v6, v5
	v_fmac_f32_e32 v6, v7, v4
	v_fma_f32 v3, -v3, v6, v5
	v_div_fmas_f32 v3, v3, v4, v6
	v_xad_u32 v4, v0, -1, s15
	v_div_fixup_f32 v2, v3, v2, 1.0
	v_cmp_lt_u32_e32 vcc, s2, v4
	s_mov_b64 s[8:9], -1
	v_mov_b32_e32 v3, v0
	s_and_saveexec_b64 s[2:3], vcc
	s_cbranch_execz .LBB48_34
; %bb.26:
	v_lshrrev_b32_e32 v4, 7, v4
	v_add_u32_e32 v6, -1, v4
	v_lshrrev_b32_e32 v5, 1, v6
	v_mov_b32_e32 v3, v2
	v_add_u32_e32 v5, 1, v5
	v_cmp_lt_u32_e32 vcc, 13, v6
	v_mov_b32_e32 v8, 0
	s_and_saveexec_b64 s[8:9], vcc
	s_cbranch_execz .LBB48_30
; %bb.27:
	v_mov_b32_e32 v7, 0x190
	v_and_b32_e32 v6, -8, v5
	v_lshl_add_u32 v7, v0, 2, v7
	s_mov_b32 s17, 0
	s_mov_b64 s[26:27], 0
.LBB48_28:                              ; =>This Inner Loop Header: Depth=1
	ds_read2st64_b32 v[8:9], v7 offset1:2
	ds_read2st64_b32 v[10:11], v7 offset0:4 offset1:6
	ds_read2st64_b32 v[12:13], v7 offset0:8 offset1:10
	;; [unrolled: 1-line block ×3, first 2 shown]
	v_add_u32_e32 v6, -8, v6
	s_waitcnt lgkmcnt(3)
	v_pk_mul_f32 v[8:9], v[2:3], v[8:9]
	s_waitcnt lgkmcnt(2)
	v_pk_mul_f32 v[10:11], v[2:3], v[10:11]
	ds_write2st64_b32 v7, v8, v9 offset1:2
	ds_write2st64_b32 v7, v10, v11 offset0:4 offset1:6
	ds_read2st64_b32 v[10:11], v7 offset0:16 offset1:18
	s_waitcnt lgkmcnt(4)
	v_pk_mul_f32 v[8:9], v[2:3], v[12:13]
	ds_write2st64_b32 v7, v8, v9 offset0:8 offset1:10
	s_waitcnt lgkmcnt(4)
	v_pk_mul_f32 v[8:9], v[2:3], v[14:15]
	ds_write2st64_b32 v7, v8, v9 offset0:12 offset1:14
	ds_read2st64_b32 v[8:9], v7 offset0:20 offset1:22
	s_waitcnt lgkmcnt(3)
	v_pk_mul_f32 v[10:11], v[2:3], v[10:11]
	ds_read2st64_b32 v[12:13], v7 offset0:24 offset1:26
	ds_write2st64_b32 v7, v10, v11 offset0:16 offset1:18
	ds_read2st64_b32 v[10:11], v7 offset0:28 offset1:30
	s_waitcnt lgkmcnt(3)
	v_pk_mul_f32 v[8:9], v[2:3], v[8:9]
	ds_write2st64_b32 v7, v8, v9 offset0:20 offset1:22
	s_waitcnt lgkmcnt(3)
	v_pk_mul_f32 v[8:9], v[2:3], v[12:13]
	ds_write2st64_b32 v7, v8, v9 offset0:24 offset1:26
	s_waitcnt lgkmcnt(2)
	v_pk_mul_f32 v[8:9], v[2:3], v[10:11]
	s_add_i32 s17, s17, 16
	v_cmp_eq_u32_e32 vcc, 0, v6
	ds_write2st64_b32 v7, v8, v9 offset0:28 offset1:30
	v_add_u32_e32 v7, 0x2000, v7
	s_or_b64 s[26:27], vcc, s[26:27]
	v_mov_b32_e32 v8, s17
	s_andn2_b64 exec, exec, s[26:27]
	s_cbranch_execnz .LBB48_28
; %bb.29:
	s_or_b64 exec, exec, s[26:27]
.LBB48_30:
	s_or_b64 exec, exec, s[8:9]
	v_and_b32_e32 v5, 7, v5
	v_cmp_ne_u32_e32 vcc, 0, v5
	s_and_saveexec_b64 s[8:9], vcc
	s_cbranch_execz .LBB48_33
; %bb.31:
	v_lshlrev_b32_e32 v6, 9, v8
	s_movk_i32 s17, 0x190
	v_add3_u32 v6, v6, v66, s17
	s_mov_b64 s[26:27], 0
.LBB48_32:                              ; =>This Inner Loop Header: Depth=1
	ds_read2st64_b32 v[8:9], v6 offset1:2
	v_add_u32_e32 v5, -1, v5
	v_cmp_eq_u32_e32 vcc, 0, v5
	s_or_b64 s[26:27], vcc, s[26:27]
	s_waitcnt lgkmcnt(0)
	v_pk_mul_f32 v[8:9], v[2:3], v[8:9]
	ds_write2st64_b32 v6, v8, v9 offset1:2
	v_add_u32_e32 v6, 0x400, v6
	s_andn2_b64 exec, exec, s[26:27]
	s_cbranch_execnz .LBB48_32
.LBB48_33:
	s_or_b64 exec, exec, s[8:9]
	v_add_u32_e32 v4, 1, v4
	v_and_b32_e32 v5, 0x3fffffe, v4
	v_cmp_ne_u32_e32 vcc, v4, v5
	v_lshl_add_u32 v3, v5, 7, v0
	s_orn2_b64 s[8:9], vcc, exec
.LBB48_34:
	s_or_b64 exec, exec, s[2:3]
	s_and_b64 exec, exec, s[8:9]
	s_cbranch_execz .LBB48_37
; %bb.35:
	v_mov_b32_e32 v4, 0x190
	v_lshl_add_u32 v4, v3, 2, v4
	s_mov_b64 s[2:3], 0
.LBB48_36:                              ; =>This Inner Loop Header: Depth=1
	ds_read_b32 v5, v4
	v_add_u32_e32 v3, 0x80, v3
	v_cmp_le_i32_e32 vcc, s15, v3
	s_or_b64 s[2:3], vcc, s[2:3]
	s_waitcnt lgkmcnt(0)
	v_mul_f32_e32 v5, v2, v5
	ds_write_b32 v4, v5
	v_add_u32_e32 v4, 0x200, v4
	s_andn2_b64 exec, exec, s[2:3]
	s_cbranch_execnz .LBB48_36
.LBB48_37:
	s_or_b64 exec, exec, s[0:1]
	v_mov_b32_e32 v55, 0
	v_and_b32_e32 v74, 7, v0
	v_mov_b32_e32 v54, 0
	v_mov_b32_e32 v57, 0
	;; [unrolled: 1-line block ×11, first 2 shown]
	s_waitcnt lgkmcnt(0)
	s_barrier
	s_and_saveexec_b64 s[2:3], s[6:7]
	s_cbranch_execz .LBB48_65
; %bb.38:
	s_ashr_i32 s15, s14, 31
	s_lshl_b64 s[0:1], s[14:15], 2
	s_add_u32 s0, s24, s0
	v_lshlrev_b32_e32 v3, 4, v0
	s_addc_u32 s1, s25, s1
	v_and_b32_e32 v54, 0x3f0, v3
	v_mov_b32_e32 v55, 0
	v_and_b32_e32 v2, 28, v66
	s_add_i32 s14, s12, -1
	v_lshl_add_u64 v[66:67], s[0:1], 0, v[54:55]
	s_lshl_b64 s[0:1], s[22:23], 2
	v_lshl_or_b32 v75, v1, 5, v2
	v_lshlrev_b32_e32 v2, 4, v74
	s_add_u32 s0, s20, s0
	v_lshl_or_b32 v2, v1, 7, v2
	v_and_b32_e32 v54, 60, v68
	s_addc_u32 s1, s21, s1
	s_mov_b32 s15, s33
	v_add_u32_e32 v76, 0x190, v2
	v_lshl_add_u64 v[68:69], s[0:1], 0, v[54:55]
	s_mov_b64 s[6:7], 0
	v_mov_b32_e32 v54, v55
	v_mov_b32_e32 v57, v55
	;; [unrolled: 1-line block ×11, first 2 shown]
	s_branch .LBB48_40
.LBB48_39:                              ;   in Loop: Header=BB48_40 Depth=1
	s_or_b64 exec, exec, s[8:9]
	s_waitcnt vmcnt(1) lgkmcnt(0)
	v_mul_f32_e32 v50, v2, v50
	v_mul_f32_e32 v42, v2, v42
	v_mul_f32_e32 v38, v2, v38
	v_mul_f32_e32 v34, v2, v34
	v_mul_f32_e32 v30, v2, v30
	v_mul_f32_e32 v26, v2, v26
	v_mul_f32_e32 v22, v2, v22
	v_mul_f32_e32 v18, v2, v18
	v_mul_f32_e32 v14, v2, v14
	v_mul_f32_e32 v10, v2, v10
	v_mul_f32_e32 v6, v2, v6
	v_fmac_f32_e32 v50, v3, v51
	v_fmac_f32_e32 v42, v3, v43
	;; [unrolled: 1-line block ×22, first 2 shown]
	s_waitcnt vmcnt(0)
	v_pk_mul_f32 v[2:3], v[2:3], v[46:47]
	v_fmac_f32_e32 v50, v5, v53
	v_fmac_f32_e32 v42, v5, v45
	;; [unrolled: 1-line block ×11, first 2 shown]
	v_pk_mul_f32 v[4:5], v[4:5], v[48:49]
	v_add_f32_e32 v2, v3, v2
	v_add_f32_e32 v2, v4, v2
	v_add_u32_e32 v1, 2, v1
	v_add_f32_e32 v2, v5, v2
	v_cmp_le_i32_e32 vcc, s12, v1
	v_add_f32_e32 v54, v54, v50
	v_add_f32_e32 v57, v57, v42
	;; [unrolled: 1-line block ×12, first 2 shown]
	v_add_u32_e32 v75, 64, v75
	v_add_u32_e32 v76, 0x100, v76
	s_or_b64 s[6:7], vcc, s[6:7]
	v_lshl_add_u64 v[68:69], v[68:69], 0, 8
	s_andn2_b64 exec, exec, s[6:7]
	s_cbranch_execz .LBB48_64
.LBB48_40:                              ; =>This Inner Loop Header: Depth=1
	global_load_dword v2, v[68:69], off
	v_add_u32_e32 v79, 1, v75
	v_or_b32_e32 v78, 3, v75
	v_or_b32_e32 v77, 2, v75
	s_waitcnt vmcnt(0)
	v_mad_i64_i32 v[2:3], s[0:1], v2, s13, 0
	v_lshl_add_u64 v[46:47], v[2:3], 2, v[66:67]
	global_load_dwordx4 v[6:9], v[46:47], off
	ds_read_b128 v[2:5], v76
	v_cmp_eq_u32_e64 s[0:1], s14, v1
	s_and_saveexec_b64 s[8:9], s[0:1]
	s_cbranch_execnz .LBB48_61
; %bb.41:                               ;   in Loop: Header=BB48_40 Depth=1
	s_or_b64 exec, exec, s[8:9]
	global_load_dwordx4 v[10:13], v[46:47], off offset:1024
	s_and_saveexec_b64 s[8:9], s[0:1]
	s_cbranch_execnz .LBB48_62
.LBB48_42:                              ;   in Loop: Header=BB48_40 Depth=1
	s_or_b64 exec, exec, s[8:9]
	global_load_dwordx4 v[14:17], v[46:47], off offset:2048
	s_and_saveexec_b64 s[8:9], s[0:1]
	s_cbranch_execnz .LBB48_63
.LBB48_43:                              ;   in Loop: Header=BB48_40 Depth=1
	s_or_b64 exec, exec, s[8:9]
	global_load_dwordx4 v[18:21], v[46:47], off offset:3072
	s_and_saveexec_b64 s[8:9], s[0:1]
	s_cbranch_execz .LBB48_45
.LBB48_44:                              ;   in Loop: Header=BB48_40 Depth=1
	v_cmp_gt_i32_e32 vcc, s15, v79
	s_waitcnt vmcnt(0)
	s_nop 0
	v_cndmask_b32_e32 v19, 0, v19, vcc
	v_cmp_gt_i32_e32 vcc, s33, v75
	s_nop 1
	v_cndmask_b32_e32 v18, 0, v18, vcc
	v_cmp_gt_i32_e32 vcc, s15, v78
	;; [unrolled: 3-line block ×3, first 2 shown]
	s_nop 1
	v_cndmask_b32_e32 v20, 0, v20, vcc
.LBB48_45:                              ;   in Loop: Header=BB48_40 Depth=1
	s_or_b64 exec, exec, s[8:9]
	v_add_co_u32_e32 v22, vcc, 0x1000, v46
	s_nop 1
	v_addc_co_u32_e32 v23, vcc, 0, v47, vcc
	global_load_dwordx4 v[22:25], v[22:23], off
	s_and_saveexec_b64 s[8:9], s[0:1]
	s_cbranch_execz .LBB48_47
; %bb.46:                               ;   in Loop: Header=BB48_40 Depth=1
	v_cmp_gt_i32_e32 vcc, s15, v79
	s_waitcnt vmcnt(0)
	s_nop 0
	v_cndmask_b32_e32 v23, 0, v23, vcc
	v_cmp_gt_i32_e32 vcc, s33, v75
	s_nop 1
	v_cndmask_b32_e32 v22, 0, v22, vcc
	v_cmp_gt_i32_e32 vcc, s15, v78
	s_nop 1
	v_cndmask_b32_e32 v25, 0, v25, vcc
	v_cmp_gt_i32_e32 vcc, s33, v77
	s_nop 1
	v_cndmask_b32_e32 v24, 0, v24, vcc
.LBB48_47:                              ;   in Loop: Header=BB48_40 Depth=1
	s_or_b64 exec, exec, s[8:9]
	v_add_co_u32_e32 v26, vcc, 0x1000, v46
	s_nop 1
	v_addc_co_u32_e32 v27, vcc, 0, v47, vcc
	global_load_dwordx4 v[26:29], v[26:27], off offset:1024
	s_and_saveexec_b64 s[8:9], s[0:1]
	s_cbranch_execz .LBB48_49
; %bb.48:                               ;   in Loop: Header=BB48_40 Depth=1
	v_cmp_gt_i32_e32 vcc, s15, v79
	s_waitcnt vmcnt(0)
	s_nop 0
	v_cndmask_b32_e32 v27, 0, v27, vcc
	v_cmp_gt_i32_e32 vcc, s33, v75
	s_nop 1
	v_cndmask_b32_e32 v26, 0, v26, vcc
	v_cmp_gt_i32_e32 vcc, s15, v78
	s_nop 1
	v_cndmask_b32_e32 v29, 0, v29, vcc
	v_cmp_gt_i32_e32 vcc, s33, v77
	s_nop 1
	v_cndmask_b32_e32 v28, 0, v28, vcc
.LBB48_49:                              ;   in Loop: Header=BB48_40 Depth=1
	s_or_b64 exec, exec, s[8:9]
	v_add_co_u32_e32 v30, vcc, 0x1000, v46
	s_nop 1
	v_addc_co_u32_e32 v31, vcc, 0, v47, vcc
	global_load_dwordx4 v[30:33], v[30:31], off offset:2048
	;; [unrolled: 22-line block ×3, first 2 shown]
	s_and_saveexec_b64 s[8:9], s[0:1]
	s_cbranch_execz .LBB48_53
; %bb.52:                               ;   in Loop: Header=BB48_40 Depth=1
	v_cmp_gt_i32_e32 vcc, s15, v79
	s_waitcnt vmcnt(0)
	s_nop 0
	v_cndmask_b32_e32 v35, 0, v35, vcc
	v_cmp_gt_i32_e32 vcc, s33, v75
	s_nop 1
	v_cndmask_b32_e32 v34, 0, v34, vcc
	v_cmp_gt_i32_e32 vcc, s15, v78
	;; [unrolled: 3-line block ×3, first 2 shown]
	s_nop 1
	v_cndmask_b32_e32 v36, 0, v36, vcc
.LBB48_53:                              ;   in Loop: Header=BB48_40 Depth=1
	s_or_b64 exec, exec, s[8:9]
	v_add_co_u32_e32 v38, vcc, 0x2000, v46
	s_nop 1
	v_addc_co_u32_e32 v39, vcc, 0, v47, vcc
	global_load_dwordx4 v[38:41], v[38:39], off
	s_and_saveexec_b64 s[8:9], s[0:1]
	s_cbranch_execz .LBB48_55
; %bb.54:                               ;   in Loop: Header=BB48_40 Depth=1
	v_cmp_gt_i32_e32 vcc, s15, v79
	s_waitcnt vmcnt(0)
	s_nop 0
	v_cndmask_b32_e32 v39, 0, v39, vcc
	v_cmp_gt_i32_e32 vcc, s33, v75
	s_nop 1
	v_cndmask_b32_e32 v38, 0, v38, vcc
	v_cmp_gt_i32_e32 vcc, s15, v78
	s_nop 1
	v_cndmask_b32_e32 v41, 0, v41, vcc
	v_cmp_gt_i32_e32 vcc, s33, v77
	s_nop 1
	v_cndmask_b32_e32 v40, 0, v40, vcc
.LBB48_55:                              ;   in Loop: Header=BB48_40 Depth=1
	s_or_b64 exec, exec, s[8:9]
	v_add_co_u32_e32 v42, vcc, 0x2000, v46
	s_nop 1
	v_addc_co_u32_e32 v43, vcc, 0, v47, vcc
	global_load_dwordx4 v[42:45], v[42:43], off offset:1024
	s_and_saveexec_b64 s[8:9], s[0:1]
	s_cbranch_execz .LBB48_57
; %bb.56:                               ;   in Loop: Header=BB48_40 Depth=1
	v_cmp_gt_i32_e32 vcc, s15, v79
	s_waitcnt vmcnt(0)
	s_nop 0
	v_cndmask_b32_e32 v43, 0, v43, vcc
	v_cmp_gt_i32_e32 vcc, s33, v75
	s_nop 1
	v_cndmask_b32_e32 v42, 0, v42, vcc
	v_cmp_gt_i32_e32 vcc, s15, v78
	s_nop 1
	v_cndmask_b32_e32 v45, 0, v45, vcc
	v_cmp_gt_i32_e32 vcc, s33, v77
	s_nop 1
	v_cndmask_b32_e32 v44, 0, v44, vcc
.LBB48_57:                              ;   in Loop: Header=BB48_40 Depth=1
	s_or_b64 exec, exec, s[8:9]
	v_add_co_u32_e32 v48, vcc, 0x2000, v46
	s_nop 1
	v_addc_co_u32_e32 v49, vcc, 0, v47, vcc
	global_load_dwordx4 v[50:53], v[48:49], off offset:2048
	;; [unrolled: 22-line block ×3, first 2 shown]
	s_and_saveexec_b64 s[8:9], s[0:1]
	s_cbranch_execz .LBB48_39
; %bb.60:                               ;   in Loop: Header=BB48_40 Depth=1
	v_cmp_gt_i32_e32 vcc, s15, v79
	s_waitcnt vmcnt(0)
	s_nop 0
	v_cndmask_b32_e32 v47, 0, v47, vcc
	v_cmp_gt_i32_e32 vcc, s33, v75
	s_nop 1
	v_cndmask_b32_e32 v46, 0, v46, vcc
	v_cmp_gt_i32_e32 vcc, s15, v78
	;; [unrolled: 3-line block ×3, first 2 shown]
	s_nop 1
	v_cndmask_b32_e32 v48, 0, v48, vcc
	s_branch .LBB48_39
.LBB48_61:                              ;   in Loop: Header=BB48_40 Depth=1
	v_cmp_gt_i32_e32 vcc, s15, v79
	s_waitcnt vmcnt(0)
	s_nop 0
	v_cndmask_b32_e32 v7, 0, v7, vcc
	v_cmp_gt_i32_e32 vcc, s33, v75
	s_nop 1
	v_cndmask_b32_e32 v6, 0, v6, vcc
	v_cmp_gt_i32_e32 vcc, s15, v78
	;; [unrolled: 3-line block ×3, first 2 shown]
	s_nop 1
	v_cndmask_b32_e32 v8, 0, v8, vcc
	s_or_b64 exec, exec, s[8:9]
	global_load_dwordx4 v[10:13], v[46:47], off offset:1024
	s_and_saveexec_b64 s[8:9], s[0:1]
	s_cbranch_execz .LBB48_42
.LBB48_62:                              ;   in Loop: Header=BB48_40 Depth=1
	v_cmp_gt_i32_e32 vcc, s15, v79
	s_waitcnt vmcnt(0)
	s_nop 0
	v_cndmask_b32_e32 v11, 0, v11, vcc
	v_cmp_gt_i32_e32 vcc, s33, v75
	s_nop 1
	v_cndmask_b32_e32 v10, 0, v10, vcc
	v_cmp_gt_i32_e32 vcc, s15, v78
	;; [unrolled: 3-line block ×3, first 2 shown]
	s_nop 1
	v_cndmask_b32_e32 v12, 0, v12, vcc
	s_or_b64 exec, exec, s[8:9]
	global_load_dwordx4 v[14:17], v[46:47], off offset:2048
	s_and_saveexec_b64 s[8:9], s[0:1]
	s_cbranch_execz .LBB48_43
.LBB48_63:                              ;   in Loop: Header=BB48_40 Depth=1
	v_cmp_gt_i32_e32 vcc, s15, v79
	s_waitcnt vmcnt(0)
	s_nop 0
	v_cndmask_b32_e32 v15, 0, v15, vcc
	v_cmp_gt_i32_e32 vcc, s33, v75
	s_nop 1
	v_cndmask_b32_e32 v14, 0, v14, vcc
	v_cmp_gt_i32_e32 vcc, s15, v78
	;; [unrolled: 3-line block ×3, first 2 shown]
	s_nop 1
	v_cndmask_b32_e32 v16, 0, v16, vcc
	s_or_b64 exec, exec, s[8:9]
	global_load_dwordx4 v[18:21], v[46:47], off offset:3072
	s_and_saveexec_b64 s[8:9], s[0:1]
	s_cbranch_execnz .LBB48_44
	s_branch .LBB48_45
.LBB48_64:
	s_or_b64 exec, exec, s[6:7]
.LBB48_65:
	s_or_b64 exec, exec, s[2:3]
	ds_bpermute_b32 v2, v71, v64
	ds_bpermute_b32 v3, v71, v65
	;; [unrolled: 1-line block ×6, first 2 shown]
	s_waitcnt lgkmcnt(4)
	v_pk_add_f32 v[2:3], v[64:65], v[2:3]
	ds_bpermute_b32 v6, v72, v2
	ds_bpermute_b32 v7, v72, v3
	s_waitcnt lgkmcnt(4)
	v_pk_add_f32 v[10:11], v[60:61], v[10:11]
	ds_bpermute_b32 v12, v72, v10
	ds_bpermute_b32 v13, v72, v11
	ds_bpermute_b32 v16, v71, v56
	s_waitcnt lgkmcnt(3)
	v_pk_add_f32 v[2:3], v[2:3], v[6:7]
	ds_bpermute_b32 v6, v73, v2
	ds_bpermute_b32 v7, v73, v3
	;; [unrolled: 1-line block ×3, first 2 shown]
	v_pk_add_f32 v[4:5], v[62:63], v[4:5]
	ds_bpermute_b32 v8, v72, v4
	ds_bpermute_b32 v9, v72, v5
	s_waitcnt lgkmcnt(3)
	v_pk_add_f32 v[2:3], v[2:3], v[6:7]
	ds_bpermute_b32 v6, v71, v58
	ds_bpermute_b32 v7, v71, v59
	v_pk_add_f32 v[12:13], v[10:11], v[12:13]
	s_waitcnt lgkmcnt(4)
	v_pk_add_f32 v[10:11], v[56:57], v[16:17]
	ds_bpermute_b32 v20, v71, v54
	ds_bpermute_b32 v21, v71, v55
	s_waitcnt lgkmcnt(2)
	v_pk_add_f32 v[6:7], v[58:59], v[6:7]
	ds_bpermute_b32 v14, v72, v6
	ds_bpermute_b32 v15, v72, v7
	v_pk_add_f32 v[4:5], v[4:5], v[8:9]
	s_waitcnt lgkmcnt(2)
	v_pk_add_f32 v[20:21], v[54:55], v[20:21]
	ds_bpermute_b32 v8, v73, v4
	ds_bpermute_b32 v9, v73, v5
	s_waitcnt lgkmcnt(2)
	v_pk_add_f32 v[6:7], v[6:7], v[14:15]
	ds_bpermute_b32 v14, v72, v10
	ds_bpermute_b32 v15, v72, v11
	;; [unrolled: 1-line block ×6, first 2 shown]
	s_waitcnt lgkmcnt(4)
	v_pk_add_f32 v[14:15], v[10:11], v[14:15]
	ds_bpermute_b32 v22, v73, v14
	ds_bpermute_b32 v23, v73, v15
	;; [unrolled: 1-line block ×4, first 2 shown]
	v_pk_add_f32 v[10:11], v[4:5], v[8:9]
	s_waitcnt lgkmcnt(6)
	v_pk_add_f32 v[8:9], v[12:13], v[18:19]
	s_waitcnt lgkmcnt(4)
	;; [unrolled: 2-line block ×3, first 2 shown]
	v_pk_add_f32 v[4:5], v[14:15], v[22:23]
	ds_bpermute_b32 v14, v73, v12
	ds_bpermute_b32 v15, v73, v13
	v_and_b32_e32 v1, 0x3c7, v0
	s_waitcnt lgkmcnt(2)
	v_pk_add_f32 v[6:7], v[6:7], v[16:17]
	v_cmp_ne_u32_e32 vcc, 64, v1
	s_waitcnt lgkmcnt(0)
	s_barrier
	s_and_saveexec_b64 s[0:1], vcc
	s_xor_b64 s[0:1], exec, s[0:1]
; %bb.66:
                                        ; implicit-def: $vgpr70
; %bb.67:
	s_or_saveexec_b64 s[0:1], s[0:1]
	v_pk_add_f32 v[12:13], v[12:13], v[14:15]
	s_xor_b64 exec, exec, s[0:1]
	s_cbranch_execz .LBB48_69
; %bb.68:
	v_lshrrev_b32_e32 v14, 1, v70
	v_add_u32_e32 v14, 0x190, v14
	ds_write2_b32 v14, v2, v3 offset1:8
	ds_write2_b32 v14, v10, v11 offset0:16 offset1:24
	ds_write2_b32 v14, v8, v9 offset0:32 offset1:40
	;; [unrolled: 1-line block ×5, first 2 shown]
.LBB48_69:
	s_or_b64 exec, exec, s[0:1]
	v_cmp_gt_u32_e32 vcc, 64, v0
	v_lshrrev_b32_e32 v0, 3, v0
	s_waitcnt lgkmcnt(0)
	s_barrier
	s_and_saveexec_b64 s[0:1], vcc
	s_cbranch_execz .LBB48_84
; %bb.70:
	v_mov_b32_e32 v14, 0x190
	v_cmp_eq_u32_e32 vcc, 0, v74
	v_lshl_add_u32 v14, v0, 2, v14
	s_and_saveexec_b64 s[2:3], vcc
	s_cbranch_execnz .LBB48_87
; %bb.71:
	s_or_b64 exec, exec, s[2:3]
	s_and_saveexec_b64 s[2:3], vcc
	s_cbranch_execnz .LBB48_88
.LBB48_72:
	s_or_b64 exec, exec, s[2:3]
	s_and_saveexec_b64 s[2:3], vcc
	s_cbranch_execnz .LBB48_89
.LBB48_73:
	s_or_b64 exec, exec, s[2:3]
	s_and_saveexec_b64 s[2:3], vcc
	s_cbranch_execnz .LBB48_90
.LBB48_74:
	s_or_b64 exec, exec, s[2:3]
	s_and_saveexec_b64 s[2:3], vcc
	s_cbranch_execnz .LBB48_91
.LBB48_75:
	s_or_b64 exec, exec, s[2:3]
	s_and_saveexec_b64 s[2:3], vcc
	s_cbranch_execnz .LBB48_92
.LBB48_76:
	s_or_b64 exec, exec, s[2:3]
	s_and_saveexec_b64 s[2:3], vcc
	s_cbranch_execnz .LBB48_93
.LBB48_77:
	s_or_b64 exec, exec, s[2:3]
	s_and_saveexec_b64 s[2:3], vcc
	s_cbranch_execnz .LBB48_94
.LBB48_78:
	s_or_b64 exec, exec, s[2:3]
	s_and_saveexec_b64 s[2:3], vcc
	s_cbranch_execnz .LBB48_95
.LBB48_79:
	s_or_b64 exec, exec, s[2:3]
	s_and_saveexec_b64 s[2:3], vcc
	s_cbranch_execnz .LBB48_96
.LBB48_80:
	s_or_b64 exec, exec, s[2:3]
	s_and_saveexec_b64 s[2:3], vcc
	s_cbranch_execnz .LBB48_97
.LBB48_81:
	s_or_b64 exec, exec, s[2:3]
	s_and_saveexec_b64 s[2:3], vcc
	s_cbranch_execz .LBB48_83
.LBB48_82:
	ds_read_b32 v14, v14 offset:352
	s_waitcnt lgkmcnt(0)
	v_add_f32_e32 v13, v13, v14
.LBB48_83:
	s_or_b64 exec, exec, s[2:3]
.LBB48_84:
	s_or_b64 exec, exec, s[0:1]
	v_cmp_eq_u32_e32 vcc, 0, v1
	s_barrier
	s_and_saveexec_b64 s[0:1], vcc
	s_cbranch_execz .LBB48_86
; %bb.85:
	s_mul_i32 s0, s10, s11
	s_mul_i32 s0, s0, s5
	s_mulk_i32 s0, 0x60
	s_ashr_i32 s1, s0, 31
	s_lshl_b64 s[0:1], s[0:1], 2
	s_add_u32 s2, s18, s0
	s_mul_i32 s0, s11, s16
	s_addc_u32 s3, s19, s1
	s_ashr_i32 s1, s0, 31
	s_lshl_b64 s[0:1], s[0:1], 2
	s_add_u32 s2, s2, s0
	s_mul_i32 s0, s4, 0x60
	s_addc_u32 s3, s3, s1
	s_ashr_i32 s1, s0, 31
	s_lshl_b64 s[0:1], s[0:1], 2
	s_add_u32 s0, s2, s0
	s_addc_u32 s1, s3, s1
	v_lshlrev_b32_e32 v0, 2, v0
	global_store_dword v0, v2, s[0:1]
	global_store_dword v0, v3, s[0:1] offset:32
	global_store_dword v0, v10, s[0:1] offset:64
	;; [unrolled: 1-line block ×11, first 2 shown]
.LBB48_86:
	s_endpgm
.LBB48_87:
	ds_read_b32 v15, v14
	s_waitcnt lgkmcnt(0)
	v_add_f32_e32 v2, v2, v15
	s_or_b64 exec, exec, s[2:3]
	s_and_saveexec_b64 s[2:3], vcc
	s_cbranch_execz .LBB48_72
.LBB48_88:
	ds_read_b32 v15, v14 offset:32
	s_waitcnt lgkmcnt(0)
	v_add_f32_e32 v3, v3, v15
	s_or_b64 exec, exec, s[2:3]
	s_and_saveexec_b64 s[2:3], vcc
	s_cbranch_execz .LBB48_73
.LBB48_89:
	ds_read_b32 v15, v14 offset:64
	s_waitcnt lgkmcnt(0)
	v_add_f32_e32 v10, v10, v15
	s_or_b64 exec, exec, s[2:3]
	s_and_saveexec_b64 s[2:3], vcc
	s_cbranch_execz .LBB48_74
.LBB48_90:
	ds_read_b32 v15, v14 offset:96
	s_waitcnt lgkmcnt(0)
	v_add_f32_e32 v11, v11, v15
	s_or_b64 exec, exec, s[2:3]
	s_and_saveexec_b64 s[2:3], vcc
	s_cbranch_execz .LBB48_75
.LBB48_91:
	ds_read_b32 v15, v14 offset:128
	s_waitcnt lgkmcnt(0)
	v_add_f32_e32 v8, v8, v15
	s_or_b64 exec, exec, s[2:3]
	s_and_saveexec_b64 s[2:3], vcc
	s_cbranch_execz .LBB48_76
.LBB48_92:
	ds_read_b32 v15, v14 offset:160
	s_waitcnt lgkmcnt(0)
	v_add_f32_e32 v9, v9, v15
	s_or_b64 exec, exec, s[2:3]
	s_and_saveexec_b64 s[2:3], vcc
	s_cbranch_execz .LBB48_77
.LBB48_93:
	ds_read_b32 v15, v14 offset:192
	s_waitcnt lgkmcnt(0)
	v_add_f32_e32 v6, v6, v15
	s_or_b64 exec, exec, s[2:3]
	s_and_saveexec_b64 s[2:3], vcc
	s_cbranch_execz .LBB48_78
.LBB48_94:
	ds_read_b32 v15, v14 offset:224
	s_waitcnt lgkmcnt(0)
	v_add_f32_e32 v7, v7, v15
	s_or_b64 exec, exec, s[2:3]
	s_and_saveexec_b64 s[2:3], vcc
	s_cbranch_execz .LBB48_79
.LBB48_95:
	ds_read_b32 v15, v14 offset:256
	s_waitcnt lgkmcnt(0)
	v_add_f32_e32 v4, v4, v15
	s_or_b64 exec, exec, s[2:3]
	s_and_saveexec_b64 s[2:3], vcc
	s_cbranch_execz .LBB48_80
.LBB48_96:
	ds_read_b32 v15, v14 offset:288
	s_waitcnt lgkmcnt(0)
	v_add_f32_e32 v5, v5, v15
	s_or_b64 exec, exec, s[2:3]
	s_and_saveexec_b64 s[2:3], vcc
	s_cbranch_execz .LBB48_81
.LBB48_97:
	ds_read_b32 v15, v14 offset:320
	s_waitcnt lgkmcnt(0)
	v_add_f32_e32 v12, v12, v15
	s_or_b64 exec, exec, s[2:3]
	s_and_saveexec_b64 s[2:3], vcc
	s_cbranch_execnz .LBB48_82
	s_branch .LBB48_83
	.section	.rodata,"a",@progbits
	.p2align	6, 0x0
	.amdhsa_kernel _ZN4vllm25paged_attention_v1_kernelIffLi96ELi32ELi128ELNS_18Fp8KVCacheDataTypeE0ELb0EEEvPT_PKS2_PKT0_S8_ifPKiSA_iPKfiiiSC_SC_iiiii
		.amdhsa_group_segment_fixed_size 400
		.amdhsa_private_segment_fixed_size 0
		.amdhsa_kernarg_size 384
		.amdhsa_user_sgpr_count 2
		.amdhsa_user_sgpr_dispatch_ptr 0
		.amdhsa_user_sgpr_queue_ptr 0
		.amdhsa_user_sgpr_kernarg_segment_ptr 1
		.amdhsa_user_sgpr_dispatch_id 0
		.amdhsa_user_sgpr_kernarg_preload_length 0
		.amdhsa_user_sgpr_kernarg_preload_offset 0
		.amdhsa_user_sgpr_private_segment_size 0
		.amdhsa_uses_dynamic_stack 0
		.amdhsa_enable_private_segment 0
		.amdhsa_system_sgpr_workgroup_id_x 1
		.amdhsa_system_sgpr_workgroup_id_y 1
		.amdhsa_system_sgpr_workgroup_id_z 1
		.amdhsa_system_sgpr_workgroup_info 0
		.amdhsa_system_vgpr_workitem_id 0
		.amdhsa_next_free_vgpr 102
		.amdhsa_next_free_sgpr 36
		.amdhsa_accum_offset 104
		.amdhsa_reserve_vcc 1
		.amdhsa_float_round_mode_32 0
		.amdhsa_float_round_mode_16_64 0
		.amdhsa_float_denorm_mode_32 3
		.amdhsa_float_denorm_mode_16_64 3
		.amdhsa_dx10_clamp 1
		.amdhsa_ieee_mode 1
		.amdhsa_fp16_overflow 0
		.amdhsa_tg_split 0
		.amdhsa_exception_fp_ieee_invalid_op 0
		.amdhsa_exception_fp_denorm_src 0
		.amdhsa_exception_fp_ieee_div_zero 0
		.amdhsa_exception_fp_ieee_overflow 0
		.amdhsa_exception_fp_ieee_underflow 0
		.amdhsa_exception_fp_ieee_inexact 0
		.amdhsa_exception_int_div_zero 0
	.end_amdhsa_kernel
	.section	.text._ZN4vllm25paged_attention_v1_kernelIffLi96ELi32ELi128ELNS_18Fp8KVCacheDataTypeE0ELb0EEEvPT_PKS2_PKT0_S8_ifPKiSA_iPKfiiiSC_SC_iiiii,"axG",@progbits,_ZN4vllm25paged_attention_v1_kernelIffLi96ELi32ELi128ELNS_18Fp8KVCacheDataTypeE0ELb0EEEvPT_PKS2_PKT0_S8_ifPKiSA_iPKfiiiSC_SC_iiiii,comdat
.Lfunc_end48:
	.size	_ZN4vllm25paged_attention_v1_kernelIffLi96ELi32ELi128ELNS_18Fp8KVCacheDataTypeE0ELb0EEEvPT_PKS2_PKT0_S8_ifPKiSA_iPKfiiiSC_SC_iiiii, .Lfunc_end48-_ZN4vllm25paged_attention_v1_kernelIffLi96ELi32ELi128ELNS_18Fp8KVCacheDataTypeE0ELb0EEEvPT_PKS2_PKT0_S8_ifPKiSA_iPKfiiiSC_SC_iiiii
                                        ; -- End function
	.set _ZN4vllm25paged_attention_v1_kernelIffLi96ELi32ELi128ELNS_18Fp8KVCacheDataTypeE0ELb0EEEvPT_PKS2_PKT0_S8_ifPKiSA_iPKfiiiSC_SC_iiiii.num_vgpr, 102
	.set _ZN4vllm25paged_attention_v1_kernelIffLi96ELi32ELi128ELNS_18Fp8KVCacheDataTypeE0ELb0EEEvPT_PKS2_PKT0_S8_ifPKiSA_iPKfiiiSC_SC_iiiii.num_agpr, 0
	.set _ZN4vllm25paged_attention_v1_kernelIffLi96ELi32ELi128ELNS_18Fp8KVCacheDataTypeE0ELb0EEEvPT_PKS2_PKT0_S8_ifPKiSA_iPKfiiiSC_SC_iiiii.numbered_sgpr, 36
	.set _ZN4vllm25paged_attention_v1_kernelIffLi96ELi32ELi128ELNS_18Fp8KVCacheDataTypeE0ELb0EEEvPT_PKS2_PKT0_S8_ifPKiSA_iPKfiiiSC_SC_iiiii.num_named_barrier, 0
	.set _ZN4vllm25paged_attention_v1_kernelIffLi96ELi32ELi128ELNS_18Fp8KVCacheDataTypeE0ELb0EEEvPT_PKS2_PKT0_S8_ifPKiSA_iPKfiiiSC_SC_iiiii.private_seg_size, 0
	.set _ZN4vllm25paged_attention_v1_kernelIffLi96ELi32ELi128ELNS_18Fp8KVCacheDataTypeE0ELb0EEEvPT_PKS2_PKT0_S8_ifPKiSA_iPKfiiiSC_SC_iiiii.uses_vcc, 1
	.set _ZN4vllm25paged_attention_v1_kernelIffLi96ELi32ELi128ELNS_18Fp8KVCacheDataTypeE0ELb0EEEvPT_PKS2_PKT0_S8_ifPKiSA_iPKfiiiSC_SC_iiiii.uses_flat_scratch, 0
	.set _ZN4vllm25paged_attention_v1_kernelIffLi96ELi32ELi128ELNS_18Fp8KVCacheDataTypeE0ELb0EEEvPT_PKS2_PKT0_S8_ifPKiSA_iPKfiiiSC_SC_iiiii.has_dyn_sized_stack, 0
	.set _ZN4vllm25paged_attention_v1_kernelIffLi96ELi32ELi128ELNS_18Fp8KVCacheDataTypeE0ELb0EEEvPT_PKS2_PKT0_S8_ifPKiSA_iPKfiiiSC_SC_iiiii.has_recursion, 0
	.set _ZN4vllm25paged_attention_v1_kernelIffLi96ELi32ELi128ELNS_18Fp8KVCacheDataTypeE0ELb0EEEvPT_PKS2_PKT0_S8_ifPKiSA_iPKfiiiSC_SC_iiiii.has_indirect_call, 0
	.section	.AMDGPU.csdata,"",@progbits
; Kernel info:
; codeLenInByte = 5884
; TotalNumSgprs: 42
; NumVgprs: 102
; NumAgprs: 0
; TotalNumVgprs: 102
; ScratchSize: 0
; MemoryBound: 0
; FloatMode: 240
; IeeeMode: 1
; LDSByteSize: 400 bytes/workgroup (compile time only)
; SGPRBlocks: 5
; VGPRBlocks: 12
; NumSGPRsForWavesPerEU: 42
; NumVGPRsForWavesPerEU: 102
; AccumOffset: 104
; Occupancy: 4
; WaveLimiterHint : 1
; COMPUTE_PGM_RSRC2:SCRATCH_EN: 0
; COMPUTE_PGM_RSRC2:USER_SGPR: 2
; COMPUTE_PGM_RSRC2:TRAP_HANDLER: 0
; COMPUTE_PGM_RSRC2:TGID_X_EN: 1
; COMPUTE_PGM_RSRC2:TGID_Y_EN: 1
; COMPUTE_PGM_RSRC2:TGID_Z_EN: 1
; COMPUTE_PGM_RSRC2:TIDIG_COMP_CNT: 0
; COMPUTE_PGM_RSRC3_GFX90A:ACCUM_OFFSET: 25
; COMPUTE_PGM_RSRC3_GFX90A:TG_SPLIT: 0
	.section	.text._ZN4vllm25paged_attention_v1_kernelIffLi112ELi32ELi128ELNS_18Fp8KVCacheDataTypeE0ELb0EEEvPT_PKS2_PKT0_S8_ifPKiSA_iPKfiiiSC_SC_iiiii,"axG",@progbits,_ZN4vllm25paged_attention_v1_kernelIffLi112ELi32ELi128ELNS_18Fp8KVCacheDataTypeE0ELb0EEEvPT_PKS2_PKT0_S8_ifPKiSA_iPKfiiiSC_SC_iiiii,comdat
	.protected	_ZN4vllm25paged_attention_v1_kernelIffLi112ELi32ELi128ELNS_18Fp8KVCacheDataTypeE0ELb0EEEvPT_PKS2_PKT0_S8_ifPKiSA_iPKfiiiSC_SC_iiiii ; -- Begin function _ZN4vllm25paged_attention_v1_kernelIffLi112ELi32ELi128ELNS_18Fp8KVCacheDataTypeE0ELb0EEEvPT_PKS2_PKT0_S8_ifPKiSA_iPKfiiiSC_SC_iiiii
	.globl	_ZN4vllm25paged_attention_v1_kernelIffLi112ELi32ELi128ELNS_18Fp8KVCacheDataTypeE0ELb0EEEvPT_PKS2_PKT0_S8_ifPKiSA_iPKfiiiSC_SC_iiiii
	.p2align	8
	.type	_ZN4vllm25paged_attention_v1_kernelIffLi112ELi32ELi128ELNS_18Fp8KVCacheDataTypeE0ELb0EEEvPT_PKS2_PKT0_S8_ifPKiSA_iPKfiiiSC_SC_iiiii,@function
_ZN4vllm25paged_attention_v1_kernelIffLi112ELi32ELi128ELNS_18Fp8KVCacheDataTypeE0ELb0EEEvPT_PKS2_PKT0_S8_ifPKiSA_iPKfiiiSC_SC_iiiii: ; @_ZN4vllm25paged_attention_v1_kernelIffLi112ELi32ELi128ELNS_18Fp8KVCacheDataTypeE0ELb0EEEvPT_PKS2_PKT0_S8_ifPKiSA_iPKfiiiSC_SC_iiiii
; %bb.0:
	s_load_dword s5, s[0:1], 0x80
	s_load_dwordx2 s[6:7], s[0:1], 0x30
	s_load_dwordx2 s[8:9], s[0:1], 0x20
	s_mov_b32 s10, s3
	s_ashr_i32 s11, s3, 31
	s_lshl_b64 s[12:13], s[10:11], 2
	s_waitcnt lgkmcnt(0)
	s_add_u32 s6, s6, s12
	s_addc_u32 s7, s7, s13
	s_abs_i32 s3, s8
	v_cvt_f32_u32_e32 v1, s3
	s_sub_i32 s12, 0, s3
	s_abs_i32 s11, s5
	s_xor_b32 s8, s5, s8
	v_rcp_iflag_f32_e32 v1, v1
	s_ashr_i32 s8, s8, 31
	v_mul_f32_e32 v1, 0x4f7ffffe, v1
	v_cvt_u32_f32_e32 v1, v1
	s_nop 0
	v_readfirstlane_b32 s13, v1
	s_mul_i32 s12, s12, s13
	s_mul_hi_u32 s12, s13, s12
	s_add_i32 s13, s13, s12
	s_mul_hi_u32 s12, s11, s13
	s_mul_i32 s13, s12, s3
	s_sub_i32 s11, s11, s13
	s_add_i32 s13, s12, 1
	s_sub_i32 s14, s11, s3
	s_cmp_ge_u32 s11, s3
	s_cselect_b32 s12, s13, s12
	s_cselect_b32 s11, s14, s11
	s_add_i32 s13, s12, 1
	s_cmp_ge_u32 s11, s3
	s_cselect_b32 s3, s13, s12
	s_xor_b32 s3, s3, s8
	s_sub_i32 s14, s3, s8
	s_abs_i32 s11, s14
	v_cvt_f32_u32_e32 v1, s11
	s_load_dwordx2 s[12:13], s[0:1], 0x40
	s_sub_i32 s3, 0, s11
	s_abs_i32 s18, s2
	v_rcp_iflag_f32_e32 v1, v1
	s_mov_b32 s8, 0
	v_mul_f32_e32 v1, 0x4f7ffffe, v1
	v_cvt_u32_f32_e32 v1, v1
	s_nop 0
	v_readfirstlane_b32 s15, v1
	s_mul_i32 s3, s3, s15
	s_mul_hi_u32 s3, s15, s3
	s_add_i32 s15, s15, s3
	s_waitcnt lgkmcnt(0)
	s_cmp_eq_u64 s[12:13], 0
	s_mul_hi_u32 s19, s18, s15
	s_cbranch_scc1 .LBB49_2
; %bb.1:
	s_ashr_i32 s3, s2, 31
	s_lshl_b64 s[16:17], s[2:3], 2
	s_add_u32 s12, s12, s16
	s_addc_u32 s13, s13, s17
	s_load_dword s8, s[12:13], 0x0
.LBB49_2:
	s_load_dword s33, s[6:7], 0x0
	s_ashr_i32 s7, s14, 31
	s_load_dwordx4 s[12:15], s[0:1], 0x48
	s_ashr_i32 s6, s2, 31
	v_and_b32_e32 v42, 1, v0
	s_mul_i32 s16, s2, 0x70
	v_cmp_gt_u32_e32 vcc, 56, v0
	v_lshlrev_b32_e32 v2, 3, v0
	v_lshlrev_b32_e32 v76, 2, v0
	s_and_saveexec_b64 s[2:3], vcc
	s_cbranch_execz .LBB49_4
; %bb.3:
	s_load_dwordx2 s[20:21], s[0:1], 0x8
	s_waitcnt lgkmcnt(0)
	s_mul_i32 s22, s12, s10
	s_ashr_i32 s23, s22, 31
	s_lshl_b64 s[22:23], s[22:23], 2
	v_and_b32_e32 v1, 0xff8, v76
	s_add_u32 s12, s20, s22
	s_addc_u32 s15, s21, s23
	s_ashr_i32 s17, s16, 31
	s_lshl_b64 s[20:21], s[16:17], 2
	s_add_u32 s20, s12, s20
	s_addc_u32 s21, s15, s21
	global_load_dwordx2 v[4:5], v2, s[20:21]
	s_movk_i32 s12, 0xe0
	v_mad_u32_u24 v1, v42, s12, v1
	s_waitcnt vmcnt(0)
	ds_write_b64 v1, v[4:5]
.LBB49_4:
	s_or_b64 exec, exec, s[2:3]
	s_waitcnt lgkmcnt(0)
	s_add_i32 s3, s33, 31
	s_ashr_i32 s12, s3, 31
	s_lshr_b32 s12, s12, 27
	s_add_i32 s3, s3, s12
	s_ashr_i32 s12, s3, 5
	s_xor_b32 s3, s6, s7
	s_mul_i32 s6, s19, s11
	s_sub_i32 s6, s18, s6
	s_add_i32 s7, s19, 1
	s_sub_i32 s15, s6, s11
	s_load_dwordx2 s[20:21], s[0:1], 0x28
	s_load_dword s2, s[0:1], 0x38
	s_cmp_ge_u32 s6, s11
	s_cselect_b32 s7, s7, s19
	s_cselect_b32 s6, s15, s6
	s_add_i32 s15, s7, 1
	s_cmp_ge_u32 s6, s11
	s_cselect_b32 s6, s15, s7
	v_lshrrev_b32_e32 v1, 6, v0
	s_xor_b32 s6, s6, s3
	s_waitcnt lgkmcnt(0)
	s_mul_i32 s22, s2, s10
	s_sub_i32 s15, s6, s3
	s_ashr_i32 s23, s22, 31
	v_cmp_gt_i32_e64 s[6:7], s12, v1
	v_cmp_le_i32_e32 vcc, s12, v1
	v_mbcnt_lo_u32_b32 v43, -1, 0
	s_barrier
                                        ; implicit-def: $vgpr72
                                        ; implicit-def: $vgpr73
                                        ; implicit-def: $vgpr74
	s_and_saveexec_b64 s[2:3], vcc
	s_xor_b64 s[2:3], exec, s[2:3]
; %bb.5:
	v_mbcnt_hi_u32_b32 v72, -1, v43
	v_and_b32_e32 v73, 64, v72
	v_add_u32_e32 v74, 64, v73
                                        ; implicit-def: $vgpr2
                                        ; implicit-def: $vgpr42
                                        ; implicit-def: $vgpr43
; %bb.6:
	s_or_saveexec_b64 s[26:27], s[2:3]
	s_load_dwordx2 s[18:19], s[0:1], 0x0
	s_load_dwordx2 s[24:25], s[0:1], 0x18
	s_load_dword s11, s[0:1], 0x88
	v_mov_b32_e32 v75, 0xff7fffff
	s_mul_i32 s14, s15, s14
	v_lshrrev_b32_e32 v78, 4, v0
	s_xor_b64 exec, exec, s[26:27]
	s_cbranch_execz .LBB49_12
; %bb.7:
	s_load_dwordx2 s[0:1], s[0:1], 0x10
	s_ashr_i32 s15, s14, 31
	s_lshl_b64 s[2:3], s[14:15], 2
	v_bfe_u32 v46, v0, 1, 5
	v_lshlrev_b32_e32 v44, 4, v46
	s_waitcnt lgkmcnt(0)
	s_add_u32 s0, s0, s2
	s_addc_u32 s1, s1, s3
	v_mov_b32_e32 v45, 0
	v_lshl_add_u64 v[4:5], s[0:1], 0, v[44:45]
	v_and_b32_e32 v44, 8, v2
	v_mul_u32_u24_e32 v54, 0xe0, v42
	v_lshl_add_u64 v[58:59], v[4:5], 0, v[44:45]
	ds_read_b128 v[2:5], v54
	ds_read_b128 v[6:9], v54 offset:16
	ds_read_b128 v[10:13], v54 offset:32
	;; [unrolled: 1-line block ×9, first 2 shown]
	v_mbcnt_hi_u32_b32 v72, -1, v43
	v_and_b32_e32 v73, 64, v72
	v_xor_b32_e32 v43, 1, v72
	v_add_u32_e32 v74, 64, v73
	s_sub_i32 s15, 1, s33
	s_lshl_b64 s[0:1], s[22:23], 2
	v_lshlrev_b32_e32 v47, 2, v46
	v_cmp_lt_i32_e32 vcc, v43, v74
	s_add_u32 s0, s20, s0
	v_and_b32_e32 v44, 60, v78
	v_cndmask_b32_e32 v43, v72, v43, vcc
	v_cmp_eq_u32_e32 vcc, 0, v42
	v_lshl_or_b32 v42, v1, 7, v47
	s_addc_u32 s1, s21, s1
	v_lshlrev_b32_e32 v77, 2, v43
	v_lshl_or_b32 v79, v1, 5, v46
	v_add_u32_e32 v80, 0x1d0, v42
	v_lshl_add_u64 v[60:61], s[0:1], 0, v[44:45]
	ds_read_b128 v[42:45], v54 offset:160
	ds_read_b128 v[46:49], v54 offset:176
	ds_read_b128 v[50:53], v54 offset:192
	ds_read_b128 v[54:57], v54 offset:208
	s_mov_b32 s17, s13
	v_cmp_neq_f32_e64 s[2:3], s8, 0
	v_mov_b32_e32 v75, 0xff7fffff
	s_mov_b64 s[28:29], 0
	s_movk_i32 s34, 0x1000
	s_movk_i32 s35, 0x2000
	;; [unrolled: 1-line block ×3, first 2 shown]
	v_mov_b32_e32 v81, v1
	s_branch .LBB49_9
.LBB49_8:                               ;   in Loop: Header=BB49_9 Depth=1
	s_or_b64 exec, exec, s[30:31]
	v_add_u32_e32 v81, 2, v81
	v_cmp_le_i32_e64 s[0:1], s12, v81
	v_add_u32_e32 v79, 64, v79
	v_add_u32_e32 v80, 0x100, v80
	s_or_b64 s[28:29], s[0:1], s[28:29]
	v_lshl_add_u64 v[60:61], v[60:61], 0, 8
	s_andn2_b64 exec, exec, s[28:29]
	s_cbranch_execz .LBB49_11
.LBB49_9:                               ; =>This Inner Loop Header: Depth=1
	global_load_dword v62, v[60:61], off
	s_waitcnt vmcnt(0) lgkmcnt(0)
	v_mad_i64_i32 v[62:63], s[0:1], v62, s17, 0
	v_lshl_add_u64 v[70:71], v[62:63], 2, v[58:59]
	global_load_dwordx2 v[82:83], v[70:71], off offset:512
	global_load_dwordx2 v[84:85], v[70:71], off offset:1024
	global_load_dwordx2 v[86:87], v[70:71], off offset:1536
	global_load_dwordx2 v[88:89], v[70:71], off
	global_load_dwordx2 v[90:91], v[70:71], off offset:2048
	global_load_dwordx2 v[62:63], v[70:71], off offset:2560
	;; [unrolled: 1-line block ×4, first 2 shown]
	v_add_co_u32_e64 v64, s[0:1], s35, v70
	s_waitcnt vmcnt(7) lgkmcnt(13)
	v_mul_f32_e32 v102, v4, v82
	v_addc_co_u32_e64 v65, s[0:1], 0, v71, s[0:1]
	global_load_dwordx2 v[92:93], v[64:65], off offset:-4096
	v_add_co_u32_e64 v94, s[0:1], s34, v70
	v_mul_f32_e32 v103, v5, v83
	s_nop 0
	v_addc_co_u32_e64 v95, s[0:1], 0, v71, s[0:1]
	global_load_dwordx2 v[96:97], v[94:95], off offset:512
	global_load_dwordx2 v[98:99], v[94:95], off offset:1024
	;; [unrolled: 1-line block ×4, first 2 shown]
	s_waitcnt vmcnt(9)
	v_fmac_f32_e32 v102, v2, v88
	v_fmac_f32_e32 v103, v3, v89
	s_waitcnt lgkmcnt(12)
	v_fmac_f32_e32 v102, v6, v84
	v_fmac_f32_e32 v103, v7, v85
	global_load_dwordx2 v[84:85], v[94:95], off offset:2560
	v_fmac_f32_e32 v102, v8, v86
	v_fmac_f32_e32 v103, v9, v87
	global_load_dwordx2 v[86:87], v[94:95], off offset:3072
	global_load_dwordx2 v[88:89], v[94:95], off offset:3584
	s_waitcnt vmcnt(11) lgkmcnt(11)
	v_fmac_f32_e32 v102, v10, v90
	v_fmac_f32_e32 v103, v11, v91
	s_waitcnt vmcnt(10)
	v_fmac_f32_e32 v102, v12, v62
	v_fmac_f32_e32 v103, v13, v63
	v_add_co_u32_e64 v70, s[0:1], s36, v70
	s_waitcnt vmcnt(9) lgkmcnt(10)
	v_fmac_f32_e32 v102, v14, v66
	v_fmac_f32_e32 v103, v15, v67
	v_addc_co_u32_e64 v71, s[0:1], 0, v71, s[0:1]
	s_waitcnt vmcnt(8)
	v_fmac_f32_e32 v102, v16, v68
	v_fmac_f32_e32 v103, v17, v69
	global_load_dwordx2 v[90:91], v[70:71], off offset:1536
	s_waitcnt vmcnt(8) lgkmcnt(9)
	v_fmac_f32_e32 v102, v18, v92
	v_fmac_f32_e32 v103, v19, v93
	global_load_dwordx2 v[62:63], v[64:65], off
	global_load_dwordx2 v[66:67], v[64:65], off offset:512
	global_load_dwordx2 v[68:69], v[64:65], off offset:1024
	;; [unrolled: 1-line block ×4, first 2 shown]
	s_waitcnt vmcnt(12)
	v_fmac_f32_e32 v102, v20, v96
	v_fmac_f32_e32 v103, v21, v97
	s_waitcnt vmcnt(11) lgkmcnt(8)
	v_fmac_f32_e32 v102, v22, v98
	v_fmac_f32_e32 v103, v23, v99
	s_waitcnt vmcnt(10)
	v_fmac_f32_e32 v102, v24, v100
	v_fmac_f32_e32 v103, v25, v101
	global_load_dwordx2 v[96:97], v[64:65], off offset:2560
	global_load_dwordx2 v[98:99], v[64:65], off offset:3072
	s_nop 0
	global_load_dwordx2 v[64:65], v[64:65], off offset:3584
	s_waitcnt vmcnt(12) lgkmcnt(7)
	v_fmac_f32_e32 v102, v26, v82
	v_fmac_f32_e32 v103, v27, v83
	global_load_dwordx2 v[82:83], v[70:71], off
	s_waitcnt vmcnt(12)
	v_fmac_f32_e32 v102, v28, v84
	v_fmac_f32_e32 v103, v29, v85
	global_load_dwordx2 v[84:85], v[70:71], off offset:512
	s_nop 0
	global_load_dwordx2 v[70:71], v[70:71], off offset:1024
	s_waitcnt vmcnt(13) lgkmcnt(6)
	v_fmac_f32_e32 v102, v30, v86
	v_fmac_f32_e32 v103, v31, v87
	s_waitcnt vmcnt(12)
	v_fmac_f32_e32 v102, v32, v88
	v_fmac_f32_e32 v103, v33, v89
	s_waitcnt vmcnt(10) lgkmcnt(5)
	v_fmac_f32_e32 v102, v34, v62
	v_fmac_f32_e32 v103, v35, v63
	s_waitcnt vmcnt(9)
	v_fmac_f32_e32 v102, v36, v66
	v_fmac_f32_e32 v103, v37, v67
	;; [unrolled: 6-line block ×6, first 2 shown]
	s_waitcnt vmcnt(0) lgkmcnt(0)
	v_fmac_f32_e32 v102, v54, v70
	v_fmac_f32_e32 v103, v55, v71
	;; [unrolled: 1-line block ×4, first 2 shown]
	v_add_f32_e32 v62, v102, v103
	ds_bpermute_b32 v63, v77, v62
	s_and_saveexec_b64 s[30:31], vcc
	s_cbranch_execz .LBB49_8
; %bb.10:                               ;   in Loop: Header=BB49_9 Depth=1
	v_add_u32_e32 v64, s15, v79
	v_cvt_f32_i32_e32 v64, v64
	s_waitcnt lgkmcnt(0)
	v_add_f32_e32 v62, v62, v63
	v_cmp_gt_i32_e64 s[0:1], s33, v79
	v_max_f32_e32 v63, v75, v75
	v_mul_f32_e32 v64, s8, v64
	v_cndmask_b32_e64 v64, 0, v64, s[2:3]
	v_fmac_f32_e32 v64, s9, v62
	v_cndmask_b32_e64 v62, 0, v64, s[0:1]
	ds_write_b32 v80, v62
	v_max_f32_e32 v62, v63, v64
	v_cndmask_b32_e64 v75, v75, v62, s[0:1]
	s_branch .LBB49_8
.LBB49_11:
	s_or_b64 exec, exec, s[28:29]
.LBB49_12:
	s_or_b64 exec, exec, s[26:27]
	v_xor_b32_e32 v2, 32, v72
	v_cmp_lt_i32_e32 vcc, v2, v74
	v_xor_b32_e32 v5, 16, v72
	v_max_f32_e32 v4, v75, v75
	v_cndmask_b32_e32 v2, v72, v2, vcc
	v_lshlrev_b32_e32 v2, 2, v2
	ds_bpermute_b32 v3, v2, v75
	v_cmp_lt_i32_e32 vcc, v5, v74
	v_xor_b32_e32 v6, 8, v72
	v_xor_b32_e32 v7, 4, v72
	v_and_b32_e32 v80, 63, v0
	s_waitcnt lgkmcnt(0)
	v_max_f32_e32 v3, v3, v3
	v_max_f32_e32 v4, v4, v3
	v_cndmask_b32_e32 v3, v72, v5, vcc
	v_lshlrev_b32_e32 v3, 2, v3
	ds_bpermute_b32 v5, v3, v4
	v_cmp_lt_i32_e32 vcc, v6, v74
	s_waitcnt lgkmcnt(0)
	v_max_f32_e32 v5, v5, v5
	v_max_f32_e32 v5, v4, v5
	v_cndmask_b32_e32 v4, v72, v6, vcc
	v_lshlrev_b32_e32 v4, 2, v4
	ds_bpermute_b32 v6, v4, v5
	v_cmp_lt_i32_e32 vcc, v7, v74
	s_waitcnt lgkmcnt(0)
	v_max_f32_e32 v6, v6, v6
	v_max_f32_e32 v5, v5, v6
	v_cndmask_b32_e32 v6, v72, v7, vcc
	v_lshlrev_b32_e32 v81, 2, v6
	ds_bpermute_b32 v6, v81, v5
	v_xor_b32_e32 v7, 2, v72
	v_cmp_lt_i32_e32 vcc, v7, v74
	s_waitcnt lgkmcnt(0)
	v_max_f32_e32 v6, v6, v6
	v_max_f32_e32 v6, v5, v6
	v_cndmask_b32_e32 v5, v72, v7, vcc
	v_lshlrev_b32_e32 v82, 2, v5
	ds_bpermute_b32 v7, v82, v6
	v_cmp_eq_u32_e32 vcc, 0, v80
	v_lshlrev_b32_e32 v5, 2, v1
	s_and_saveexec_b64 s[0:1], vcc
	s_cbranch_execz .LBB49_14
; %bb.13:
	s_waitcnt lgkmcnt(0)
	v_max_f32_e32 v7, v7, v7
	v_max_f32_e32 v6, v6, v6
	;; [unrolled: 1-line block ×3, first 2 shown]
	ds_write_b32 v5, v6 offset:448
.LBB49_14:
	s_or_b64 exec, exec, s[0:1]
	v_cmp_gt_u32_e64 s[0:1], 2, v80
	s_waitcnt lgkmcnt(0)
	v_mov_b32_e32 v7, 0xff7fffff
	v_lshlrev_b32_e32 v6, 2, v80
	s_barrier
	s_and_saveexec_b64 s[2:3], s[0:1]
; %bb.15:
	ds_read_b32 v7, v6 offset:448
; %bb.16:
	s_or_b64 exec, exec, s[2:3]
	v_xor_b32_e32 v8, 1, v72
	v_cmp_lt_i32_e64 s[2:3], v8, v74
	s_nop 1
	v_cndmask_b32_e64 v8, v72, v8, s[2:3]
	v_lshlrev_b32_e32 v83, 2, v8
	s_waitcnt lgkmcnt(0)
	ds_bpermute_b32 v8, v83, v7
	v_max_f32_e32 v7, v7, v7
	s_lshl_b32 s2, s12, 5
	s_min_i32 s15, s2, s33
	v_cmp_gt_i32_e64 s[2:3], s15, v0
	s_waitcnt lgkmcnt(0)
	v_max_f32_e32 v8, v8, v8
	v_max_f32_e32 v7, v7, v8
	v_lshlrev_b32_e32 v8, 2, v73
	ds_bpermute_b32 v8, v8, v7
	v_mov_b32_e32 v7, 0
	s_and_saveexec_b64 s[26:27], s[2:3]
	s_cbranch_execz .LBB49_20
; %bb.17:
	v_mov_b32_e32 v7, 0x1d0
	v_lshl_add_u32 v9, v0, 2, v7
	v_mov_b32_e32 v7, 0
	s_mov_b64 s[28:29], 0
	v_mov_b32_e32 v10, v0
.LBB49_18:                              ; =>This Inner Loop Header: Depth=1
	ds_read_b32 v11, v9
	v_add_u32_e32 v10, 0x80, v10
	v_cmp_le_i32_e64 s[8:9], s15, v10
	s_or_b64 s[28:29], s[8:9], s[28:29]
	s_waitcnt lgkmcnt(0)
	v_sub_f32_e32 v11, v11, v8
	v_mul_f32_e32 v11, 0x3fb8aa3b, v11
	v_exp_f32_e32 v11, v11
	ds_write_b32 v9, v11
	v_add_f32_e32 v7, v7, v11
	v_add_u32_e32 v9, 0x200, v9
	s_andn2_b64 exec, exec, s[28:29]
	s_cbranch_execnz .LBB49_18
; %bb.19:
	s_or_b64 exec, exec, s[28:29]
.LBB49_20:
	s_or_b64 exec, exec, s[26:27]
	ds_bpermute_b32 v2, v2, v7
	s_waitcnt lgkmcnt(0)
	v_add_f32_e32 v2, v7, v2
	ds_bpermute_b32 v3, v3, v2
	s_waitcnt lgkmcnt(0)
	v_add_f32_e32 v2, v2, v3
	;; [unrolled: 3-line block ×6, first 2 shown]
	s_and_saveexec_b64 s[8:9], vcc
; %bb.21:
	ds_write_b32 v5, v2 offset:456
; %bb.22:
	s_or_b64 exec, exec, s[8:9]
	s_waitcnt lgkmcnt(0)
	s_barrier
	s_and_saveexec_b64 s[8:9], s[0:1]
; %bb.23:
	ds_read_b32 v2, v6 offset:456
; %bb.24:
	s_or_b64 exec, exec, s[8:9]
	s_waitcnt lgkmcnt(0)
	ds_bpermute_b32 v3, v83, v2
	v_lshlrev_b32_e32 v4, 2, v72
	s_waitcnt lgkmcnt(0)
	v_add_f32_e32 v2, v2, v3
	v_and_b32_e32 v3, 0xffffff00, v4
	ds_bpermute_b32 v2, v3, v2
	s_and_saveexec_b64 s[0:1], s[2:3]
	s_cbranch_execz .LBB49_37
; %bb.25:
	s_waitcnt lgkmcnt(0)
	v_add_f32_e32 v2, 0x358637bd, v2
	v_div_scale_f32 v3, s[2:3], v2, v2, 1.0
	v_rcp_f32_e32 v4, v3
	v_div_scale_f32 v5, vcc, 1.0, v2, 1.0
	s_movk_i32 s2, 0x7f
	v_fma_f32 v6, -v3, v4, 1.0
	v_fmac_f32_e32 v4, v6, v4
	v_mul_f32_e32 v6, v5, v4
	v_fma_f32 v7, -v3, v6, v5
	v_fmac_f32_e32 v6, v7, v4
	v_fma_f32 v3, -v3, v6, v5
	v_div_fmas_f32 v3, v3, v4, v6
	v_xad_u32 v4, v0, -1, s15
	v_div_fixup_f32 v2, v3, v2, 1.0
	v_cmp_lt_u32_e32 vcc, s2, v4
	s_mov_b64 s[8:9], -1
	v_mov_b32_e32 v3, v0
	s_and_saveexec_b64 s[2:3], vcc
	s_cbranch_execz .LBB49_34
; %bb.26:
	v_lshrrev_b32_e32 v4, 7, v4
	v_add_u32_e32 v6, -1, v4
	v_lshrrev_b32_e32 v5, 1, v6
	v_mov_b32_e32 v3, v2
	v_add_u32_e32 v5, 1, v5
	v_cmp_lt_u32_e32 vcc, 13, v6
	v_mov_b32_e32 v8, 0
	s_and_saveexec_b64 s[8:9], vcc
	s_cbranch_execz .LBB49_30
; %bb.27:
	v_mov_b32_e32 v7, 0x1d0
	v_and_b32_e32 v6, -8, v5
	v_lshl_add_u32 v7, v0, 2, v7
	s_mov_b32 s17, 0
	s_mov_b64 s[26:27], 0
.LBB49_28:                              ; =>This Inner Loop Header: Depth=1
	ds_read2st64_b32 v[8:9], v7 offset1:2
	ds_read2st64_b32 v[10:11], v7 offset0:4 offset1:6
	ds_read2st64_b32 v[12:13], v7 offset0:8 offset1:10
	;; [unrolled: 1-line block ×3, first 2 shown]
	v_add_u32_e32 v6, -8, v6
	s_waitcnt lgkmcnt(3)
	v_pk_mul_f32 v[8:9], v[2:3], v[8:9]
	s_waitcnt lgkmcnt(2)
	v_pk_mul_f32 v[10:11], v[2:3], v[10:11]
	ds_write2st64_b32 v7, v8, v9 offset1:2
	ds_write2st64_b32 v7, v10, v11 offset0:4 offset1:6
	ds_read2st64_b32 v[10:11], v7 offset0:16 offset1:18
	s_waitcnt lgkmcnt(4)
	v_pk_mul_f32 v[8:9], v[2:3], v[12:13]
	ds_write2st64_b32 v7, v8, v9 offset0:8 offset1:10
	s_waitcnt lgkmcnt(4)
	v_pk_mul_f32 v[8:9], v[2:3], v[14:15]
	ds_write2st64_b32 v7, v8, v9 offset0:12 offset1:14
	ds_read2st64_b32 v[8:9], v7 offset0:20 offset1:22
	s_waitcnt lgkmcnt(3)
	v_pk_mul_f32 v[10:11], v[2:3], v[10:11]
	ds_read2st64_b32 v[12:13], v7 offset0:24 offset1:26
	ds_write2st64_b32 v7, v10, v11 offset0:16 offset1:18
	ds_read2st64_b32 v[10:11], v7 offset0:28 offset1:30
	s_waitcnt lgkmcnt(3)
	v_pk_mul_f32 v[8:9], v[2:3], v[8:9]
	ds_write2st64_b32 v7, v8, v9 offset0:20 offset1:22
	s_waitcnt lgkmcnt(3)
	v_pk_mul_f32 v[8:9], v[2:3], v[12:13]
	ds_write2st64_b32 v7, v8, v9 offset0:24 offset1:26
	s_waitcnt lgkmcnt(2)
	v_pk_mul_f32 v[8:9], v[2:3], v[10:11]
	s_add_i32 s17, s17, 16
	v_cmp_eq_u32_e32 vcc, 0, v6
	ds_write2st64_b32 v7, v8, v9 offset0:28 offset1:30
	v_add_u32_e32 v7, 0x2000, v7
	s_or_b64 s[26:27], vcc, s[26:27]
	v_mov_b32_e32 v8, s17
	s_andn2_b64 exec, exec, s[26:27]
	s_cbranch_execnz .LBB49_28
; %bb.29:
	s_or_b64 exec, exec, s[26:27]
.LBB49_30:
	s_or_b64 exec, exec, s[8:9]
	v_and_b32_e32 v5, 7, v5
	v_cmp_ne_u32_e32 vcc, 0, v5
	s_and_saveexec_b64 s[8:9], vcc
	s_cbranch_execz .LBB49_33
; %bb.31:
	v_lshlrev_b32_e32 v6, 9, v8
	s_movk_i32 s17, 0x1d0
	v_add3_u32 v6, v6, v76, s17
	s_mov_b64 s[26:27], 0
.LBB49_32:                              ; =>This Inner Loop Header: Depth=1
	ds_read2st64_b32 v[8:9], v6 offset1:2
	v_add_u32_e32 v5, -1, v5
	v_cmp_eq_u32_e32 vcc, 0, v5
	s_or_b64 s[26:27], vcc, s[26:27]
	s_waitcnt lgkmcnt(0)
	v_pk_mul_f32 v[8:9], v[2:3], v[8:9]
	ds_write2st64_b32 v6, v8, v9 offset1:2
	v_add_u32_e32 v6, 0x400, v6
	s_andn2_b64 exec, exec, s[26:27]
	s_cbranch_execnz .LBB49_32
.LBB49_33:
	s_or_b64 exec, exec, s[8:9]
	v_add_u32_e32 v4, 1, v4
	v_and_b32_e32 v5, 0x3fffffe, v4
	v_cmp_ne_u32_e32 vcc, v4, v5
	v_lshl_add_u32 v3, v5, 7, v0
	s_orn2_b64 s[8:9], vcc, exec
.LBB49_34:
	s_or_b64 exec, exec, s[2:3]
	s_and_b64 exec, exec, s[8:9]
	s_cbranch_execz .LBB49_37
; %bb.35:
	v_mov_b32_e32 v4, 0x1d0
	v_lshl_add_u32 v4, v3, 2, v4
	s_mov_b64 s[2:3], 0
.LBB49_36:                              ; =>This Inner Loop Header: Depth=1
	ds_read_b32 v5, v4
	v_add_u32_e32 v3, 0x80, v3
	v_cmp_le_i32_e32 vcc, s15, v3
	s_or_b64 s[2:3], vcc, s[2:3]
	s_waitcnt lgkmcnt(0)
	v_mul_f32_e32 v5, v2, v5
	ds_write_b32 v4, v5
	v_add_u32_e32 v4, 0x200, v4
	s_andn2_b64 exec, exec, s[2:3]
	s_cbranch_execnz .LBB49_36
.LBB49_37:
	s_or_b64 exec, exec, s[0:1]
	v_mov_b32_e32 v63, 0
	v_and_b32_e32 v84, 7, v0
	v_mov_b32_e32 v62, 0
	v_mov_b32_e32 v65, 0
	;; [unrolled: 1-line block ×13, first 2 shown]
	s_waitcnt lgkmcnt(0)
	s_barrier
	s_and_saveexec_b64 s[2:3], s[6:7]
	s_cbranch_execz .LBB49_69
; %bb.38:
	s_ashr_i32 s15, s14, 31
	s_lshl_b64 s[0:1], s[14:15], 2
	s_add_u32 s0, s24, s0
	v_lshlrev_b32_e32 v3, 4, v0
	s_addc_u32 s1, s25, s1
	v_and_b32_e32 v62, 0x3f0, v3
	v_mov_b32_e32 v63, 0
	v_and_b32_e32 v2, 28, v76
	s_add_i32 s14, s12, -1
	v_lshl_add_u64 v[76:77], s[0:1], 0, v[62:63]
	s_lshl_b64 s[0:1], s[22:23], 2
	v_lshl_or_b32 v85, v1, 5, v2
	v_lshlrev_b32_e32 v2, 4, v84
	s_add_u32 s0, s20, s0
	v_lshl_or_b32 v2, v1, 7, v2
	v_and_b32_e32 v62, 60, v78
	s_addc_u32 s1, s21, s1
	s_mov_b32 s15, s33
	v_add_u32_e32 v86, 0x1d0, v2
	v_lshl_add_u64 v[78:79], s[0:1], 0, v[62:63]
	s_mov_b64 s[6:7], 0
	v_mov_b32_e32 v62, v63
	v_mov_b32_e32 v65, v63
	;; [unrolled: 1-line block ×13, first 2 shown]
	s_branch .LBB49_40
.LBB49_39:                              ;   in Loop: Header=BB49_40 Depth=1
	s_or_b64 exec, exec, s[8:9]
	s_waitcnt vmcnt(1) lgkmcnt(0)
	v_mul_f32_e32 v58, v2, v58
	v_mul_f32_e32 v54, v2, v54
	;; [unrolled: 1-line block ×13, first 2 shown]
	v_fmac_f32_e32 v58, v3, v59
	v_fmac_f32_e32 v54, v3, v55
	;; [unrolled: 1-line block ×26, first 2 shown]
	s_waitcnt vmcnt(0)
	v_pk_mul_f32 v[2:3], v[2:3], v[50:51]
	v_fmac_f32_e32 v58, v5, v61
	v_fmac_f32_e32 v54, v5, v57
	;; [unrolled: 1-line block ×13, first 2 shown]
	v_pk_mul_f32 v[4:5], v[4:5], v[52:53]
	v_add_f32_e32 v2, v3, v2
	v_add_f32_e32 v2, v4, v2
	v_add_u32_e32 v1, 2, v1
	v_add_f32_e32 v2, v5, v2
	v_cmp_le_i32_e32 vcc, s12, v1
	v_add_f32_e32 v62, v62, v58
	v_add_f32_e32 v65, v65, v54
	;; [unrolled: 1-line block ×14, first 2 shown]
	v_add_u32_e32 v85, 64, v85
	v_add_u32_e32 v86, 0x100, v86
	s_or_b64 s[6:7], vcc, s[6:7]
	v_lshl_add_u64 v[78:79], v[78:79], 0, 8
	s_andn2_b64 exec, exec, s[6:7]
	s_cbranch_execz .LBB49_68
.LBB49_40:                              ; =>This Inner Loop Header: Depth=1
	global_load_dword v2, v[78:79], off
	v_add_u32_e32 v89, 1, v85
	v_or_b32_e32 v88, 3, v85
	v_or_b32_e32 v87, 2, v85
	s_waitcnt vmcnt(0)
	v_mad_i64_i32 v[2:3], s[0:1], v2, s13, 0
	v_lshl_add_u64 v[50:51], v[2:3], 2, v[76:77]
	global_load_dwordx4 v[6:9], v[50:51], off
	ds_read_b128 v[2:5], v86
	v_cmp_eq_u32_e64 s[0:1], s14, v1
	s_and_saveexec_b64 s[8:9], s[0:1]
	s_cbranch_execnz .LBB49_65
; %bb.41:                               ;   in Loop: Header=BB49_40 Depth=1
	s_or_b64 exec, exec, s[8:9]
	global_load_dwordx4 v[10:13], v[50:51], off offset:1024
	s_and_saveexec_b64 s[8:9], s[0:1]
	s_cbranch_execnz .LBB49_66
.LBB49_42:                              ;   in Loop: Header=BB49_40 Depth=1
	s_or_b64 exec, exec, s[8:9]
	global_load_dwordx4 v[14:17], v[50:51], off offset:2048
	s_and_saveexec_b64 s[8:9], s[0:1]
	s_cbranch_execnz .LBB49_67
.LBB49_43:                              ;   in Loop: Header=BB49_40 Depth=1
	s_or_b64 exec, exec, s[8:9]
	global_load_dwordx4 v[18:21], v[50:51], off offset:3072
	s_and_saveexec_b64 s[8:9], s[0:1]
	s_cbranch_execz .LBB49_45
.LBB49_44:                              ;   in Loop: Header=BB49_40 Depth=1
	v_cmp_gt_i32_e32 vcc, s15, v89
	s_waitcnt vmcnt(0)
	s_nop 0
	v_cndmask_b32_e32 v19, 0, v19, vcc
	v_cmp_gt_i32_e32 vcc, s33, v85
	s_nop 1
	v_cndmask_b32_e32 v18, 0, v18, vcc
	v_cmp_gt_i32_e32 vcc, s15, v88
	;; [unrolled: 3-line block ×3, first 2 shown]
	s_nop 1
	v_cndmask_b32_e32 v20, 0, v20, vcc
.LBB49_45:                              ;   in Loop: Header=BB49_40 Depth=1
	s_or_b64 exec, exec, s[8:9]
	v_add_co_u32_e32 v22, vcc, 0x1000, v50
	s_nop 1
	v_addc_co_u32_e32 v23, vcc, 0, v51, vcc
	global_load_dwordx4 v[22:25], v[22:23], off
	s_and_saveexec_b64 s[8:9], s[0:1]
	s_cbranch_execz .LBB49_47
; %bb.46:                               ;   in Loop: Header=BB49_40 Depth=1
	v_cmp_gt_i32_e32 vcc, s15, v89
	s_waitcnt vmcnt(0)
	s_nop 0
	v_cndmask_b32_e32 v23, 0, v23, vcc
	v_cmp_gt_i32_e32 vcc, s33, v85
	s_nop 1
	v_cndmask_b32_e32 v22, 0, v22, vcc
	v_cmp_gt_i32_e32 vcc, s15, v88
	s_nop 1
	v_cndmask_b32_e32 v25, 0, v25, vcc
	v_cmp_gt_i32_e32 vcc, s33, v87
	s_nop 1
	v_cndmask_b32_e32 v24, 0, v24, vcc
.LBB49_47:                              ;   in Loop: Header=BB49_40 Depth=1
	s_or_b64 exec, exec, s[8:9]
	v_add_co_u32_e32 v26, vcc, 0x1000, v50
	s_nop 1
	v_addc_co_u32_e32 v27, vcc, 0, v51, vcc
	global_load_dwordx4 v[26:29], v[26:27], off offset:1024
	s_and_saveexec_b64 s[8:9], s[0:1]
	s_cbranch_execz .LBB49_49
; %bb.48:                               ;   in Loop: Header=BB49_40 Depth=1
	v_cmp_gt_i32_e32 vcc, s15, v89
	s_waitcnt vmcnt(0)
	s_nop 0
	v_cndmask_b32_e32 v27, 0, v27, vcc
	v_cmp_gt_i32_e32 vcc, s33, v85
	s_nop 1
	v_cndmask_b32_e32 v26, 0, v26, vcc
	v_cmp_gt_i32_e32 vcc, s15, v88
	s_nop 1
	v_cndmask_b32_e32 v29, 0, v29, vcc
	v_cmp_gt_i32_e32 vcc, s33, v87
	s_nop 1
	v_cndmask_b32_e32 v28, 0, v28, vcc
.LBB49_49:                              ;   in Loop: Header=BB49_40 Depth=1
	s_or_b64 exec, exec, s[8:9]
	v_add_co_u32_e32 v30, vcc, 0x1000, v50
	s_nop 1
	v_addc_co_u32_e32 v31, vcc, 0, v51, vcc
	global_load_dwordx4 v[30:33], v[30:31], off offset:2048
	;; [unrolled: 22-line block ×3, first 2 shown]
	s_and_saveexec_b64 s[8:9], s[0:1]
	s_cbranch_execz .LBB49_53
; %bb.52:                               ;   in Loop: Header=BB49_40 Depth=1
	v_cmp_gt_i32_e32 vcc, s15, v89
	s_waitcnt vmcnt(0)
	s_nop 0
	v_cndmask_b32_e32 v35, 0, v35, vcc
	v_cmp_gt_i32_e32 vcc, s33, v85
	s_nop 1
	v_cndmask_b32_e32 v34, 0, v34, vcc
	v_cmp_gt_i32_e32 vcc, s15, v88
	;; [unrolled: 3-line block ×3, first 2 shown]
	s_nop 1
	v_cndmask_b32_e32 v36, 0, v36, vcc
.LBB49_53:                              ;   in Loop: Header=BB49_40 Depth=1
	s_or_b64 exec, exec, s[8:9]
	v_add_co_u32_e32 v38, vcc, 0x2000, v50
	s_nop 1
	v_addc_co_u32_e32 v39, vcc, 0, v51, vcc
	global_load_dwordx4 v[38:41], v[38:39], off
	s_and_saveexec_b64 s[8:9], s[0:1]
	s_cbranch_execz .LBB49_55
; %bb.54:                               ;   in Loop: Header=BB49_40 Depth=1
	v_cmp_gt_i32_e32 vcc, s15, v89
	s_waitcnt vmcnt(0)
	s_nop 0
	v_cndmask_b32_e32 v39, 0, v39, vcc
	v_cmp_gt_i32_e32 vcc, s33, v85
	s_nop 1
	v_cndmask_b32_e32 v38, 0, v38, vcc
	v_cmp_gt_i32_e32 vcc, s15, v88
	s_nop 1
	v_cndmask_b32_e32 v41, 0, v41, vcc
	v_cmp_gt_i32_e32 vcc, s33, v87
	s_nop 1
	v_cndmask_b32_e32 v40, 0, v40, vcc
.LBB49_55:                              ;   in Loop: Header=BB49_40 Depth=1
	s_or_b64 exec, exec, s[8:9]
	v_add_co_u32_e32 v42, vcc, 0x2000, v50
	s_nop 1
	v_addc_co_u32_e32 v43, vcc, 0, v51, vcc
	global_load_dwordx4 v[42:45], v[42:43], off offset:1024
	s_and_saveexec_b64 s[8:9], s[0:1]
	s_cbranch_execz .LBB49_57
; %bb.56:                               ;   in Loop: Header=BB49_40 Depth=1
	v_cmp_gt_i32_e32 vcc, s15, v89
	s_waitcnt vmcnt(0)
	s_nop 0
	v_cndmask_b32_e32 v43, 0, v43, vcc
	v_cmp_gt_i32_e32 vcc, s33, v85
	s_nop 1
	v_cndmask_b32_e32 v42, 0, v42, vcc
	v_cmp_gt_i32_e32 vcc, s15, v88
	s_nop 1
	v_cndmask_b32_e32 v45, 0, v45, vcc
	v_cmp_gt_i32_e32 vcc, s33, v87
	s_nop 1
	v_cndmask_b32_e32 v44, 0, v44, vcc
.LBB49_57:                              ;   in Loop: Header=BB49_40 Depth=1
	s_or_b64 exec, exec, s[8:9]
	v_add_co_u32_e32 v46, vcc, 0x2000, v50
	s_nop 1
	v_addc_co_u32_e32 v47, vcc, 0, v51, vcc
	global_load_dwordx4 v[46:49], v[46:47], off offset:2048
	;; [unrolled: 22-line block ×3, first 2 shown]
	s_and_saveexec_b64 s[8:9], s[0:1]
	s_cbranch_execz .LBB49_61
; %bb.60:                               ;   in Loop: Header=BB49_40 Depth=1
	v_cmp_gt_i32_e32 vcc, s15, v89
	s_waitcnt vmcnt(0)
	s_nop 0
	v_cndmask_b32_e32 v55, 0, v55, vcc
	v_cmp_gt_i32_e32 vcc, s33, v85
	s_nop 1
	v_cndmask_b32_e32 v54, 0, v54, vcc
	v_cmp_gt_i32_e32 vcc, s15, v88
	;; [unrolled: 3-line block ×3, first 2 shown]
	s_nop 1
	v_cndmask_b32_e32 v56, 0, v56, vcc
.LBB49_61:                              ;   in Loop: Header=BB49_40 Depth=1
	s_or_b64 exec, exec, s[8:9]
	v_add_co_u32_e32 v52, vcc, 0x3000, v50
	s_nop 1
	v_addc_co_u32_e32 v53, vcc, 0, v51, vcc
	global_load_dwordx4 v[58:61], v[52:53], off
	s_and_saveexec_b64 s[8:9], s[0:1]
	s_cbranch_execz .LBB49_63
; %bb.62:                               ;   in Loop: Header=BB49_40 Depth=1
	v_cmp_gt_i32_e32 vcc, s15, v89
	s_waitcnt vmcnt(0)
	s_nop 0
	v_cndmask_b32_e32 v59, 0, v59, vcc
	v_cmp_gt_i32_e32 vcc, s33, v85
	s_nop 1
	v_cndmask_b32_e32 v58, 0, v58, vcc
	v_cmp_gt_i32_e32 vcc, s15, v88
	;; [unrolled: 3-line block ×3, first 2 shown]
	s_nop 1
	v_cndmask_b32_e32 v60, 0, v60, vcc
.LBB49_63:                              ;   in Loop: Header=BB49_40 Depth=1
	s_or_b64 exec, exec, s[8:9]
	v_add_co_u32_e32 v50, vcc, 0x3000, v50
	s_nop 1
	v_addc_co_u32_e32 v51, vcc, 0, v51, vcc
	global_load_dwordx4 v[50:53], v[50:51], off offset:1024
	s_and_saveexec_b64 s[8:9], s[0:1]
	s_cbranch_execz .LBB49_39
; %bb.64:                               ;   in Loop: Header=BB49_40 Depth=1
	v_cmp_gt_i32_e32 vcc, s15, v89
	s_waitcnt vmcnt(0)
	s_nop 0
	v_cndmask_b32_e32 v51, 0, v51, vcc
	v_cmp_gt_i32_e32 vcc, s33, v85
	s_nop 1
	v_cndmask_b32_e32 v50, 0, v50, vcc
	v_cmp_gt_i32_e32 vcc, s15, v88
	s_nop 1
	v_cndmask_b32_e32 v53, 0, v53, vcc
	v_cmp_gt_i32_e32 vcc, s33, v87
	s_nop 1
	v_cndmask_b32_e32 v52, 0, v52, vcc
	s_branch .LBB49_39
.LBB49_65:                              ;   in Loop: Header=BB49_40 Depth=1
	v_cmp_gt_i32_e32 vcc, s15, v89
	s_waitcnt vmcnt(0)
	s_nop 0
	v_cndmask_b32_e32 v7, 0, v7, vcc
	v_cmp_gt_i32_e32 vcc, s33, v85
	s_nop 1
	v_cndmask_b32_e32 v6, 0, v6, vcc
	v_cmp_gt_i32_e32 vcc, s15, v88
	;; [unrolled: 3-line block ×3, first 2 shown]
	s_nop 1
	v_cndmask_b32_e32 v8, 0, v8, vcc
	s_or_b64 exec, exec, s[8:9]
	global_load_dwordx4 v[10:13], v[50:51], off offset:1024
	s_and_saveexec_b64 s[8:9], s[0:1]
	s_cbranch_execz .LBB49_42
.LBB49_66:                              ;   in Loop: Header=BB49_40 Depth=1
	v_cmp_gt_i32_e32 vcc, s15, v89
	s_waitcnt vmcnt(0)
	s_nop 0
	v_cndmask_b32_e32 v11, 0, v11, vcc
	v_cmp_gt_i32_e32 vcc, s33, v85
	s_nop 1
	v_cndmask_b32_e32 v10, 0, v10, vcc
	v_cmp_gt_i32_e32 vcc, s15, v88
	;; [unrolled: 3-line block ×3, first 2 shown]
	s_nop 1
	v_cndmask_b32_e32 v12, 0, v12, vcc
	s_or_b64 exec, exec, s[8:9]
	global_load_dwordx4 v[14:17], v[50:51], off offset:2048
	s_and_saveexec_b64 s[8:9], s[0:1]
	s_cbranch_execz .LBB49_43
.LBB49_67:                              ;   in Loop: Header=BB49_40 Depth=1
	v_cmp_gt_i32_e32 vcc, s15, v89
	s_waitcnt vmcnt(0)
	s_nop 0
	v_cndmask_b32_e32 v15, 0, v15, vcc
	v_cmp_gt_i32_e32 vcc, s33, v85
	s_nop 1
	v_cndmask_b32_e32 v14, 0, v14, vcc
	v_cmp_gt_i32_e32 vcc, s15, v88
	;; [unrolled: 3-line block ×3, first 2 shown]
	s_nop 1
	v_cndmask_b32_e32 v16, 0, v16, vcc
	s_or_b64 exec, exec, s[8:9]
	global_load_dwordx4 v[18:21], v[50:51], off offset:3072
	s_and_saveexec_b64 s[8:9], s[0:1]
	s_cbranch_execnz .LBB49_44
	s_branch .LBB49_45
.LBB49_68:
	s_or_b64 exec, exec, s[6:7]
.LBB49_69:
	s_or_b64 exec, exec, s[2:3]
	ds_bpermute_b32 v2, v81, v74
	ds_bpermute_b32 v3, v81, v75
	;; [unrolled: 1-line block ×6, first 2 shown]
	s_waitcnt lgkmcnt(4)
	v_pk_add_f32 v[2:3], v[74:75], v[2:3]
	ds_bpermute_b32 v6, v82, v2
	s_waitcnt lgkmcnt(3)
	v_pk_add_f32 v[4:5], v[72:73], v[4:5]
	ds_bpermute_b32 v7, v82, v3
	ds_bpermute_b32 v10, v82, v4
	;; [unrolled: 1-line block ×3, first 2 shown]
	s_waitcnt lgkmcnt(4)
	v_pk_add_f32 v[8:9], v[70:71], v[8:9]
	ds_bpermute_b32 v14, v82, v8
	s_waitcnt lgkmcnt(3)
	v_pk_add_f32 v[2:3], v[2:3], v[6:7]
	ds_bpermute_b32 v6, v83, v2
	;; [unrolled: 3-line block ×3, first 2 shown]
	ds_bpermute_b32 v12, v83, v10
	ds_bpermute_b32 v13, v83, v11
	;; [unrolled: 1-line block ×4, first 2 shown]
	s_waitcnt lgkmcnt(4)
	v_pk_add_f32 v[4:5], v[2:3], v[6:7]
	ds_bpermute_b32 v19, v81, v65
	s_waitcnt lgkmcnt(3)
	v_pk_add_f32 v[2:3], v[10:11], v[12:13]
	ds_bpermute_b32 v12, v81, v66
	ds_bpermute_b32 v13, v81, v67
	s_waitcnt lgkmcnt(4)
	v_pk_add_f32 v[6:7], v[8:9], v[14:15]
	ds_bpermute_b32 v8, v81, v68
	ds_bpermute_b32 v9, v81, v69
	;; [unrolled: 1-line block ×3, first 2 shown]
	s_waitcnt lgkmcnt(3)
	v_pk_add_f32 v[12:13], v[66:67], v[12:13]
	ds_bpermute_b32 v16, v82, v12
	ds_bpermute_b32 v17, v82, v13
	s_waitcnt lgkmcnt(3)
	v_pk_add_f32 v[8:9], v[68:69], v[8:9]
	ds_bpermute_b32 v14, v82, v8
	ds_bpermute_b32 v15, v82, v9
	;; [unrolled: 1-line block ×3, first 2 shown]
	s_waitcnt lgkmcnt(3)
	v_pk_add_f32 v[16:17], v[12:13], v[16:17]
	v_pk_add_f32 v[12:13], v[64:65], v[18:19]
	ds_bpermute_b32 v18, v82, v12
	s_waitcnt lgkmcnt(2)
	v_pk_add_f32 v[8:9], v[8:9], v[14:15]
	ds_bpermute_b32 v19, v82, v13
	s_waitcnt lgkmcnt(2)
	v_pk_add_f32 v[22:23], v[62:63], v[22:23]
	ds_bpermute_b32 v10, v83, v6
	ds_bpermute_b32 v11, v83, v7
	;; [unrolled: 1-line block ×8, first 2 shown]
	s_waitcnt lgkmcnt(8)
	v_pk_add_f32 v[18:19], v[12:13], v[18:19]
	ds_bpermute_b32 v24, v83, v18
	ds_bpermute_b32 v25, v83, v19
	s_waitcnt lgkmcnt(8)
	v_pk_add_f32 v[12:13], v[6:7], v[10:11]
	s_waitcnt lgkmcnt(6)
	v_pk_add_f32 v[10:11], v[8:9], v[14:15]
	;; [unrolled: 2-line block ×4, first 2 shown]
	ds_bpermute_b32 v16, v83, v14
	ds_bpermute_b32 v17, v83, v15
	v_and_b32_e32 v1, 0x3c7, v0
	s_waitcnt lgkmcnt(2)
	v_pk_add_f32 v[6:7], v[18:19], v[24:25]
	v_cmp_ne_u32_e32 vcc, 64, v1
	s_waitcnt lgkmcnt(0)
	s_barrier
	s_and_saveexec_b64 s[0:1], vcc
	s_xor_b64 s[0:1], exec, s[0:1]
; %bb.70:
                                        ; implicit-def: $vgpr80
; %bb.71:
	s_or_saveexec_b64 s[0:1], s[0:1]
	v_pk_add_f32 v[14:15], v[14:15], v[16:17]
	s_xor_b64 exec, exec, s[0:1]
	s_cbranch_execz .LBB49_73
; %bb.72:
	v_lshrrev_b32_e32 v16, 1, v80
	v_add_u32_e32 v16, 0x1d0, v16
	ds_write2_b32 v16, v4, v5 offset1:8
	ds_write2_b32 v16, v2, v3 offset0:16 offset1:24
	ds_write2_b32 v16, v12, v13 offset0:32 offset1:40
	;; [unrolled: 1-line block ×6, first 2 shown]
.LBB49_73:
	s_or_b64 exec, exec, s[0:1]
	v_cmp_gt_u32_e32 vcc, 64, v0
	v_lshrrev_b32_e32 v0, 3, v0
	s_waitcnt lgkmcnt(0)
	s_barrier
	s_and_saveexec_b64 s[0:1], vcc
	s_cbranch_execz .LBB49_90
; %bb.74:
	v_mov_b32_e32 v16, 0x1d0
	v_cmp_eq_u32_e32 vcc, 0, v84
	v_lshl_add_u32 v16, v0, 2, v16
	s_and_saveexec_b64 s[2:3], vcc
	s_cbranch_execnz .LBB49_93
; %bb.75:
	s_or_b64 exec, exec, s[2:3]
	s_and_saveexec_b64 s[2:3], vcc
	s_cbranch_execnz .LBB49_94
.LBB49_76:
	s_or_b64 exec, exec, s[2:3]
	s_and_saveexec_b64 s[2:3], vcc
	s_cbranch_execnz .LBB49_95
.LBB49_77:
	s_or_b64 exec, exec, s[2:3]
	s_and_saveexec_b64 s[2:3], vcc
	s_cbranch_execnz .LBB49_96
.LBB49_78:
	s_or_b64 exec, exec, s[2:3]
	s_and_saveexec_b64 s[2:3], vcc
	s_cbranch_execnz .LBB49_97
.LBB49_79:
	s_or_b64 exec, exec, s[2:3]
	s_and_saveexec_b64 s[2:3], vcc
	s_cbranch_execnz .LBB49_98
.LBB49_80:
	s_or_b64 exec, exec, s[2:3]
	s_and_saveexec_b64 s[2:3], vcc
	s_cbranch_execnz .LBB49_99
.LBB49_81:
	s_or_b64 exec, exec, s[2:3]
	s_and_saveexec_b64 s[2:3], vcc
	s_cbranch_execnz .LBB49_100
.LBB49_82:
	s_or_b64 exec, exec, s[2:3]
	s_and_saveexec_b64 s[2:3], vcc
	s_cbranch_execnz .LBB49_101
.LBB49_83:
	s_or_b64 exec, exec, s[2:3]
	s_and_saveexec_b64 s[2:3], vcc
	s_cbranch_execnz .LBB49_102
.LBB49_84:
	s_or_b64 exec, exec, s[2:3]
	s_and_saveexec_b64 s[2:3], vcc
	s_cbranch_execnz .LBB49_103
.LBB49_85:
	s_or_b64 exec, exec, s[2:3]
	s_and_saveexec_b64 s[2:3], vcc
	s_cbranch_execnz .LBB49_104
.LBB49_86:
	s_or_b64 exec, exec, s[2:3]
	s_and_saveexec_b64 s[2:3], vcc
	s_cbranch_execnz .LBB49_105
.LBB49_87:
	s_or_b64 exec, exec, s[2:3]
	s_and_saveexec_b64 s[2:3], vcc
	s_cbranch_execz .LBB49_89
.LBB49_88:
	ds_read_b32 v16, v16 offset:416
	s_waitcnt lgkmcnt(0)
	v_add_f32_e32 v15, v15, v16
.LBB49_89:
	s_or_b64 exec, exec, s[2:3]
.LBB49_90:
	s_or_b64 exec, exec, s[0:1]
	v_cmp_eq_u32_e32 vcc, 0, v1
	s_barrier
	s_and_saveexec_b64 s[0:1], vcc
	s_cbranch_execz .LBB49_92
; %bb.91:
	s_mul_i32 s0, s10, s11
	s_mul_i32 s0, s0, s5
	s_mulk_i32 s0, 0x70
	s_ashr_i32 s1, s0, 31
	s_lshl_b64 s[0:1], s[0:1], 2
	s_add_u32 s2, s18, s0
	s_mul_i32 s0, s11, s16
	s_addc_u32 s3, s19, s1
	s_ashr_i32 s1, s0, 31
	s_lshl_b64 s[0:1], s[0:1], 2
	s_add_u32 s2, s2, s0
	s_mul_i32 s0, s4, 0x70
	s_addc_u32 s3, s3, s1
	s_ashr_i32 s1, s0, 31
	s_lshl_b64 s[0:1], s[0:1], 2
	s_add_u32 s0, s2, s0
	s_addc_u32 s1, s3, s1
	v_lshlrev_b32_e32 v0, 2, v0
	global_store_dword v0, v4, s[0:1]
	global_store_dword v0, v5, s[0:1] offset:32
	global_store_dword v0, v2, s[0:1] offset:64
	;; [unrolled: 1-line block ×13, first 2 shown]
.LBB49_92:
	s_endpgm
.LBB49_93:
	ds_read_b32 v17, v16
	s_waitcnt lgkmcnt(0)
	v_add_f32_e32 v4, v4, v17
	s_or_b64 exec, exec, s[2:3]
	s_and_saveexec_b64 s[2:3], vcc
	s_cbranch_execz .LBB49_76
.LBB49_94:
	ds_read_b32 v17, v16 offset:32
	s_waitcnt lgkmcnt(0)
	v_add_f32_e32 v5, v5, v17
	s_or_b64 exec, exec, s[2:3]
	s_and_saveexec_b64 s[2:3], vcc
	s_cbranch_execz .LBB49_77
.LBB49_95:
	ds_read_b32 v17, v16 offset:64
	s_waitcnt lgkmcnt(0)
	v_add_f32_e32 v2, v2, v17
	s_or_b64 exec, exec, s[2:3]
	s_and_saveexec_b64 s[2:3], vcc
	s_cbranch_execz .LBB49_78
.LBB49_96:
	ds_read_b32 v17, v16 offset:96
	s_waitcnt lgkmcnt(0)
	v_add_f32_e32 v3, v3, v17
	s_or_b64 exec, exec, s[2:3]
	s_and_saveexec_b64 s[2:3], vcc
	s_cbranch_execz .LBB49_79
.LBB49_97:
	ds_read_b32 v17, v16 offset:128
	s_waitcnt lgkmcnt(0)
	v_add_f32_e32 v12, v12, v17
	s_or_b64 exec, exec, s[2:3]
	s_and_saveexec_b64 s[2:3], vcc
	s_cbranch_execz .LBB49_80
.LBB49_98:
	ds_read_b32 v17, v16 offset:160
	s_waitcnt lgkmcnt(0)
	v_add_f32_e32 v13, v13, v17
	s_or_b64 exec, exec, s[2:3]
	s_and_saveexec_b64 s[2:3], vcc
	s_cbranch_execz .LBB49_81
.LBB49_99:
	ds_read_b32 v17, v16 offset:192
	s_waitcnt lgkmcnt(0)
	v_add_f32_e32 v10, v10, v17
	s_or_b64 exec, exec, s[2:3]
	s_and_saveexec_b64 s[2:3], vcc
	s_cbranch_execz .LBB49_82
.LBB49_100:
	ds_read_b32 v17, v16 offset:224
	s_waitcnt lgkmcnt(0)
	v_add_f32_e32 v11, v11, v17
	s_or_b64 exec, exec, s[2:3]
	s_and_saveexec_b64 s[2:3], vcc
	s_cbranch_execz .LBB49_83
.LBB49_101:
	ds_read_b32 v17, v16 offset:256
	s_waitcnt lgkmcnt(0)
	v_add_f32_e32 v8, v8, v17
	s_or_b64 exec, exec, s[2:3]
	s_and_saveexec_b64 s[2:3], vcc
	s_cbranch_execz .LBB49_84
.LBB49_102:
	ds_read_b32 v17, v16 offset:288
	s_waitcnt lgkmcnt(0)
	v_add_f32_e32 v9, v9, v17
	s_or_b64 exec, exec, s[2:3]
	s_and_saveexec_b64 s[2:3], vcc
	s_cbranch_execz .LBB49_85
.LBB49_103:
	ds_read_b32 v17, v16 offset:320
	s_waitcnt lgkmcnt(0)
	v_add_f32_e32 v6, v6, v17
	s_or_b64 exec, exec, s[2:3]
	s_and_saveexec_b64 s[2:3], vcc
	s_cbranch_execz .LBB49_86
.LBB49_104:
	ds_read_b32 v17, v16 offset:352
	s_waitcnt lgkmcnt(0)
	v_add_f32_e32 v7, v7, v17
	s_or_b64 exec, exec, s[2:3]
	s_and_saveexec_b64 s[2:3], vcc
	s_cbranch_execz .LBB49_87
.LBB49_105:
	ds_read_b32 v17, v16 offset:384
	s_waitcnt lgkmcnt(0)
	v_add_f32_e32 v14, v14, v17
	s_or_b64 exec, exec, s[2:3]
	s_and_saveexec_b64 s[2:3], vcc
	s_cbranch_execnz .LBB49_88
	s_branch .LBB49_89
	.section	.rodata,"a",@progbits
	.p2align	6, 0x0
	.amdhsa_kernel _ZN4vllm25paged_attention_v1_kernelIffLi112ELi32ELi128ELNS_18Fp8KVCacheDataTypeE0ELb0EEEvPT_PKS2_PKT0_S8_ifPKiSA_iPKfiiiSC_SC_iiiii
		.amdhsa_group_segment_fixed_size 464
		.amdhsa_private_segment_fixed_size 0
		.amdhsa_kernarg_size 384
		.amdhsa_user_sgpr_count 2
		.amdhsa_user_sgpr_dispatch_ptr 0
		.amdhsa_user_sgpr_queue_ptr 0
		.amdhsa_user_sgpr_kernarg_segment_ptr 1
		.amdhsa_user_sgpr_dispatch_id 0
		.amdhsa_user_sgpr_kernarg_preload_length 0
		.amdhsa_user_sgpr_kernarg_preload_offset 0
		.amdhsa_user_sgpr_private_segment_size 0
		.amdhsa_uses_dynamic_stack 0
		.amdhsa_enable_private_segment 0
		.amdhsa_system_sgpr_workgroup_id_x 1
		.amdhsa_system_sgpr_workgroup_id_y 1
		.amdhsa_system_sgpr_workgroup_id_z 1
		.amdhsa_system_sgpr_workgroup_info 0
		.amdhsa_system_vgpr_workitem_id 0
		.amdhsa_next_free_vgpr 104
		.amdhsa_next_free_sgpr 37
		.amdhsa_accum_offset 104
		.amdhsa_reserve_vcc 1
		.amdhsa_float_round_mode_32 0
		.amdhsa_float_round_mode_16_64 0
		.amdhsa_float_denorm_mode_32 3
		.amdhsa_float_denorm_mode_16_64 3
		.amdhsa_dx10_clamp 1
		.amdhsa_ieee_mode 1
		.amdhsa_fp16_overflow 0
		.amdhsa_tg_split 0
		.amdhsa_exception_fp_ieee_invalid_op 0
		.amdhsa_exception_fp_denorm_src 0
		.amdhsa_exception_fp_ieee_div_zero 0
		.amdhsa_exception_fp_ieee_overflow 0
		.amdhsa_exception_fp_ieee_underflow 0
		.amdhsa_exception_fp_ieee_inexact 0
		.amdhsa_exception_int_div_zero 0
	.end_amdhsa_kernel
	.section	.text._ZN4vllm25paged_attention_v1_kernelIffLi112ELi32ELi128ELNS_18Fp8KVCacheDataTypeE0ELb0EEEvPT_PKS2_PKT0_S8_ifPKiSA_iPKfiiiSC_SC_iiiii,"axG",@progbits,_ZN4vllm25paged_attention_v1_kernelIffLi112ELi32ELi128ELNS_18Fp8KVCacheDataTypeE0ELb0EEEvPT_PKS2_PKT0_S8_ifPKiSA_iPKfiiiSC_SC_iiiii,comdat
.Lfunc_end49:
	.size	_ZN4vllm25paged_attention_v1_kernelIffLi112ELi32ELi128ELNS_18Fp8KVCacheDataTypeE0ELb0EEEvPT_PKS2_PKT0_S8_ifPKiSA_iPKfiiiSC_SC_iiiii, .Lfunc_end49-_ZN4vllm25paged_attention_v1_kernelIffLi112ELi32ELi128ELNS_18Fp8KVCacheDataTypeE0ELb0EEEvPT_PKS2_PKT0_S8_ifPKiSA_iPKfiiiSC_SC_iiiii
                                        ; -- End function
	.set _ZN4vllm25paged_attention_v1_kernelIffLi112ELi32ELi128ELNS_18Fp8KVCacheDataTypeE0ELb0EEEvPT_PKS2_PKT0_S8_ifPKiSA_iPKfiiiSC_SC_iiiii.num_vgpr, 104
	.set _ZN4vllm25paged_attention_v1_kernelIffLi112ELi32ELi128ELNS_18Fp8KVCacheDataTypeE0ELb0EEEvPT_PKS2_PKT0_S8_ifPKiSA_iPKfiiiSC_SC_iiiii.num_agpr, 0
	.set _ZN4vllm25paged_attention_v1_kernelIffLi112ELi32ELi128ELNS_18Fp8KVCacheDataTypeE0ELb0EEEvPT_PKS2_PKT0_S8_ifPKiSA_iPKfiiiSC_SC_iiiii.numbered_sgpr, 37
	.set _ZN4vllm25paged_attention_v1_kernelIffLi112ELi32ELi128ELNS_18Fp8KVCacheDataTypeE0ELb0EEEvPT_PKS2_PKT0_S8_ifPKiSA_iPKfiiiSC_SC_iiiii.num_named_barrier, 0
	.set _ZN4vllm25paged_attention_v1_kernelIffLi112ELi32ELi128ELNS_18Fp8KVCacheDataTypeE0ELb0EEEvPT_PKS2_PKT0_S8_ifPKiSA_iPKfiiiSC_SC_iiiii.private_seg_size, 0
	.set _ZN4vllm25paged_attention_v1_kernelIffLi112ELi32ELi128ELNS_18Fp8KVCacheDataTypeE0ELb0EEEvPT_PKS2_PKT0_S8_ifPKiSA_iPKfiiiSC_SC_iiiii.uses_vcc, 1
	.set _ZN4vllm25paged_attention_v1_kernelIffLi112ELi32ELi128ELNS_18Fp8KVCacheDataTypeE0ELb0EEEvPT_PKS2_PKT0_S8_ifPKiSA_iPKfiiiSC_SC_iiiii.uses_flat_scratch, 0
	.set _ZN4vllm25paged_attention_v1_kernelIffLi112ELi32ELi128ELNS_18Fp8KVCacheDataTypeE0ELb0EEEvPT_PKS2_PKT0_S8_ifPKiSA_iPKfiiiSC_SC_iiiii.has_dyn_sized_stack, 0
	.set _ZN4vllm25paged_attention_v1_kernelIffLi112ELi32ELi128ELNS_18Fp8KVCacheDataTypeE0ELb0EEEvPT_PKS2_PKT0_S8_ifPKiSA_iPKfiiiSC_SC_iiiii.has_recursion, 0
	.set _ZN4vllm25paged_attention_v1_kernelIffLi112ELi32ELi128ELNS_18Fp8KVCacheDataTypeE0ELb0EEEvPT_PKS2_PKT0_S8_ifPKiSA_iPKfiiiSC_SC_iiiii.has_indirect_call, 0
	.section	.AMDGPU.csdata,"",@progbits
; Kernel info:
; codeLenInByte = 6432
; TotalNumSgprs: 43
; NumVgprs: 104
; NumAgprs: 0
; TotalNumVgprs: 104
; ScratchSize: 0
; MemoryBound: 0
; FloatMode: 240
; IeeeMode: 1
; LDSByteSize: 464 bytes/workgroup (compile time only)
; SGPRBlocks: 5
; VGPRBlocks: 12
; NumSGPRsForWavesPerEU: 43
; NumVGPRsForWavesPerEU: 104
; AccumOffset: 104
; Occupancy: 4
; WaveLimiterHint : 1
; COMPUTE_PGM_RSRC2:SCRATCH_EN: 0
; COMPUTE_PGM_RSRC2:USER_SGPR: 2
; COMPUTE_PGM_RSRC2:TRAP_HANDLER: 0
; COMPUTE_PGM_RSRC2:TGID_X_EN: 1
; COMPUTE_PGM_RSRC2:TGID_Y_EN: 1
; COMPUTE_PGM_RSRC2:TGID_Z_EN: 1
; COMPUTE_PGM_RSRC2:TIDIG_COMP_CNT: 0
; COMPUTE_PGM_RSRC3_GFX90A:ACCUM_OFFSET: 25
; COMPUTE_PGM_RSRC3_GFX90A:TG_SPLIT: 0
	.section	.text._ZN4vllm25paged_attention_v1_kernelIffLi120ELi32ELi128ELNS_18Fp8KVCacheDataTypeE0ELb0EEEvPT_PKS2_PKT0_S8_ifPKiSA_iPKfiiiSC_SC_iiiii,"axG",@progbits,_ZN4vllm25paged_attention_v1_kernelIffLi120ELi32ELi128ELNS_18Fp8KVCacheDataTypeE0ELb0EEEvPT_PKS2_PKT0_S8_ifPKiSA_iPKfiiiSC_SC_iiiii,comdat
	.protected	_ZN4vllm25paged_attention_v1_kernelIffLi120ELi32ELi128ELNS_18Fp8KVCacheDataTypeE0ELb0EEEvPT_PKS2_PKT0_S8_ifPKiSA_iPKfiiiSC_SC_iiiii ; -- Begin function _ZN4vllm25paged_attention_v1_kernelIffLi120ELi32ELi128ELNS_18Fp8KVCacheDataTypeE0ELb0EEEvPT_PKS2_PKT0_S8_ifPKiSA_iPKfiiiSC_SC_iiiii
	.globl	_ZN4vllm25paged_attention_v1_kernelIffLi120ELi32ELi128ELNS_18Fp8KVCacheDataTypeE0ELb0EEEvPT_PKS2_PKT0_S8_ifPKiSA_iPKfiiiSC_SC_iiiii
	.p2align	8
	.type	_ZN4vllm25paged_attention_v1_kernelIffLi120ELi32ELi128ELNS_18Fp8KVCacheDataTypeE0ELb0EEEvPT_PKS2_PKT0_S8_ifPKiSA_iPKfiiiSC_SC_iiiii,@function
_ZN4vllm25paged_attention_v1_kernelIffLi120ELi32ELi128ELNS_18Fp8KVCacheDataTypeE0ELb0EEEvPT_PKS2_PKT0_S8_ifPKiSA_iPKfiiiSC_SC_iiiii: ; @_ZN4vllm25paged_attention_v1_kernelIffLi120ELi32ELi128ELNS_18Fp8KVCacheDataTypeE0ELb0EEEvPT_PKS2_PKT0_S8_ifPKiSA_iPKfiiiSC_SC_iiiii
; %bb.0:
	s_load_dword s5, s[0:1], 0x80
	s_load_dwordx2 s[6:7], s[0:1], 0x30
	s_load_dwordx2 s[28:29], s[0:1], 0x20
	s_mov_b32 s16, s3
	s_ashr_i32 s17, s3, 31
	s_lshl_b64 s[8:9], s[16:17], 2
	s_waitcnt lgkmcnt(0)
	s_add_u32 s6, s6, s8
	s_addc_u32 s7, s7, s9
	s_abs_i32 s3, s28
	v_cvt_f32_u32_e32 v1, s3
	s_sub_i32 s10, 0, s3
	s_abs_i32 s9, s5
	s_xor_b32 s8, s5, s28
	v_rcp_iflag_f32_e32 v1, v1
	s_ashr_i32 s8, s8, 31
	s_mov_b32 s28, 0
	v_mul_f32_e32 v1, 0x4f7ffffe, v1
	v_cvt_u32_f32_e32 v1, v1
	s_nop 0
	v_readfirstlane_b32 s11, v1
	s_mul_i32 s10, s10, s11
	s_mul_hi_u32 s10, s11, s10
	s_add_i32 s11, s11, s10
	s_mul_hi_u32 s10, s9, s11
	s_mul_i32 s11, s10, s3
	s_sub_i32 s9, s9, s11
	s_add_i32 s11, s10, 1
	s_sub_i32 s12, s9, s3
	s_cmp_ge_u32 s9, s3
	s_cselect_b32 s10, s11, s10
	s_cselect_b32 s9, s12, s9
	s_add_i32 s11, s10, 1
	s_cmp_ge_u32 s9, s3
	s_cselect_b32 s3, s11, s10
	s_xor_b32 s3, s3, s8
	s_sub_i32 s12, s3, s8
	s_abs_i32 s10, s12
	v_cvt_f32_u32_e32 v1, s10
	s_load_dwordx2 s[8:9], s[0:1], 0x40
	s_sub_i32 s3, 0, s10
	s_abs_i32 s11, s2
	v_rcp_iflag_f32_e32 v1, v1
	s_nop 0
	v_mul_f32_e32 v1, 0x4f7ffffe, v1
	v_cvt_u32_f32_e32 v1, v1
	s_nop 0
	v_readfirstlane_b32 s13, v1
	s_mul_i32 s3, s3, s13
	s_mul_hi_u32 s3, s13, s3
	s_add_i32 s13, s13, s3
	s_waitcnt lgkmcnt(0)
	s_cmp_eq_u64 s[8:9], 0
	s_mul_hi_u32 s20, s11, s13
	s_cbranch_scc1 .LBB50_2
; %bb.1:
	s_ashr_i32 s3, s2, 31
	s_lshl_b64 s[14:15], s[2:3], 2
	s_add_u32 s8, s8, s14
	s_addc_u32 s9, s9, s15
	s_load_dword s28, s[8:9], 0x0
.LBB50_2:
	s_load_dword s17, s[6:7], 0x0
	s_ashr_i32 s7, s12, 31
	s_load_dwordx4 s[12:15], s[0:1], 0x48
	s_ashr_i32 s6, s2, 31
	v_and_b32_e32 v42, 1, v0
	s_mul_i32 s18, s2, 0x78
	v_cmp_gt_u32_e32 vcc, 60, v0
	v_lshlrev_b32_e32 v2, 3, v0
	v_lshlrev_b32_e32 v82, 2, v0
	s_and_saveexec_b64 s[2:3], vcc
	s_cbranch_execz .LBB50_4
; %bb.3:
	s_load_dwordx2 s[8:9], s[0:1], 0x8
	s_waitcnt lgkmcnt(0)
	s_mul_i32 s22, s12, s16
	s_ashr_i32 s23, s22, 31
	s_lshl_b64 s[22:23], s[22:23], 2
	v_and_b32_e32 v1, 0xff8, v82
	s_add_u32 s12, s8, s22
	s_addc_u32 s15, s9, s23
	s_ashr_i32 s19, s18, 31
	s_lshl_b64 s[8:9], s[18:19], 2
	s_add_u32 s8, s12, s8
	s_addc_u32 s9, s15, s9
	global_load_dwordx2 v[4:5], v2, s[8:9]
	s_movk_i32 s8, 0xf0
	v_mad_u32_u24 v1, v42, s8, v1
	s_waitcnt vmcnt(0)
	ds_write_b64 v1, v[4:5]
.LBB50_4:
	s_or_b64 exec, exec, s[2:3]
	s_waitcnt lgkmcnt(0)
	s_add_i32 s3, s17, 31
	s_ashr_i32 s8, s3, 31
	s_lshr_b32 s8, s8, 27
	s_add_i32 s3, s3, s8
	s_ashr_i32 s19, s3, 5
	s_xor_b32 s3, s6, s7
	s_mul_i32 s6, s20, s10
	s_sub_i32 s6, s11, s6
	s_add_i32 s7, s20, 1
	s_sub_i32 s8, s6, s10
	s_load_dwordx2 s[22:23], s[0:1], 0x28
	s_load_dword s2, s[0:1], 0x38
	s_cmp_ge_u32 s6, s10
	s_cselect_b32 s7, s7, s20
	s_cselect_b32 s6, s8, s6
	s_add_i32 s8, s7, 1
	s_cmp_ge_u32 s6, s10
	s_cselect_b32 s6, s8, s7
	v_lshrrev_b32_e32 v1, 6, v0
	s_xor_b32 s6, s6, s3
	s_waitcnt lgkmcnt(0)
	s_mul_i32 s24, s2, s16
	s_sub_i32 s8, s6, s3
	s_ashr_i32 s25, s24, 31
	v_cmp_gt_i32_e64 s[6:7], s19, v1
	v_cmp_le_i32_e32 vcc, s19, v1
	v_mbcnt_lo_u32_b32 v43, -1, 0
	s_barrier
                                        ; implicit-def: $vgpr72
                                        ; implicit-def: $vgpr73
                                        ; implicit-def: $vgpr74
	s_and_saveexec_b64 s[2:3], vcc
	s_xor_b64 s[2:3], exec, s[2:3]
; %bb.5:
	v_mbcnt_hi_u32_b32 v72, -1, v43
	v_and_b32_e32 v73, 64, v72
	v_add_u32_e32 v74, 64, v73
                                        ; implicit-def: $vgpr2
                                        ; implicit-def: $vgpr42
                                        ; implicit-def: $vgpr43
; %bb.6:
	s_or_saveexec_b64 s[30:31], s[2:3]
	s_load_dwordx2 s[20:21], s[0:1], 0x0
	s_load_dwordx2 s[26:27], s[0:1], 0x18
	s_load_dword s12, s[0:1], 0x88
	v_mov_b32_e32 v75, 0xff7fffff
	s_mul_i32 s14, s8, s14
	v_lshrrev_b32_e32 v84, 4, v0
	s_xor_b64 exec, exec, s[30:31]
	s_cbranch_execz .LBB50_12
; %bb.7:
	s_load_dwordx2 s[0:1], s[0:1], 0x10
	s_ashr_i32 s15, s14, 31
	s_lshl_b64 s[2:3], s[14:15], 2
	v_bfe_u32 v46, v0, 1, 5
	v_lshlrev_b32_e32 v44, 4, v46
	s_waitcnt lgkmcnt(0)
	s_add_u32 s0, s0, s2
	s_addc_u32 s1, s1, s3
	v_mov_b32_e32 v45, 0
	v_lshl_add_u64 v[4:5], s[0:1], 0, v[44:45]
	v_and_b32_e32 v44, 8, v2
	v_mul_u32_u24_e32 v58, 0xf0, v42
	v_lshl_add_u64 v[62:63], v[4:5], 0, v[44:45]
	ds_read_b128 v[2:5], v58
	ds_read_b128 v[6:9], v58 offset:16
	ds_read_b128 v[10:13], v58 offset:32
	ds_read_b128 v[14:17], v58 offset:48
	ds_read_b128 v[18:21], v58 offset:64
	ds_read_b128 v[22:25], v58 offset:80
	ds_read_b128 v[26:29], v58 offset:96
	ds_read_b128 v[30:33], v58 offset:112
	ds_read_b128 v[34:37], v58 offset:128
	ds_read_b128 v[38:41], v58 offset:144
	v_mbcnt_hi_u32_b32 v72, -1, v43
	v_and_b32_e32 v73, 64, v72
	v_xor_b32_e32 v43, 1, v72
	v_add_u32_e32 v74, 64, v73
	s_sub_i32 s15, 1, s17
	s_lshl_b64 s[0:1], s[24:25], 2
	v_lshlrev_b32_e32 v47, 2, v46
	v_cmp_lt_i32_e32 vcc, v43, v74
	s_add_u32 s0, s22, s0
	v_and_b32_e32 v44, 60, v84
	v_cndmask_b32_e32 v43, v72, v43, vcc
	v_cmp_eq_u32_e32 vcc, 0, v42
	v_lshl_or_b32 v42, v1, 7, v47
	s_addc_u32 s1, s23, s1
	v_lshlrev_b32_e32 v76, 2, v43
	v_lshl_or_b32 v77, v1, 5, v46
	v_add_u32_e32 v78, 0x1f0, v42
	v_lshl_add_u64 v[64:65], s[0:1], 0, v[44:45]
	ds_read_b128 v[42:45], v58 offset:160
	ds_read_b128 v[46:49], v58 offset:176
	;; [unrolled: 1-line block ×5, first 2 shown]
	s_mov_b32 s33, s13
	v_cmp_neq_f32_e64 s[2:3], s28, 0
	v_mov_b32_e32 v75, 0xff7fffff
	s_mov_b64 s[34:35], 0
	s_movk_i32 s36, 0x1000
	s_movk_i32 s37, 0x2000
	;; [unrolled: 1-line block ×3, first 2 shown]
	v_mov_b32_e32 v79, v1
	s_branch .LBB50_9
.LBB50_8:                               ;   in Loop: Header=BB50_9 Depth=1
	s_or_b64 exec, exec, s[8:9]
	v_add_u32_e32 v79, 2, v79
	v_cmp_le_i32_e64 s[0:1], s19, v79
	v_add_u32_e32 v77, 64, v77
	v_add_u32_e32 v78, 0x100, v78
	s_or_b64 s[34:35], s[0:1], s[34:35]
	v_lshl_add_u64 v[64:65], v[64:65], 0, 8
	s_andn2_b64 exec, exec, s[34:35]
	s_cbranch_execz .LBB50_11
.LBB50_9:                               ; =>This Inner Loop Header: Depth=1
	global_load_dword v66, v[64:65], off
	s_waitcnt vmcnt(0) lgkmcnt(0)
	v_mad_i64_i32 v[66:67], s[0:1], v66, s33, 0
	v_lshl_add_u64 v[86:87], v[66:67], 2, v[62:63]
	global_load_dwordx2 v[80:81], v[86:87], off offset:512
	global_load_dwordx2 v[88:89], v[86:87], off
	global_load_dwordx2 v[90:91], v[86:87], off offset:1024
	global_load_dwordx2 v[92:93], v[86:87], off offset:1536
	global_load_dwordx2 v[94:95], v[86:87], off offset:2048
	global_load_dwordx2 v[96:97], v[86:87], off offset:2560
	v_add_co_u32_e64 v70, s[0:1], s36, v86
	v_add_co_u32_e64 v68, s[8:9], s37, v86
	;; [unrolled: 1-line block ×3, first 2 shown]
	v_addc_co_u32_e64 v71, s[0:1], 0, v87, s[0:1]
	v_addc_co_u32_e64 v69, s[0:1], 0, v87, s[8:9]
	;; [unrolled: 1-line block ×3, first 2 shown]
	s_waitcnt vmcnt(5) lgkmcnt(14)
	v_mul_f32_e32 v80, v4, v80
	v_mul_f32_e32 v81, v5, v81
	s_waitcnt vmcnt(4)
	v_fmac_f32_e32 v80, v2, v88
	v_fmac_f32_e32 v81, v3, v89
	global_load_dwordx2 v[88:89], v[86:87], off offset:3072
	s_waitcnt vmcnt(4) lgkmcnt(13)
	v_fmac_f32_e32 v80, v6, v90
	global_load_dwordx2 v[86:87], v[86:87], off offset:3584
	v_fmac_f32_e32 v81, v7, v91
	global_load_dwordx2 v[90:91], v[68:69], off offset:-4096
	s_waitcnt vmcnt(5)
	v_fmac_f32_e32 v80, v8, v92
	v_fmac_f32_e32 v81, v9, v93
	global_load_dwordx2 v[92:93], v[70:71], off offset:512
	s_waitcnt vmcnt(5) lgkmcnt(12)
	v_fmac_f32_e32 v80, v10, v94
	v_fmac_f32_e32 v81, v11, v95
	global_load_dwordx2 v[94:95], v[70:71], off offset:1024
	s_waitcnt vmcnt(5)
	v_fmac_f32_e32 v80, v12, v96
	v_fmac_f32_e32 v81, v13, v97
	global_load_dwordx2 v[96:97], v[70:71], off offset:1536
	s_waitcnt vmcnt(5) lgkmcnt(11)
	v_fmac_f32_e32 v80, v14, v88
	v_fmac_f32_e32 v81, v15, v89
	global_load_dwordx2 v[88:89], v[70:71], off offset:2048
	;; [unrolled: 8-line block ×3, first 2 shown]
	s_nop 0
	global_load_dwordx2 v[70:71], v[70:71], off offset:3584
	s_waitcnt vmcnt(6)
	v_fmac_f32_e32 v80, v20, v92
	v_fmac_f32_e32 v81, v21, v93
	global_load_dwordx2 v[92:93], v[68:69], off
	s_waitcnt vmcnt(6) lgkmcnt(9)
	v_fmac_f32_e32 v80, v22, v94
	v_fmac_f32_e32 v81, v23, v95
	global_load_dwordx2 v[94:95], v[68:69], off offset:512
	s_waitcnt vmcnt(6)
	v_fmac_f32_e32 v80, v24, v96
	v_fmac_f32_e32 v81, v25, v97
	global_load_dwordx2 v[96:97], v[68:69], off offset:1024
	s_waitcnt vmcnt(6) lgkmcnt(8)
	v_fmac_f32_e32 v80, v26, v88
	v_fmac_f32_e32 v81, v27, v89
	global_load_dwordx2 v[88:89], v[68:69], off offset:1536
	s_waitcnt vmcnt(6)
	v_fmac_f32_e32 v80, v28, v86
	v_fmac_f32_e32 v81, v29, v87
	global_load_dwordx2 v[86:87], v[68:69], off offset:2048
	s_waitcnt vmcnt(6) lgkmcnt(7)
	v_fmac_f32_e32 v80, v30, v90
	v_fmac_f32_e32 v81, v31, v91
	s_waitcnt vmcnt(5)
	v_fmac_f32_e32 v80, v32, v70
	v_fmac_f32_e32 v81, v33, v71
	global_load_dwordx2 v[70:71], v[68:69], off offset:2560
	global_load_dwordx2 v[90:91], v[66:67], off
	s_waitcnt vmcnt(6) lgkmcnt(6)
	v_fmac_f32_e32 v80, v34, v92
	v_fmac_f32_e32 v81, v35, v93
	global_load_dwordx2 v[92:93], v[68:69], off offset:3072
	s_nop 0
	global_load_dwordx2 v[68:69], v[68:69], off offset:3584
	s_waitcnt vmcnt(7)
	v_fmac_f32_e32 v80, v36, v94
	v_fmac_f32_e32 v81, v37, v95
	global_load_dwordx2 v[94:95], v[66:67], off offset:512
	s_waitcnt vmcnt(7) lgkmcnt(5)
	v_fmac_f32_e32 v80, v38, v96
	v_fmac_f32_e32 v81, v39, v97
	global_load_dwordx2 v[96:97], v[66:67], off offset:1024
	s_waitcnt vmcnt(7)
	v_fmac_f32_e32 v80, v40, v88
	v_fmac_f32_e32 v81, v41, v89
	global_load_dwordx2 v[88:89], v[66:67], off offset:1536
	s_waitcnt vmcnt(7) lgkmcnt(4)
	v_fmac_f32_e32 v80, v42, v86
	v_fmac_f32_e32 v81, v43, v87
	global_load_dwordx2 v[86:87], v[66:67], off offset:2048
	s_nop 0
	global_load_dwordx2 v[66:67], v[66:67], off offset:2560
	s_waitcnt vmcnt(8)
	v_fmac_f32_e32 v80, v44, v70
	v_fmac_f32_e32 v81, v45, v71
	s_waitcnt vmcnt(6) lgkmcnt(3)
	v_fmac_f32_e32 v80, v46, v92
	v_fmac_f32_e32 v81, v47, v93
	s_waitcnt vmcnt(5)
	v_fmac_f32_e32 v80, v48, v68
	v_fmac_f32_e32 v81, v49, v69
	s_waitcnt lgkmcnt(2)
	v_fmac_f32_e32 v80, v50, v90
	v_fmac_f32_e32 v81, v51, v91
	s_waitcnt vmcnt(4)
	v_fmac_f32_e32 v80, v52, v94
	v_fmac_f32_e32 v81, v53, v95
	s_waitcnt vmcnt(3) lgkmcnt(1)
	v_fmac_f32_e32 v80, v54, v96
	v_fmac_f32_e32 v81, v55, v97
	s_waitcnt vmcnt(2)
	v_fmac_f32_e32 v80, v56, v88
	v_fmac_f32_e32 v81, v57, v89
	s_waitcnt vmcnt(1) lgkmcnt(0)
	v_fmac_f32_e32 v80, v58, v86
	v_fmac_f32_e32 v81, v59, v87
	s_waitcnt vmcnt(0)
	v_fmac_f32_e32 v80, v60, v66
	v_fmac_f32_e32 v81, v61, v67
	v_add_f32_e32 v66, v80, v81
	ds_bpermute_b32 v67, v76, v66
	s_and_saveexec_b64 s[8:9], vcc
	s_cbranch_execz .LBB50_8
; %bb.10:                               ;   in Loop: Header=BB50_9 Depth=1
	v_add_u32_e32 v68, s15, v77
	v_cvt_f32_i32_e32 v68, v68
	s_waitcnt lgkmcnt(0)
	v_add_f32_e32 v66, v66, v67
	v_cmp_gt_i32_e64 s[0:1], s17, v77
	v_max_f32_e32 v67, v75, v75
	v_mul_f32_e32 v68, s28, v68
	v_cndmask_b32_e64 v68, 0, v68, s[2:3]
	v_fmac_f32_e32 v68, s29, v66
	v_cndmask_b32_e64 v66, 0, v68, s[0:1]
	ds_write_b32 v78, v66
	v_max_f32_e32 v66, v67, v68
	v_cndmask_b32_e64 v75, v75, v66, s[0:1]
	s_branch .LBB50_8
.LBB50_11:
	s_or_b64 exec, exec, s[34:35]
.LBB50_12:
	s_or_b64 exec, exec, s[30:31]
	v_xor_b32_e32 v2, 32, v72
	v_cmp_lt_i32_e32 vcc, v2, v74
	v_xor_b32_e32 v5, 16, v72
	v_max_f32_e32 v4, v75, v75
	v_cndmask_b32_e32 v2, v72, v2, vcc
	v_lshlrev_b32_e32 v2, 2, v2
	ds_bpermute_b32 v3, v2, v75
	v_cmp_lt_i32_e32 vcc, v5, v74
	v_xor_b32_e32 v6, 8, v72
	v_xor_b32_e32 v7, 4, v72
	v_and_b32_e32 v86, 63, v0
	s_waitcnt lgkmcnt(0)
	v_max_f32_e32 v3, v3, v3
	v_max_f32_e32 v4, v4, v3
	v_cndmask_b32_e32 v3, v72, v5, vcc
	v_lshlrev_b32_e32 v3, 2, v3
	ds_bpermute_b32 v5, v3, v4
	v_cmp_lt_i32_e32 vcc, v6, v74
	s_waitcnt lgkmcnt(0)
	v_max_f32_e32 v5, v5, v5
	v_max_f32_e32 v5, v4, v5
	v_cndmask_b32_e32 v4, v72, v6, vcc
	v_lshlrev_b32_e32 v4, 2, v4
	ds_bpermute_b32 v6, v4, v5
	v_cmp_lt_i32_e32 vcc, v7, v74
	s_waitcnt lgkmcnt(0)
	v_max_f32_e32 v6, v6, v6
	v_max_f32_e32 v5, v5, v6
	v_cndmask_b32_e32 v6, v72, v7, vcc
	v_lshlrev_b32_e32 v87, 2, v6
	ds_bpermute_b32 v6, v87, v5
	v_xor_b32_e32 v7, 2, v72
	v_cmp_lt_i32_e32 vcc, v7, v74
	s_waitcnt lgkmcnt(0)
	v_max_f32_e32 v6, v6, v6
	v_max_f32_e32 v6, v5, v6
	v_cndmask_b32_e32 v5, v72, v7, vcc
	v_lshlrev_b32_e32 v88, 2, v5
	ds_bpermute_b32 v7, v88, v6
	v_cmp_eq_u32_e32 vcc, 0, v86
	v_lshlrev_b32_e32 v5, 2, v1
	s_and_saveexec_b64 s[0:1], vcc
	s_cbranch_execz .LBB50_14
; %bb.13:
	s_waitcnt lgkmcnt(0)
	v_max_f32_e32 v7, v7, v7
	v_max_f32_e32 v6, v6, v6
	;; [unrolled: 1-line block ×3, first 2 shown]
	ds_write_b32 v5, v6 offset:480
.LBB50_14:
	s_or_b64 exec, exec, s[0:1]
	v_cmp_gt_u32_e64 s[0:1], 2, v86
	s_waitcnt lgkmcnt(0)
	v_mov_b32_e32 v7, 0xff7fffff
	v_lshlrev_b32_e32 v6, 2, v86
	s_barrier
	s_and_saveexec_b64 s[2:3], s[0:1]
; %bb.15:
	ds_read_b32 v7, v6 offset:480
; %bb.16:
	s_or_b64 exec, exec, s[2:3]
	v_xor_b32_e32 v8, 1, v72
	v_cmp_lt_i32_e64 s[2:3], v8, v74
	s_nop 1
	v_cndmask_b32_e64 v8, v72, v8, s[2:3]
	v_lshlrev_b32_e32 v89, 2, v8
	s_waitcnt lgkmcnt(0)
	ds_bpermute_b32 v8, v89, v7
	v_max_f32_e32 v7, v7, v7
	s_lshl_b32 s2, s19, 5
	s_min_i32 s15, s2, s17
	v_cmp_gt_i32_e64 s[2:3], s15, v0
	s_waitcnt lgkmcnt(0)
	v_max_f32_e32 v8, v8, v8
	v_max_f32_e32 v7, v7, v8
	v_lshlrev_b32_e32 v8, 2, v73
	ds_bpermute_b32 v8, v8, v7
	v_mov_b32_e32 v7, 0
	s_and_saveexec_b64 s[10:11], s[2:3]
	s_cbranch_execz .LBB50_20
; %bb.17:
	v_mov_b32_e32 v7, 0x1f0
	v_lshl_add_u32 v9, v0, 2, v7
	v_mov_b32_e32 v7, 0
	s_mov_b64 s[28:29], 0
	v_mov_b32_e32 v10, v0
.LBB50_18:                              ; =>This Inner Loop Header: Depth=1
	ds_read_b32 v11, v9
	v_add_u32_e32 v10, 0x80, v10
	v_cmp_le_i32_e64 s[8:9], s15, v10
	s_or_b64 s[28:29], s[8:9], s[28:29]
	s_waitcnt lgkmcnt(0)
	v_sub_f32_e32 v11, v11, v8
	v_mul_f32_e32 v11, 0x3fb8aa3b, v11
	v_exp_f32_e32 v11, v11
	ds_write_b32 v9, v11
	v_add_f32_e32 v7, v7, v11
	v_add_u32_e32 v9, 0x200, v9
	s_andn2_b64 exec, exec, s[28:29]
	s_cbranch_execnz .LBB50_18
; %bb.19:
	s_or_b64 exec, exec, s[28:29]
.LBB50_20:
	s_or_b64 exec, exec, s[10:11]
	ds_bpermute_b32 v2, v2, v7
	s_waitcnt lgkmcnt(0)
	v_add_f32_e32 v2, v7, v2
	ds_bpermute_b32 v3, v3, v2
	s_waitcnt lgkmcnt(0)
	v_add_f32_e32 v2, v2, v3
	;; [unrolled: 3-line block ×6, first 2 shown]
	s_and_saveexec_b64 s[8:9], vcc
; %bb.21:
	ds_write_b32 v5, v2 offset:488
; %bb.22:
	s_or_b64 exec, exec, s[8:9]
	s_waitcnt lgkmcnt(0)
	s_barrier
	s_and_saveexec_b64 s[8:9], s[0:1]
; %bb.23:
	ds_read_b32 v2, v6 offset:488
; %bb.24:
	s_or_b64 exec, exec, s[8:9]
	s_waitcnt lgkmcnt(0)
	ds_bpermute_b32 v3, v89, v2
	v_lshlrev_b32_e32 v4, 2, v72
	s_waitcnt lgkmcnt(0)
	v_add_f32_e32 v2, v2, v3
	v_and_b32_e32 v3, 0xffffff00, v4
	ds_bpermute_b32 v2, v3, v2
	s_and_saveexec_b64 s[0:1], s[2:3]
	s_cbranch_execz .LBB50_37
; %bb.25:
	s_waitcnt lgkmcnt(0)
	v_add_f32_e32 v2, 0x358637bd, v2
	v_div_scale_f32 v3, s[2:3], v2, v2, 1.0
	v_rcp_f32_e32 v4, v3
	v_div_scale_f32 v5, vcc, 1.0, v2, 1.0
	s_movk_i32 s2, 0x7f
	v_fma_f32 v6, -v3, v4, 1.0
	v_fmac_f32_e32 v4, v6, v4
	v_mul_f32_e32 v6, v5, v4
	v_fma_f32 v7, -v3, v6, v5
	v_fmac_f32_e32 v6, v7, v4
	v_fma_f32 v3, -v3, v6, v5
	v_div_fmas_f32 v3, v3, v4, v6
	v_xad_u32 v4, v0, -1, s15
	v_div_fixup_f32 v2, v3, v2, 1.0
	v_cmp_lt_u32_e32 vcc, s2, v4
	s_mov_b64 s[8:9], -1
	v_mov_b32_e32 v3, v0
	s_and_saveexec_b64 s[2:3], vcc
	s_cbranch_execz .LBB50_34
; %bb.26:
	v_lshrrev_b32_e32 v4, 7, v4
	v_add_u32_e32 v6, -1, v4
	v_lshrrev_b32_e32 v5, 1, v6
	v_mov_b32_e32 v3, v2
	v_add_u32_e32 v5, 1, v5
	v_cmp_lt_u32_e32 vcc, 13, v6
	v_mov_b32_e32 v8, 0
	s_and_saveexec_b64 s[8:9], vcc
	s_cbranch_execz .LBB50_30
; %bb.27:
	v_mov_b32_e32 v7, 0x1f0
	v_and_b32_e32 v6, -8, v5
	v_lshl_add_u32 v7, v0, 2, v7
	s_mov_b32 s28, 0
	s_mov_b64 s[10:11], 0
.LBB50_28:                              ; =>This Inner Loop Header: Depth=1
	ds_read2st64_b32 v[8:9], v7 offset1:2
	ds_read2st64_b32 v[10:11], v7 offset0:4 offset1:6
	ds_read2st64_b32 v[12:13], v7 offset0:8 offset1:10
	;; [unrolled: 1-line block ×3, first 2 shown]
	v_add_u32_e32 v6, -8, v6
	s_waitcnt lgkmcnt(3)
	v_pk_mul_f32 v[8:9], v[2:3], v[8:9]
	s_waitcnt lgkmcnt(2)
	v_pk_mul_f32 v[10:11], v[2:3], v[10:11]
	ds_write2st64_b32 v7, v8, v9 offset1:2
	ds_write2st64_b32 v7, v10, v11 offset0:4 offset1:6
	ds_read2st64_b32 v[10:11], v7 offset0:16 offset1:18
	s_waitcnt lgkmcnt(4)
	v_pk_mul_f32 v[8:9], v[2:3], v[12:13]
	ds_write2st64_b32 v7, v8, v9 offset0:8 offset1:10
	s_waitcnt lgkmcnt(4)
	v_pk_mul_f32 v[8:9], v[2:3], v[14:15]
	ds_write2st64_b32 v7, v8, v9 offset0:12 offset1:14
	ds_read2st64_b32 v[8:9], v7 offset0:20 offset1:22
	s_waitcnt lgkmcnt(3)
	v_pk_mul_f32 v[10:11], v[2:3], v[10:11]
	ds_read2st64_b32 v[12:13], v7 offset0:24 offset1:26
	ds_write2st64_b32 v7, v10, v11 offset0:16 offset1:18
	ds_read2st64_b32 v[10:11], v7 offset0:28 offset1:30
	s_waitcnt lgkmcnt(3)
	v_pk_mul_f32 v[8:9], v[2:3], v[8:9]
	ds_write2st64_b32 v7, v8, v9 offset0:20 offset1:22
	s_waitcnt lgkmcnt(3)
	v_pk_mul_f32 v[8:9], v[2:3], v[12:13]
	ds_write2st64_b32 v7, v8, v9 offset0:24 offset1:26
	s_waitcnt lgkmcnt(2)
	v_pk_mul_f32 v[8:9], v[2:3], v[10:11]
	s_add_i32 s28, s28, 16
	v_cmp_eq_u32_e32 vcc, 0, v6
	ds_write2st64_b32 v7, v8, v9 offset0:28 offset1:30
	v_add_u32_e32 v7, 0x2000, v7
	s_or_b64 s[10:11], vcc, s[10:11]
	v_mov_b32_e32 v8, s28
	s_andn2_b64 exec, exec, s[10:11]
	s_cbranch_execnz .LBB50_28
; %bb.29:
	s_or_b64 exec, exec, s[10:11]
.LBB50_30:
	s_or_b64 exec, exec, s[8:9]
	v_and_b32_e32 v5, 7, v5
	v_cmp_ne_u32_e32 vcc, 0, v5
	s_and_saveexec_b64 s[8:9], vcc
	s_cbranch_execz .LBB50_33
; %bb.31:
	v_lshlrev_b32_e32 v6, 9, v8
	s_movk_i32 s10, 0x1f0
	v_add3_u32 v6, v6, v82, s10
	s_mov_b64 s[10:11], 0
.LBB50_32:                              ; =>This Inner Loop Header: Depth=1
	ds_read2st64_b32 v[8:9], v6 offset1:2
	v_add_u32_e32 v5, -1, v5
	v_cmp_eq_u32_e32 vcc, 0, v5
	s_or_b64 s[10:11], vcc, s[10:11]
	s_waitcnt lgkmcnt(0)
	v_pk_mul_f32 v[8:9], v[2:3], v[8:9]
	ds_write2st64_b32 v6, v8, v9 offset1:2
	v_add_u32_e32 v6, 0x400, v6
	s_andn2_b64 exec, exec, s[10:11]
	s_cbranch_execnz .LBB50_32
.LBB50_33:
	s_or_b64 exec, exec, s[8:9]
	v_add_u32_e32 v4, 1, v4
	v_and_b32_e32 v5, 0x3fffffe, v4
	v_cmp_ne_u32_e32 vcc, v4, v5
	v_lshl_add_u32 v3, v5, 7, v0
	s_orn2_b64 s[8:9], vcc, exec
.LBB50_34:
	s_or_b64 exec, exec, s[2:3]
	s_and_b64 exec, exec, s[8:9]
	s_cbranch_execz .LBB50_37
; %bb.35:
	v_mov_b32_e32 v4, 0x1f0
	v_lshl_add_u32 v4, v3, 2, v4
	s_mov_b64 s[2:3], 0
.LBB50_36:                              ; =>This Inner Loop Header: Depth=1
	ds_read_b32 v5, v4
	v_add_u32_e32 v3, 0x80, v3
	v_cmp_le_i32_e32 vcc, s15, v3
	s_or_b64 s[2:3], vcc, s[2:3]
	s_waitcnt lgkmcnt(0)
	v_mul_f32_e32 v5, v2, v5
	ds_write_b32 v4, v5
	v_add_u32_e32 v4, 0x200, v4
	s_andn2_b64 exec, exec, s[2:3]
	s_cbranch_execnz .LBB50_36
.LBB50_37:
	s_or_b64 exec, exec, s[0:1]
	v_mov_b32_e32 v69, 0
	v_and_b32_e32 v90, 7, v0
	v_mov_b32_e32 v68, 0
	v_mov_b32_e32 v71, 0
	;; [unrolled: 1-line block ×14, first 2 shown]
	s_waitcnt lgkmcnt(0)
	s_barrier
	s_and_saveexec_b64 s[2:3], s[6:7]
	s_cbranch_execz .LBB50_71
; %bb.38:
	s_ashr_i32 s15, s14, 31
	s_lshl_b64 s[0:1], s[14:15], 2
	s_add_u32 s0, s26, s0
	v_lshlrev_b32_e32 v3, 4, v0
	s_addc_u32 s1, s27, s1
	v_and_b32_e32 v66, 0x3f0, v3
	v_mov_b32_e32 v67, 0
	v_and_b32_e32 v2, 28, v82
	s_add_i32 s11, s19, -1
	v_lshl_add_u64 v[82:83], s[0:1], 0, v[66:67]
	s_lshl_b64 s[0:1], s[24:25], 2
	v_lshl_or_b32 v91, v1, 5, v2
	v_lshlrev_b32_e32 v2, 4, v90
	s_add_u32 s0, s22, s0
	v_lshl_or_b32 v2, v1, 7, v2
	v_and_b32_e32 v66, 60, v84
	s_addc_u32 s1, s23, s1
	s_mov_b32 s10, s13
	s_mov_b32 s13, s17
	v_add_u32_e32 v92, 0x1f0, v2
	v_lshl_add_u64 v[84:85], s[0:1], 0, v[66:67]
	s_mov_b64 s[6:7], 0
	v_mov_b32_e32 v69, v67
	v_mov_b32_e32 v68, v67
	;; [unrolled: 1-line block ×14, first 2 shown]
	s_branch .LBB50_40
.LBB50_39:                              ;   in Loop: Header=BB50_40 Depth=1
	s_or_b64 exec, exec, s[8:9]
	s_waitcnt vmcnt(1) lgkmcnt(0)
	v_mul_f32_e32 v62, v2, v62
	v_mul_f32_e32 v58, v2, v58
	v_mul_f32_e32 v50, v2, v50
	v_mul_f32_e32 v46, v2, v46
	v_mul_f32_e32 v42, v2, v42
	v_mul_f32_e32 v38, v2, v38
	v_mul_f32_e32 v34, v2, v34
	v_mul_f32_e32 v30, v2, v30
	v_mul_f32_e32 v26, v2, v26
	v_mul_f32_e32 v22, v2, v22
	v_mul_f32_e32 v18, v2, v18
	v_mul_f32_e32 v14, v2, v14
	v_mul_f32_e32 v10, v2, v10
	v_mul_f32_e32 v6, v2, v6
	v_fmac_f32_e32 v62, v3, v63
	v_fmac_f32_e32 v58, v3, v59
	;; [unrolled: 1-line block ×28, first 2 shown]
	s_waitcnt vmcnt(0)
	v_pk_mul_f32 v[2:3], v[2:3], v[54:55]
	v_fmac_f32_e32 v62, v5, v65
	v_fmac_f32_e32 v58, v5, v61
	;; [unrolled: 1-line block ×14, first 2 shown]
	v_pk_mul_f32 v[4:5], v[4:5], v[56:57]
	v_add_f32_e32 v2, v3, v2
	v_add_f32_e32 v2, v4, v2
	v_add_u32_e32 v1, 2, v1
	v_add_f32_e32 v2, v5, v2
	v_cmp_le_i32_e32 vcc, s19, v1
	v_add_f32_e32 v69, v69, v62
	v_add_f32_e32 v68, v68, v58
	;; [unrolled: 1-line block ×15, first 2 shown]
	v_add_u32_e32 v91, 64, v91
	v_add_u32_e32 v92, 0x100, v92
	s_or_b64 s[6:7], vcc, s[6:7]
	v_lshl_add_u64 v[84:85], v[84:85], 0, 8
	s_andn2_b64 exec, exec, s[6:7]
	s_cbranch_execz .LBB50_70
.LBB50_40:                              ; =>This Inner Loop Header: Depth=1
	global_load_dword v2, v[84:85], off
	v_add_u32_e32 v94, 1, v91
	v_or_b32_e32 v93, 3, v91
	v_or_b32_e32 v66, 2, v91
	s_waitcnt vmcnt(0)
	v_mad_i64_i32 v[2:3], s[0:1], v2, s10, 0
	v_lshl_add_u64 v[54:55], v[2:3], 2, v[82:83]
	global_load_dwordx4 v[6:9], v[54:55], off
	ds_read_b128 v[2:5], v92
	v_cmp_eq_u32_e64 s[0:1], s11, v1
	s_and_saveexec_b64 s[8:9], s[0:1]
	s_cbranch_execnz .LBB50_67
; %bb.41:                               ;   in Loop: Header=BB50_40 Depth=1
	s_or_b64 exec, exec, s[8:9]
	global_load_dwordx4 v[10:13], v[54:55], off offset:1024
	s_and_saveexec_b64 s[8:9], s[0:1]
	s_cbranch_execnz .LBB50_68
.LBB50_42:                              ;   in Loop: Header=BB50_40 Depth=1
	s_or_b64 exec, exec, s[8:9]
	global_load_dwordx4 v[14:17], v[54:55], off offset:2048
	s_and_saveexec_b64 s[8:9], s[0:1]
	s_cbranch_execnz .LBB50_69
.LBB50_43:                              ;   in Loop: Header=BB50_40 Depth=1
	s_or_b64 exec, exec, s[8:9]
	global_load_dwordx4 v[18:21], v[54:55], off offset:3072
	s_and_saveexec_b64 s[8:9], s[0:1]
	s_cbranch_execz .LBB50_45
.LBB50_44:                              ;   in Loop: Header=BB50_40 Depth=1
	v_cmp_gt_i32_e32 vcc, s13, v94
	s_waitcnt vmcnt(0)
	s_nop 0
	v_cndmask_b32_e32 v19, 0, v19, vcc
	v_cmp_gt_i32_e32 vcc, s17, v91
	s_nop 1
	v_cndmask_b32_e32 v18, 0, v18, vcc
	v_cmp_gt_i32_e32 vcc, s13, v93
	;; [unrolled: 3-line block ×3, first 2 shown]
	s_nop 1
	v_cndmask_b32_e32 v20, 0, v20, vcc
.LBB50_45:                              ;   in Loop: Header=BB50_40 Depth=1
	s_or_b64 exec, exec, s[8:9]
	v_add_co_u32_e32 v22, vcc, 0x1000, v54
	s_nop 1
	v_addc_co_u32_e32 v23, vcc, 0, v55, vcc
	global_load_dwordx4 v[22:25], v[22:23], off
	s_and_saveexec_b64 s[8:9], s[0:1]
	s_cbranch_execz .LBB50_47
; %bb.46:                               ;   in Loop: Header=BB50_40 Depth=1
	v_cmp_gt_i32_e32 vcc, s13, v94
	s_waitcnt vmcnt(0)
	s_nop 0
	v_cndmask_b32_e32 v23, 0, v23, vcc
	v_cmp_gt_i32_e32 vcc, s17, v91
	s_nop 1
	v_cndmask_b32_e32 v22, 0, v22, vcc
	v_cmp_gt_i32_e32 vcc, s13, v93
	s_nop 1
	v_cndmask_b32_e32 v25, 0, v25, vcc
	v_cmp_gt_i32_e32 vcc, s17, v66
	s_nop 1
	v_cndmask_b32_e32 v24, 0, v24, vcc
.LBB50_47:                              ;   in Loop: Header=BB50_40 Depth=1
	s_or_b64 exec, exec, s[8:9]
	v_add_co_u32_e32 v26, vcc, 0x1000, v54
	s_nop 1
	v_addc_co_u32_e32 v27, vcc, 0, v55, vcc
	global_load_dwordx4 v[26:29], v[26:27], off offset:1024
	s_and_saveexec_b64 s[8:9], s[0:1]
	s_cbranch_execz .LBB50_49
; %bb.48:                               ;   in Loop: Header=BB50_40 Depth=1
	v_cmp_gt_i32_e32 vcc, s13, v94
	s_waitcnt vmcnt(0)
	s_nop 0
	v_cndmask_b32_e32 v27, 0, v27, vcc
	v_cmp_gt_i32_e32 vcc, s17, v91
	s_nop 1
	v_cndmask_b32_e32 v26, 0, v26, vcc
	v_cmp_gt_i32_e32 vcc, s13, v93
	s_nop 1
	v_cndmask_b32_e32 v29, 0, v29, vcc
	v_cmp_gt_i32_e32 vcc, s17, v66
	s_nop 1
	v_cndmask_b32_e32 v28, 0, v28, vcc
.LBB50_49:                              ;   in Loop: Header=BB50_40 Depth=1
	s_or_b64 exec, exec, s[8:9]
	v_add_co_u32_e32 v30, vcc, 0x1000, v54
	s_nop 1
	v_addc_co_u32_e32 v31, vcc, 0, v55, vcc
	global_load_dwordx4 v[30:33], v[30:31], off offset:2048
	;; [unrolled: 22-line block ×3, first 2 shown]
	s_and_saveexec_b64 s[8:9], s[0:1]
	s_cbranch_execz .LBB50_53
; %bb.52:                               ;   in Loop: Header=BB50_40 Depth=1
	v_cmp_gt_i32_e32 vcc, s13, v94
	s_waitcnt vmcnt(0)
	s_nop 0
	v_cndmask_b32_e32 v35, 0, v35, vcc
	v_cmp_gt_i32_e32 vcc, s17, v91
	s_nop 1
	v_cndmask_b32_e32 v34, 0, v34, vcc
	v_cmp_gt_i32_e32 vcc, s13, v93
	;; [unrolled: 3-line block ×3, first 2 shown]
	s_nop 1
	v_cndmask_b32_e32 v36, 0, v36, vcc
.LBB50_53:                              ;   in Loop: Header=BB50_40 Depth=1
	s_or_b64 exec, exec, s[8:9]
	v_add_co_u32_e32 v38, vcc, 0x2000, v54
	s_nop 1
	v_addc_co_u32_e32 v39, vcc, 0, v55, vcc
	global_load_dwordx4 v[38:41], v[38:39], off
	s_and_saveexec_b64 s[8:9], s[0:1]
	s_cbranch_execz .LBB50_55
; %bb.54:                               ;   in Loop: Header=BB50_40 Depth=1
	v_cmp_gt_i32_e32 vcc, s13, v94
	s_waitcnt vmcnt(0)
	s_nop 0
	v_cndmask_b32_e32 v39, 0, v39, vcc
	v_cmp_gt_i32_e32 vcc, s17, v91
	s_nop 1
	v_cndmask_b32_e32 v38, 0, v38, vcc
	v_cmp_gt_i32_e32 vcc, s13, v93
	s_nop 1
	v_cndmask_b32_e32 v41, 0, v41, vcc
	v_cmp_gt_i32_e32 vcc, s17, v66
	s_nop 1
	v_cndmask_b32_e32 v40, 0, v40, vcc
.LBB50_55:                              ;   in Loop: Header=BB50_40 Depth=1
	s_or_b64 exec, exec, s[8:9]
	v_add_co_u32_e32 v42, vcc, 0x2000, v54
	s_nop 1
	v_addc_co_u32_e32 v43, vcc, 0, v55, vcc
	global_load_dwordx4 v[42:45], v[42:43], off offset:1024
	s_and_saveexec_b64 s[8:9], s[0:1]
	s_cbranch_execz .LBB50_57
; %bb.56:                               ;   in Loop: Header=BB50_40 Depth=1
	v_cmp_gt_i32_e32 vcc, s13, v94
	s_waitcnt vmcnt(0)
	s_nop 0
	v_cndmask_b32_e32 v43, 0, v43, vcc
	v_cmp_gt_i32_e32 vcc, s17, v91
	s_nop 1
	v_cndmask_b32_e32 v42, 0, v42, vcc
	v_cmp_gt_i32_e32 vcc, s13, v93
	s_nop 1
	v_cndmask_b32_e32 v45, 0, v45, vcc
	v_cmp_gt_i32_e32 vcc, s17, v66
	s_nop 1
	v_cndmask_b32_e32 v44, 0, v44, vcc
.LBB50_57:                              ;   in Loop: Header=BB50_40 Depth=1
	s_or_b64 exec, exec, s[8:9]
	v_add_co_u32_e32 v46, vcc, 0x2000, v54
	s_nop 1
	v_addc_co_u32_e32 v47, vcc, 0, v55, vcc
	global_load_dwordx4 v[46:49], v[46:47], off offset:2048
	;; [unrolled: 22-line block ×3, first 2 shown]
	s_and_saveexec_b64 s[8:9], s[0:1]
	s_cbranch_execz .LBB50_61
; %bb.60:                               ;   in Loop: Header=BB50_40 Depth=1
	v_cmp_gt_i32_e32 vcc, s13, v94
	s_waitcnt vmcnt(0)
	s_nop 0
	v_cndmask_b32_e32 v51, 0, v51, vcc
	v_cmp_gt_i32_e32 vcc, s17, v91
	s_nop 1
	v_cndmask_b32_e32 v50, 0, v50, vcc
	v_cmp_gt_i32_e32 vcc, s13, v93
	;; [unrolled: 3-line block ×3, first 2 shown]
	s_nop 1
	v_cndmask_b32_e32 v52, 0, v52, vcc
.LBB50_61:                              ;   in Loop: Header=BB50_40 Depth=1
	s_or_b64 exec, exec, s[8:9]
	v_add_co_u32_e32 v56, vcc, 0x3000, v54
	s_nop 1
	v_addc_co_u32_e32 v57, vcc, 0, v55, vcc
	global_load_dwordx4 v[58:61], v[56:57], off
	s_and_saveexec_b64 s[8:9], s[0:1]
	s_cbranch_execz .LBB50_63
; %bb.62:                               ;   in Loop: Header=BB50_40 Depth=1
	v_cmp_gt_i32_e32 vcc, s13, v94
	s_waitcnt vmcnt(0)
	s_nop 0
	v_cndmask_b32_e32 v59, 0, v59, vcc
	v_cmp_gt_i32_e32 vcc, s17, v91
	s_nop 1
	v_cndmask_b32_e32 v58, 0, v58, vcc
	v_cmp_gt_i32_e32 vcc, s13, v93
	;; [unrolled: 3-line block ×3, first 2 shown]
	s_nop 1
	v_cndmask_b32_e32 v60, 0, v60, vcc
.LBB50_63:                              ;   in Loop: Header=BB50_40 Depth=1
	s_or_b64 exec, exec, s[8:9]
	v_add_co_u32_e32 v56, vcc, 0x3000, v54
	s_nop 1
	v_addc_co_u32_e32 v57, vcc, 0, v55, vcc
	global_load_dwordx4 v[62:65], v[56:57], off offset:1024
	s_and_saveexec_b64 s[8:9], s[0:1]
	s_cbranch_execz .LBB50_65
; %bb.64:                               ;   in Loop: Header=BB50_40 Depth=1
	v_cmp_gt_i32_e32 vcc, s13, v94
	s_waitcnt vmcnt(0)
	s_nop 0
	v_cndmask_b32_e32 v63, 0, v63, vcc
	v_cmp_gt_i32_e32 vcc, s17, v91
	s_nop 1
	v_cndmask_b32_e32 v62, 0, v62, vcc
	v_cmp_gt_i32_e32 vcc, s13, v93
	;; [unrolled: 3-line block ×3, first 2 shown]
	s_nop 1
	v_cndmask_b32_e32 v64, 0, v64, vcc
.LBB50_65:                              ;   in Loop: Header=BB50_40 Depth=1
	s_or_b64 exec, exec, s[8:9]
	v_add_co_u32_e32 v54, vcc, 0x3000, v54
	s_nop 1
	v_addc_co_u32_e32 v55, vcc, 0, v55, vcc
	global_load_dwordx4 v[54:57], v[54:55], off offset:2048
	s_and_saveexec_b64 s[8:9], s[0:1]
	s_cbranch_execz .LBB50_39
; %bb.66:                               ;   in Loop: Header=BB50_40 Depth=1
	v_cmp_gt_i32_e32 vcc, s13, v94
	s_waitcnt vmcnt(0)
	s_nop 0
	v_cndmask_b32_e32 v55, 0, v55, vcc
	v_cmp_gt_i32_e32 vcc, s17, v91
	s_nop 1
	v_cndmask_b32_e32 v54, 0, v54, vcc
	v_cmp_gt_i32_e32 vcc, s13, v93
	;; [unrolled: 3-line block ×3, first 2 shown]
	s_nop 1
	v_cndmask_b32_e32 v56, 0, v56, vcc
	s_branch .LBB50_39
.LBB50_67:                              ;   in Loop: Header=BB50_40 Depth=1
	v_cmp_gt_i32_e32 vcc, s13, v94
	s_waitcnt vmcnt(0)
	s_nop 0
	v_cndmask_b32_e32 v7, 0, v7, vcc
	v_cmp_gt_i32_e32 vcc, s17, v91
	s_nop 1
	v_cndmask_b32_e32 v6, 0, v6, vcc
	v_cmp_gt_i32_e32 vcc, s13, v93
	;; [unrolled: 3-line block ×3, first 2 shown]
	s_nop 1
	v_cndmask_b32_e32 v8, 0, v8, vcc
	s_or_b64 exec, exec, s[8:9]
	global_load_dwordx4 v[10:13], v[54:55], off offset:1024
	s_and_saveexec_b64 s[8:9], s[0:1]
	s_cbranch_execz .LBB50_42
.LBB50_68:                              ;   in Loop: Header=BB50_40 Depth=1
	v_cmp_gt_i32_e32 vcc, s13, v94
	s_waitcnt vmcnt(0)
	s_nop 0
	v_cndmask_b32_e32 v11, 0, v11, vcc
	v_cmp_gt_i32_e32 vcc, s17, v91
	s_nop 1
	v_cndmask_b32_e32 v10, 0, v10, vcc
	v_cmp_gt_i32_e32 vcc, s13, v93
	;; [unrolled: 3-line block ×3, first 2 shown]
	s_nop 1
	v_cndmask_b32_e32 v12, 0, v12, vcc
	s_or_b64 exec, exec, s[8:9]
	global_load_dwordx4 v[14:17], v[54:55], off offset:2048
	s_and_saveexec_b64 s[8:9], s[0:1]
	s_cbranch_execz .LBB50_43
.LBB50_69:                              ;   in Loop: Header=BB50_40 Depth=1
	v_cmp_gt_i32_e32 vcc, s13, v94
	s_waitcnt vmcnt(0)
	s_nop 0
	v_cndmask_b32_e32 v15, 0, v15, vcc
	v_cmp_gt_i32_e32 vcc, s17, v91
	s_nop 1
	v_cndmask_b32_e32 v14, 0, v14, vcc
	v_cmp_gt_i32_e32 vcc, s13, v93
	;; [unrolled: 3-line block ×3, first 2 shown]
	s_nop 1
	v_cndmask_b32_e32 v16, 0, v16, vcc
	s_or_b64 exec, exec, s[8:9]
	global_load_dwordx4 v[18:21], v[54:55], off offset:3072
	s_and_saveexec_b64 s[8:9], s[0:1]
	s_cbranch_execnz .LBB50_44
	s_branch .LBB50_45
.LBB50_70:
	s_or_b64 exec, exec, s[6:7]
.LBB50_71:
	s_or_b64 exec, exec, s[2:3]
	ds_bpermute_b32 v4, v87, v78
	ds_bpermute_b32 v5, v87, v79
	;; [unrolled: 1-line block ×6, first 2 shown]
	s_waitcnt lgkmcnt(4)
	v_pk_add_f32 v[4:5], v[78:79], v[4:5]
	ds_bpermute_b32 v8, v88, v4
	ds_bpermute_b32 v9, v88, v5
	s_waitcnt lgkmcnt(4)
	v_pk_add_f32 v[2:3], v[80:81], v[2:3]
	ds_bpermute_b32 v6, v88, v2
	ds_bpermute_b32 v7, v88, v3
	;; [unrolled: 1-line block ×3, first 2 shown]
	s_waitcnt lgkmcnt(3)
	v_pk_add_f32 v[4:5], v[4:5], v[8:9]
	v_pk_add_f32 v[8:9], v[76:77], v[10:11]
	ds_bpermute_b32 v10, v88, v8
	ds_bpermute_b32 v11, v88, v9
	;; [unrolled: 1-line block ×3, first 2 shown]
	s_waitcnt lgkmcnt(4)
	v_pk_add_f32 v[2:3], v[2:3], v[6:7]
	ds_bpermute_b32 v6, v89, v2
	ds_bpermute_b32 v7, v89, v3
	s_waitcnt lgkmcnt(3)
	v_pk_add_f32 v[8:9], v[8:9], v[10:11]
	s_waitcnt lgkmcnt(2)
	v_pk_add_f32 v[14:15], v[74:75], v[14:15]
	ds_bpermute_b32 v10, v89, v8
	ds_bpermute_b32 v11, v89, v9
	ds_bpermute_b32 v16, v88, v14
	ds_bpermute_b32 v17, v88, v15
	ds_bpermute_b32 v18, v87, v72
	ds_bpermute_b32 v19, v87, v73
	s_waitcnt lgkmcnt(6)
	v_pk_add_f32 v[6:7], v[2:3], v[6:7]
	s_waitcnt lgkmcnt(4)
	v_pk_add_f32 v[2:3], v[8:9], v[10:11]
	;; [unrolled: 2-line block ×3, first 2 shown]
	ds_bpermute_b32 v16, v87, v70
	ds_bpermute_b32 v17, v87, v71
	;; [unrolled: 1-line block ×4, first 2 shown]
	s_waitcnt lgkmcnt(4)
	v_pk_add_f32 v[10:11], v[72:73], v[18:19]
	ds_bpermute_b32 v18, v87, v68
	ds_bpermute_b32 v19, v87, v69
	s_waitcnt lgkmcnt(4)
	v_pk_add_f32 v[16:17], v[70:71], v[16:17]
	s_waitcnt lgkmcnt(2)
	v_pk_add_f32 v[4:5], v[4:5], v[12:13]
	ds_bpermute_b32 v12, v88, v10
	ds_bpermute_b32 v13, v88, v11
	ds_bpermute_b32 v20, v88, v16
	ds_bpermute_b32 v21, v88, v17
	ds_bpermute_b32 v1, v87, v67
	s_waitcnt lgkmcnt(5)
	v_pk_add_f32 v[18:19], v[68:69], v[18:19]
	s_waitcnt lgkmcnt(3)
	v_pk_add_f32 v[10:11], v[10:11], v[12:13]
	ds_bpermute_b32 v22, v88, v18
	ds_bpermute_b32 v23, v88, v19
	s_waitcnt lgkmcnt(3)
	v_pk_add_f32 v[16:17], v[16:17], v[20:21]
	s_waitcnt lgkmcnt(2)
	v_add_f32_e32 v1, v67, v1
	ds_bpermute_b32 v12, v89, v10
	ds_bpermute_b32 v13, v89, v11
	;; [unrolled: 1-line block ×5, first 2 shown]
	s_waitcnt lgkmcnt(5)
	v_pk_add_f32 v[18:19], v[18:19], v[22:23]
	ds_bpermute_b32 v14, v89, v8
	ds_bpermute_b32 v15, v89, v9
	;; [unrolled: 1-line block ×4, first 2 shown]
	s_waitcnt lgkmcnt(7)
	v_pk_add_f32 v[12:13], v[10:11], v[12:13]
	s_waitcnt lgkmcnt(5)
	v_pk_add_f32 v[10:11], v[16:17], v[20:21]
	s_waitcnt lgkmcnt(4)
	v_add_f32_e32 v16, v1, v24
	ds_bpermute_b32 v17, v89, v16
	v_and_b32_e32 v1, 0x3c7, v0
	s_waitcnt lgkmcnt(3)
	v_pk_add_f32 v[14:15], v[8:9], v[14:15]
	s_waitcnt lgkmcnt(1)
	v_pk_add_f32 v[8:9], v[18:19], v[22:23]
	v_cmp_ne_u32_e32 vcc, 64, v1
	s_waitcnt lgkmcnt(0)
	s_barrier
	s_and_saveexec_b64 s[0:1], vcc
	s_xor_b64 s[0:1], exec, s[0:1]
; %bb.72:
                                        ; implicit-def: $vgpr86
; %bb.73:
	s_or_saveexec_b64 s[0:1], s[0:1]
	v_add_f32_e32 v16, v16, v17
	s_xor_b64 exec, exec, s[0:1]
	s_cbranch_execz .LBB50_75
; %bb.74:
	v_lshrrev_b32_e32 v17, 1, v86
	v_add_u32_e32 v17, 0x1f0, v17
	ds_write2_b32 v17, v6, v7 offset1:8
	ds_write2_b32 v17, v4, v5 offset0:16 offset1:24
	ds_write2_b32 v17, v2, v3 offset0:32 offset1:40
	;; [unrolled: 1-line block ×6, first 2 shown]
	ds_write_b32 v17, v16 offset:448
.LBB50_75:
	s_or_b64 exec, exec, s[0:1]
	v_cmp_gt_u32_e32 vcc, 64, v0
	v_lshrrev_b32_e32 v0, 3, v0
	s_waitcnt lgkmcnt(0)
	s_barrier
	s_and_saveexec_b64 s[0:1], vcc
	s_cbranch_execz .LBB50_93
; %bb.76:
	v_mov_b32_e32 v17, 0x1f0
	v_cmp_eq_u32_e32 vcc, 0, v90
	v_lshl_add_u32 v17, v0, 2, v17
	s_and_saveexec_b64 s[2:3], vcc
	s_cbranch_execnz .LBB50_96
; %bb.77:
	s_or_b64 exec, exec, s[2:3]
	s_and_saveexec_b64 s[2:3], vcc
	s_cbranch_execnz .LBB50_97
.LBB50_78:
	s_or_b64 exec, exec, s[2:3]
	s_and_saveexec_b64 s[2:3], vcc
	s_cbranch_execnz .LBB50_98
.LBB50_79:
	s_or_b64 exec, exec, s[2:3]
	s_and_saveexec_b64 s[2:3], vcc
	s_cbranch_execnz .LBB50_99
.LBB50_80:
	s_or_b64 exec, exec, s[2:3]
	s_and_saveexec_b64 s[2:3], vcc
	s_cbranch_execnz .LBB50_100
.LBB50_81:
	s_or_b64 exec, exec, s[2:3]
	s_and_saveexec_b64 s[2:3], vcc
	s_cbranch_execnz .LBB50_101
.LBB50_82:
	s_or_b64 exec, exec, s[2:3]
	s_and_saveexec_b64 s[2:3], vcc
	s_cbranch_execnz .LBB50_102
.LBB50_83:
	s_or_b64 exec, exec, s[2:3]
	s_and_saveexec_b64 s[2:3], vcc
	s_cbranch_execnz .LBB50_103
.LBB50_84:
	s_or_b64 exec, exec, s[2:3]
	s_and_saveexec_b64 s[2:3], vcc
	s_cbranch_execnz .LBB50_104
.LBB50_85:
	s_or_b64 exec, exec, s[2:3]
	s_and_saveexec_b64 s[2:3], vcc
	s_cbranch_execnz .LBB50_105
.LBB50_86:
	s_or_b64 exec, exec, s[2:3]
	s_and_saveexec_b64 s[2:3], vcc
	s_cbranch_execnz .LBB50_106
.LBB50_87:
	s_or_b64 exec, exec, s[2:3]
	s_and_saveexec_b64 s[2:3], vcc
	s_cbranch_execnz .LBB50_107
.LBB50_88:
	s_or_b64 exec, exec, s[2:3]
	s_and_saveexec_b64 s[2:3], vcc
	s_cbranch_execnz .LBB50_108
.LBB50_89:
	s_or_b64 exec, exec, s[2:3]
	s_and_saveexec_b64 s[2:3], vcc
	s_cbranch_execnz .LBB50_109
.LBB50_90:
	s_or_b64 exec, exec, s[2:3]
	s_and_saveexec_b64 s[2:3], vcc
	s_cbranch_execz .LBB50_92
.LBB50_91:
	ds_read_b32 v17, v17 offset:448
	s_waitcnt lgkmcnt(0)
	v_add_f32_e32 v16, v16, v17
.LBB50_92:
	s_or_b64 exec, exec, s[2:3]
.LBB50_93:
	s_or_b64 exec, exec, s[0:1]
	v_cmp_eq_u32_e32 vcc, 0, v1
	s_barrier
	s_and_saveexec_b64 s[0:1], vcc
	s_cbranch_execz .LBB50_95
; %bb.94:
	s_mul_i32 s0, s16, s12
	s_mul_i32 s0, s0, s5
	s_mulk_i32 s0, 0x78
	s_ashr_i32 s1, s0, 31
	s_lshl_b64 s[0:1], s[0:1], 2
	s_add_u32 s2, s20, s0
	s_mul_i32 s0, s12, s18
	s_addc_u32 s3, s21, s1
	s_ashr_i32 s1, s0, 31
	s_lshl_b64 s[0:1], s[0:1], 2
	s_add_u32 s2, s2, s0
	s_mul_i32 s0, s4, 0x78
	s_addc_u32 s3, s3, s1
	s_ashr_i32 s1, s0, 31
	s_lshl_b64 s[0:1], s[0:1], 2
	s_add_u32 s0, s2, s0
	s_addc_u32 s1, s3, s1
	v_lshlrev_b32_e32 v0, 2, v0
	global_store_dword v0, v6, s[0:1]
	global_store_dword v0, v7, s[0:1] offset:32
	global_store_dword v0, v4, s[0:1] offset:64
	;; [unrolled: 1-line block ×14, first 2 shown]
.LBB50_95:
	s_endpgm
.LBB50_96:
	ds_read_b32 v18, v17
	s_waitcnt lgkmcnt(0)
	v_add_f32_e32 v6, v6, v18
	s_or_b64 exec, exec, s[2:3]
	s_and_saveexec_b64 s[2:3], vcc
	s_cbranch_execz .LBB50_78
.LBB50_97:
	ds_read_b32 v18, v17 offset:32
	s_waitcnt lgkmcnt(0)
	v_add_f32_e32 v7, v7, v18
	s_or_b64 exec, exec, s[2:3]
	s_and_saveexec_b64 s[2:3], vcc
	s_cbranch_execz .LBB50_79
.LBB50_98:
	ds_read_b32 v18, v17 offset:64
	s_waitcnt lgkmcnt(0)
	v_add_f32_e32 v4, v4, v18
	s_or_b64 exec, exec, s[2:3]
	s_and_saveexec_b64 s[2:3], vcc
	s_cbranch_execz .LBB50_80
.LBB50_99:
	ds_read_b32 v18, v17 offset:96
	s_waitcnt lgkmcnt(0)
	v_add_f32_e32 v5, v5, v18
	s_or_b64 exec, exec, s[2:3]
	s_and_saveexec_b64 s[2:3], vcc
	s_cbranch_execz .LBB50_81
.LBB50_100:
	ds_read_b32 v18, v17 offset:128
	s_waitcnt lgkmcnt(0)
	v_add_f32_e32 v2, v2, v18
	s_or_b64 exec, exec, s[2:3]
	s_and_saveexec_b64 s[2:3], vcc
	s_cbranch_execz .LBB50_82
.LBB50_101:
	ds_read_b32 v18, v17 offset:160
	s_waitcnt lgkmcnt(0)
	v_add_f32_e32 v3, v3, v18
	s_or_b64 exec, exec, s[2:3]
	s_and_saveexec_b64 s[2:3], vcc
	s_cbranch_execz .LBB50_83
.LBB50_102:
	ds_read_b32 v18, v17 offset:192
	s_waitcnt lgkmcnt(0)
	v_add_f32_e32 v14, v14, v18
	s_or_b64 exec, exec, s[2:3]
	s_and_saveexec_b64 s[2:3], vcc
	s_cbranch_execz .LBB50_84
.LBB50_103:
	ds_read_b32 v18, v17 offset:224
	s_waitcnt lgkmcnt(0)
	v_add_f32_e32 v15, v15, v18
	s_or_b64 exec, exec, s[2:3]
	s_and_saveexec_b64 s[2:3], vcc
	s_cbranch_execz .LBB50_85
.LBB50_104:
	ds_read_b32 v18, v17 offset:256
	s_waitcnt lgkmcnt(0)
	v_add_f32_e32 v12, v12, v18
	s_or_b64 exec, exec, s[2:3]
	s_and_saveexec_b64 s[2:3], vcc
	s_cbranch_execz .LBB50_86
.LBB50_105:
	ds_read_b32 v18, v17 offset:288
	s_waitcnt lgkmcnt(0)
	v_add_f32_e32 v13, v13, v18
	s_or_b64 exec, exec, s[2:3]
	s_and_saveexec_b64 s[2:3], vcc
	s_cbranch_execz .LBB50_87
.LBB50_106:
	ds_read_b32 v18, v17 offset:320
	s_waitcnt lgkmcnt(0)
	v_add_f32_e32 v10, v10, v18
	s_or_b64 exec, exec, s[2:3]
	s_and_saveexec_b64 s[2:3], vcc
	s_cbranch_execz .LBB50_88
.LBB50_107:
	ds_read_b32 v18, v17 offset:352
	s_waitcnt lgkmcnt(0)
	v_add_f32_e32 v11, v11, v18
	s_or_b64 exec, exec, s[2:3]
	s_and_saveexec_b64 s[2:3], vcc
	s_cbranch_execz .LBB50_89
.LBB50_108:
	ds_read_b32 v18, v17 offset:384
	s_waitcnt lgkmcnt(0)
	v_add_f32_e32 v8, v8, v18
	s_or_b64 exec, exec, s[2:3]
	s_and_saveexec_b64 s[2:3], vcc
	s_cbranch_execz .LBB50_90
.LBB50_109:
	ds_read_b32 v18, v17 offset:416
	s_waitcnt lgkmcnt(0)
	v_add_f32_e32 v9, v9, v18
	s_or_b64 exec, exec, s[2:3]
	s_and_saveexec_b64 s[2:3], vcc
	s_cbranch_execnz .LBB50_91
	s_branch .LBB50_92
	.section	.rodata,"a",@progbits
	.p2align	6, 0x0
	.amdhsa_kernel _ZN4vllm25paged_attention_v1_kernelIffLi120ELi32ELi128ELNS_18Fp8KVCacheDataTypeE0ELb0EEEvPT_PKS2_PKT0_S8_ifPKiSA_iPKfiiiSC_SC_iiiii
		.amdhsa_group_segment_fixed_size 496
		.amdhsa_private_segment_fixed_size 0
		.amdhsa_kernarg_size 384
		.amdhsa_user_sgpr_count 2
		.amdhsa_user_sgpr_dispatch_ptr 0
		.amdhsa_user_sgpr_queue_ptr 0
		.amdhsa_user_sgpr_kernarg_segment_ptr 1
		.amdhsa_user_sgpr_dispatch_id 0
		.amdhsa_user_sgpr_kernarg_preload_length 0
		.amdhsa_user_sgpr_kernarg_preload_offset 0
		.amdhsa_user_sgpr_private_segment_size 0
		.amdhsa_uses_dynamic_stack 0
		.amdhsa_enable_private_segment 0
		.amdhsa_system_sgpr_workgroup_id_x 1
		.amdhsa_system_sgpr_workgroup_id_y 1
		.amdhsa_system_sgpr_workgroup_id_z 1
		.amdhsa_system_sgpr_workgroup_info 0
		.amdhsa_system_vgpr_workitem_id 0
		.amdhsa_next_free_vgpr 98
		.amdhsa_next_free_sgpr 39
		.amdhsa_accum_offset 100
		.amdhsa_reserve_vcc 1
		.amdhsa_float_round_mode_32 0
		.amdhsa_float_round_mode_16_64 0
		.amdhsa_float_denorm_mode_32 3
		.amdhsa_float_denorm_mode_16_64 3
		.amdhsa_dx10_clamp 1
		.amdhsa_ieee_mode 1
		.amdhsa_fp16_overflow 0
		.amdhsa_tg_split 0
		.amdhsa_exception_fp_ieee_invalid_op 0
		.amdhsa_exception_fp_denorm_src 0
		.amdhsa_exception_fp_ieee_div_zero 0
		.amdhsa_exception_fp_ieee_overflow 0
		.amdhsa_exception_fp_ieee_underflow 0
		.amdhsa_exception_fp_ieee_inexact 0
		.amdhsa_exception_int_div_zero 0
	.end_amdhsa_kernel
	.section	.text._ZN4vllm25paged_attention_v1_kernelIffLi120ELi32ELi128ELNS_18Fp8KVCacheDataTypeE0ELb0EEEvPT_PKS2_PKT0_S8_ifPKiSA_iPKfiiiSC_SC_iiiii,"axG",@progbits,_ZN4vllm25paged_attention_v1_kernelIffLi120ELi32ELi128ELNS_18Fp8KVCacheDataTypeE0ELb0EEEvPT_PKS2_PKT0_S8_ifPKiSA_iPKfiiiSC_SC_iiiii,comdat
.Lfunc_end50:
	.size	_ZN4vllm25paged_attention_v1_kernelIffLi120ELi32ELi128ELNS_18Fp8KVCacheDataTypeE0ELb0EEEvPT_PKS2_PKT0_S8_ifPKiSA_iPKfiiiSC_SC_iiiii, .Lfunc_end50-_ZN4vllm25paged_attention_v1_kernelIffLi120ELi32ELi128ELNS_18Fp8KVCacheDataTypeE0ELb0EEEvPT_PKS2_PKT0_S8_ifPKiSA_iPKfiiiSC_SC_iiiii
                                        ; -- End function
	.set _ZN4vllm25paged_attention_v1_kernelIffLi120ELi32ELi128ELNS_18Fp8KVCacheDataTypeE0ELb0EEEvPT_PKS2_PKT0_S8_ifPKiSA_iPKfiiiSC_SC_iiiii.num_vgpr, 98
	.set _ZN4vllm25paged_attention_v1_kernelIffLi120ELi32ELi128ELNS_18Fp8KVCacheDataTypeE0ELb0EEEvPT_PKS2_PKT0_S8_ifPKiSA_iPKfiiiSC_SC_iiiii.num_agpr, 0
	.set _ZN4vllm25paged_attention_v1_kernelIffLi120ELi32ELi128ELNS_18Fp8KVCacheDataTypeE0ELb0EEEvPT_PKS2_PKT0_S8_ifPKiSA_iPKfiiiSC_SC_iiiii.numbered_sgpr, 39
	.set _ZN4vllm25paged_attention_v1_kernelIffLi120ELi32ELi128ELNS_18Fp8KVCacheDataTypeE0ELb0EEEvPT_PKS2_PKT0_S8_ifPKiSA_iPKfiiiSC_SC_iiiii.num_named_barrier, 0
	.set _ZN4vllm25paged_attention_v1_kernelIffLi120ELi32ELi128ELNS_18Fp8KVCacheDataTypeE0ELb0EEEvPT_PKS2_PKT0_S8_ifPKiSA_iPKfiiiSC_SC_iiiii.private_seg_size, 0
	.set _ZN4vllm25paged_attention_v1_kernelIffLi120ELi32ELi128ELNS_18Fp8KVCacheDataTypeE0ELb0EEEvPT_PKS2_PKT0_S8_ifPKiSA_iPKfiiiSC_SC_iiiii.uses_vcc, 1
	.set _ZN4vllm25paged_attention_v1_kernelIffLi120ELi32ELi128ELNS_18Fp8KVCacheDataTypeE0ELb0EEEvPT_PKS2_PKT0_S8_ifPKiSA_iPKfiiiSC_SC_iiiii.uses_flat_scratch, 0
	.set _ZN4vllm25paged_attention_v1_kernelIffLi120ELi32ELi128ELNS_18Fp8KVCacheDataTypeE0ELb0EEEvPT_PKS2_PKT0_S8_ifPKiSA_iPKfiiiSC_SC_iiiii.has_dyn_sized_stack, 0
	.set _ZN4vllm25paged_attention_v1_kernelIffLi120ELi32ELi128ELNS_18Fp8KVCacheDataTypeE0ELb0EEEvPT_PKS2_PKT0_S8_ifPKiSA_iPKfiiiSC_SC_iiiii.has_recursion, 0
	.set _ZN4vllm25paged_attention_v1_kernelIffLi120ELi32ELi128ELNS_18Fp8KVCacheDataTypeE0ELb0EEEvPT_PKS2_PKT0_S8_ifPKiSA_iPKfiiiSC_SC_iiiii.has_indirect_call, 0
	.section	.AMDGPU.csdata,"",@progbits
; Kernel info:
; codeLenInByte = 6716
; TotalNumSgprs: 45
; NumVgprs: 98
; NumAgprs: 0
; TotalNumVgprs: 98
; ScratchSize: 0
; MemoryBound: 0
; FloatMode: 240
; IeeeMode: 1
; LDSByteSize: 496 bytes/workgroup (compile time only)
; SGPRBlocks: 5
; VGPRBlocks: 12
; NumSGPRsForWavesPerEU: 45
; NumVGPRsForWavesPerEU: 98
; AccumOffset: 100
; Occupancy: 4
; WaveLimiterHint : 1
; COMPUTE_PGM_RSRC2:SCRATCH_EN: 0
; COMPUTE_PGM_RSRC2:USER_SGPR: 2
; COMPUTE_PGM_RSRC2:TRAP_HANDLER: 0
; COMPUTE_PGM_RSRC2:TGID_X_EN: 1
; COMPUTE_PGM_RSRC2:TGID_Y_EN: 1
; COMPUTE_PGM_RSRC2:TGID_Z_EN: 1
; COMPUTE_PGM_RSRC2:TIDIG_COMP_CNT: 0
; COMPUTE_PGM_RSRC3_GFX90A:ACCUM_OFFSET: 24
; COMPUTE_PGM_RSRC3_GFX90A:TG_SPLIT: 0
	.section	.text._ZN4vllm25paged_attention_v1_kernelIffLi128ELi32ELi128ELNS_18Fp8KVCacheDataTypeE0ELb0EEEvPT_PKS2_PKT0_S8_ifPKiSA_iPKfiiiSC_SC_iiiii,"axG",@progbits,_ZN4vllm25paged_attention_v1_kernelIffLi128ELi32ELi128ELNS_18Fp8KVCacheDataTypeE0ELb0EEEvPT_PKS2_PKT0_S8_ifPKiSA_iPKfiiiSC_SC_iiiii,comdat
	.protected	_ZN4vllm25paged_attention_v1_kernelIffLi128ELi32ELi128ELNS_18Fp8KVCacheDataTypeE0ELb0EEEvPT_PKS2_PKT0_S8_ifPKiSA_iPKfiiiSC_SC_iiiii ; -- Begin function _ZN4vllm25paged_attention_v1_kernelIffLi128ELi32ELi128ELNS_18Fp8KVCacheDataTypeE0ELb0EEEvPT_PKS2_PKT0_S8_ifPKiSA_iPKfiiiSC_SC_iiiii
	.globl	_ZN4vllm25paged_attention_v1_kernelIffLi128ELi32ELi128ELNS_18Fp8KVCacheDataTypeE0ELb0EEEvPT_PKS2_PKT0_S8_ifPKiSA_iPKfiiiSC_SC_iiiii
	.p2align	8
	.type	_ZN4vllm25paged_attention_v1_kernelIffLi128ELi32ELi128ELNS_18Fp8KVCacheDataTypeE0ELb0EEEvPT_PKS2_PKT0_S8_ifPKiSA_iPKfiiiSC_SC_iiiii,@function
_ZN4vllm25paged_attention_v1_kernelIffLi128ELi32ELi128ELNS_18Fp8KVCacheDataTypeE0ELb0EEEvPT_PKS2_PKT0_S8_ifPKiSA_iPKfiiiSC_SC_iiiii: ; @_ZN4vllm25paged_attention_v1_kernelIffLi128ELi32ELi128ELNS_18Fp8KVCacheDataTypeE0ELb0EEEvPT_PKS2_PKT0_S8_ifPKiSA_iPKfiiiSC_SC_iiiii
; %bb.0:
	s_load_dword s5, s[0:1], 0x80
	s_load_dwordx2 s[6:7], s[0:1], 0x30
	s_load_dwordx2 s[30:31], s[0:1], 0x20
	s_mov_b32 s14, s3
	s_ashr_i32 s15, s3, 31
	s_lshl_b64 s[8:9], s[14:15], 2
	s_waitcnt lgkmcnt(0)
	s_add_u32 s6, s6, s8
	s_addc_u32 s7, s7, s9
	s_abs_i32 s3, s30
	v_cvt_f32_u32_e32 v1, s3
	s_sub_i32 s10, 0, s3
	s_abs_i32 s9, s5
	s_xor_b32 s8, s5, s30
	v_rcp_iflag_f32_e32 v1, v1
	s_ashr_i32 s8, s8, 31
	s_mov_b32 s30, 0
	v_mul_f32_e32 v1, 0x4f7ffffe, v1
	v_cvt_u32_f32_e32 v1, v1
	s_nop 0
	v_readfirstlane_b32 s11, v1
	s_mul_i32 s10, s10, s11
	s_mul_hi_u32 s10, s11, s10
	s_add_i32 s11, s11, s10
	s_mul_hi_u32 s10, s9, s11
	s_mul_i32 s11, s10, s3
	s_sub_i32 s9, s9, s11
	s_add_i32 s11, s10, 1
	s_sub_i32 s12, s9, s3
	s_cmp_ge_u32 s9, s3
	s_cselect_b32 s10, s11, s10
	s_cselect_b32 s9, s12, s9
	s_add_i32 s11, s10, 1
	s_cmp_ge_u32 s9, s3
	s_cselect_b32 s3, s11, s10
	s_xor_b32 s3, s3, s8
	s_sub_i32 s13, s3, s8
	s_abs_i32 s10, s13
	v_cvt_f32_u32_e32 v1, s10
	s_load_dwordx2 s[8:9], s[0:1], 0x40
	s_sub_i32 s3, 0, s10
	s_abs_i32 s11, s2
	v_rcp_iflag_f32_e32 v1, v1
	s_nop 0
	v_mul_f32_e32 v1, 0x4f7ffffe, v1
	v_cvt_u32_f32_e32 v1, v1
	s_nop 0
	v_readfirstlane_b32 s12, v1
	s_mul_i32 s3, s3, s12
	s_mul_hi_u32 s3, s12, s3
	s_add_i32 s12, s12, s3
	s_waitcnt lgkmcnt(0)
	s_cmp_eq_u64 s[8:9], 0
	s_mul_hi_u32 s12, s11, s12
	s_cbranch_scc1 .LBB51_2
; %bb.1:
	s_ashr_i32 s3, s2, 31
	s_lshl_b64 s[16:17], s[2:3], 2
	s_add_u32 s8, s8, s16
	s_addc_u32 s9, s9, s17
	s_load_dword s30, s[8:9], 0x0
.LBB51_2:
	s_load_dword s33, s[6:7], 0x0
	s_load_dwordx4 s[16:19], s[0:1], 0x48
	s_ashr_i32 s8, s2, 31
	s_ashr_i32 s9, s13, 31
	v_and_b32_e32 v42, 1, v0
	s_lshl_b32 s20, s2, 7
	v_cmp_gt_u32_e64 s[6:7], 64, v0
	v_lshlrev_b32_e32 v2, 3, v0
	v_lshlrev_b32_e32 v86, 2, v0
	s_and_saveexec_b64 s[2:3], s[6:7]
	s_cbranch_execz .LBB51_4
; %bb.3:
	s_load_dwordx2 s[22:23], s[0:1], 0x8
	s_waitcnt lgkmcnt(0)
	s_mul_i32 s24, s16, s14
	s_ashr_i32 s25, s24, 31
	s_lshl_b64 s[24:25], s[24:25], 2
	v_and_b32_e32 v1, 0xff8, v86
	s_add_u32 s13, s22, s24
	s_addc_u32 s15, s23, s25
	s_ashr_i32 s21, s20, 31
	s_lshl_b64 s[22:23], s[20:21], 2
	s_add_u32 s22, s13, s22
	s_addc_u32 s23, s15, s23
	global_load_dwordx2 v[4:5], v2, s[22:23]
	v_lshl_add_u32 v1, v42, 8, v1
	s_waitcnt vmcnt(0)
	ds_write_b64 v1, v[4:5]
.LBB51_4:
	s_or_b64 exec, exec, s[2:3]
	s_waitcnt lgkmcnt(0)
	s_add_i32 s3, s33, 31
	s_ashr_i32 s13, s3, 31
	s_lshr_b32 s13, s13, 27
	s_add_i32 s3, s3, s13
	s_ashr_i32 s16, s3, 5
	s_xor_b32 s3, s8, s9
	s_mul_i32 s8, s12, s10
	s_sub_i32 s8, s11, s8
	s_add_i32 s9, s12, 1
	s_sub_i32 s11, s8, s10
	s_load_dwordx2 s[24:25], s[0:1], 0x28
	s_load_dword s2, s[0:1], 0x38
	s_cmp_ge_u32 s8, s10
	s_cselect_b32 s9, s9, s12
	s_cselect_b32 s8, s11, s8
	s_add_i32 s11, s9, 1
	s_cmp_ge_u32 s8, s10
	s_cselect_b32 s8, s11, s9
	v_lshrrev_b32_e32 v1, 6, v0
	s_xor_b32 s8, s8, s3
	s_waitcnt lgkmcnt(0)
	s_mul_i32 s26, s2, s14
	s_sub_i32 s10, s8, s3
	s_ashr_i32 s27, s26, 31
	v_cmp_gt_i32_e64 s[2:3], s16, v1
	v_cmp_le_i32_e32 vcc, s16, v1
	v_mbcnt_lo_u32_b32 v43, -1, 0
	s_barrier
                                        ; implicit-def: $vgpr76
                                        ; implicit-def: $vgpr77
                                        ; implicit-def: $vgpr78
	s_and_saveexec_b64 s[8:9], vcc
	s_xor_b64 s[8:9], exec, s[8:9]
; %bb.5:
	v_mbcnt_hi_u32_b32 v76, -1, v43
	v_and_b32_e32 v77, 64, v76
	v_add_u32_e32 v78, 64, v77
                                        ; implicit-def: $vgpr2
                                        ; implicit-def: $vgpr42
                                        ; implicit-def: $vgpr43
; %bb.6:
	s_or_saveexec_b64 s[34:35], s[8:9]
	s_load_dwordx2 s[22:23], s[0:1], 0x0
	s_load_dwordx2 s[28:29], s[0:1], 0x18
	s_load_dword s15, s[0:1], 0x88
	v_mov_b32_e32 v79, 0xff7fffff
	s_mul_i32 s18, s10, s18
	v_lshrrev_b32_e32 v88, 4, v0
	s_xor_b64 exec, exec, s[34:35]
	s_cbranch_execz .LBB51_12
; %bb.7:
	s_load_dwordx2 s[0:1], s[0:1], 0x10
	s_ashr_i32 s19, s18, 31
	s_lshl_b64 s[8:9], s[18:19], 2
	v_bfe_u32 v46, v0, 1, 5
	v_lshlrev_b32_e32 v44, 4, v46
	s_waitcnt lgkmcnt(0)
	s_add_u32 s0, s0, s8
	s_addc_u32 s1, s1, s9
	v_mov_b32_e32 v45, 0
	v_lshl_add_u64 v[4:5], s[0:1], 0, v[44:45]
	v_and_b32_e32 v44, 8, v2
	v_lshlrev_b32_e32 v62, 8, v42
	v_mbcnt_hi_u32_b32 v76, -1, v43
	v_lshl_add_u64 v[66:67], v[4:5], 0, v[44:45]
	ds_read_b128 v[2:5], v62
	ds_read_b128 v[6:9], v62 offset:16
	ds_read_b128 v[10:13], v62 offset:32
	;; [unrolled: 1-line block ×9, first 2 shown]
	v_and_b32_e32 v77, 64, v76
	v_xor_b32_e32 v43, 1, v76
	v_add_u32_e32 v78, 64, v77
	s_sub_i32 s19, 1, s33
	s_lshl_b64 s[8:9], s[26:27], 2
	v_lshlrev_b32_e32 v47, 2, v46
	v_cmp_lt_i32_e32 vcc, v43, v78
	s_add_u32 s8, s24, s8
	v_and_b32_e32 v44, 60, v88
	v_cndmask_b32_e32 v43, v76, v43, vcc
	v_cmp_eq_u32_e32 vcc, 0, v42
	v_lshl_or_b32 v42, v1, 7, v47
	s_addc_u32 s9, s25, s9
	v_lshlrev_b32_e32 v80, 2, v43
	v_lshl_or_b32 v81, v1, 5, v46
	v_add_u32_e32 v82, 0x210, v42
	v_lshl_add_u64 v[68:69], s[8:9], 0, v[44:45]
	ds_read_b128 v[42:45], v62 offset:160
	ds_read_b128 v[46:49], v62 offset:176
	;; [unrolled: 1-line block ×6, first 2 shown]
	s_mov_b32 s21, s17
	v_cmp_neq_f32_e64 s[0:1], s30, 0
	v_mov_b32_e32 v79, 0xff7fffff
	s_mov_b64 s[36:37], 0
	s_movk_i32 s38, 0x1000
	s_movk_i32 s39, 0x2000
	;; [unrolled: 1-line block ×3, first 2 shown]
	v_mov_b32_e32 v83, v1
	s_branch .LBB51_9
.LBB51_8:                               ;   in Loop: Header=BB51_9 Depth=1
	s_or_b64 exec, exec, s[10:11]
	v_add_u32_e32 v83, 2, v83
	v_cmp_le_i32_e64 s[8:9], s16, v83
	v_add_u32_e32 v81, 64, v81
	v_add_u32_e32 v82, 0x100, v82
	s_or_b64 s[36:37], s[8:9], s[36:37]
	v_lshl_add_u64 v[68:69], v[68:69], 0, 8
	s_andn2_b64 exec, exec, s[36:37]
	s_cbranch_execz .LBB51_11
.LBB51_9:                               ; =>This Inner Loop Header: Depth=1
	global_load_dword v70, v[68:69], off
	s_waitcnt vmcnt(0) lgkmcnt(0)
	v_mad_i64_i32 v[70:71], s[8:9], v70, s21, 0
	v_lshl_add_u64 v[90:91], v[70:71], 2, v[66:67]
	global_load_dwordx2 v[70:71], v[90:91], off offset:512
	global_load_dwordx2 v[72:73], v[90:91], off
	global_load_dwordx2 v[92:93], v[90:91], off offset:1024
	global_load_dwordx2 v[94:95], v[90:91], off offset:1536
	;; [unrolled: 1-line block ×4, first 2 shown]
	v_add_co_u32_e64 v74, s[8:9], s38, v90
	s_waitcnt vmcnt(5) lgkmcnt(14)
	v_mul_f32_e32 v84, v4, v70
	v_mul_f32_e32 v85, v5, v71
	s_waitcnt vmcnt(4)
	v_fmac_f32_e32 v84, v2, v72
	v_fmac_f32_e32 v85, v3, v73
	v_add_co_u32_e64 v72, s[10:11], s39, v90
	s_waitcnt vmcnt(3)
	v_fmac_f32_e32 v84, v6, v92
	v_fmac_f32_e32 v85, v7, v93
	v_add_co_u32_e64 v70, s[12:13], s40, v90
	global_load_dwordx2 v[92:93], v[90:91], off offset:3072
	v_addc_co_u32_e64 v75, s[8:9], 0, v91, s[8:9]
	v_addc_co_u32_e64 v73, s[8:9], 0, v91, s[10:11]
	;; [unrolled: 1-line block ×3, first 2 shown]
	global_load_dwordx2 v[90:91], v[90:91], off offset:3584
	s_waitcnt vmcnt(4)
	v_fmac_f32_e32 v84, v8, v94
	v_fmac_f32_e32 v85, v9, v95
	global_load_dwordx2 v[94:95], v[72:73], off offset:-4096
	s_waitcnt vmcnt(4) lgkmcnt(13)
	v_fmac_f32_e32 v84, v10, v96
	v_fmac_f32_e32 v85, v11, v97
	global_load_dwordx2 v[96:97], v[74:75], off offset:512
	s_waitcnt vmcnt(4)
	v_fmac_f32_e32 v84, v12, v98
	v_fmac_f32_e32 v85, v13, v99
	s_waitcnt vmcnt(3) lgkmcnt(12)
	v_fmac_f32_e32 v84, v14, v92
	v_fmac_f32_e32 v85, v15, v93
	global_load_dwordx2 v[92:93], v[74:75], off offset:1024
	s_waitcnt vmcnt(3)
	v_fmac_f32_e32 v84, v16, v90
	v_fmac_f32_e32 v85, v17, v91
	global_load_dwordx2 v[90:91], v[74:75], off offset:1536
	s_waitcnt vmcnt(3) lgkmcnt(11)
	v_fmac_f32_e32 v84, v18, v94
	v_fmac_f32_e32 v85, v19, v95
	global_load_dwordx2 v[94:95], v[74:75], off offset:2048
	s_waitcnt vmcnt(3)
	v_fmac_f32_e32 v84, v20, v96
	v_fmac_f32_e32 v85, v21, v97
	global_load_dwordx2 v[96:97], v[74:75], off offset:2560
	s_waitcnt vmcnt(3) lgkmcnt(10)
	v_fmac_f32_e32 v84, v22, v92
	v_fmac_f32_e32 v85, v23, v93
	global_load_dwordx2 v[92:93], v[74:75], off offset:3072
	s_nop 0
	global_load_dwordx2 v[74:75], v[74:75], off offset:3584
	s_waitcnt vmcnt(4)
	v_fmac_f32_e32 v84, v24, v90
	v_fmac_f32_e32 v85, v25, v91
	global_load_dwordx2 v[90:91], v[72:73], off
	s_waitcnt vmcnt(4) lgkmcnt(9)
	v_fmac_f32_e32 v84, v26, v94
	v_fmac_f32_e32 v85, v27, v95
	global_load_dwordx2 v[94:95], v[72:73], off offset:512
	s_waitcnt vmcnt(4)
	v_fmac_f32_e32 v84, v28, v96
	v_fmac_f32_e32 v85, v29, v97
	global_load_dwordx2 v[96:97], v[72:73], off offset:1024
	s_waitcnt vmcnt(4) lgkmcnt(8)
	v_fmac_f32_e32 v84, v30, v92
	v_fmac_f32_e32 v85, v31, v93
	global_load_dwordx2 v[92:93], v[72:73], off offset:1536
	s_waitcnt vmcnt(4)
	v_fmac_f32_e32 v84, v32, v74
	v_fmac_f32_e32 v85, v33, v75
	global_load_dwordx2 v[74:75], v[72:73], off offset:2048
	;; [unrolled: 8-line block ×3, first 2 shown]
	s_nop 0
	global_load_dwordx2 v[72:73], v[72:73], off offset:3584
	s_waitcnt vmcnt(5) lgkmcnt(6)
	v_fmac_f32_e32 v84, v38, v96
	v_fmac_f32_e32 v85, v39, v97
	global_load_dwordx2 v[96:97], v[70:71], off
	s_waitcnt vmcnt(5)
	v_fmac_f32_e32 v84, v40, v92
	v_fmac_f32_e32 v85, v41, v93
	global_load_dwordx2 v[92:93], v[70:71], off offset:512
	s_waitcnt vmcnt(5) lgkmcnt(5)
	v_fmac_f32_e32 v84, v42, v74
	v_fmac_f32_e32 v85, v43, v75
	global_load_dwordx2 v[74:75], v[70:71], off offset:1024
	s_waitcnt vmcnt(5)
	v_fmac_f32_e32 v84, v44, v90
	v_fmac_f32_e32 v85, v45, v91
	global_load_dwordx2 v[90:91], v[70:71], off offset:1536
	s_waitcnt vmcnt(5) lgkmcnt(4)
	v_fmac_f32_e32 v84, v46, v94
	v_fmac_f32_e32 v85, v47, v95
	global_load_dwordx2 v[94:95], v[70:71], off offset:2048
	;; [unrolled: 8-line block ×3, first 2 shown]
	s_nop 0
	global_load_dwordx2 v[70:71], v[70:71], off offset:3584
	s_waitcnt vmcnt(6)
	v_fmac_f32_e32 v84, v52, v92
	v_fmac_f32_e32 v85, v53, v93
	s_waitcnt vmcnt(5) lgkmcnt(2)
	v_fmac_f32_e32 v84, v54, v74
	v_fmac_f32_e32 v85, v55, v75
	s_waitcnt vmcnt(4)
	v_fmac_f32_e32 v84, v56, v90
	v_fmac_f32_e32 v85, v57, v91
	s_waitcnt vmcnt(3) lgkmcnt(1)
	v_fmac_f32_e32 v84, v58, v94
	v_fmac_f32_e32 v85, v59, v95
	;; [unrolled: 6-line block ×3, first 2 shown]
	s_waitcnt vmcnt(0)
	v_fmac_f32_e32 v84, v64, v70
	v_fmac_f32_e32 v85, v65, v71
	v_add_f32_e32 v70, v84, v85
	ds_bpermute_b32 v71, v80, v70
	s_and_saveexec_b64 s[10:11], vcc
	s_cbranch_execz .LBB51_8
; %bb.10:                               ;   in Loop: Header=BB51_9 Depth=1
	v_add_u32_e32 v72, s19, v81
	v_cvt_f32_i32_e32 v72, v72
	s_waitcnt lgkmcnt(0)
	v_add_f32_e32 v70, v70, v71
	v_cmp_gt_i32_e64 s[8:9], s33, v81
	v_max_f32_e32 v71, v79, v79
	v_mul_f32_e32 v72, s30, v72
	v_cndmask_b32_e64 v72, 0, v72, s[0:1]
	v_fmac_f32_e32 v72, s31, v70
	v_cndmask_b32_e64 v70, 0, v72, s[8:9]
	ds_write_b32 v82, v70
	v_max_f32_e32 v70, v71, v72
	v_cndmask_b32_e64 v79, v79, v70, s[8:9]
	s_branch .LBB51_8
.LBB51_11:
	s_or_b64 exec, exec, s[36:37]
.LBB51_12:
	s_or_b64 exec, exec, s[34:35]
	v_xor_b32_e32 v2, 32, v76
	v_cmp_lt_i32_e32 vcc, v2, v78
	v_xor_b32_e32 v5, 16, v76
	v_max_f32_e32 v4, v79, v79
	v_cndmask_b32_e32 v2, v76, v2, vcc
	v_lshlrev_b32_e32 v2, 2, v2
	ds_bpermute_b32 v3, v2, v79
	v_cmp_lt_i32_e32 vcc, v5, v78
	v_xor_b32_e32 v6, 8, v76
	v_xor_b32_e32 v7, 4, v76
	v_and_b32_e32 v92, 63, v0
	s_waitcnt lgkmcnt(0)
	v_max_f32_e32 v3, v3, v3
	v_max_f32_e32 v4, v4, v3
	v_cndmask_b32_e32 v3, v76, v5, vcc
	v_lshlrev_b32_e32 v3, 2, v3
	ds_bpermute_b32 v5, v3, v4
	v_cmp_lt_i32_e32 vcc, v6, v78
	s_waitcnt lgkmcnt(0)
	v_max_f32_e32 v5, v5, v5
	v_max_f32_e32 v5, v4, v5
	v_cndmask_b32_e32 v4, v76, v6, vcc
	v_lshlrev_b32_e32 v4, 2, v4
	ds_bpermute_b32 v6, v4, v5
	v_cmp_lt_i32_e32 vcc, v7, v78
	s_waitcnt lgkmcnt(0)
	v_max_f32_e32 v6, v6, v6
	v_max_f32_e32 v5, v5, v6
	v_cndmask_b32_e32 v6, v76, v7, vcc
	v_lshlrev_b32_e32 v93, 2, v6
	ds_bpermute_b32 v6, v93, v5
	v_xor_b32_e32 v7, 2, v76
	v_cmp_lt_i32_e32 vcc, v7, v78
	s_waitcnt lgkmcnt(0)
	v_max_f32_e32 v6, v6, v6
	v_max_f32_e32 v6, v5, v6
	v_cndmask_b32_e32 v5, v76, v7, vcc
	v_lshlrev_b32_e32 v94, 2, v5
	ds_bpermute_b32 v7, v94, v6
	v_cmp_eq_u32_e32 vcc, 0, v92
	v_lshlrev_b32_e32 v5, 2, v1
	s_and_saveexec_b64 s[0:1], vcc
	s_cbranch_execz .LBB51_14
; %bb.13:
	s_waitcnt lgkmcnt(0)
	v_max_f32_e32 v7, v7, v7
	v_max_f32_e32 v6, v6, v6
	;; [unrolled: 1-line block ×3, first 2 shown]
	ds_write_b32 v5, v6 offset:512
.LBB51_14:
	s_or_b64 exec, exec, s[0:1]
	v_cmp_gt_u32_e64 s[0:1], 2, v92
	s_waitcnt lgkmcnt(0)
	v_mov_b32_e32 v7, 0xff7fffff
	v_lshlrev_b32_e32 v6, 2, v92
	s_barrier
	s_and_saveexec_b64 s[8:9], s[0:1]
; %bb.15:
	ds_read_b32 v7, v6 offset:512
; %bb.16:
	s_or_b64 exec, exec, s[8:9]
	v_xor_b32_e32 v8, 1, v76
	v_cmp_lt_i32_e64 s[8:9], v8, v78
	s_nop 1
	v_cndmask_b32_e64 v8, v76, v8, s[8:9]
	v_lshlrev_b32_e32 v95, 2, v8
	s_waitcnt lgkmcnt(0)
	ds_bpermute_b32 v8, v95, v7
	v_max_f32_e32 v7, v7, v7
	s_lshl_b32 s8, s16, 5
	s_min_i32 s19, s8, s33
	v_cmp_gt_i32_e64 s[8:9], s19, v0
	s_waitcnt lgkmcnt(0)
	v_max_f32_e32 v8, v8, v8
	v_max_f32_e32 v7, v7, v8
	v_lshlrev_b32_e32 v8, 2, v77
	ds_bpermute_b32 v8, v8, v7
	v_mov_b32_e32 v7, 0
	s_and_saveexec_b64 s[12:13], s[8:9]
	s_cbranch_execz .LBB51_20
; %bb.17:
	v_mov_b32_e32 v7, 0x210
	v_lshl_add_u32 v9, v0, 2, v7
	v_mov_b32_e32 v7, 0
	s_mov_b64 s[30:31], 0
	v_mov_b32_e32 v10, v0
.LBB51_18:                              ; =>This Inner Loop Header: Depth=1
	ds_read_b32 v11, v9
	v_add_u32_e32 v10, 0x80, v10
	v_cmp_le_i32_e64 s[10:11], s19, v10
	s_or_b64 s[30:31], s[10:11], s[30:31]
	s_waitcnt lgkmcnt(0)
	v_sub_f32_e32 v11, v11, v8
	v_mul_f32_e32 v11, 0x3fb8aa3b, v11
	v_exp_f32_e32 v11, v11
	ds_write_b32 v9, v11
	v_add_f32_e32 v7, v7, v11
	v_add_u32_e32 v9, 0x200, v9
	s_andn2_b64 exec, exec, s[30:31]
	s_cbranch_execnz .LBB51_18
; %bb.19:
	s_or_b64 exec, exec, s[30:31]
.LBB51_20:
	s_or_b64 exec, exec, s[12:13]
	ds_bpermute_b32 v2, v2, v7
	s_waitcnt lgkmcnt(0)
	v_add_f32_e32 v2, v7, v2
	ds_bpermute_b32 v3, v3, v2
	s_waitcnt lgkmcnt(0)
	v_add_f32_e32 v2, v2, v3
	;; [unrolled: 3-line block ×6, first 2 shown]
	s_and_saveexec_b64 s[10:11], vcc
; %bb.21:
	ds_write_b32 v5, v2 offset:520
; %bb.22:
	s_or_b64 exec, exec, s[10:11]
	s_waitcnt lgkmcnt(0)
	s_barrier
	s_and_saveexec_b64 s[10:11], s[0:1]
; %bb.23:
	ds_read_b32 v2, v6 offset:520
; %bb.24:
	s_or_b64 exec, exec, s[10:11]
	s_waitcnt lgkmcnt(0)
	ds_bpermute_b32 v3, v95, v2
	v_lshlrev_b32_e32 v4, 2, v76
	s_waitcnt lgkmcnt(0)
	v_add_f32_e32 v2, v2, v3
	v_and_b32_e32 v3, 0xffffff00, v4
	ds_bpermute_b32 v2, v3, v2
	s_and_saveexec_b64 s[0:1], s[8:9]
	s_cbranch_execz .LBB51_37
; %bb.25:
	s_waitcnt lgkmcnt(0)
	v_add_f32_e32 v2, 0x358637bd, v2
	v_div_scale_f32 v3, s[8:9], v2, v2, 1.0
	v_rcp_f32_e32 v4, v3
	v_div_scale_f32 v5, vcc, 1.0, v2, 1.0
	s_movk_i32 s8, 0x7f
	v_fma_f32 v6, -v3, v4, 1.0
	v_fmac_f32_e32 v4, v6, v4
	v_mul_f32_e32 v6, v5, v4
	v_fma_f32 v7, -v3, v6, v5
	v_fmac_f32_e32 v6, v7, v4
	v_fma_f32 v3, -v3, v6, v5
	v_div_fmas_f32 v3, v3, v4, v6
	v_xad_u32 v4, v0, -1, s19
	v_div_fixup_f32 v2, v3, v2, 1.0
	v_cmp_lt_u32_e32 vcc, s8, v4
	s_mov_b64 s[10:11], -1
	v_mov_b32_e32 v3, v0
	s_and_saveexec_b64 s[8:9], vcc
	s_cbranch_execz .LBB51_34
; %bb.26:
	v_lshrrev_b32_e32 v4, 7, v4
	v_add_u32_e32 v6, -1, v4
	v_lshrrev_b32_e32 v5, 1, v6
	v_mov_b32_e32 v3, v2
	v_add_u32_e32 v5, 1, v5
	v_cmp_lt_u32_e32 vcc, 13, v6
	v_mov_b32_e32 v8, 0
	s_and_saveexec_b64 s[10:11], vcc
	s_cbranch_execz .LBB51_30
; %bb.27:
	v_mov_b32_e32 v7, 0x210
	v_and_b32_e32 v6, -8, v5
	v_lshl_add_u32 v7, v0, 2, v7
	s_mov_b32 s21, 0
	s_mov_b64 s[12:13], 0
.LBB51_28:                              ; =>This Inner Loop Header: Depth=1
	ds_read2st64_b32 v[8:9], v7 offset1:2
	ds_read2st64_b32 v[10:11], v7 offset0:4 offset1:6
	ds_read2st64_b32 v[12:13], v7 offset0:8 offset1:10
	;; [unrolled: 1-line block ×3, first 2 shown]
	v_add_u32_e32 v6, -8, v6
	s_waitcnt lgkmcnt(3)
	v_pk_mul_f32 v[8:9], v[2:3], v[8:9]
	s_waitcnt lgkmcnt(2)
	v_pk_mul_f32 v[10:11], v[2:3], v[10:11]
	ds_write2st64_b32 v7, v8, v9 offset1:2
	ds_write2st64_b32 v7, v10, v11 offset0:4 offset1:6
	ds_read2st64_b32 v[10:11], v7 offset0:16 offset1:18
	s_waitcnt lgkmcnt(4)
	v_pk_mul_f32 v[8:9], v[2:3], v[12:13]
	ds_write2st64_b32 v7, v8, v9 offset0:8 offset1:10
	s_waitcnt lgkmcnt(4)
	v_pk_mul_f32 v[8:9], v[2:3], v[14:15]
	ds_write2st64_b32 v7, v8, v9 offset0:12 offset1:14
	ds_read2st64_b32 v[8:9], v7 offset0:20 offset1:22
	s_waitcnt lgkmcnt(3)
	v_pk_mul_f32 v[10:11], v[2:3], v[10:11]
	ds_read2st64_b32 v[12:13], v7 offset0:24 offset1:26
	ds_write2st64_b32 v7, v10, v11 offset0:16 offset1:18
	ds_read2st64_b32 v[10:11], v7 offset0:28 offset1:30
	s_waitcnt lgkmcnt(3)
	v_pk_mul_f32 v[8:9], v[2:3], v[8:9]
	ds_write2st64_b32 v7, v8, v9 offset0:20 offset1:22
	s_waitcnt lgkmcnt(3)
	v_pk_mul_f32 v[8:9], v[2:3], v[12:13]
	ds_write2st64_b32 v7, v8, v9 offset0:24 offset1:26
	s_waitcnt lgkmcnt(2)
	v_pk_mul_f32 v[8:9], v[2:3], v[10:11]
	s_add_i32 s21, s21, 16
	v_cmp_eq_u32_e32 vcc, 0, v6
	ds_write2st64_b32 v7, v8, v9 offset0:28 offset1:30
	v_add_u32_e32 v7, 0x2000, v7
	s_or_b64 s[12:13], vcc, s[12:13]
	v_mov_b32_e32 v8, s21
	s_andn2_b64 exec, exec, s[12:13]
	s_cbranch_execnz .LBB51_28
; %bb.29:
	s_or_b64 exec, exec, s[12:13]
.LBB51_30:
	s_or_b64 exec, exec, s[10:11]
	v_and_b32_e32 v5, 7, v5
	v_cmp_ne_u32_e32 vcc, 0, v5
	s_and_saveexec_b64 s[10:11], vcc
	s_cbranch_execz .LBB51_33
; %bb.31:
	v_lshlrev_b32_e32 v6, 9, v8
	s_movk_i32 s12, 0x210
	v_add3_u32 v6, v6, v86, s12
	s_mov_b64 s[12:13], 0
.LBB51_32:                              ; =>This Inner Loop Header: Depth=1
	ds_read2st64_b32 v[8:9], v6 offset1:2
	v_add_u32_e32 v5, -1, v5
	v_cmp_eq_u32_e32 vcc, 0, v5
	s_or_b64 s[12:13], vcc, s[12:13]
	s_waitcnt lgkmcnt(0)
	v_pk_mul_f32 v[8:9], v[2:3], v[8:9]
	ds_write2st64_b32 v6, v8, v9 offset1:2
	v_add_u32_e32 v6, 0x400, v6
	s_andn2_b64 exec, exec, s[12:13]
	s_cbranch_execnz .LBB51_32
.LBB51_33:
	s_or_b64 exec, exec, s[10:11]
	v_add_u32_e32 v4, 1, v4
	v_and_b32_e32 v5, 0x3fffffe, v4
	v_cmp_ne_u32_e32 vcc, v4, v5
	v_lshl_add_u32 v3, v5, 7, v0
	s_orn2_b64 s[10:11], vcc, exec
.LBB51_34:
	s_or_b64 exec, exec, s[8:9]
	s_and_b64 exec, exec, s[10:11]
	s_cbranch_execz .LBB51_37
; %bb.35:
	v_mov_b32_e32 v4, 0x210
	v_lshl_add_u32 v4, v3, 2, v4
	s_mov_b64 s[8:9], 0
.LBB51_36:                              ; =>This Inner Loop Header: Depth=1
	ds_read_b32 v5, v4
	v_add_u32_e32 v3, 0x80, v3
	v_cmp_le_i32_e32 vcc, s19, v3
	s_or_b64 s[8:9], vcc, s[8:9]
	s_waitcnt lgkmcnt(0)
	v_mul_f32_e32 v5, v2, v5
	ds_write_b32 v4, v5
	v_add_u32_e32 v4, 0x200, v4
	s_andn2_b64 exec, exec, s[8:9]
	s_cbranch_execnz .LBB51_36
.LBB51_37:
	s_or_b64 exec, exec, s[0:1]
	v_mov_b32_e32 v71, 0
	v_and_b32_e32 v96, 7, v0
	v_mov_b32_e32 v70, 0
	v_mov_b32_e32 v73, 0
	;; [unrolled: 1-line block ×15, first 2 shown]
	s_waitcnt lgkmcnt(0)
	s_barrier
	s_and_saveexec_b64 s[0:1], s[2:3]
	s_cbranch_execz .LBB51_73
; %bb.38:
	s_ashr_i32 s19, s18, 31
	s_lshl_b64 s[2:3], s[18:19], 2
	s_add_u32 s8, s28, s2
	v_and_b32_e32 v3, 28, v86
	s_addc_u32 s9, s29, s3
	s_add_i32 s18, s16, -1
	s_lshl_b64 s[2:3], s[26:27], 2
	v_lshl_or_b32 v97, v1, 5, v3
	v_lshlrev_b32_e32 v3, 4, v96
	s_add_u32 s2, s24, s2
	v_and_b32_e32 v2, 0xfc, v86
	v_mov_b32_e32 v87, 0
	v_or_b32_e32 v4, 0xf00, v86
	v_lshl_or_b32 v3, v1, 7, v3
	v_and_b32_e32 v86, 60, v88
	s_addc_u32 s3, s25, s3
	s_mov_b32 s19, s33
	v_add_u32_e32 v98, 0x210, v3
	v_lshl_add_u64 v[88:89], s[2:3], 0, v[86:87]
	s_mov_b64 s[10:11], 0
	v_lshlrev_b32_e32 v90, 2, v2
	v_mov_b32_e32 v91, v87
	v_lshlrev_b32_e32 v86, 2, v4
	v_mov_b32_e32 v71, v87
	v_mov_b32_e32 v70, v87
	;; [unrolled: 1-line block ×16, first 2 shown]
	s_branch .LBB51_40
.LBB51_39:                              ;   in Loop: Header=BB51_40 Depth=1
	s_or_b64 exec, exec, s[12:13]
	s_waitcnt vmcnt(1) lgkmcnt(0)
	v_mul_f32_e32 v66, v2, v66
	v_mul_f32_e32 v62, v2, v62
	;; [unrolled: 1-line block ×15, first 2 shown]
	v_fmac_f32_e32 v66, v3, v67
	v_fmac_f32_e32 v62, v3, v63
	;; [unrolled: 1-line block ×30, first 2 shown]
	s_waitcnt vmcnt(0)
	v_pk_mul_f32 v[2:3], v[2:3], v[58:59]
	v_fmac_f32_e32 v66, v5, v69
	v_fmac_f32_e32 v62, v5, v65
	v_fmac_f32_e32 v54, v5, v57
	v_fmac_f32_e32 v50, v5, v53
	v_fmac_f32_e32 v46, v5, v49
	v_fmac_f32_e32 v42, v5, v45
	v_fmac_f32_e32 v38, v5, v41
	v_fmac_f32_e32 v34, v5, v37
	v_fmac_f32_e32 v30, v5, v33
	v_fmac_f32_e32 v26, v5, v29
	v_fmac_f32_e32 v22, v5, v25
	v_fmac_f32_e32 v18, v5, v21
	v_fmac_f32_e32 v14, v5, v17
	v_fmac_f32_e32 v10, v5, v13
	v_fmac_f32_e32 v6, v5, v9
	v_pk_mul_f32 v[4:5], v[4:5], v[60:61]
	v_add_f32_e32 v2, v3, v2
	v_add_f32_e32 v2, v4, v2
	v_add_u32_e32 v1, 2, v1
	v_add_f32_e32 v2, v5, v2
	v_cmp_le_i32_e32 vcc, s16, v1
	v_add_f32_e32 v70, v70, v66
	v_add_f32_e32 v73, v73, v62
	;; [unrolled: 1-line block ×16, first 2 shown]
	v_add_u32_e32 v97, 64, v97
	v_add_u32_e32 v98, 0x100, v98
	s_or_b64 s[10:11], vcc, s[10:11]
	v_lshl_add_u64 v[88:89], v[88:89], 0, 8
	s_andn2_b64 exec, exec, s[10:11]
	s_cbranch_execz .LBB51_72
.LBB51_40:                              ; =>This Inner Loop Header: Depth=1
	global_load_dword v2, v[88:89], off
	v_add_u32_e32 v101, 1, v97
	v_or_b32_e32 v100, 3, v97
	v_or_b32_e32 v99, 2, v97
	s_waitcnt vmcnt(0)
	v_mad_i64_i32 v[2:3], s[2:3], v2, s17, 0
	v_lshl_add_u64 v[58:59], v[2:3], 2, s[8:9]
	v_lshl_add_u64 v[60:61], v[58:59], 0, v[90:91]
	global_load_dwordx4 v[6:9], v[60:61], off
	ds_read_b128 v[2:5], v98
	v_cmp_eq_u32_e64 s[2:3], s18, v1
	s_and_saveexec_b64 s[12:13], s[2:3]
	s_cbranch_execnz .LBB51_69
; %bb.41:                               ;   in Loop: Header=BB51_40 Depth=1
	s_or_b64 exec, exec, s[12:13]
	global_load_dwordx4 v[10:13], v[60:61], off offset:1024
	s_and_saveexec_b64 s[12:13], s[2:3]
	s_cbranch_execnz .LBB51_70
.LBB51_42:                              ;   in Loop: Header=BB51_40 Depth=1
	s_or_b64 exec, exec, s[12:13]
	global_load_dwordx4 v[14:17], v[60:61], off offset:2048
	s_and_saveexec_b64 s[12:13], s[2:3]
	s_cbranch_execnz .LBB51_71
.LBB51_43:                              ;   in Loop: Header=BB51_40 Depth=1
	s_or_b64 exec, exec, s[12:13]
	global_load_dwordx4 v[18:21], v[60:61], off offset:3072
	s_and_saveexec_b64 s[12:13], s[2:3]
	s_cbranch_execz .LBB51_45
.LBB51_44:                              ;   in Loop: Header=BB51_40 Depth=1
	v_cmp_gt_i32_e32 vcc, s19, v101
	s_waitcnt vmcnt(0)
	s_nop 0
	v_cndmask_b32_e32 v19, 0, v19, vcc
	v_cmp_gt_i32_e32 vcc, s33, v97
	s_nop 1
	v_cndmask_b32_e32 v18, 0, v18, vcc
	v_cmp_gt_i32_e32 vcc, s19, v100
	;; [unrolled: 3-line block ×3, first 2 shown]
	s_nop 1
	v_cndmask_b32_e32 v20, 0, v20, vcc
.LBB51_45:                              ;   in Loop: Header=BB51_40 Depth=1
	s_or_b64 exec, exec, s[12:13]
	v_add_co_u32_e32 v22, vcc, 0x1000, v60
	s_nop 1
	v_addc_co_u32_e32 v23, vcc, 0, v61, vcc
	global_load_dwordx4 v[22:25], v[22:23], off
	s_and_saveexec_b64 s[12:13], s[2:3]
	s_cbranch_execz .LBB51_47
; %bb.46:                               ;   in Loop: Header=BB51_40 Depth=1
	v_cmp_gt_i32_e32 vcc, s19, v101
	s_waitcnt vmcnt(0)
	s_nop 0
	v_cndmask_b32_e32 v23, 0, v23, vcc
	v_cmp_gt_i32_e32 vcc, s33, v97
	s_nop 1
	v_cndmask_b32_e32 v22, 0, v22, vcc
	v_cmp_gt_i32_e32 vcc, s19, v100
	s_nop 1
	v_cndmask_b32_e32 v25, 0, v25, vcc
	v_cmp_gt_i32_e32 vcc, s33, v99
	s_nop 1
	v_cndmask_b32_e32 v24, 0, v24, vcc
.LBB51_47:                              ;   in Loop: Header=BB51_40 Depth=1
	s_or_b64 exec, exec, s[12:13]
	v_add_co_u32_e32 v26, vcc, 0x1000, v60
	s_nop 1
	v_addc_co_u32_e32 v27, vcc, 0, v61, vcc
	global_load_dwordx4 v[26:29], v[26:27], off offset:1024
	s_and_saveexec_b64 s[12:13], s[2:3]
	s_cbranch_execz .LBB51_49
; %bb.48:                               ;   in Loop: Header=BB51_40 Depth=1
	v_cmp_gt_i32_e32 vcc, s19, v101
	s_waitcnt vmcnt(0)
	s_nop 0
	v_cndmask_b32_e32 v27, 0, v27, vcc
	v_cmp_gt_i32_e32 vcc, s33, v97
	s_nop 1
	v_cndmask_b32_e32 v26, 0, v26, vcc
	v_cmp_gt_i32_e32 vcc, s19, v100
	s_nop 1
	v_cndmask_b32_e32 v29, 0, v29, vcc
	v_cmp_gt_i32_e32 vcc, s33, v99
	s_nop 1
	v_cndmask_b32_e32 v28, 0, v28, vcc
.LBB51_49:                              ;   in Loop: Header=BB51_40 Depth=1
	s_or_b64 exec, exec, s[12:13]
	v_add_co_u32_e32 v30, vcc, 0x1000, v60
	s_nop 1
	v_addc_co_u32_e32 v31, vcc, 0, v61, vcc
	global_load_dwordx4 v[30:33], v[30:31], off offset:2048
	;; [unrolled: 22-line block ×3, first 2 shown]
	s_and_saveexec_b64 s[12:13], s[2:3]
	s_cbranch_execz .LBB51_53
; %bb.52:                               ;   in Loop: Header=BB51_40 Depth=1
	v_cmp_gt_i32_e32 vcc, s19, v101
	s_waitcnt vmcnt(0)
	s_nop 0
	v_cndmask_b32_e32 v35, 0, v35, vcc
	v_cmp_gt_i32_e32 vcc, s33, v97
	s_nop 1
	v_cndmask_b32_e32 v34, 0, v34, vcc
	v_cmp_gt_i32_e32 vcc, s19, v100
	;; [unrolled: 3-line block ×3, first 2 shown]
	s_nop 1
	v_cndmask_b32_e32 v36, 0, v36, vcc
.LBB51_53:                              ;   in Loop: Header=BB51_40 Depth=1
	s_or_b64 exec, exec, s[12:13]
	v_add_co_u32_e32 v38, vcc, 0x2000, v60
	s_nop 1
	v_addc_co_u32_e32 v39, vcc, 0, v61, vcc
	global_load_dwordx4 v[38:41], v[38:39], off
	s_and_saveexec_b64 s[12:13], s[2:3]
	s_cbranch_execz .LBB51_55
; %bb.54:                               ;   in Loop: Header=BB51_40 Depth=1
	v_cmp_gt_i32_e32 vcc, s19, v101
	s_waitcnt vmcnt(0)
	s_nop 0
	v_cndmask_b32_e32 v39, 0, v39, vcc
	v_cmp_gt_i32_e32 vcc, s33, v97
	s_nop 1
	v_cndmask_b32_e32 v38, 0, v38, vcc
	v_cmp_gt_i32_e32 vcc, s19, v100
	s_nop 1
	v_cndmask_b32_e32 v41, 0, v41, vcc
	v_cmp_gt_i32_e32 vcc, s33, v99
	s_nop 1
	v_cndmask_b32_e32 v40, 0, v40, vcc
.LBB51_55:                              ;   in Loop: Header=BB51_40 Depth=1
	s_or_b64 exec, exec, s[12:13]
	v_add_co_u32_e32 v42, vcc, 0x2000, v60
	s_nop 1
	v_addc_co_u32_e32 v43, vcc, 0, v61, vcc
	global_load_dwordx4 v[42:45], v[42:43], off offset:1024
	s_and_saveexec_b64 s[12:13], s[2:3]
	s_cbranch_execz .LBB51_57
; %bb.56:                               ;   in Loop: Header=BB51_40 Depth=1
	v_cmp_gt_i32_e32 vcc, s19, v101
	s_waitcnt vmcnt(0)
	s_nop 0
	v_cndmask_b32_e32 v43, 0, v43, vcc
	v_cmp_gt_i32_e32 vcc, s33, v97
	s_nop 1
	v_cndmask_b32_e32 v42, 0, v42, vcc
	v_cmp_gt_i32_e32 vcc, s19, v100
	s_nop 1
	v_cndmask_b32_e32 v45, 0, v45, vcc
	v_cmp_gt_i32_e32 vcc, s33, v99
	s_nop 1
	v_cndmask_b32_e32 v44, 0, v44, vcc
.LBB51_57:                              ;   in Loop: Header=BB51_40 Depth=1
	s_or_b64 exec, exec, s[12:13]
	v_add_co_u32_e32 v46, vcc, 0x2000, v60
	s_nop 1
	v_addc_co_u32_e32 v47, vcc, 0, v61, vcc
	global_load_dwordx4 v[46:49], v[46:47], off offset:2048
	;; [unrolled: 22-line block ×3, first 2 shown]
	s_and_saveexec_b64 s[12:13], s[2:3]
	s_cbranch_execz .LBB51_61
; %bb.60:                               ;   in Loop: Header=BB51_40 Depth=1
	v_cmp_gt_i32_e32 vcc, s19, v101
	s_waitcnt vmcnt(0)
	s_nop 0
	v_cndmask_b32_e32 v51, 0, v51, vcc
	v_cmp_gt_i32_e32 vcc, s33, v97
	s_nop 1
	v_cndmask_b32_e32 v50, 0, v50, vcc
	v_cmp_gt_i32_e32 vcc, s19, v100
	;; [unrolled: 3-line block ×3, first 2 shown]
	s_nop 1
	v_cndmask_b32_e32 v52, 0, v52, vcc
.LBB51_61:                              ;   in Loop: Header=BB51_40 Depth=1
	s_or_b64 exec, exec, s[12:13]
	v_add_co_u32_e32 v54, vcc, 0x3000, v60
	s_nop 1
	v_addc_co_u32_e32 v55, vcc, 0, v61, vcc
	global_load_dwordx4 v[54:57], v[54:55], off
	s_and_saveexec_b64 s[12:13], s[2:3]
	s_cbranch_execz .LBB51_63
; %bb.62:                               ;   in Loop: Header=BB51_40 Depth=1
	v_cmp_gt_i32_e32 vcc, s19, v101
	s_waitcnt vmcnt(0)
	s_nop 0
	v_cndmask_b32_e32 v55, 0, v55, vcc
	v_cmp_gt_i32_e32 vcc, s33, v97
	s_nop 1
	v_cndmask_b32_e32 v54, 0, v54, vcc
	v_cmp_gt_i32_e32 vcc, s19, v100
	;; [unrolled: 3-line block ×3, first 2 shown]
	s_nop 1
	v_cndmask_b32_e32 v56, 0, v56, vcc
.LBB51_63:                              ;   in Loop: Header=BB51_40 Depth=1
	s_or_b64 exec, exec, s[12:13]
	v_add_co_u32_e32 v62, vcc, 0x3000, v60
	s_nop 1
	v_addc_co_u32_e32 v63, vcc, 0, v61, vcc
	global_load_dwordx4 v[62:65], v[62:63], off offset:1024
	s_and_saveexec_b64 s[12:13], s[2:3]
	s_cbranch_execz .LBB51_65
; %bb.64:                               ;   in Loop: Header=BB51_40 Depth=1
	v_cmp_gt_i32_e32 vcc, s19, v101
	s_waitcnt vmcnt(0)
	s_nop 0
	v_cndmask_b32_e32 v63, 0, v63, vcc
	v_cmp_gt_i32_e32 vcc, s33, v97
	s_nop 1
	v_cndmask_b32_e32 v62, 0, v62, vcc
	v_cmp_gt_i32_e32 vcc, s19, v100
	s_nop 1
	v_cndmask_b32_e32 v65, 0, v65, vcc
	v_cmp_gt_i32_e32 vcc, s33, v99
	s_nop 1
	v_cndmask_b32_e32 v64, 0, v64, vcc
.LBB51_65:                              ;   in Loop: Header=BB51_40 Depth=1
	s_or_b64 exec, exec, s[12:13]
	v_add_co_u32_e32 v60, vcc, 0x3000, v60
	s_nop 1
	v_addc_co_u32_e32 v61, vcc, 0, v61, vcc
	global_load_dwordx4 v[66:69], v[60:61], off offset:2048
	s_and_saveexec_b64 s[12:13], s[2:3]
	s_cbranch_execz .LBB51_67
; %bb.66:                               ;   in Loop: Header=BB51_40 Depth=1
	v_cmp_gt_i32_e32 vcc, s19, v101
	s_waitcnt vmcnt(0)
	s_nop 0
	v_cndmask_b32_e32 v67, 0, v67, vcc
	v_cmp_gt_i32_e32 vcc, s33, v97
	s_nop 1
	v_cndmask_b32_e32 v66, 0, v66, vcc
	v_cmp_gt_i32_e32 vcc, s19, v100
	;; [unrolled: 3-line block ×3, first 2 shown]
	s_nop 1
	v_cndmask_b32_e32 v68, 0, v68, vcc
.LBB51_67:                              ;   in Loop: Header=BB51_40 Depth=1
	s_or_b64 exec, exec, s[12:13]
	v_lshl_add_u64 v[58:59], v[58:59], 0, v[86:87]
	global_load_dwordx4 v[58:61], v[58:59], off
	s_and_saveexec_b64 s[12:13], s[2:3]
	s_cbranch_execz .LBB51_39
; %bb.68:                               ;   in Loop: Header=BB51_40 Depth=1
	v_cmp_gt_i32_e32 vcc, s19, v101
	s_waitcnt vmcnt(0)
	s_nop 0
	v_cndmask_b32_e32 v59, 0, v59, vcc
	v_cmp_gt_i32_e32 vcc, s33, v97
	s_nop 1
	v_cndmask_b32_e32 v58, 0, v58, vcc
	v_cmp_gt_i32_e32 vcc, s19, v100
	;; [unrolled: 3-line block ×3, first 2 shown]
	s_nop 1
	v_cndmask_b32_e32 v60, 0, v60, vcc
	s_branch .LBB51_39
.LBB51_69:                              ;   in Loop: Header=BB51_40 Depth=1
	v_cmp_gt_i32_e32 vcc, s19, v101
	s_waitcnt vmcnt(0)
	s_nop 0
	v_cndmask_b32_e32 v7, 0, v7, vcc
	v_cmp_gt_i32_e32 vcc, s33, v97
	s_nop 1
	v_cndmask_b32_e32 v6, 0, v6, vcc
	v_cmp_gt_i32_e32 vcc, s19, v100
	;; [unrolled: 3-line block ×3, first 2 shown]
	s_nop 1
	v_cndmask_b32_e32 v8, 0, v8, vcc
	s_or_b64 exec, exec, s[12:13]
	global_load_dwordx4 v[10:13], v[60:61], off offset:1024
	s_and_saveexec_b64 s[12:13], s[2:3]
	s_cbranch_execz .LBB51_42
.LBB51_70:                              ;   in Loop: Header=BB51_40 Depth=1
	v_cmp_gt_i32_e32 vcc, s19, v101
	s_waitcnt vmcnt(0)
	s_nop 0
	v_cndmask_b32_e32 v11, 0, v11, vcc
	v_cmp_gt_i32_e32 vcc, s33, v97
	s_nop 1
	v_cndmask_b32_e32 v10, 0, v10, vcc
	v_cmp_gt_i32_e32 vcc, s19, v100
	;; [unrolled: 3-line block ×3, first 2 shown]
	s_nop 1
	v_cndmask_b32_e32 v12, 0, v12, vcc
	s_or_b64 exec, exec, s[12:13]
	global_load_dwordx4 v[14:17], v[60:61], off offset:2048
	s_and_saveexec_b64 s[12:13], s[2:3]
	s_cbranch_execz .LBB51_43
.LBB51_71:                              ;   in Loop: Header=BB51_40 Depth=1
	v_cmp_gt_i32_e32 vcc, s19, v101
	s_waitcnt vmcnt(0)
	s_nop 0
	v_cndmask_b32_e32 v15, 0, v15, vcc
	v_cmp_gt_i32_e32 vcc, s33, v97
	s_nop 1
	v_cndmask_b32_e32 v14, 0, v14, vcc
	v_cmp_gt_i32_e32 vcc, s19, v100
	;; [unrolled: 3-line block ×3, first 2 shown]
	s_nop 1
	v_cndmask_b32_e32 v16, 0, v16, vcc
	s_or_b64 exec, exec, s[12:13]
	global_load_dwordx4 v[18:21], v[60:61], off offset:3072
	s_and_saveexec_b64 s[12:13], s[2:3]
	s_cbranch_execnz .LBB51_44
	s_branch .LBB51_45
.LBB51_72:
	s_or_b64 exec, exec, s[10:11]
.LBB51_73:
	s_or_b64 exec, exec, s[0:1]
	ds_bpermute_b32 v4, v93, v82
	ds_bpermute_b32 v5, v93, v83
	ds_bpermute_b32 v2, v93, v84
	ds_bpermute_b32 v3, v93, v85
	ds_bpermute_b32 v10, v93, v80
	ds_bpermute_b32 v11, v93, v81
	s_waitcnt lgkmcnt(4)
	v_pk_add_f32 v[4:5], v[82:83], v[4:5]
	ds_bpermute_b32 v8, v94, v4
	ds_bpermute_b32 v9, v94, v5
	s_waitcnt lgkmcnt(4)
	v_pk_add_f32 v[2:3], v[84:85], v[2:3]
	ds_bpermute_b32 v6, v94, v2
	ds_bpermute_b32 v7, v94, v3
	;; [unrolled: 1-line block ×3, first 2 shown]
	s_waitcnt lgkmcnt(3)
	v_pk_add_f32 v[4:5], v[4:5], v[8:9]
	v_pk_add_f32 v[8:9], v[80:81], v[10:11]
	ds_bpermute_b32 v10, v94, v8
	ds_bpermute_b32 v11, v94, v9
	;; [unrolled: 1-line block ×3, first 2 shown]
	s_waitcnt lgkmcnt(4)
	v_pk_add_f32 v[2:3], v[2:3], v[6:7]
	ds_bpermute_b32 v6, v95, v2
	ds_bpermute_b32 v7, v95, v3
	s_waitcnt lgkmcnt(3)
	v_pk_add_f32 v[8:9], v[8:9], v[10:11]
	s_waitcnt lgkmcnt(2)
	v_pk_add_f32 v[14:15], v[78:79], v[14:15]
	ds_bpermute_b32 v10, v95, v8
	ds_bpermute_b32 v11, v95, v9
	;; [unrolled: 1-line block ×4, first 2 shown]
	s_waitcnt lgkmcnt(4)
	v_pk_add_f32 v[6:7], v[2:3], v[6:7]
	ds_bpermute_b32 v20, v93, v72
	s_waitcnt lgkmcnt(3)
	v_pk_add_f32 v[2:3], v[8:9], v[10:11]
	ds_bpermute_b32 v10, v93, v76
	s_waitcnt lgkmcnt(2)
	v_pk_add_f32 v[8:9], v[14:15], v[16:17]
	ds_bpermute_b32 v14, v93, v74
	ds_bpermute_b32 v15, v93, v75
	ds_bpermute_b32 v11, v93, v77
	;; [unrolled: 1-line block ×5, first 2 shown]
	s_waitcnt lgkmcnt(4)
	v_pk_add_f32 v[14:15], v[74:75], v[14:15]
	s_waitcnt lgkmcnt(3)
	v_pk_add_f32 v[10:11], v[76:77], v[10:11]
	ds_bpermute_b32 v18, v94, v14
	ds_bpermute_b32 v19, v94, v15
	;; [unrolled: 1-line block ×6, first 2 shown]
	s_waitcnt lgkmcnt(4)
	v_pk_add_f32 v[18:19], v[14:15], v[18:19]
	v_pk_add_f32 v[14:15], v[72:73], v[20:21]
	s_waitcnt lgkmcnt(2)
	v_pk_add_f32 v[10:11], v[10:11], v[16:17]
	ds_bpermute_b32 v20, v94, v14
	ds_bpermute_b32 v21, v94, v15
	v_pk_add_f32 v[24:25], v[70:71], v[24:25]
	s_waitcnt lgkmcnt(2)
	v_pk_add_f32 v[4:5], v[4:5], v[12:13]
	ds_bpermute_b32 v12, v95, v8
	ds_bpermute_b32 v13, v95, v9
	;; [unrolled: 1-line block ×8, first 2 shown]
	s_waitcnt lgkmcnt(8)
	v_pk_add_f32 v[20:21], v[14:15], v[20:21]
	ds_bpermute_b32 v26, v95, v20
	ds_bpermute_b32 v27, v95, v21
	s_waitcnt lgkmcnt(8)
	v_pk_add_f32 v[14:15], v[8:9], v[12:13]
	s_waitcnt lgkmcnt(6)
	v_pk_add_f32 v[12:13], v[10:11], v[16:17]
	;; [unrolled: 2-line block ×4, first 2 shown]
	ds_bpermute_b32 v18, v95, v16
	ds_bpermute_b32 v19, v95, v17
	v_and_b32_e32 v1, 0x3c7, v0
	s_waitcnt lgkmcnt(2)
	v_pk_add_f32 v[8:9], v[20:21], v[26:27]
	v_cmp_ne_u32_e32 vcc, 64, v1
	s_waitcnt lgkmcnt(0)
	s_barrier
	s_and_saveexec_b64 s[0:1], vcc
	s_xor_b64 s[0:1], exec, s[0:1]
; %bb.74:
                                        ; implicit-def: $vgpr92
; %bb.75:
	s_or_saveexec_b64 s[0:1], s[0:1]
	v_pk_add_f32 v[16:17], v[16:17], v[18:19]
	s_xor_b64 exec, exec, s[0:1]
	s_cbranch_execz .LBB51_77
; %bb.76:
	v_lshrrev_b32_e32 v18, 1, v92
	v_add_u32_e32 v18, 0x210, v18
	ds_write2_b32 v18, v6, v7 offset1:8
	ds_write2_b32 v18, v4, v5 offset0:16 offset1:24
	ds_write2_b32 v18, v2, v3 offset0:32 offset1:40
	;; [unrolled: 1-line block ×7, first 2 shown]
.LBB51_77:
	s_or_b64 exec, exec, s[0:1]
	v_lshrrev_b32_e32 v0, 3, v0
	s_waitcnt lgkmcnt(0)
	s_barrier
	s_and_saveexec_b64 s[0:1], s[6:7]
	s_cbranch_execz .LBB51_96
; %bb.78:
	v_mov_b32_e32 v18, 0x210
	v_cmp_eq_u32_e32 vcc, 0, v96
	v_lshl_add_u32 v18, v0, 2, v18
	s_and_saveexec_b64 s[2:3], vcc
	s_cbranch_execnz .LBB51_99
; %bb.79:
	s_or_b64 exec, exec, s[2:3]
	s_and_saveexec_b64 s[2:3], vcc
	s_cbranch_execnz .LBB51_100
.LBB51_80:
	s_or_b64 exec, exec, s[2:3]
	s_and_saveexec_b64 s[2:3], vcc
	s_cbranch_execnz .LBB51_101
.LBB51_81:
	s_or_b64 exec, exec, s[2:3]
	s_and_saveexec_b64 s[2:3], vcc
	s_cbranch_execnz .LBB51_102
.LBB51_82:
	s_or_b64 exec, exec, s[2:3]
	s_and_saveexec_b64 s[2:3], vcc
	s_cbranch_execnz .LBB51_103
.LBB51_83:
	s_or_b64 exec, exec, s[2:3]
	s_and_saveexec_b64 s[2:3], vcc
	s_cbranch_execnz .LBB51_104
.LBB51_84:
	s_or_b64 exec, exec, s[2:3]
	s_and_saveexec_b64 s[2:3], vcc
	s_cbranch_execnz .LBB51_105
.LBB51_85:
	s_or_b64 exec, exec, s[2:3]
	s_and_saveexec_b64 s[2:3], vcc
	s_cbranch_execnz .LBB51_106
.LBB51_86:
	s_or_b64 exec, exec, s[2:3]
	s_and_saveexec_b64 s[2:3], vcc
	s_cbranch_execnz .LBB51_107
.LBB51_87:
	s_or_b64 exec, exec, s[2:3]
	s_and_saveexec_b64 s[2:3], vcc
	s_cbranch_execnz .LBB51_108
.LBB51_88:
	s_or_b64 exec, exec, s[2:3]
	s_and_saveexec_b64 s[2:3], vcc
	s_cbranch_execnz .LBB51_109
.LBB51_89:
	s_or_b64 exec, exec, s[2:3]
	s_and_saveexec_b64 s[2:3], vcc
	s_cbranch_execnz .LBB51_110
.LBB51_90:
	s_or_b64 exec, exec, s[2:3]
	s_and_saveexec_b64 s[2:3], vcc
	s_cbranch_execnz .LBB51_111
.LBB51_91:
	s_or_b64 exec, exec, s[2:3]
	s_and_saveexec_b64 s[2:3], vcc
	s_cbranch_execnz .LBB51_112
.LBB51_92:
	s_or_b64 exec, exec, s[2:3]
	s_and_saveexec_b64 s[2:3], vcc
	s_cbranch_execnz .LBB51_113
.LBB51_93:
	s_or_b64 exec, exec, s[2:3]
	s_and_saveexec_b64 s[2:3], vcc
	s_cbranch_execz .LBB51_95
.LBB51_94:
	ds_read_b32 v18, v18 offset:480
	s_waitcnt lgkmcnt(0)
	v_add_f32_e32 v17, v17, v18
.LBB51_95:
	s_or_b64 exec, exec, s[2:3]
.LBB51_96:
	s_or_b64 exec, exec, s[0:1]
	v_cmp_eq_u32_e32 vcc, 0, v1
	s_barrier
	s_and_saveexec_b64 s[0:1], vcc
	s_cbranch_execz .LBB51_98
; %bb.97:
	s_mul_i32 s0, s14, s15
	s_mul_i32 s0, s0, s5
	s_lshl_b32 s0, s0, 7
	s_ashr_i32 s1, s0, 31
	s_lshl_b64 s[0:1], s[0:1], 2
	s_add_u32 s2, s22, s0
	s_mul_i32 s0, s15, s20
	s_addc_u32 s3, s23, s1
	s_ashr_i32 s1, s0, 31
	s_lshl_b64 s[0:1], s[0:1], 2
	s_add_u32 s2, s2, s0
	s_addc_u32 s3, s3, s1
	s_lshl_b32 s0, s4, 7
	s_ashr_i32 s1, s0, 31
	s_lshl_b64 s[0:1], s[0:1], 2
	s_add_u32 s0, s2, s0
	s_addc_u32 s1, s3, s1
	v_lshlrev_b32_e32 v0, 2, v0
	global_store_dword v0, v6, s[0:1]
	global_store_dword v0, v7, s[0:1] offset:32
	global_store_dword v0, v4, s[0:1] offset:64
	;; [unrolled: 1-line block ×15, first 2 shown]
.LBB51_98:
	s_endpgm
.LBB51_99:
	ds_read_b32 v19, v18
	s_waitcnt lgkmcnt(0)
	v_add_f32_e32 v6, v6, v19
	s_or_b64 exec, exec, s[2:3]
	s_and_saveexec_b64 s[2:3], vcc
	s_cbranch_execz .LBB51_80
.LBB51_100:
	ds_read_b32 v19, v18 offset:32
	s_waitcnt lgkmcnt(0)
	v_add_f32_e32 v7, v7, v19
	s_or_b64 exec, exec, s[2:3]
	s_and_saveexec_b64 s[2:3], vcc
	s_cbranch_execz .LBB51_81
.LBB51_101:
	ds_read_b32 v19, v18 offset:64
	s_waitcnt lgkmcnt(0)
	v_add_f32_e32 v4, v4, v19
	s_or_b64 exec, exec, s[2:3]
	s_and_saveexec_b64 s[2:3], vcc
	s_cbranch_execz .LBB51_82
.LBB51_102:
	ds_read_b32 v19, v18 offset:96
	s_waitcnt lgkmcnt(0)
	v_add_f32_e32 v5, v5, v19
	s_or_b64 exec, exec, s[2:3]
	s_and_saveexec_b64 s[2:3], vcc
	s_cbranch_execz .LBB51_83
.LBB51_103:
	ds_read_b32 v19, v18 offset:128
	s_waitcnt lgkmcnt(0)
	v_add_f32_e32 v2, v2, v19
	s_or_b64 exec, exec, s[2:3]
	s_and_saveexec_b64 s[2:3], vcc
	s_cbranch_execz .LBB51_84
.LBB51_104:
	ds_read_b32 v19, v18 offset:160
	s_waitcnt lgkmcnt(0)
	v_add_f32_e32 v3, v3, v19
	s_or_b64 exec, exec, s[2:3]
	s_and_saveexec_b64 s[2:3], vcc
	s_cbranch_execz .LBB51_85
.LBB51_105:
	ds_read_b32 v19, v18 offset:192
	s_waitcnt lgkmcnt(0)
	v_add_f32_e32 v14, v14, v19
	s_or_b64 exec, exec, s[2:3]
	s_and_saveexec_b64 s[2:3], vcc
	s_cbranch_execz .LBB51_86
.LBB51_106:
	ds_read_b32 v19, v18 offset:224
	s_waitcnt lgkmcnt(0)
	v_add_f32_e32 v15, v15, v19
	s_or_b64 exec, exec, s[2:3]
	s_and_saveexec_b64 s[2:3], vcc
	s_cbranch_execz .LBB51_87
.LBB51_107:
	ds_read_b32 v19, v18 offset:256
	s_waitcnt lgkmcnt(0)
	v_add_f32_e32 v12, v12, v19
	s_or_b64 exec, exec, s[2:3]
	s_and_saveexec_b64 s[2:3], vcc
	s_cbranch_execz .LBB51_88
.LBB51_108:
	ds_read_b32 v19, v18 offset:288
	s_waitcnt lgkmcnt(0)
	v_add_f32_e32 v13, v13, v19
	s_or_b64 exec, exec, s[2:3]
	s_and_saveexec_b64 s[2:3], vcc
	s_cbranch_execz .LBB51_89
.LBB51_109:
	ds_read_b32 v19, v18 offset:320
	s_waitcnt lgkmcnt(0)
	v_add_f32_e32 v10, v10, v19
	s_or_b64 exec, exec, s[2:3]
	s_and_saveexec_b64 s[2:3], vcc
	s_cbranch_execz .LBB51_90
.LBB51_110:
	ds_read_b32 v19, v18 offset:352
	s_waitcnt lgkmcnt(0)
	v_add_f32_e32 v11, v11, v19
	s_or_b64 exec, exec, s[2:3]
	s_and_saveexec_b64 s[2:3], vcc
	s_cbranch_execz .LBB51_91
.LBB51_111:
	ds_read_b32 v19, v18 offset:384
	s_waitcnt lgkmcnt(0)
	v_add_f32_e32 v8, v8, v19
	s_or_b64 exec, exec, s[2:3]
	s_and_saveexec_b64 s[2:3], vcc
	s_cbranch_execz .LBB51_92
.LBB51_112:
	ds_read_b32 v19, v18 offset:416
	s_waitcnt lgkmcnt(0)
	v_add_f32_e32 v9, v9, v19
	s_or_b64 exec, exec, s[2:3]
	s_and_saveexec_b64 s[2:3], vcc
	s_cbranch_execz .LBB51_93
.LBB51_113:
	ds_read_b32 v19, v18 offset:448
	s_waitcnt lgkmcnt(0)
	v_add_f32_e32 v16, v16, v19
	s_or_b64 exec, exec, s[2:3]
	s_and_saveexec_b64 s[2:3], vcc
	s_cbranch_execnz .LBB51_94
	s_branch .LBB51_95
	.section	.rodata,"a",@progbits
	.p2align	6, 0x0
	.amdhsa_kernel _ZN4vllm25paged_attention_v1_kernelIffLi128ELi32ELi128ELNS_18Fp8KVCacheDataTypeE0ELb0EEEvPT_PKS2_PKT0_S8_ifPKiSA_iPKfiiiSC_SC_iiiii
		.amdhsa_group_segment_fixed_size 528
		.amdhsa_private_segment_fixed_size 0
		.amdhsa_kernarg_size 384
		.amdhsa_user_sgpr_count 2
		.amdhsa_user_sgpr_dispatch_ptr 0
		.amdhsa_user_sgpr_queue_ptr 0
		.amdhsa_user_sgpr_kernarg_segment_ptr 1
		.amdhsa_user_sgpr_dispatch_id 0
		.amdhsa_user_sgpr_kernarg_preload_length 0
		.amdhsa_user_sgpr_kernarg_preload_offset 0
		.amdhsa_user_sgpr_private_segment_size 0
		.amdhsa_uses_dynamic_stack 0
		.amdhsa_enable_private_segment 0
		.amdhsa_system_sgpr_workgroup_id_x 1
		.amdhsa_system_sgpr_workgroup_id_y 1
		.amdhsa_system_sgpr_workgroup_id_z 1
		.amdhsa_system_sgpr_workgroup_info 0
		.amdhsa_system_vgpr_workitem_id 0
		.amdhsa_next_free_vgpr 102
		.amdhsa_next_free_sgpr 41
		.amdhsa_accum_offset 104
		.amdhsa_reserve_vcc 1
		.amdhsa_float_round_mode_32 0
		.amdhsa_float_round_mode_16_64 0
		.amdhsa_float_denorm_mode_32 3
		.amdhsa_float_denorm_mode_16_64 3
		.amdhsa_dx10_clamp 1
		.amdhsa_ieee_mode 1
		.amdhsa_fp16_overflow 0
		.amdhsa_tg_split 0
		.amdhsa_exception_fp_ieee_invalid_op 0
		.amdhsa_exception_fp_denorm_src 0
		.amdhsa_exception_fp_ieee_div_zero 0
		.amdhsa_exception_fp_ieee_overflow 0
		.amdhsa_exception_fp_ieee_underflow 0
		.amdhsa_exception_fp_ieee_inexact 0
		.amdhsa_exception_int_div_zero 0
	.end_amdhsa_kernel
	.section	.text._ZN4vllm25paged_attention_v1_kernelIffLi128ELi32ELi128ELNS_18Fp8KVCacheDataTypeE0ELb0EEEvPT_PKS2_PKT0_S8_ifPKiSA_iPKfiiiSC_SC_iiiii,"axG",@progbits,_ZN4vllm25paged_attention_v1_kernelIffLi128ELi32ELi128ELNS_18Fp8KVCacheDataTypeE0ELb0EEEvPT_PKS2_PKT0_S8_ifPKiSA_iPKfiiiSC_SC_iiiii,comdat
.Lfunc_end51:
	.size	_ZN4vllm25paged_attention_v1_kernelIffLi128ELi32ELi128ELNS_18Fp8KVCacheDataTypeE0ELb0EEEvPT_PKS2_PKT0_S8_ifPKiSA_iPKfiiiSC_SC_iiiii, .Lfunc_end51-_ZN4vllm25paged_attention_v1_kernelIffLi128ELi32ELi128ELNS_18Fp8KVCacheDataTypeE0ELb0EEEvPT_PKS2_PKT0_S8_ifPKiSA_iPKfiiiSC_SC_iiiii
                                        ; -- End function
	.set _ZN4vllm25paged_attention_v1_kernelIffLi128ELi32ELi128ELNS_18Fp8KVCacheDataTypeE0ELb0EEEvPT_PKS2_PKT0_S8_ifPKiSA_iPKfiiiSC_SC_iiiii.num_vgpr, 102
	.set _ZN4vllm25paged_attention_v1_kernelIffLi128ELi32ELi128ELNS_18Fp8KVCacheDataTypeE0ELb0EEEvPT_PKS2_PKT0_S8_ifPKiSA_iPKfiiiSC_SC_iiiii.num_agpr, 0
	.set _ZN4vllm25paged_attention_v1_kernelIffLi128ELi32ELi128ELNS_18Fp8KVCacheDataTypeE0ELb0EEEvPT_PKS2_PKT0_S8_ifPKiSA_iPKfiiiSC_SC_iiiii.numbered_sgpr, 41
	.set _ZN4vllm25paged_attention_v1_kernelIffLi128ELi32ELi128ELNS_18Fp8KVCacheDataTypeE0ELb0EEEvPT_PKS2_PKT0_S8_ifPKiSA_iPKfiiiSC_SC_iiiii.num_named_barrier, 0
	.set _ZN4vllm25paged_attention_v1_kernelIffLi128ELi32ELi128ELNS_18Fp8KVCacheDataTypeE0ELb0EEEvPT_PKS2_PKT0_S8_ifPKiSA_iPKfiiiSC_SC_iiiii.private_seg_size, 0
	.set _ZN4vllm25paged_attention_v1_kernelIffLi128ELi32ELi128ELNS_18Fp8KVCacheDataTypeE0ELb0EEEvPT_PKS2_PKT0_S8_ifPKiSA_iPKfiiiSC_SC_iiiii.uses_vcc, 1
	.set _ZN4vllm25paged_attention_v1_kernelIffLi128ELi32ELi128ELNS_18Fp8KVCacheDataTypeE0ELb0EEEvPT_PKS2_PKT0_S8_ifPKiSA_iPKfiiiSC_SC_iiiii.uses_flat_scratch, 0
	.set _ZN4vllm25paged_attention_v1_kernelIffLi128ELi32ELi128ELNS_18Fp8KVCacheDataTypeE0ELb0EEEvPT_PKS2_PKT0_S8_ifPKiSA_iPKfiiiSC_SC_iiiii.has_dyn_sized_stack, 0
	.set _ZN4vllm25paged_attention_v1_kernelIffLi128ELi32ELi128ELNS_18Fp8KVCacheDataTypeE0ELb0EEEvPT_PKS2_PKT0_S8_ifPKiSA_iPKfiiiSC_SC_iiiii.has_recursion, 0
	.set _ZN4vllm25paged_attention_v1_kernelIffLi128ELi32ELi128ELNS_18Fp8KVCacheDataTypeE0ELb0EEEvPT_PKS2_PKT0_S8_ifPKiSA_iPKfiiiSC_SC_iiiii.has_indirect_call, 0
	.section	.AMDGPU.csdata,"",@progbits
; Kernel info:
; codeLenInByte = 6948
; TotalNumSgprs: 47
; NumVgprs: 102
; NumAgprs: 0
; TotalNumVgprs: 102
; ScratchSize: 0
; MemoryBound: 0
; FloatMode: 240
; IeeeMode: 1
; LDSByteSize: 528 bytes/workgroup (compile time only)
; SGPRBlocks: 5
; VGPRBlocks: 12
; NumSGPRsForWavesPerEU: 47
; NumVGPRsForWavesPerEU: 102
; AccumOffset: 104
; Occupancy: 4
; WaveLimiterHint : 1
; COMPUTE_PGM_RSRC2:SCRATCH_EN: 0
; COMPUTE_PGM_RSRC2:USER_SGPR: 2
; COMPUTE_PGM_RSRC2:TRAP_HANDLER: 0
; COMPUTE_PGM_RSRC2:TGID_X_EN: 1
; COMPUTE_PGM_RSRC2:TGID_Y_EN: 1
; COMPUTE_PGM_RSRC2:TGID_Z_EN: 1
; COMPUTE_PGM_RSRC2:TIDIG_COMP_CNT: 0
; COMPUTE_PGM_RSRC3_GFX90A:ACCUM_OFFSET: 25
; COMPUTE_PGM_RSRC3_GFX90A:TG_SPLIT: 0
	.section	.text._ZN4vllm25paged_attention_v1_kernelIffLi192ELi32ELi128ELNS_18Fp8KVCacheDataTypeE0ELb0EEEvPT_PKS2_PKT0_S8_ifPKiSA_iPKfiiiSC_SC_iiiii,"axG",@progbits,_ZN4vllm25paged_attention_v1_kernelIffLi192ELi32ELi128ELNS_18Fp8KVCacheDataTypeE0ELb0EEEvPT_PKS2_PKT0_S8_ifPKiSA_iPKfiiiSC_SC_iiiii,comdat
	.protected	_ZN4vllm25paged_attention_v1_kernelIffLi192ELi32ELi128ELNS_18Fp8KVCacheDataTypeE0ELb0EEEvPT_PKS2_PKT0_S8_ifPKiSA_iPKfiiiSC_SC_iiiii ; -- Begin function _ZN4vllm25paged_attention_v1_kernelIffLi192ELi32ELi128ELNS_18Fp8KVCacheDataTypeE0ELb0EEEvPT_PKS2_PKT0_S8_ifPKiSA_iPKfiiiSC_SC_iiiii
	.globl	_ZN4vllm25paged_attention_v1_kernelIffLi192ELi32ELi128ELNS_18Fp8KVCacheDataTypeE0ELb0EEEvPT_PKS2_PKT0_S8_ifPKiSA_iPKfiiiSC_SC_iiiii
	.p2align	8
	.type	_ZN4vllm25paged_attention_v1_kernelIffLi192ELi32ELi128ELNS_18Fp8KVCacheDataTypeE0ELb0EEEvPT_PKS2_PKT0_S8_ifPKiSA_iPKfiiiSC_SC_iiiii,@function
_ZN4vllm25paged_attention_v1_kernelIffLi192ELi32ELi128ELNS_18Fp8KVCacheDataTypeE0ELb0EEEvPT_PKS2_PKT0_S8_ifPKiSA_iPKfiiiSC_SC_iiiii: ; @_ZN4vllm25paged_attention_v1_kernelIffLi192ELi32ELi128ELNS_18Fp8KVCacheDataTypeE0ELb0EEEvPT_PKS2_PKT0_S8_ifPKiSA_iPKfiiiSC_SC_iiiii
; %bb.0:
	s_load_dword s5, s[0:1], 0x80
	s_load_dwordx2 s[6:7], s[0:1], 0x30
	s_load_dwordx2 s[34:35], s[0:1], 0x20
	s_mov_b32 s20, s3
	s_ashr_i32 s21, s3, 31
	s_lshl_b64 s[8:9], s[20:21], 2
	s_waitcnt lgkmcnt(0)
	s_add_u32 s6, s6, s8
	s_addc_u32 s7, s7, s9
	s_abs_i32 s3, s34
	v_mov_b32_e32 v14, v0
	v_cvt_f32_u32_e32 v0, s3
	s_sub_i32 s10, 0, s3
	s_abs_i32 s9, s5
	s_xor_b32 s8, s5, s34
	v_rcp_iflag_f32_e32 v0, v0
	s_ashr_i32 s8, s8, 31
	s_mov_b32 s33, 0
	v_mul_f32_e32 v0, 0x4f7ffffe, v0
	v_cvt_u32_f32_e32 v0, v0
	s_nop 0
	v_readfirstlane_b32 s11, v0
	s_mul_i32 s10, s10, s11
	s_mul_hi_u32 s10, s11, s10
	s_add_i32 s11, s11, s10
	s_mul_hi_u32 s10, s9, s11
	s_mul_i32 s11, s10, s3
	s_sub_i32 s9, s9, s11
	s_add_i32 s11, s10, 1
	s_sub_i32 s12, s9, s3
	s_cmp_ge_u32 s9, s3
	s_cselect_b32 s10, s11, s10
	s_cselect_b32 s9, s12, s9
	s_add_i32 s11, s10, 1
	s_cmp_ge_u32 s9, s3
	s_cselect_b32 s3, s11, s10
	s_xor_b32 s3, s3, s8
	s_sub_i32 s13, s3, s8
	s_abs_i32 s10, s13
	v_cvt_f32_u32_e32 v0, s10
	s_load_dwordx2 s[8:9], s[0:1], 0x40
	s_sub_i32 s3, 0, s10
	s_abs_i32 s11, s2
	v_rcp_iflag_f32_e32 v0, v0
	s_nop 0
	v_mul_f32_e32 v0, 0x4f7ffffe, v0
	v_cvt_u32_f32_e32 v0, v0
	s_nop 0
	v_readfirstlane_b32 s12, v0
	s_mul_i32 s3, s3, s12
	s_mul_hi_u32 s3, s12, s3
	s_add_i32 s12, s12, s3
	s_waitcnt lgkmcnt(0)
	s_cmp_eq_u64 s[8:9], 0
	s_mul_hi_u32 s12, s11, s12
	s_cbranch_scc1 .LBB52_2
; %bb.1:
	s_ashr_i32 s3, s2, 31
	s_lshl_b64 s[14:15], s[2:3], 2
	s_add_u32 s8, s8, s14
	s_addc_u32 s9, s9, s15
	s_load_dword s33, s[8:9], 0x0
.LBB52_2:
	s_load_dword s21, s[6:7], 0x0
	s_load_dwordx4 s[16:19], s[0:1], 0x48
	s_ashr_i32 s6, s2, 31
	s_mul_i32 s22, s2, 0xc0
	s_movk_i32 s2, 0x60
	s_ashr_i32 s7, s13, 31
	v_and_b32_e32 v42, 1, v14
	v_cmp_gt_u32_e32 vcc, s2, v14
	v_lshlrev_b32_e32 v0, 3, v14
	v_lshlrev_b32_e32 v15, 2, v14
	s_and_saveexec_b64 s[2:3], vcc
	s_cbranch_execz .LBB52_4
; %bb.3:
	s_load_dwordx2 s[8:9], s[0:1], 0x8
	s_waitcnt lgkmcnt(0)
	s_mul_i32 s14, s16, s20
	s_ashr_i32 s15, s14, 31
	s_lshl_b64 s[14:15], s[14:15], 2
	v_and_b32_e32 v1, 0xff8, v15
	s_add_u32 s13, s8, s14
	s_addc_u32 s14, s9, s15
	s_ashr_i32 s23, s22, 31
	s_lshl_b64 s[8:9], s[22:23], 2
	s_add_u32 s8, s13, s8
	s_addc_u32 s9, s14, s9
	global_load_dwordx2 v[2:3], v0, s[8:9]
	s_movk_i32 s8, 0x180
	v_mad_u32_u24 v1, v42, s8, v1
	s_waitcnt vmcnt(0)
	ds_write_b64 v1, v[2:3]
.LBB52_4:
	s_or_b64 exec, exec, s[2:3]
	s_waitcnt lgkmcnt(0)
	s_add_i32 s3, s21, 31
	s_ashr_i32 s8, s3, 31
	s_lshr_b32 s8, s8, 27
	s_add_i32 s3, s3, s8
	s_ashr_i32 s23, s3, 5
	s_xor_b32 s3, s6, s7
	s_mul_i32 s6, s12, s10
	s_sub_i32 s6, s11, s6
	s_add_i32 s7, s12, 1
	s_sub_i32 s8, s6, s10
	s_load_dwordx2 s[26:27], s[0:1], 0x28
	s_load_dword s2, s[0:1], 0x38
	s_cmp_ge_u32 s6, s10
	s_cselect_b32 s7, s7, s12
	s_cselect_b32 s6, s8, s6
	s_add_i32 s8, s7, 1
	s_cmp_ge_u32 s6, s10
	s_cselect_b32 s6, s8, s7
	v_lshrrev_b32_e32 v66, 6, v14
	s_xor_b32 s6, s6, s3
	s_waitcnt lgkmcnt(0)
	s_mul_i32 s28, s2, s20
	s_sub_i32 s8, s6, s3
	s_ashr_i32 s29, s28, 31
	v_cmp_gt_i32_e64 s[6:7], s23, v66
	v_cmp_le_i32_e32 vcc, s23, v66
	v_mbcnt_lo_u32_b32 v43, -1, 0
	s_barrier
                                        ; implicit-def: $vgpr116
                                        ; implicit-def: $vgpr7
                                        ; implicit-def: $vgpr8
	s_and_saveexec_b64 s[2:3], vcc
	s_xor_b64 s[2:3], exec, s[2:3]
; %bb.5:
	v_mbcnt_hi_u32_b32 v116, -1, v43
	v_and_b32_e32 v7, 64, v116
	v_add_u32_e32 v8, 64, v7
                                        ; implicit-def: $vgpr0
                                        ; implicit-def: $vgpr42
                                        ; implicit-def: $vgpr43
; %bb.6:
	s_or_saveexec_b64 s[36:37], s[2:3]
	s_load_dwordx2 s[24:25], s[0:1], 0x0
	s_load_dwordx2 s[30:31], s[0:1], 0x18
	s_load_dword s16, s[0:1], 0x88
	v_mov_b32_e32 v117, 0xff7fffff
	s_mul_i32 s18, s8, s18
	v_lshrrev_b32_e32 v48, 4, v14
	scratch_store_dword off, v14, off offset:44 ; 4-byte Folded Spill
	s_xor_b64 exec, exec, s[36:37]
	s_cbranch_execz .LBB52_12
; %bb.7:
	s_load_dwordx2 s[0:1], s[0:1], 0x10
	s_ashr_i32 s19, s18, 31
	s_lshl_b64 s[2:3], s[18:19], 2
	v_bfe_u32 v46, v14, 1, 5
	v_lshlrev_b32_e32 v44, 4, v46
	s_waitcnt lgkmcnt(0)
	s_add_u32 s0, s0, s2
	s_addc_u32 s1, s1, s3
	v_mov_b32_e32 v45, 0
	v_lshl_add_u64 v[2:3], s[0:1], 0, v[44:45]
	v_and_b32_e32 v44, 8, v0
	v_mbcnt_hi_u32_b32 v116, -1, v43
	v_lshl_add_u64 v[0:1], v[2:3], 0, v[44:45]
	v_and_b32_e32 v44, 64, v116
	scratch_store_dword off, v15, off offset:4 ; 4-byte Folded Spill
	v_mul_u32_u24_e32 v94, 0x180, v42
	v_xor_b32_e32 v43, 1, v116
	v_add_u32_e32 v44, 64, v44
	s_sub_i32 s19, 1, s21
	s_lshl_b64 s[0:1], s[28:29], 2
	v_lshlrev_b32_e32 v47, 2, v46
	ds_read_b128 v[2:5], v94
	ds_read_b128 v[6:9], v94 offset:16
	ds_read_b128 v[10:13], v94 offset:32
	;; [unrolled: 1-line block ×9, first 2 shown]
	v_cmp_lt_i32_e32 vcc, v43, v44
	s_add_u32 s0, s26, s0
	scratch_store_dword off, v44, off offset:16 ; 4-byte Folded Spill
	v_cndmask_b32_e32 v43, v116, v43, vcc
	v_cmp_eq_u32_e32 vcc, 0, v42
	v_lshl_or_b32 v42, v66, 7, v47
	scratch_store_dword off, v48, off offset:8 ; 4-byte Folded Spill
	v_and_b32_e32 v44, 60, v48
	s_addc_u32 s1, s27, s1
	v_lshlrev_b32_e32 v118, 2, v43
	v_lshl_or_b32 v119, v66, 5, v46
	v_add_u32_e32 v120, 0x310, v42
	v_lshl_add_u64 v[98:99], s[0:1], 0, v[44:45]
	ds_read_b128 v[42:45], v94 offset:160
	ds_read_b128 v[46:49], v94 offset:176
	;; [unrolled: 1-line block ×6, first 2 shown]
	v_mov_b32_e32 v121, v66
	ds_read_b128 v[66:69], v94 offset:256
	ds_read_b128 v[70:73], v94 offset:272
	;; [unrolled: 1-line block ×8, first 2 shown]
	s_mov_b32 s34, s17
	v_cmp_neq_f32_e64 s[2:3], s33, 0
	v_mov_b32_e32 v117, 0xff7fffff
	s_mov_b64 s[38:39], 0
	s_movk_i32 s40, 0x1000
	s_movk_i32 s41, 0x2000
	;; [unrolled: 1-line block ×5, first 2 shown]
	scratch_store_dword off, v121, off      ; 4-byte Folded Spill
	s_branch .LBB52_9
.LBB52_8:                               ;   in Loop: Header=BB52_9 Depth=1
	s_or_b64 exec, exec, s[8:9]
	v_add_u32_e32 v121, 2, v121
	v_cmp_le_i32_e64 s[0:1], s23, v121
	v_add_u32_e32 v119, 64, v119
	v_add_u32_e32 v120, 0x100, v120
	s_or_b64 s[38:39], s[0:1], s[38:39]
	v_lshl_add_u64 v[98:99], v[98:99], 0, 8
	s_andn2_b64 exec, exec, s[38:39]
	s_cbranch_execz .LBB52_11
.LBB52_9:                               ; =>This Inner Loop Header: Depth=1
	global_load_dword v100, v[98:99], off
	s_waitcnt vmcnt(0) lgkmcnt(0)
	v_mad_i64_i32 v[100:101], s[0:1], v100, s34, 0
	v_lshl_add_u64 v[108:109], v[100:101], 2, v[0:1]
	global_load_dwordx2 v[100:101], v[108:109], off offset:512
	global_load_dwordx2 v[102:103], v[108:109], off
	global_load_dwordx2 v[104:105], v[108:109], off offset:1024
	global_load_dwordx2 v[110:111], v[108:109], off offset:1536
	;; [unrolled: 1-line block ×4, first 2 shown]
	v_add_co_u32_e64 v114, s[0:1], s40, v108
	v_add_co_u32_e64 v106, s[8:9], s41, v108
	global_load_dwordx2 v[126:127], v[108:109], off offset:3072
	v_addc_co_u32_e64 v115, s[0:1], 0, v109, s[0:1]
	v_addc_co_u32_e64 v107, s[0:1], 0, v109, s[8:9]
	s_waitcnt vmcnt(6) lgkmcnt(14)
	v_mul_f32_e32 v122, v4, v100
	v_mul_f32_e32 v123, v5, v101
	s_waitcnt vmcnt(5)
	v_fmac_f32_e32 v122, v2, v102
	v_fmac_f32_e32 v123, v3, v103
	s_waitcnt vmcnt(4)
	v_fmac_f32_e32 v122, v6, v104
	v_fmac_f32_e32 v123, v7, v105
	v_add_co_u32_e64 v104, s[10:11], s42, v108
	v_add_co_u32_e64 v102, s[12:13], s43, v108
	;; [unrolled: 1-line block ×3, first 2 shown]
	s_waitcnt vmcnt(3)
	v_fmac_f32_e32 v122, v8, v110
	v_fmac_f32_e32 v123, v9, v111
	v_addc_co_u32_e64 v105, s[0:1], 0, v109, s[10:11]
	v_addc_co_u32_e64 v103, s[0:1], 0, v109, s[12:13]
	;; [unrolled: 1-line block ×3, first 2 shown]
	global_load_dwordx2 v[110:111], v[106:107], off offset:-4096
	s_waitcnt vmcnt(3)
	v_fmac_f32_e32 v122, v10, v112
	global_load_dwordx2 v[108:109], v[108:109], off offset:3584
	v_fmac_f32_e32 v123, v11, v113
	s_waitcnt vmcnt(3)
	v_fmac_f32_e32 v122, v12, v124
	v_fmac_f32_e32 v123, v13, v125
	s_waitcnt vmcnt(2)
	v_fmac_f32_e32 v122, v14, v126
	;; [unrolled: 3-line block ×3, first 2 shown]
	v_fmac_f32_e32 v123, v17, v109
	global_load_dwordx2 v[108:109], v[114:115], off offset:512
	v_fmac_f32_e32 v122, v18, v110
	v_fmac_f32_e32 v123, v19, v111
	global_load_dwordx2 v[110:111], v[114:115], off offset:1024
	s_waitcnt vmcnt(1)
	v_fmac_f32_e32 v122, v20, v108
	v_fmac_f32_e32 v123, v21, v109
	global_load_dwordx2 v[108:109], v[114:115], off offset:1536
	s_waitcnt vmcnt(1)
	;; [unrolled: 4-line block ×4, first 2 shown]
	v_fmac_f32_e32 v122, v26, v110
	v_fmac_f32_e32 v123, v27, v111
	global_load_dwordx2 v[110:111], v[114:115], off offset:3072
	global_load_dwordx2 v[112:113], v[114:115], off offset:3584
	s_waitcnt vmcnt(2)
	v_fmac_f32_e32 v122, v28, v108
	v_fmac_f32_e32 v123, v29, v109
	global_load_dwordx2 v[108:109], v[106:107], off
	s_waitcnt vmcnt(2)
	v_fmac_f32_e32 v122, v30, v110
	v_fmac_f32_e32 v123, v31, v111
	global_load_dwordx2 v[110:111], v[106:107], off offset:512
	s_waitcnt vmcnt(2)
	v_fmac_f32_e32 v122, v32, v112
	v_fmac_f32_e32 v123, v33, v113
	global_load_dwordx2 v[112:113], v[106:107], off offset:1024
	;; [unrolled: 4-line block ×6, first 2 shown]
	s_nop 0
	global_load_dwordx2 v[106:107], v[106:107], off offset:3584
	s_waitcnt vmcnt(3) lgkmcnt(13)
	v_fmac_f32_e32 v122, v42, v110
	v_fmac_f32_e32 v123, v43, v111
	global_load_dwordx2 v[110:111], v[102:103], off offset:-4096
	s_waitcnt vmcnt(3)
	v_fmac_f32_e32 v122, v44, v112
	v_fmac_f32_e32 v123, v45, v113
	global_load_dwordx2 v[112:113], v[104:105], off offset:512
	s_waitcnt vmcnt(3) lgkmcnt(12)
	v_fmac_f32_e32 v122, v46, v108
	v_fmac_f32_e32 v123, v47, v109
	global_load_dwordx2 v[108:109], v[104:105], off offset:1024
	s_waitcnt vmcnt(3)
	v_fmac_f32_e32 v122, v48, v106
	v_fmac_f32_e32 v123, v49, v107
	global_load_dwordx2 v[106:107], v[104:105], off offset:1536
	s_waitcnt vmcnt(3) lgkmcnt(11)
	v_fmac_f32_e32 v122, v50, v110
	v_fmac_f32_e32 v123, v51, v111
	global_load_dwordx2 v[110:111], v[104:105], off offset:2048
	s_waitcnt vmcnt(3)
	v_fmac_f32_e32 v122, v52, v112
	v_fmac_f32_e32 v123, v53, v113
	global_load_dwordx2 v[112:113], v[104:105], off offset:2560
	s_waitcnt vmcnt(3) lgkmcnt(10)
	v_fmac_f32_e32 v122, v54, v108
	v_fmac_f32_e32 v123, v55, v109
	global_load_dwordx2 v[108:109], v[104:105], off offset:3072
	s_nop 0
	global_load_dwordx2 v[104:105], v[104:105], off offset:3584
	s_waitcnt vmcnt(4)
	v_fmac_f32_e32 v122, v56, v106
	v_fmac_f32_e32 v123, v57, v107
	global_load_dwordx2 v[106:107], v[102:103], off
	s_waitcnt vmcnt(4) lgkmcnt(9)
	v_fmac_f32_e32 v122, v58, v110
	v_fmac_f32_e32 v123, v59, v111
	global_load_dwordx2 v[110:111], v[102:103], off offset:512
	s_waitcnt vmcnt(4)
	v_fmac_f32_e32 v122, v60, v112
	v_fmac_f32_e32 v123, v61, v113
	global_load_dwordx2 v[112:113], v[102:103], off offset:1024
	s_waitcnt vmcnt(4) lgkmcnt(8)
	v_fmac_f32_e32 v122, v62, v108
	v_fmac_f32_e32 v123, v63, v109
	global_load_dwordx2 v[108:109], v[102:103], off offset:1536
	s_waitcnt vmcnt(4)
	v_fmac_f32_e32 v122, v64, v104
	v_fmac_f32_e32 v123, v65, v105
	global_load_dwordx2 v[104:105], v[102:103], off offset:2048
	s_waitcnt vmcnt(4) lgkmcnt(7)
	v_fmac_f32_e32 v122, v66, v106
	v_fmac_f32_e32 v123, v67, v107
	global_load_dwordx2 v[106:107], v[102:103], off offset:2560
	global_load_dwordx2 v[114:115], v[102:103], off offset:3072
	s_nop 0
	global_load_dwordx2 v[102:103], v[102:103], off offset:3584
	s_waitcnt vmcnt(6)
	v_fmac_f32_e32 v122, v68, v110
	v_fmac_f32_e32 v123, v69, v111
	global_load_dwordx2 v[124:125], v[100:101], off
	global_load_dwordx2 v[110:111], v[100:101], off offset:1024
	s_waitcnt vmcnt(7) lgkmcnt(6)
	v_fmac_f32_e32 v122, v70, v112
	v_fmac_f32_e32 v123, v71, v113
	global_load_dwordx2 v[112:113], v[100:101], off offset:512
	s_waitcnt vmcnt(7)
	v_fmac_f32_e32 v122, v72, v108
	v_fmac_f32_e32 v123, v73, v109
	global_load_dwordx2 v[108:109], v[100:101], off offset:1536
	s_waitcnt vmcnt(7) lgkmcnt(5)
	v_fmac_f32_e32 v122, v74, v104
	v_fmac_f32_e32 v123, v75, v105
	global_load_dwordx2 v[104:105], v[100:101], off offset:2560
	s_waitcnt vmcnt(7)
	v_fmac_f32_e32 v122, v76, v106
	v_fmac_f32_e32 v123, v77, v107
	global_load_dwordx2 v[106:107], v[100:101], off offset:2048
	s_waitcnt vmcnt(7) lgkmcnt(4)
	v_fmac_f32_e32 v122, v78, v114
	v_fmac_f32_e32 v123, v79, v115
	s_waitcnt vmcnt(6)
	v_fmac_f32_e32 v122, v80, v102
	v_fmac_f32_e32 v123, v81, v103
	global_load_dwordx2 v[102:103], v[100:101], off offset:3072
	s_nop 0
	global_load_dwordx2 v[100:101], v[100:101], off offset:3584
	s_waitcnt vmcnt(7) lgkmcnt(3)
	v_fmac_f32_e32 v122, v82, v124
	v_fmac_f32_e32 v123, v83, v125
	s_waitcnt vmcnt(5)
	v_fmac_f32_e32 v122, v84, v112
	v_fmac_f32_e32 v123, v85, v113
	s_waitcnt lgkmcnt(2)
	v_fmac_f32_e32 v122, v86, v110
	v_fmac_f32_e32 v123, v87, v111
	s_waitcnt vmcnt(4)
	v_fmac_f32_e32 v122, v88, v108
	v_fmac_f32_e32 v123, v89, v109
	s_waitcnt vmcnt(2) lgkmcnt(1)
	v_fmac_f32_e32 v122, v90, v106
	v_fmac_f32_e32 v123, v91, v107
	v_fmac_f32_e32 v122, v92, v104
	v_fmac_f32_e32 v123, v93, v105
	s_waitcnt vmcnt(1) lgkmcnt(0)
	v_fmac_f32_e32 v122, v94, v102
	v_fmac_f32_e32 v123, v95, v103
	s_waitcnt vmcnt(0)
	v_fmac_f32_e32 v122, v96, v100
	v_fmac_f32_e32 v123, v97, v101
	v_add_f32_e32 v100, v122, v123
	ds_bpermute_b32 v101, v118, v100
	s_and_saveexec_b64 s[8:9], vcc
	s_cbranch_execz .LBB52_8
; %bb.10:                               ;   in Loop: Header=BB52_9 Depth=1
	v_add_u32_e32 v102, s19, v119
	v_cvt_f32_i32_e32 v102, v102
	s_waitcnt lgkmcnt(0)
	v_add_f32_e32 v100, v100, v101
	v_cmp_gt_i32_e64 s[0:1], s21, v119
	v_max_f32_e32 v101, v117, v117
	v_mul_f32_e32 v102, s33, v102
	v_cndmask_b32_e64 v102, 0, v102, s[2:3]
	v_fmac_f32_e32 v102, s35, v100
	v_cndmask_b32_e64 v100, 0, v102, s[0:1]
	ds_write_b32 v120, v100
	v_max_f32_e32 v100, v101, v102
	v_cndmask_b32_e64 v117, v117, v100, s[0:1]
	s_branch .LBB52_8
.LBB52_11:
	s_or_b64 exec, exec, s[38:39]
	scratch_load_dword v14, off, off offset:44 ; 4-byte Folded Reload
	scratch_load_dword v66, off, off        ; 4-byte Folded Reload
	scratch_load_dword v15, off, off offset:4 ; 4-byte Folded Reload
	scratch_load_dword v48, off, off offset:8 ; 4-byte Folded Reload
	;; [unrolled: 1-line block ×3, first 2 shown]
	v_and_b32_e32 v7, 64, v116
.LBB52_12:
	s_or_b64 exec, exec, s[36:37]
	v_xor_b32_e32 v0, 32, v116
	s_waitcnt vmcnt(0)
	v_cmp_lt_i32_e32 vcc, v0, v8
	v_xor_b32_e32 v3, 16, v116
	v_max_f32_e32 v2, v117, v117
	v_cndmask_b32_e32 v0, v116, v0, vcc
	v_lshlrev_b32_e32 v0, 2, v0
	ds_bpermute_b32 v1, v0, v117
	v_cmp_lt_i32_e32 vcc, v3, v8
	v_xor_b32_e32 v4, 8, v116
	v_xor_b32_e32 v5, 4, v116
	s_waitcnt lgkmcnt(0)
	v_max_f32_e32 v1, v1, v1
	v_max_f32_e32 v2, v2, v1
	v_cndmask_b32_e32 v1, v116, v3, vcc
	v_lshlrev_b32_e32 v1, 2, v1
	ds_bpermute_b32 v3, v1, v2
	v_cmp_lt_i32_e32 vcc, v4, v8
	s_waitcnt lgkmcnt(0)
	v_max_f32_e32 v3, v3, v3
	v_max_f32_e32 v3, v2, v3
	v_cndmask_b32_e32 v2, v116, v4, vcc
	v_lshlrev_b32_e32 v2, 2, v2
	ds_bpermute_b32 v4, v2, v3
	v_cmp_lt_i32_e32 vcc, v5, v8
	s_waitcnt lgkmcnt(0)
	v_max_f32_e32 v4, v4, v4
	v_max_f32_e32 v3, v3, v4
	v_cndmask_b32_e32 v4, v116, v5, vcc
	v_lshlrev_b32_e32 v4, 2, v4
	scratch_store_dword off, v4, off offset:36 ; 4-byte Folded Spill
	ds_bpermute_b32 v4, v4, v3
	v_xor_b32_e32 v5, 2, v116
	v_cmp_lt_i32_e32 vcc, v5, v8
	s_waitcnt lgkmcnt(0)
	v_max_f32_e32 v4, v4, v4
	v_max_f32_e32 v4, v3, v4
	v_cndmask_b32_e32 v3, v116, v5, vcc
	v_lshlrev_b32_e32 v3, 2, v3
	ds_bpermute_b32 v5, v3, v4
	scratch_store_dword off, v3, off offset:40 ; 4-byte Folded Spill
	v_and_b32_e32 v3, 63, v14
	scratch_store_dword off, v3, off offset:52 ; 4-byte Folded Spill
	v_cmp_eq_u32_e32 vcc, 0, v3
	v_lshlrev_b32_e32 v3, 2, v66
	s_and_saveexec_b64 s[0:1], vcc
	s_cbranch_execz .LBB52_14
; %bb.13:
	s_waitcnt lgkmcnt(0)
	v_max_f32_e32 v5, v5, v5
	v_max_f32_e32 v4, v4, v4
	;; [unrolled: 1-line block ×3, first 2 shown]
	ds_write_b32 v3, v4 offset:768
.LBB52_14:
	s_or_b64 exec, exec, s[0:1]
	v_and_b32_e32 v4, 63, v14
	v_cmp_gt_u32_e64 s[0:1], 2, v4
	s_waitcnt lgkmcnt(0)
	v_mov_b32_e32 v5, 0xff7fffff
	v_lshlrev_b32_e32 v4, 2, v4
	s_barrier
	s_and_saveexec_b64 s[2:3], s[0:1]
; %bb.15:
	ds_read_b32 v5, v4 offset:768
; %bb.16:
	s_or_b64 exec, exec, s[2:3]
	v_xor_b32_e32 v6, 1, v116
	v_cmp_lt_i32_e64 s[2:3], v6, v8
	s_nop 1
	v_cndmask_b32_e64 v6, v116, v6, s[2:3]
	v_lshlrev_b32_e32 v6, 2, v6
	scratch_store_dword off, v6, off offset:32 ; 4-byte Folded Spill
	s_waitcnt lgkmcnt(0)
	ds_bpermute_b32 v6, v6, v5
	v_max_f32_e32 v5, v5, v5
	s_lshl_b32 s2, s23, 5
	s_min_i32 s14, s2, s21
	v_cmp_gt_i32_e64 s[2:3], s14, v14
	s_waitcnt lgkmcnt(0)
	v_max_f32_e32 v6, v6, v6
	v_max_f32_e32 v5, v5, v6
	v_lshlrev_b32_e32 v6, 2, v7
	ds_bpermute_b32 v6, v6, v5
	v_mov_b32_e32 v5, 0
	s_and_saveexec_b64 s[10:11], s[2:3]
	s_cbranch_execz .LBB52_20
; %bb.17:
	v_mov_b32_e32 v5, 0x310
	v_lshl_add_u32 v7, v14, 2, v5
	v_mov_b32_e32 v5, 0
	s_mov_b64 s[12:13], 0
	v_mov_b32_e32 v8, v14
.LBB52_18:                              ; =>This Inner Loop Header: Depth=1
	ds_read_b32 v9, v7
	v_add_u32_e32 v8, 0x80, v8
	v_cmp_le_i32_e64 s[8:9], s14, v8
	s_or_b64 s[12:13], s[8:9], s[12:13]
	s_waitcnt lgkmcnt(0)
	v_sub_f32_e32 v9, v9, v6
	v_mul_f32_e32 v9, 0x3fb8aa3b, v9
	v_exp_f32_e32 v9, v9
	ds_write_b32 v7, v9
	v_add_f32_e32 v5, v5, v9
	v_add_u32_e32 v7, 0x200, v7
	s_andn2_b64 exec, exec, s[12:13]
	s_cbranch_execnz .LBB52_18
; %bb.19:
	s_or_b64 exec, exec, s[12:13]
.LBB52_20:
	s_or_b64 exec, exec, s[10:11]
	ds_bpermute_b32 v0, v0, v5
	s_waitcnt lgkmcnt(0)
	v_add_f32_e32 v0, v5, v0
	ds_bpermute_b32 v1, v1, v0
	s_waitcnt lgkmcnt(0)
	v_add_f32_e32 v0, v0, v1
	;; [unrolled: 3-line block ×3, first 2 shown]
	scratch_load_dword v1, off, off offset:36 ; 4-byte Folded Reload
	s_waitcnt vmcnt(0)
	ds_bpermute_b32 v1, v1, v0
	s_waitcnt lgkmcnt(0)
	v_add_f32_e32 v0, v0, v1
	scratch_load_dword v1, off, off offset:40 ; 4-byte Folded Reload
	s_waitcnt vmcnt(0)
	ds_bpermute_b32 v1, v1, v0
	s_waitcnt lgkmcnt(0)
	v_add_f32_e32 v0, v0, v1
	;; [unrolled: 5-line block ×3, first 2 shown]
	s_and_saveexec_b64 s[8:9], vcc
; %bb.21:
	ds_write_b32 v3, v0 offset:776
; %bb.22:
	s_or_b64 exec, exec, s[8:9]
	s_waitcnt lgkmcnt(0)
	s_barrier
	s_and_saveexec_b64 s[8:9], s[0:1]
; %bb.23:
	ds_read_b32 v0, v4 offset:776
; %bb.24:
	s_or_b64 exec, exec, s[8:9]
	scratch_load_dword v1, off, off offset:32 ; 4-byte Folded Reload
	v_lshlrev_b32_e32 v2, 2, v116
	s_waitcnt vmcnt(0) lgkmcnt(0)
	ds_bpermute_b32 v1, v1, v0
	s_waitcnt lgkmcnt(0)
	v_add_f32_e32 v0, v0, v1
	v_and_b32_e32 v1, 0xffffff00, v2
	ds_bpermute_b32 v0, v1, v0
	s_and_saveexec_b64 s[0:1], s[2:3]
	s_cbranch_execz .LBB52_37
; %bb.25:
	s_waitcnt lgkmcnt(0)
	v_add_f32_e32 v0, 0x358637bd, v0
	v_div_scale_f32 v1, s[2:3], v0, v0, 1.0
	v_rcp_f32_e32 v2, v1
	v_div_scale_f32 v3, vcc, 1.0, v0, 1.0
	s_movk_i32 s2, 0x7f
	v_fma_f32 v4, -v1, v2, 1.0
	v_fmac_f32_e32 v2, v4, v2
	v_mul_f32_e32 v4, v3, v2
	v_fma_f32 v5, -v1, v4, v3
	v_fmac_f32_e32 v4, v5, v2
	v_fma_f32 v1, -v1, v4, v3
	v_div_fmas_f32 v1, v1, v2, v4
	v_xad_u32 v2, v14, -1, s14
	v_div_fixup_f32 v0, v1, v0, 1.0
	v_cmp_lt_u32_e32 vcc, s2, v2
	s_mov_b64 s[8:9], -1
	v_mov_b32_e32 v1, v14
	s_and_saveexec_b64 s[2:3], vcc
	s_cbranch_execz .LBB52_34
; %bb.26:
	v_lshrrev_b32_e32 v2, 7, v2
	v_add_u32_e32 v4, -1, v2
	v_lshrrev_b32_e32 v3, 1, v4
	v_mov_b32_e32 v1, v0
	v_add_u32_e32 v3, 1, v3
	v_cmp_lt_u32_e32 vcc, 13, v4
	v_mov_b32_e32 v6, 0
	s_and_saveexec_b64 s[8:9], vcc
	s_cbranch_execz .LBB52_30
; %bb.27:
	v_mov_b32_e32 v5, 0x310
	v_and_b32_e32 v4, -8, v3
	v_lshl_add_u32 v5, v14, 2, v5
	s_mov_b32 s12, 0
	s_mov_b64 s[10:11], 0
.LBB52_28:                              ; =>This Inner Loop Header: Depth=1
	ds_read2st64_b32 v[6:7], v5 offset1:2
	ds_read2st64_b32 v[8:9], v5 offset0:4 offset1:6
	ds_read2st64_b32 v[10:11], v5 offset0:8 offset1:10
	;; [unrolled: 1-line block ×3, first 2 shown]
	v_add_u32_e32 v4, -8, v4
	s_waitcnt lgkmcnt(3)
	v_pk_mul_f32 v[6:7], v[0:1], v[6:7]
	s_waitcnt lgkmcnt(2)
	v_pk_mul_f32 v[8:9], v[0:1], v[8:9]
	ds_write2st64_b32 v5, v6, v7 offset1:2
	ds_write2st64_b32 v5, v8, v9 offset0:4 offset1:6
	ds_read2st64_b32 v[8:9], v5 offset0:16 offset1:18
	s_waitcnt lgkmcnt(4)
	v_pk_mul_f32 v[6:7], v[0:1], v[10:11]
	ds_write2st64_b32 v5, v6, v7 offset0:8 offset1:10
	s_waitcnt lgkmcnt(4)
	v_pk_mul_f32 v[6:7], v[0:1], v[12:13]
	ds_write2st64_b32 v5, v6, v7 offset0:12 offset1:14
	ds_read2st64_b32 v[6:7], v5 offset0:20 offset1:22
	s_waitcnt lgkmcnt(3)
	v_pk_mul_f32 v[8:9], v[0:1], v[8:9]
	ds_read2st64_b32 v[10:11], v5 offset0:24 offset1:26
	ds_write2st64_b32 v5, v8, v9 offset0:16 offset1:18
	ds_read2st64_b32 v[8:9], v5 offset0:28 offset1:30
	s_waitcnt lgkmcnt(3)
	v_pk_mul_f32 v[6:7], v[0:1], v[6:7]
	ds_write2st64_b32 v5, v6, v7 offset0:20 offset1:22
	s_waitcnt lgkmcnt(3)
	v_pk_mul_f32 v[6:7], v[0:1], v[10:11]
	ds_write2st64_b32 v5, v6, v7 offset0:24 offset1:26
	s_waitcnt lgkmcnt(2)
	v_pk_mul_f32 v[6:7], v[0:1], v[8:9]
	s_add_i32 s12, s12, 16
	v_cmp_eq_u32_e32 vcc, 0, v4
	ds_write2st64_b32 v5, v6, v7 offset0:28 offset1:30
	v_add_u32_e32 v5, 0x2000, v5
	s_or_b64 s[10:11], vcc, s[10:11]
	v_mov_b32_e32 v6, s12
	s_andn2_b64 exec, exec, s[10:11]
	s_cbranch_execnz .LBB52_28
; %bb.29:
	s_or_b64 exec, exec, s[10:11]
.LBB52_30:
	s_or_b64 exec, exec, s[8:9]
	v_and_b32_e32 v3, 7, v3
	v_cmp_ne_u32_e32 vcc, 0, v3
	s_and_saveexec_b64 s[8:9], vcc
	s_cbranch_execz .LBB52_33
; %bb.31:
	v_lshlrev_b32_e32 v4, 9, v6
	s_movk_i32 s10, 0x310
	v_add3_u32 v4, v4, v15, s10
	s_mov_b64 s[10:11], 0
.LBB52_32:                              ; =>This Inner Loop Header: Depth=1
	ds_read2st64_b32 v[6:7], v4 offset1:2
	v_add_u32_e32 v3, -1, v3
	v_cmp_eq_u32_e32 vcc, 0, v3
	s_or_b64 s[10:11], vcc, s[10:11]
	s_waitcnt lgkmcnt(0)
	v_pk_mul_f32 v[6:7], v[0:1], v[6:7]
	ds_write2st64_b32 v4, v6, v7 offset1:2
	v_add_u32_e32 v4, 0x400, v4
	s_andn2_b64 exec, exec, s[10:11]
	s_cbranch_execnz .LBB52_32
.LBB52_33:
	s_or_b64 exec, exec, s[8:9]
	v_add_u32_e32 v2, 1, v2
	v_and_b32_e32 v3, 0x3fffffe, v2
	v_cmp_ne_u32_e32 vcc, v2, v3
	v_lshl_add_u32 v1, v3, 7, v14
	s_orn2_b64 s[8:9], vcc, exec
.LBB52_34:
	s_or_b64 exec, exec, s[2:3]
	s_and_b64 exec, exec, s[8:9]
	s_cbranch_execz .LBB52_37
; %bb.35:
	v_mov_b32_e32 v2, 0x310
	v_lshl_add_u32 v2, v1, 2, v2
	s_mov_b64 s[2:3], 0
.LBB52_36:                              ; =>This Inner Loop Header: Depth=1
	ds_read_b32 v3, v2
	v_add_u32_e32 v1, 0x80, v1
	v_cmp_le_i32_e32 vcc, s14, v1
	s_or_b64 s[2:3], vcc, s[2:3]
	s_waitcnt lgkmcnt(0)
	v_mul_f32_e32 v3, v0, v3
	ds_write_b32 v2, v3
	v_add_u32_e32 v2, 0x200, v2
	s_andn2_b64 exec, exec, s[2:3]
	s_cbranch_execnz .LBB52_36
.LBB52_37:
	s_or_b64 exec, exec, s[0:1]
	v_mov_b32_e32 v103, 0
	s_waitcnt lgkmcnt(0)
	v_and_b32_e32 v0, 7, v14
	v_mov_b32_e32 v102, 0
	v_mov_b32_e32 v105, 0
	;; [unrolled: 1-line block ×23, first 2 shown]
	s_barrier
	scratch_store_dword off, v0, off offset:48 ; 4-byte Folded Spill
	s_and_saveexec_b64 s[2:3], s[6:7]
	s_cbranch_execz .LBB52_89
; %bb.38:
	scratch_load_dword v1, off, off offset:48 ; 4-byte Folded Reload
	s_ashr_i32 s19, s18, 31
	s_lshl_b64 s[0:1], s[18:19], 2
	s_add_u32 s6, s30, s0
	s_addc_u32 s7, s31, s1
	s_add_i32 s13, s23, -1
	s_lshl_b64 s[0:1], s[28:29], 2
	s_add_u32 s0, s26, s0
	v_and_b32_e32 v0, 28, v15
	v_and_b32_e32 v2, 0xfc, v15
	v_mov_b32_e32 v7, 0
	v_or_b32_e32 v4, 0xf00, v15
	v_and_b32_e32 v6, 60, v48
	s_addc_u32 s1, s27, s1
	s_mov_b32 s12, s17
	s_mov_b32 s14, s21
	v_lshl_or_b32 v0, v66, 5, v0
	v_lshl_add_u64 v[8:9], s[0:1], 0, v[6:7]
	s_mov_b64 s[8:9], 0
	v_lshlrev_b32_e32 v2, 2, v2
	v_mov_b32_e32 v3, v7
	v_lshlrev_b32_e32 v6, 2, v4
	v_mov_b32_e32 v103, v7
	v_mov_b32_e32 v102, v7
	;; [unrolled: 1-line block ×24, first 2 shown]
	scratch_store_dwordx2 off, v[2:3], off offset:24 ; 8-byte Folded Spill
	scratch_store_dwordx2 off, v[6:7], off offset:16 ; 8-byte Folded Spill
	s_waitcnt vmcnt(2)
	v_lshlrev_b32_e32 v1, 4, v1
	v_lshl_or_b32 v1, v66, 7, v1
	v_add_u32_e32 v5, 0x310, v1
	s_branch .LBB52_40
.LBB52_39:                              ;   in Loop: Header=BB52_40 Depth=1
	s_or_b64 exec, exec, s[10:11]
	s_waitcnt vmcnt(1) lgkmcnt(0)
	v_mul_f32_e32 v1, v2, v98
	v_fmac_f32_e32 v1, v3, v99
	v_fmac_f32_e32 v1, v4, v100
	v_fmac_f32_e32 v1, v5, v101
	v_add_f32_e32 v102, v102, v1
	v_mul_f32_e32 v1, v2, v90
	v_fmac_f32_e32 v1, v3, v91
	v_fmac_f32_e32 v1, v4, v92
	v_fmac_f32_e32 v1, v5, v93
	v_add_f32_e32 v104, v104, v1
	;; [unrolled: 5-line block ×21, first 2 shown]
	v_mul_f32_e32 v1, v2, v6
	v_mul_f32_e32 v94, v2, v94
	v_fmac_f32_e32 v1, v3, v7
	v_fmac_f32_e32 v94, v3, v95
	;; [unrolled: 1-line block ×5, first 2 shown]
	s_waitcnt vmcnt(0)
	v_pk_mul_f32 v[2:3], v[2:3], v[86:87]
	v_fmac_f32_e32 v94, v5, v97
	v_add_f32_e32 v124, v124, v1
	v_pk_mul_f32 v[4:5], v[4:5], v[88:89]
	v_add_f32_e32 v1, v3, v2
	scratch_load_dword v66, off, off        ; 4-byte Folded Reload
	scratch_load_dwordx2 v[8:9], off, off offset:8 ; 8-byte Folded Reload
	v_add_f32_e32 v1, v4, v1
	v_add_f32_e32 v1, v5, v1
	scratch_load_dword v5, off, off offset:4 ; 4-byte Folded Reload
	v_add_f32_e32 v105, v105, v94
	v_add_f32_e32 v103, v103, v1
	v_add_u32_e32 v0, 64, v0
	s_waitcnt vmcnt(2)
	v_add_u32_e32 v66, 2, v66
	v_cmp_le_i32_e32 vcc, s23, v66
	s_or_b64 s[8:9], vcc, s[8:9]
	s_waitcnt vmcnt(1)
	v_lshl_add_u64 v[8:9], v[8:9], 0, 8
	s_waitcnt vmcnt(0)
	v_add_u32_e32 v5, 0x100, v5
	s_andn2_b64 exec, exec, s[8:9]
	s_cbranch_execz .LBB52_88
.LBB52_40:                              ; =>This Inner Loop Header: Depth=1
	global_load_dword v1, v[8:9], off
	v_add_u32_e32 v127, 1, v0
	scratch_store_dwordx2 off, v[8:9], off offset:8 ; 8-byte Folded Spill
	scratch_store_dword off, v5, off offset:4 ; 4-byte Folded Spill
	v_or_b32_e32 v126, 3, v0
	s_waitcnt vmcnt(2)
	v_mad_i64_i32 v[2:3], s[0:1], v1, s12, 0
	v_mov_b32_e32 v1, v66
	v_lshl_add_u64 v[66:67], v[2:3], 2, s[6:7]
	scratch_load_dwordx2 v[2:3], off, off offset:24 ; 8-byte Folded Reload
	v_cmp_eq_u32_e64 s[0:1], s13, v1
	scratch_store_dword off, v1, off        ; 4-byte Folded Spill
	v_or_b32_e32 v1, 2, v0
	s_waitcnt vmcnt(1)
	v_lshl_add_u64 v[86:87], v[66:67], 0, v[2:3]
	global_load_dwordx4 v[6:9], v[86:87], off
	ds_read_b128 v[2:5], v5
	s_and_saveexec_b64 s[10:11], s[0:1]
	s_cbranch_execnz .LBB52_85
; %bb.41:                               ;   in Loop: Header=BB52_40 Depth=1
	s_or_b64 exec, exec, s[10:11]
	global_load_dwordx4 v[10:13], v[86:87], off offset:1024
	s_and_saveexec_b64 s[10:11], s[0:1]
	s_cbranch_execnz .LBB52_86
.LBB52_42:                              ;   in Loop: Header=BB52_40 Depth=1
	s_or_b64 exec, exec, s[10:11]
	global_load_dwordx4 v[14:17], v[86:87], off offset:2048
	s_and_saveexec_b64 s[10:11], s[0:1]
	s_cbranch_execnz .LBB52_87
.LBB52_43:                              ;   in Loop: Header=BB52_40 Depth=1
	s_or_b64 exec, exec, s[10:11]
	global_load_dwordx4 v[18:21], v[86:87], off offset:3072
	s_and_saveexec_b64 s[10:11], s[0:1]
	s_cbranch_execz .LBB52_45
.LBB52_44:                              ;   in Loop: Header=BB52_40 Depth=1
	v_cmp_gt_i32_e32 vcc, s14, v127
	s_waitcnt vmcnt(0)
	s_nop 0
	v_cndmask_b32_e32 v19, 0, v19, vcc
	v_cmp_gt_i32_e32 vcc, s21, v0
	s_nop 1
	v_cndmask_b32_e32 v18, 0, v18, vcc
	v_cmp_gt_i32_e32 vcc, s14, v126
	;; [unrolled: 3-line block ×3, first 2 shown]
	s_nop 1
	v_cndmask_b32_e32 v20, 0, v20, vcc
.LBB52_45:                              ;   in Loop: Header=BB52_40 Depth=1
	s_or_b64 exec, exec, s[10:11]
	v_add_co_u32_e32 v22, vcc, 0x1000, v86
	s_nop 1
	v_addc_co_u32_e32 v23, vcc, 0, v87, vcc
	global_load_dwordx4 v[22:25], v[22:23], off
	s_and_saveexec_b64 s[10:11], s[0:1]
	s_cbranch_execz .LBB52_47
; %bb.46:                               ;   in Loop: Header=BB52_40 Depth=1
	v_cmp_gt_i32_e32 vcc, s14, v127
	s_waitcnt vmcnt(0)
	s_nop 0
	v_cndmask_b32_e32 v23, 0, v23, vcc
	v_cmp_gt_i32_e32 vcc, s21, v0
	s_nop 1
	v_cndmask_b32_e32 v22, 0, v22, vcc
	v_cmp_gt_i32_e32 vcc, s14, v126
	s_nop 1
	v_cndmask_b32_e32 v25, 0, v25, vcc
	v_cmp_gt_i32_e32 vcc, s21, v1
	s_nop 1
	v_cndmask_b32_e32 v24, 0, v24, vcc
.LBB52_47:                              ;   in Loop: Header=BB52_40 Depth=1
	s_or_b64 exec, exec, s[10:11]
	v_add_co_u32_e32 v26, vcc, 0x1000, v86
	s_nop 1
	v_addc_co_u32_e32 v27, vcc, 0, v87, vcc
	global_load_dwordx4 v[26:29], v[26:27], off offset:1024
	s_and_saveexec_b64 s[10:11], s[0:1]
	s_cbranch_execz .LBB52_49
; %bb.48:                               ;   in Loop: Header=BB52_40 Depth=1
	v_cmp_gt_i32_e32 vcc, s14, v127
	s_waitcnt vmcnt(0)
	s_nop 0
	v_cndmask_b32_e32 v27, 0, v27, vcc
	v_cmp_gt_i32_e32 vcc, s21, v0
	s_nop 1
	v_cndmask_b32_e32 v26, 0, v26, vcc
	v_cmp_gt_i32_e32 vcc, s14, v126
	s_nop 1
	v_cndmask_b32_e32 v29, 0, v29, vcc
	v_cmp_gt_i32_e32 vcc, s21, v1
	s_nop 1
	v_cndmask_b32_e32 v28, 0, v28, vcc
.LBB52_49:                              ;   in Loop: Header=BB52_40 Depth=1
	s_or_b64 exec, exec, s[10:11]
	v_add_co_u32_e32 v30, vcc, 0x1000, v86
	s_nop 1
	v_addc_co_u32_e32 v31, vcc, 0, v87, vcc
	global_load_dwordx4 v[30:33], v[30:31], off offset:2048
	;; [unrolled: 22-line block ×3, first 2 shown]
	s_and_saveexec_b64 s[10:11], s[0:1]
	s_cbranch_execz .LBB52_53
; %bb.52:                               ;   in Loop: Header=BB52_40 Depth=1
	v_cmp_gt_i32_e32 vcc, s14, v127
	s_waitcnt vmcnt(0)
	s_nop 0
	v_cndmask_b32_e32 v35, 0, v35, vcc
	v_cmp_gt_i32_e32 vcc, s21, v0
	s_nop 1
	v_cndmask_b32_e32 v34, 0, v34, vcc
	v_cmp_gt_i32_e32 vcc, s14, v126
	;; [unrolled: 3-line block ×3, first 2 shown]
	s_nop 1
	v_cndmask_b32_e32 v36, 0, v36, vcc
.LBB52_53:                              ;   in Loop: Header=BB52_40 Depth=1
	s_or_b64 exec, exec, s[10:11]
	v_add_co_u32_e32 v38, vcc, 0x2000, v86
	s_nop 1
	v_addc_co_u32_e32 v39, vcc, 0, v87, vcc
	global_load_dwordx4 v[38:41], v[38:39], off
	s_and_saveexec_b64 s[10:11], s[0:1]
	s_cbranch_execz .LBB52_55
; %bb.54:                               ;   in Loop: Header=BB52_40 Depth=1
	v_cmp_gt_i32_e32 vcc, s14, v127
	s_waitcnt vmcnt(0)
	s_nop 0
	v_cndmask_b32_e32 v39, 0, v39, vcc
	v_cmp_gt_i32_e32 vcc, s21, v0
	s_nop 1
	v_cndmask_b32_e32 v38, 0, v38, vcc
	v_cmp_gt_i32_e32 vcc, s14, v126
	s_nop 1
	v_cndmask_b32_e32 v41, 0, v41, vcc
	v_cmp_gt_i32_e32 vcc, s21, v1
	s_nop 1
	v_cndmask_b32_e32 v40, 0, v40, vcc
.LBB52_55:                              ;   in Loop: Header=BB52_40 Depth=1
	s_or_b64 exec, exec, s[10:11]
	v_add_co_u32_e32 v42, vcc, 0x2000, v86
	s_nop 1
	v_addc_co_u32_e32 v43, vcc, 0, v87, vcc
	global_load_dwordx4 v[42:45], v[42:43], off offset:1024
	s_and_saveexec_b64 s[10:11], s[0:1]
	s_cbranch_execz .LBB52_57
; %bb.56:                               ;   in Loop: Header=BB52_40 Depth=1
	v_cmp_gt_i32_e32 vcc, s14, v127
	s_waitcnt vmcnt(0)
	s_nop 0
	v_cndmask_b32_e32 v43, 0, v43, vcc
	v_cmp_gt_i32_e32 vcc, s21, v0
	s_nop 1
	v_cndmask_b32_e32 v42, 0, v42, vcc
	v_cmp_gt_i32_e32 vcc, s14, v126
	s_nop 1
	v_cndmask_b32_e32 v45, 0, v45, vcc
	v_cmp_gt_i32_e32 vcc, s21, v1
	s_nop 1
	v_cndmask_b32_e32 v44, 0, v44, vcc
.LBB52_57:                              ;   in Loop: Header=BB52_40 Depth=1
	s_or_b64 exec, exec, s[10:11]
	v_add_co_u32_e32 v46, vcc, 0x2000, v86
	s_nop 1
	v_addc_co_u32_e32 v47, vcc, 0, v87, vcc
	global_load_dwordx4 v[46:49], v[46:47], off offset:2048
	;; [unrolled: 22-line block ×3, first 2 shown]
	s_and_saveexec_b64 s[10:11], s[0:1]
	s_cbranch_execz .LBB52_61
; %bb.60:                               ;   in Loop: Header=BB52_40 Depth=1
	v_cmp_gt_i32_e32 vcc, s14, v127
	s_waitcnt vmcnt(0)
	s_nop 0
	v_cndmask_b32_e32 v51, 0, v51, vcc
	v_cmp_gt_i32_e32 vcc, s21, v0
	s_nop 1
	v_cndmask_b32_e32 v50, 0, v50, vcc
	v_cmp_gt_i32_e32 vcc, s14, v126
	;; [unrolled: 3-line block ×3, first 2 shown]
	s_nop 1
	v_cndmask_b32_e32 v52, 0, v52, vcc
.LBB52_61:                              ;   in Loop: Header=BB52_40 Depth=1
	s_or_b64 exec, exec, s[10:11]
	v_add_co_u32_e32 v54, vcc, 0x3000, v86
	s_nop 1
	v_addc_co_u32_e32 v55, vcc, 0, v87, vcc
	global_load_dwordx4 v[54:57], v[54:55], off
	s_and_saveexec_b64 s[10:11], s[0:1]
	s_cbranch_execz .LBB52_63
; %bb.62:                               ;   in Loop: Header=BB52_40 Depth=1
	v_cmp_gt_i32_e32 vcc, s14, v127
	s_waitcnt vmcnt(0)
	s_nop 0
	v_cndmask_b32_e32 v55, 0, v55, vcc
	v_cmp_gt_i32_e32 vcc, s21, v0
	s_nop 1
	v_cndmask_b32_e32 v54, 0, v54, vcc
	v_cmp_gt_i32_e32 vcc, s14, v126
	;; [unrolled: 3-line block ×3, first 2 shown]
	s_nop 1
	v_cndmask_b32_e32 v56, 0, v56, vcc
.LBB52_63:                              ;   in Loop: Header=BB52_40 Depth=1
	s_or_b64 exec, exec, s[10:11]
	v_add_co_u32_e32 v58, vcc, 0x3000, v86
	s_nop 1
	v_addc_co_u32_e32 v59, vcc, 0, v87, vcc
	global_load_dwordx4 v[58:61], v[58:59], off offset:1024
	s_and_saveexec_b64 s[10:11], s[0:1]
	s_cbranch_execz .LBB52_65
; %bb.64:                               ;   in Loop: Header=BB52_40 Depth=1
	v_cmp_gt_i32_e32 vcc, s14, v127
	s_waitcnt vmcnt(0)
	s_nop 0
	v_cndmask_b32_e32 v59, 0, v59, vcc
	v_cmp_gt_i32_e32 vcc, s21, v0
	s_nop 1
	v_cndmask_b32_e32 v58, 0, v58, vcc
	v_cmp_gt_i32_e32 vcc, s14, v126
	;; [unrolled: 3-line block ×3, first 2 shown]
	s_nop 1
	v_cndmask_b32_e32 v60, 0, v60, vcc
.LBB52_65:                              ;   in Loop: Header=BB52_40 Depth=1
	s_or_b64 exec, exec, s[10:11]
	v_add_co_u32_e32 v62, vcc, 0x3000, v86
	s_nop 1
	v_addc_co_u32_e32 v63, vcc, 0, v87, vcc
	global_load_dwordx4 v[62:65], v[62:63], off offset:2048
	s_and_saveexec_b64 s[10:11], s[0:1]
	s_cbranch_execz .LBB52_67
; %bb.66:                               ;   in Loop: Header=BB52_40 Depth=1
	v_cmp_gt_i32_e32 vcc, s14, v127
	s_waitcnt vmcnt(0)
	s_nop 0
	v_cndmask_b32_e32 v63, 0, v63, vcc
	v_cmp_gt_i32_e32 vcc, s21, v0
	s_nop 1
	v_cndmask_b32_e32 v62, 0, v62, vcc
	v_cmp_gt_i32_e32 vcc, s14, v126
	;; [unrolled: 3-line block ×3, first 2 shown]
	s_nop 1
	v_cndmask_b32_e32 v64, 0, v64, vcc
.LBB52_67:                              ;   in Loop: Header=BB52_40 Depth=1
	s_or_b64 exec, exec, s[10:11]
	scratch_load_dwordx2 v[68:69], off, off offset:16 ; 8-byte Folded Reload
	s_waitcnt vmcnt(0)
	v_lshl_add_u64 v[66:67], v[66:67], 0, v[68:69]
	global_load_dwordx4 v[66:69], v[66:67], off
	s_and_saveexec_b64 s[10:11], s[0:1]
	s_cbranch_execz .LBB52_69
; %bb.68:                               ;   in Loop: Header=BB52_40 Depth=1
	v_cmp_gt_i32_e32 vcc, s14, v127
	s_waitcnt vmcnt(0)
	s_nop 0
	v_cndmask_b32_e32 v67, 0, v67, vcc
	v_cmp_gt_i32_e32 vcc, s21, v0
	s_nop 1
	v_cndmask_b32_e32 v66, 0, v66, vcc
	v_cmp_gt_i32_e32 vcc, s14, v126
	s_nop 1
	v_cndmask_b32_e32 v69, 0, v69, vcc
	v_cmp_gt_i32_e32 vcc, s21, v1
	s_nop 1
	v_cndmask_b32_e32 v68, 0, v68, vcc
.LBB52_69:                              ;   in Loop: Header=BB52_40 Depth=1
	s_or_b64 exec, exec, s[10:11]
	v_add_co_u32_e32 v70, vcc, 0x4000, v86
	s_nop 1
	v_addc_co_u32_e32 v71, vcc, 0, v87, vcc
	global_load_dwordx4 v[70:73], v[70:71], off
	s_and_saveexec_b64 s[10:11], s[0:1]
	s_cbranch_execz .LBB52_71
; %bb.70:                               ;   in Loop: Header=BB52_40 Depth=1
	v_cmp_gt_i32_e32 vcc, s14, v127
	s_waitcnt vmcnt(0)
	s_nop 0
	v_cndmask_b32_e32 v71, 0, v71, vcc
	v_cmp_gt_i32_e32 vcc, s21, v0
	s_nop 1
	v_cndmask_b32_e32 v70, 0, v70, vcc
	v_cmp_gt_i32_e32 vcc, s14, v126
	s_nop 1
	v_cndmask_b32_e32 v73, 0, v73, vcc
	v_cmp_gt_i32_e32 vcc, s21, v1
	s_nop 1
	v_cndmask_b32_e32 v72, 0, v72, vcc
.LBB52_71:                              ;   in Loop: Header=BB52_40 Depth=1
	s_or_b64 exec, exec, s[10:11]
	v_add_co_u32_e32 v74, vcc, 0x4000, v86
	s_nop 1
	v_addc_co_u32_e32 v75, vcc, 0, v87, vcc
	global_load_dwordx4 v[74:77], v[74:75], off offset:1024
	s_and_saveexec_b64 s[10:11], s[0:1]
	s_cbranch_execz .LBB52_73
; %bb.72:                               ;   in Loop: Header=BB52_40 Depth=1
	v_cmp_gt_i32_e32 vcc, s14, v127
	s_waitcnt vmcnt(0)
	s_nop 0
	v_cndmask_b32_e32 v75, 0, v75, vcc
	v_cmp_gt_i32_e32 vcc, s21, v0
	s_nop 1
	v_cndmask_b32_e32 v74, 0, v74, vcc
	v_cmp_gt_i32_e32 vcc, s14, v126
	s_nop 1
	v_cndmask_b32_e32 v77, 0, v77, vcc
	v_cmp_gt_i32_e32 vcc, s21, v1
	s_nop 1
	v_cndmask_b32_e32 v76, 0, v76, vcc
.LBB52_73:                              ;   in Loop: Header=BB52_40 Depth=1
	s_or_b64 exec, exec, s[10:11]
	v_add_co_u32_e32 v78, vcc, 0x4000, v86
	s_nop 1
	v_addc_co_u32_e32 v79, vcc, 0, v87, vcc
	global_load_dwordx4 v[78:81], v[78:79], off offset:2048
	;; [unrolled: 22-line block ×3, first 2 shown]
	s_and_saveexec_b64 s[10:11], s[0:1]
	s_cbranch_execz .LBB52_77
; %bb.76:                               ;   in Loop: Header=BB52_40 Depth=1
	v_cmp_gt_i32_e32 vcc, s14, v127
	s_waitcnt vmcnt(0)
	s_nop 0
	v_cndmask_b32_e32 v83, 0, v83, vcc
	v_cmp_gt_i32_e32 vcc, s21, v0
	s_nop 1
	v_cndmask_b32_e32 v82, 0, v82, vcc
	v_cmp_gt_i32_e32 vcc, s14, v126
	;; [unrolled: 3-line block ×3, first 2 shown]
	s_nop 1
	v_cndmask_b32_e32 v84, 0, v84, vcc
.LBB52_77:                              ;   in Loop: Header=BB52_40 Depth=1
	s_or_b64 exec, exec, s[10:11]
	v_add_co_u32_e32 v88, vcc, 0x5000, v86
	s_nop 1
	v_addc_co_u32_e32 v89, vcc, 0, v87, vcc
	global_load_dwordx4 v[90:93], v[88:89], off
	s_and_saveexec_b64 s[10:11], s[0:1]
	s_cbranch_execz .LBB52_79
; %bb.78:                               ;   in Loop: Header=BB52_40 Depth=1
	v_cmp_gt_i32_e32 vcc, s14, v127
	s_waitcnt vmcnt(0)
	s_nop 0
	v_cndmask_b32_e32 v91, 0, v91, vcc
	v_cmp_gt_i32_e32 vcc, s21, v0
	s_nop 1
	v_cndmask_b32_e32 v90, 0, v90, vcc
	v_cmp_gt_i32_e32 vcc, s14, v126
	s_nop 1
	v_cndmask_b32_e32 v93, 0, v93, vcc
	v_cmp_gt_i32_e32 vcc, s21, v1
	s_nop 1
	v_cndmask_b32_e32 v92, 0, v92, vcc
.LBB52_79:                              ;   in Loop: Header=BB52_40 Depth=1
	s_or_b64 exec, exec, s[10:11]
	v_add_co_u32_e32 v88, vcc, 0x5000, v86
	s_nop 1
	v_addc_co_u32_e32 v89, vcc, 0, v87, vcc
	global_load_dwordx4 v[94:97], v[88:89], off offset:1024
	s_and_saveexec_b64 s[10:11], s[0:1]
	s_cbranch_execz .LBB52_81
; %bb.80:                               ;   in Loop: Header=BB52_40 Depth=1
	v_cmp_gt_i32_e32 vcc, s14, v127
	s_waitcnt vmcnt(0)
	s_nop 0
	v_cndmask_b32_e32 v95, 0, v95, vcc
	v_cmp_gt_i32_e32 vcc, s21, v0
	s_nop 1
	v_cndmask_b32_e32 v94, 0, v94, vcc
	v_cmp_gt_i32_e32 vcc, s14, v126
	s_nop 1
	v_cndmask_b32_e32 v97, 0, v97, vcc
	v_cmp_gt_i32_e32 vcc, s21, v1
	s_nop 1
	v_cndmask_b32_e32 v96, 0, v96, vcc
.LBB52_81:                              ;   in Loop: Header=BB52_40 Depth=1
	s_or_b64 exec, exec, s[10:11]
	v_add_co_u32_e32 v88, vcc, 0x5000, v86
	s_nop 1
	v_addc_co_u32_e32 v89, vcc, 0, v87, vcc
	global_load_dwordx4 v[98:101], v[88:89], off offset:2048
	;; [unrolled: 22-line block ×3, first 2 shown]
	s_and_saveexec_b64 s[10:11], s[0:1]
	s_cbranch_execz .LBB52_39
; %bb.84:                               ;   in Loop: Header=BB52_40 Depth=1
	v_cmp_gt_i32_e32 vcc, s14, v127
	s_waitcnt vmcnt(0)
	s_nop 0
	v_cndmask_b32_e32 v87, 0, v87, vcc
	v_cmp_gt_i32_e32 vcc, s21, v0
	s_nop 1
	v_cndmask_b32_e32 v86, 0, v86, vcc
	v_cmp_gt_i32_e32 vcc, s14, v126
	;; [unrolled: 3-line block ×3, first 2 shown]
	s_nop 1
	v_cndmask_b32_e32 v88, 0, v88, vcc
	s_branch .LBB52_39
.LBB52_85:                              ;   in Loop: Header=BB52_40 Depth=1
	v_cmp_gt_i32_e32 vcc, s14, v127
	s_waitcnt vmcnt(0)
	s_nop 0
	v_cndmask_b32_e32 v7, 0, v7, vcc
	v_cmp_gt_i32_e32 vcc, s21, v0
	s_nop 1
	v_cndmask_b32_e32 v6, 0, v6, vcc
	v_cmp_gt_i32_e32 vcc, s14, v126
	;; [unrolled: 3-line block ×3, first 2 shown]
	s_nop 1
	v_cndmask_b32_e32 v8, 0, v8, vcc
	s_or_b64 exec, exec, s[10:11]
	global_load_dwordx4 v[10:13], v[86:87], off offset:1024
	s_and_saveexec_b64 s[10:11], s[0:1]
	s_cbranch_execz .LBB52_42
.LBB52_86:                              ;   in Loop: Header=BB52_40 Depth=1
	v_cmp_gt_i32_e32 vcc, s14, v127
	s_waitcnt vmcnt(0)
	s_nop 0
	v_cndmask_b32_e32 v11, 0, v11, vcc
	v_cmp_gt_i32_e32 vcc, s21, v0
	s_nop 1
	v_cndmask_b32_e32 v10, 0, v10, vcc
	v_cmp_gt_i32_e32 vcc, s14, v126
	;; [unrolled: 3-line block ×3, first 2 shown]
	s_nop 1
	v_cndmask_b32_e32 v12, 0, v12, vcc
	s_or_b64 exec, exec, s[10:11]
	global_load_dwordx4 v[14:17], v[86:87], off offset:2048
	s_and_saveexec_b64 s[10:11], s[0:1]
	s_cbranch_execz .LBB52_43
.LBB52_87:                              ;   in Loop: Header=BB52_40 Depth=1
	v_cmp_gt_i32_e32 vcc, s14, v127
	s_waitcnt vmcnt(0)
	s_nop 0
	v_cndmask_b32_e32 v15, 0, v15, vcc
	v_cmp_gt_i32_e32 vcc, s21, v0
	s_nop 1
	v_cndmask_b32_e32 v14, 0, v14, vcc
	v_cmp_gt_i32_e32 vcc, s14, v126
	;; [unrolled: 3-line block ×3, first 2 shown]
	s_nop 1
	v_cndmask_b32_e32 v16, 0, v16, vcc
	s_or_b64 exec, exec, s[10:11]
	global_load_dwordx4 v[18:21], v[86:87], off offset:3072
	s_and_saveexec_b64 s[10:11], s[0:1]
	s_cbranch_execnz .LBB52_44
	s_branch .LBB52_45
.LBB52_88:
	s_or_b64 exec, exec, s[8:9]
.LBB52_89:
	s_or_b64 exec, exec, s[2:3]
	scratch_load_dword v29, off, off offset:36 ; 4-byte Folded Reload
	scratch_load_dword v35, off, off offset:40 ; 4-byte Folded Reload
	;; [unrolled: 1-line block ×3, first 2 shown]
	s_barrier
	s_waitcnt vmcnt(2)
	ds_bpermute_b32 v2, v29, v122
	ds_bpermute_b32 v3, v29, v123
	ds_bpermute_b32 v0, v29, v124
	ds_bpermute_b32 v1, v29, v125
	ds_bpermute_b32 v8, v29, v120
	ds_bpermute_b32 v9, v29, v121
	s_waitcnt lgkmcnt(4)
	v_pk_add_f32 v[2:3], v[122:123], v[2:3]
	s_waitcnt vmcnt(1)
	ds_bpermute_b32 v6, v35, v2
	ds_bpermute_b32 v7, v35, v3
	s_waitcnt lgkmcnt(4)
	v_pk_add_f32 v[0:1], v[124:125], v[0:1]
	ds_bpermute_b32 v4, v35, v0
	ds_bpermute_b32 v5, v35, v1
	;; [unrolled: 1-line block ×3, first 2 shown]
	s_waitcnt lgkmcnt(3)
	v_pk_add_f32 v[2:3], v[2:3], v[6:7]
	v_pk_add_f32 v[6:7], v[120:121], v[8:9]
	ds_bpermute_b32 v8, v35, v6
	ds_bpermute_b32 v9, v35, v7
	;; [unrolled: 1-line block ×3, first 2 shown]
	s_waitcnt lgkmcnt(4)
	v_pk_add_f32 v[0:1], v[0:1], v[4:5]
	s_waitcnt vmcnt(0)
	ds_bpermute_b32 v4, v36, v0
	ds_bpermute_b32 v5, v36, v1
	s_waitcnt lgkmcnt(3)
	v_pk_add_f32 v[6:7], v[6:7], v[8:9]
	s_waitcnt lgkmcnt(2)
	v_pk_add_f32 v[12:13], v[118:119], v[12:13]
	ds_bpermute_b32 v8, v36, v6
	ds_bpermute_b32 v9, v36, v7
	;; [unrolled: 1-line block ×4, first 2 shown]
	s_waitcnt lgkmcnt(4)
	v_pk_add_f32 v[4:5], v[0:1], v[4:5]
	ds_bpermute_b32 v18, v29, v112
	s_waitcnt lgkmcnt(3)
	v_pk_add_f32 v[0:1], v[6:7], v[8:9]
	ds_bpermute_b32 v8, v29, v116
	;; [unrolled: 3-line block ×3, first 2 shown]
	ds_bpermute_b32 v12, v29, v114
	ds_bpermute_b32 v13, v29, v115
	;; [unrolled: 1-line block ×4, first 2 shown]
	s_waitcnt lgkmcnt(4)
	v_pk_add_f32 v[8:9], v[116:117], v[8:9]
	ds_bpermute_b32 v14, v35, v8
	s_waitcnt lgkmcnt(3)
	v_pk_add_f32 v[12:13], v[114:115], v[12:13]
	ds_bpermute_b32 v15, v35, v9
	ds_bpermute_b32 v16, v35, v12
	ds_bpermute_b32 v17, v35, v13
	ds_bpermute_b32 v11, v36, v3
	ds_bpermute_b32 v22, v29, v110
	s_waitcnt lgkmcnt(4)
	v_pk_add_f32 v[8:9], v[8:9], v[14:15]
	ds_bpermute_b32 v14, v36, v8
	s_waitcnt lgkmcnt(3)
	v_pk_add_f32 v[16:17], v[12:13], v[16:17]
	v_pk_add_f32 v[12:13], v[112:113], v[18:19]
	s_waitcnt lgkmcnt(2)
	v_pk_add_f32 v[2:3], v[2:3], v[10:11]
	ds_bpermute_b32 v10, v36, v6
	ds_bpermute_b32 v11, v36, v7
	;; [unrolled: 1-line block ×9, first 2 shown]
	s_waitcnt lgkmcnt(4)
	v_pk_add_f32 v[18:19], v[12:13], v[18:19]
	v_pk_add_f32 v[12:13], v[6:7], v[10:11]
	s_waitcnt lgkmcnt(2)
	v_pk_add_f32 v[22:23], v[110:111], v[22:23]
	v_pk_add_f32 v[10:11], v[8:9], v[14:15]
	s_waitcnt lgkmcnt(1)
	v_pk_add_f32 v[8:9], v[16:17], v[20:21]
	ds_bpermute_b32 v20, v29, v106
	ds_bpermute_b32 v21, v29, v107
	;; [unrolled: 1-line block ×6, first 2 shown]
	s_waitcnt lgkmcnt(4)
	v_pk_add_f32 v[20:21], v[106:107], v[20:21]
	ds_bpermute_b32 v16, v29, v108
	s_waitcnt lgkmcnt(3)
	v_pk_add_f32 v[6:7], v[18:19], v[24:25]
	ds_bpermute_b32 v24, v35, v20
	;; [unrolled: 3-line block ×3, first 2 shown]
	ds_bpermute_b32 v26, v29, v104
	ds_bpermute_b32 v27, v29, v105
	;; [unrolled: 1-line block ×4, first 2 shown]
	s_waitcnt lgkmcnt(4)
	v_pk_add_f32 v[24:25], v[20:21], v[24:25]
	ds_bpermute_b32 v17, v29, v109
	s_waitcnt lgkmcnt(3)
	v_pk_add_f32 v[20:21], v[104:105], v[26:27]
	ds_bpermute_b32 v26, v35, v20
	ds_bpermute_b32 v27, v35, v21
	;; [unrolled: 1-line block ×3, first 2 shown]
	s_waitcnt lgkmcnt(3)
	v_pk_add_f32 v[16:17], v[108:109], v[16:17]
	ds_bpermute_b32 v22, v35, v16
	ds_bpermute_b32 v23, v35, v17
	s_waitcnt lgkmcnt(3)
	v_pk_add_f32 v[26:27], v[20:21], v[26:27]
	ds_bpermute_b32 v32, v36, v26
	ds_bpermute_b32 v33, v36, v27
	v_pk_add_f32 v[20:21], v[14:15], v[18:19]
	s_waitcnt lgkmcnt(2)
	v_pk_add_f32 v[16:17], v[16:17], v[22:23]
	v_pk_add_f32 v[30:31], v[102:103], v[30:31]
	ds_bpermute_b32 v22, v36, v16
	s_waitcnt lgkmcnt(1)
	v_pk_add_f32 v[14:15], v[26:27], v[32:33]
	scratch_load_dword v27, off, off offset:44 ; 4-byte Folded Reload
	ds_bpermute_b32 v23, v36, v17
	ds_bpermute_b32 v34, v35, v30
	;; [unrolled: 1-line block ×5, first 2 shown]
	s_waitcnt lgkmcnt(4)
	v_pk_add_f32 v[18:19], v[16:17], v[22:23]
	s_waitcnt lgkmcnt(2)
	v_pk_add_f32 v[22:23], v[30:31], v[34:35]
	;; [unrolled: 2-line block ×3, first 2 shown]
	ds_bpermute_b32 v24, v36, v22
	ds_bpermute_b32 v25, v36, v23
	s_waitcnt vmcnt(0)
	v_and_b32_e32 v26, 0x3c7, v27
	v_cmp_ne_u32_e32 vcc, 64, v26
	s_and_saveexec_b64 s[0:1], vcc
	s_xor_b64 s[0:1], exec, s[0:1]
; %bb.90:
                                        ; implicit-def: $vgpr28
                                        ; kill: killed $vgpr28
; %bb.91:
	s_or_saveexec_b64 s[0:1], s[0:1]
	s_waitcnt lgkmcnt(0)
	v_pk_add_f32 v[22:23], v[22:23], v[24:25]
	s_xor_b64 exec, exec, s[0:1]
	s_cbranch_execz .LBB52_93
; %bb.92:
	scratch_load_dword v24, off, off offset:52 ; 4-byte Folded Reload
	s_waitcnt vmcnt(0)
	v_lshrrev_b32_e32 v24, 1, v24
	v_add_u32_e32 v24, 0x310, v24
	ds_write2_b32 v24, v4, v5 offset1:8
	ds_write2_b32 v24, v2, v3 offset0:16 offset1:24
	ds_write2_b32 v24, v0, v1 offset0:32 offset1:40
	;; [unrolled: 1-line block ×11, first 2 shown]
.LBB52_93:
	s_or_b64 exec, exec, s[0:1]
	v_cmp_gt_u32_e32 vcc, 64, v27
	v_lshrrev_b32_e32 v24, 3, v27
	s_waitcnt lgkmcnt(0)
	s_barrier
	s_and_saveexec_b64 s[0:1], vcc
	s_cbranch_execz .LBB52_120
; %bb.94:
	scratch_load_dword v25, off, off offset:48 ; 4-byte Folded Reload
	s_waitcnt vmcnt(0)
	v_cmp_eq_u32_e32 vcc, 0, v25
	v_mov_b32_e32 v25, 0x310
	v_lshl_add_u32 v25, v24, 2, v25
	s_and_saveexec_b64 s[2:3], vcc
	s_cbranch_execnz .LBB52_123
; %bb.95:
	s_or_b64 exec, exec, s[2:3]
	s_and_saveexec_b64 s[2:3], vcc
	s_cbranch_execnz .LBB52_124
.LBB52_96:
	s_or_b64 exec, exec, s[2:3]
	s_and_saveexec_b64 s[2:3], vcc
	s_cbranch_execnz .LBB52_125
.LBB52_97:
	s_or_b64 exec, exec, s[2:3]
	s_and_saveexec_b64 s[2:3], vcc
	s_cbranch_execnz .LBB52_126
.LBB52_98:
	s_or_b64 exec, exec, s[2:3]
	s_and_saveexec_b64 s[2:3], vcc
	s_cbranch_execnz .LBB52_127
.LBB52_99:
	s_or_b64 exec, exec, s[2:3]
	s_and_saveexec_b64 s[2:3], vcc
	s_cbranch_execnz .LBB52_128
.LBB52_100:
	s_or_b64 exec, exec, s[2:3]
	s_and_saveexec_b64 s[2:3], vcc
	s_cbranch_execnz .LBB52_129
.LBB52_101:
	s_or_b64 exec, exec, s[2:3]
	s_and_saveexec_b64 s[2:3], vcc
	s_cbranch_execnz .LBB52_130
.LBB52_102:
	s_or_b64 exec, exec, s[2:3]
	s_and_saveexec_b64 s[2:3], vcc
	s_cbranch_execnz .LBB52_131
.LBB52_103:
	s_or_b64 exec, exec, s[2:3]
	s_and_saveexec_b64 s[2:3], vcc
	s_cbranch_execnz .LBB52_132
.LBB52_104:
	s_or_b64 exec, exec, s[2:3]
	s_and_saveexec_b64 s[2:3], vcc
	s_cbranch_execnz .LBB52_133
.LBB52_105:
	s_or_b64 exec, exec, s[2:3]
	s_and_saveexec_b64 s[2:3], vcc
	s_cbranch_execnz .LBB52_134
.LBB52_106:
	s_or_b64 exec, exec, s[2:3]
	s_and_saveexec_b64 s[2:3], vcc
	s_cbranch_execnz .LBB52_135
.LBB52_107:
	s_or_b64 exec, exec, s[2:3]
	s_and_saveexec_b64 s[2:3], vcc
	s_cbranch_execnz .LBB52_136
.LBB52_108:
	s_or_b64 exec, exec, s[2:3]
	s_and_saveexec_b64 s[2:3], vcc
	s_cbranch_execnz .LBB52_137
.LBB52_109:
	s_or_b64 exec, exec, s[2:3]
	s_and_saveexec_b64 s[2:3], vcc
	s_cbranch_execnz .LBB52_138
.LBB52_110:
	s_or_b64 exec, exec, s[2:3]
	s_and_saveexec_b64 s[2:3], vcc
	s_cbranch_execnz .LBB52_139
.LBB52_111:
	s_or_b64 exec, exec, s[2:3]
	s_and_saveexec_b64 s[2:3], vcc
	s_cbranch_execnz .LBB52_140
.LBB52_112:
	s_or_b64 exec, exec, s[2:3]
	s_and_saveexec_b64 s[2:3], vcc
	s_cbranch_execnz .LBB52_141
.LBB52_113:
	s_or_b64 exec, exec, s[2:3]
	s_and_saveexec_b64 s[2:3], vcc
	s_cbranch_execnz .LBB52_142
.LBB52_114:
	s_or_b64 exec, exec, s[2:3]
	s_and_saveexec_b64 s[2:3], vcc
	s_cbranch_execnz .LBB52_143
.LBB52_115:
	s_or_b64 exec, exec, s[2:3]
	s_and_saveexec_b64 s[2:3], vcc
	s_cbranch_execnz .LBB52_144
.LBB52_116:
	s_or_b64 exec, exec, s[2:3]
	s_and_saveexec_b64 s[2:3], vcc
	s_cbranch_execnz .LBB52_145
.LBB52_117:
	s_or_b64 exec, exec, s[2:3]
	s_and_saveexec_b64 s[2:3], vcc
	s_cbranch_execz .LBB52_119
.LBB52_118:
	ds_read_b32 v25, v25 offset:736
	s_waitcnt lgkmcnt(0)
	v_add_f32_e32 v23, v23, v25
.LBB52_119:
	s_or_b64 exec, exec, s[2:3]
.LBB52_120:
	s_or_b64 exec, exec, s[0:1]
	v_cmp_eq_u32_e32 vcc, 0, v26
	s_barrier
	s_and_saveexec_b64 s[0:1], vcc
	s_cbranch_execz .LBB52_122
; %bb.121:
	s_mul_i32 s0, s20, s16
	s_mul_i32 s0, s0, s5
	s_mulk_i32 s0, 0xc0
	s_ashr_i32 s1, s0, 31
	s_lshl_b64 s[0:1], s[0:1], 2
	s_add_u32 s2, s24, s0
	s_mul_i32 s0, s16, s22
	s_addc_u32 s3, s25, s1
	s_ashr_i32 s1, s0, 31
	s_lshl_b64 s[0:1], s[0:1], 2
	s_add_u32 s2, s2, s0
	s_mul_i32 s0, s4, 0xc0
	s_addc_u32 s3, s3, s1
	s_ashr_i32 s1, s0, 31
	s_lshl_b64 s[0:1], s[0:1], 2
	s_add_u32 s0, s2, s0
	s_addc_u32 s1, s3, s1
	v_lshlrev_b32_e32 v24, 2, v24
	global_store_dword v24, v4, s[0:1]
	global_store_dword v24, v5, s[0:1] offset:32
	global_store_dword v24, v2, s[0:1] offset:64
	;; [unrolled: 1-line block ×23, first 2 shown]
.LBB52_122:
	s_endpgm
.LBB52_123:
	ds_read_b32 v27, v25
	s_waitcnt lgkmcnt(0)
	v_add_f32_e32 v4, v4, v27
	s_or_b64 exec, exec, s[2:3]
	s_and_saveexec_b64 s[2:3], vcc
	s_cbranch_execz .LBB52_96
.LBB52_124:
	ds_read_b32 v27, v25 offset:32
	s_waitcnt lgkmcnt(0)
	v_add_f32_e32 v5, v5, v27
	s_or_b64 exec, exec, s[2:3]
	s_and_saveexec_b64 s[2:3], vcc
	s_cbranch_execz .LBB52_97
.LBB52_125:
	ds_read_b32 v27, v25 offset:64
	s_waitcnt lgkmcnt(0)
	v_add_f32_e32 v2, v2, v27
	s_or_b64 exec, exec, s[2:3]
	s_and_saveexec_b64 s[2:3], vcc
	s_cbranch_execz .LBB52_98
.LBB52_126:
	ds_read_b32 v27, v25 offset:96
	s_waitcnt lgkmcnt(0)
	v_add_f32_e32 v3, v3, v27
	s_or_b64 exec, exec, s[2:3]
	s_and_saveexec_b64 s[2:3], vcc
	s_cbranch_execz .LBB52_99
.LBB52_127:
	ds_read_b32 v27, v25 offset:128
	s_waitcnt lgkmcnt(0)
	v_add_f32_e32 v0, v0, v27
	s_or_b64 exec, exec, s[2:3]
	s_and_saveexec_b64 s[2:3], vcc
	s_cbranch_execz .LBB52_100
.LBB52_128:
	ds_read_b32 v27, v25 offset:160
	s_waitcnt lgkmcnt(0)
	v_add_f32_e32 v1, v1, v27
	s_or_b64 exec, exec, s[2:3]
	s_and_saveexec_b64 s[2:3], vcc
	s_cbranch_execz .LBB52_101
.LBB52_129:
	ds_read_b32 v27, v25 offset:192
	s_waitcnt lgkmcnt(0)
	v_add_f32_e32 v12, v12, v27
	s_or_b64 exec, exec, s[2:3]
	s_and_saveexec_b64 s[2:3], vcc
	s_cbranch_execz .LBB52_102
.LBB52_130:
	ds_read_b32 v27, v25 offset:224
	s_waitcnt lgkmcnt(0)
	v_add_f32_e32 v13, v13, v27
	s_or_b64 exec, exec, s[2:3]
	s_and_saveexec_b64 s[2:3], vcc
	s_cbranch_execz .LBB52_103
.LBB52_131:
	ds_read_b32 v27, v25 offset:256
	s_waitcnt lgkmcnt(0)
	v_add_f32_e32 v10, v10, v27
	s_or_b64 exec, exec, s[2:3]
	s_and_saveexec_b64 s[2:3], vcc
	s_cbranch_execz .LBB52_104
.LBB52_132:
	ds_read_b32 v27, v25 offset:288
	s_waitcnt lgkmcnt(0)
	v_add_f32_e32 v11, v11, v27
	s_or_b64 exec, exec, s[2:3]
	s_and_saveexec_b64 s[2:3], vcc
	s_cbranch_execz .LBB52_105
.LBB52_133:
	ds_read_b32 v27, v25 offset:320
	s_waitcnt lgkmcnt(0)
	v_add_f32_e32 v8, v8, v27
	s_or_b64 exec, exec, s[2:3]
	s_and_saveexec_b64 s[2:3], vcc
	s_cbranch_execz .LBB52_106
.LBB52_134:
	ds_read_b32 v27, v25 offset:352
	s_waitcnt lgkmcnt(0)
	v_add_f32_e32 v9, v9, v27
	s_or_b64 exec, exec, s[2:3]
	s_and_saveexec_b64 s[2:3], vcc
	s_cbranch_execz .LBB52_107
.LBB52_135:
	ds_read_b32 v27, v25 offset:384
	s_waitcnt lgkmcnt(0)
	v_add_f32_e32 v6, v6, v27
	s_or_b64 exec, exec, s[2:3]
	s_and_saveexec_b64 s[2:3], vcc
	s_cbranch_execz .LBB52_108
.LBB52_136:
	ds_read_b32 v27, v25 offset:416
	s_waitcnt lgkmcnt(0)
	v_add_f32_e32 v7, v7, v27
	s_or_b64 exec, exec, s[2:3]
	s_and_saveexec_b64 s[2:3], vcc
	s_cbranch_execz .LBB52_109
.LBB52_137:
	ds_read_b32 v27, v25 offset:448
	s_waitcnt lgkmcnt(0)
	v_add_f32_e32 v20, v20, v27
	s_or_b64 exec, exec, s[2:3]
	s_and_saveexec_b64 s[2:3], vcc
	s_cbranch_execz .LBB52_110
.LBB52_138:
	ds_read_b32 v27, v25 offset:480
	s_waitcnt lgkmcnt(0)
	v_add_f32_e32 v21, v21, v27
	s_or_b64 exec, exec, s[2:3]
	s_and_saveexec_b64 s[2:3], vcc
	s_cbranch_execz .LBB52_111
.LBB52_139:
	ds_read_b32 v27, v25 offset:512
	s_waitcnt lgkmcnt(0)
	v_add_f32_e32 v18, v18, v27
	s_or_b64 exec, exec, s[2:3]
	s_and_saveexec_b64 s[2:3], vcc
	s_cbranch_execz .LBB52_112
.LBB52_140:
	ds_read_b32 v27, v25 offset:544
	s_waitcnt lgkmcnt(0)
	v_add_f32_e32 v19, v19, v27
	s_or_b64 exec, exec, s[2:3]
	s_and_saveexec_b64 s[2:3], vcc
	s_cbranch_execz .LBB52_113
.LBB52_141:
	ds_read_b32 v27, v25 offset:576
	s_waitcnt lgkmcnt(0)
	v_add_f32_e32 v16, v16, v27
	s_or_b64 exec, exec, s[2:3]
	s_and_saveexec_b64 s[2:3], vcc
	s_cbranch_execz .LBB52_114
.LBB52_142:
	ds_read_b32 v27, v25 offset:608
	s_waitcnt lgkmcnt(0)
	v_add_f32_e32 v17, v17, v27
	s_or_b64 exec, exec, s[2:3]
	s_and_saveexec_b64 s[2:3], vcc
	s_cbranch_execz .LBB52_115
.LBB52_143:
	ds_read_b32 v27, v25 offset:640
	s_waitcnt lgkmcnt(0)
	v_add_f32_e32 v14, v14, v27
	s_or_b64 exec, exec, s[2:3]
	s_and_saveexec_b64 s[2:3], vcc
	s_cbranch_execz .LBB52_116
.LBB52_144:
	ds_read_b32 v27, v25 offset:672
	s_waitcnt lgkmcnt(0)
	v_add_f32_e32 v15, v15, v27
	s_or_b64 exec, exec, s[2:3]
	s_and_saveexec_b64 s[2:3], vcc
	s_cbranch_execz .LBB52_117
.LBB52_145:
	ds_read_b32 v27, v25 offset:704
	s_waitcnt lgkmcnt(0)
	v_add_f32_e32 v22, v22, v27
	s_or_b64 exec, exec, s[2:3]
	s_and_saveexec_b64 s[2:3], vcc
	s_cbranch_execnz .LBB52_118
	s_branch .LBB52_119
	.section	.rodata,"a",@progbits
	.p2align	6, 0x0
	.amdhsa_kernel _ZN4vllm25paged_attention_v1_kernelIffLi192ELi32ELi128ELNS_18Fp8KVCacheDataTypeE0ELb0EEEvPT_PKS2_PKT0_S8_ifPKiSA_iPKfiiiSC_SC_iiiii
		.amdhsa_group_segment_fixed_size 784
		.amdhsa_private_segment_fixed_size 60
		.amdhsa_kernarg_size 384
		.amdhsa_user_sgpr_count 2
		.amdhsa_user_sgpr_dispatch_ptr 0
		.amdhsa_user_sgpr_queue_ptr 0
		.amdhsa_user_sgpr_kernarg_segment_ptr 1
		.amdhsa_user_sgpr_dispatch_id 0
		.amdhsa_user_sgpr_kernarg_preload_length 0
		.amdhsa_user_sgpr_kernarg_preload_offset 0
		.amdhsa_user_sgpr_private_segment_size 0
		.amdhsa_uses_dynamic_stack 0
		.amdhsa_enable_private_segment 1
		.amdhsa_system_sgpr_workgroup_id_x 1
		.amdhsa_system_sgpr_workgroup_id_y 1
		.amdhsa_system_sgpr_workgroup_id_z 1
		.amdhsa_system_sgpr_workgroup_info 0
		.amdhsa_system_vgpr_workitem_id 0
		.amdhsa_next_free_vgpr 128
		.amdhsa_next_free_sgpr 45
		.amdhsa_accum_offset 128
		.amdhsa_reserve_vcc 1
		.amdhsa_float_round_mode_32 0
		.amdhsa_float_round_mode_16_64 0
		.amdhsa_float_denorm_mode_32 3
		.amdhsa_float_denorm_mode_16_64 3
		.amdhsa_dx10_clamp 1
		.amdhsa_ieee_mode 1
		.amdhsa_fp16_overflow 0
		.amdhsa_tg_split 0
		.amdhsa_exception_fp_ieee_invalid_op 0
		.amdhsa_exception_fp_denorm_src 0
		.amdhsa_exception_fp_ieee_div_zero 0
		.amdhsa_exception_fp_ieee_overflow 0
		.amdhsa_exception_fp_ieee_underflow 0
		.amdhsa_exception_fp_ieee_inexact 0
		.amdhsa_exception_int_div_zero 0
	.end_amdhsa_kernel
	.section	.text._ZN4vllm25paged_attention_v1_kernelIffLi192ELi32ELi128ELNS_18Fp8KVCacheDataTypeE0ELb0EEEvPT_PKS2_PKT0_S8_ifPKiSA_iPKfiiiSC_SC_iiiii,"axG",@progbits,_ZN4vllm25paged_attention_v1_kernelIffLi192ELi32ELi128ELNS_18Fp8KVCacheDataTypeE0ELb0EEEvPT_PKS2_PKT0_S8_ifPKiSA_iPKfiiiSC_SC_iiiii,comdat
.Lfunc_end52:
	.size	_ZN4vllm25paged_attention_v1_kernelIffLi192ELi32ELi128ELNS_18Fp8KVCacheDataTypeE0ELb0EEEvPT_PKS2_PKT0_S8_ifPKiSA_iPKfiiiSC_SC_iiiii, .Lfunc_end52-_ZN4vllm25paged_attention_v1_kernelIffLi192ELi32ELi128ELNS_18Fp8KVCacheDataTypeE0ELb0EEEvPT_PKS2_PKT0_S8_ifPKiSA_iPKfiiiSC_SC_iiiii
                                        ; -- End function
	.set _ZN4vllm25paged_attention_v1_kernelIffLi192ELi32ELi128ELNS_18Fp8KVCacheDataTypeE0ELb0EEEvPT_PKS2_PKT0_S8_ifPKiSA_iPKfiiiSC_SC_iiiii.num_vgpr, 128
	.set _ZN4vllm25paged_attention_v1_kernelIffLi192ELi32ELi128ELNS_18Fp8KVCacheDataTypeE0ELb0EEEvPT_PKS2_PKT0_S8_ifPKiSA_iPKfiiiSC_SC_iiiii.num_agpr, 0
	.set _ZN4vllm25paged_attention_v1_kernelIffLi192ELi32ELi128ELNS_18Fp8KVCacheDataTypeE0ELb0EEEvPT_PKS2_PKT0_S8_ifPKiSA_iPKfiiiSC_SC_iiiii.numbered_sgpr, 45
	.set _ZN4vllm25paged_attention_v1_kernelIffLi192ELi32ELi128ELNS_18Fp8KVCacheDataTypeE0ELb0EEEvPT_PKS2_PKT0_S8_ifPKiSA_iPKfiiiSC_SC_iiiii.num_named_barrier, 0
	.set _ZN4vllm25paged_attention_v1_kernelIffLi192ELi32ELi128ELNS_18Fp8KVCacheDataTypeE0ELb0EEEvPT_PKS2_PKT0_S8_ifPKiSA_iPKfiiiSC_SC_iiiii.private_seg_size, 60
	.set _ZN4vllm25paged_attention_v1_kernelIffLi192ELi32ELi128ELNS_18Fp8KVCacheDataTypeE0ELb0EEEvPT_PKS2_PKT0_S8_ifPKiSA_iPKfiiiSC_SC_iiiii.uses_vcc, 1
	.set _ZN4vllm25paged_attention_v1_kernelIffLi192ELi32ELi128ELNS_18Fp8KVCacheDataTypeE0ELb0EEEvPT_PKS2_PKT0_S8_ifPKiSA_iPKfiiiSC_SC_iiiii.uses_flat_scratch, 0
	.set _ZN4vllm25paged_attention_v1_kernelIffLi192ELi32ELi128ELNS_18Fp8KVCacheDataTypeE0ELb0EEEvPT_PKS2_PKT0_S8_ifPKiSA_iPKfiiiSC_SC_iiiii.has_dyn_sized_stack, 0
	.set _ZN4vllm25paged_attention_v1_kernelIffLi192ELi32ELi128ELNS_18Fp8KVCacheDataTypeE0ELb0EEEvPT_PKS2_PKT0_S8_ifPKiSA_iPKfiiiSC_SC_iiiii.has_recursion, 0
	.set _ZN4vllm25paged_attention_v1_kernelIffLi192ELi32ELi128ELNS_18Fp8KVCacheDataTypeE0ELb0EEEvPT_PKS2_PKT0_S8_ifPKiSA_iPKfiiiSC_SC_iiiii.has_indirect_call, 0
	.section	.AMDGPU.csdata,"",@progbits
; Kernel info:
; codeLenInByte = 9428
; TotalNumSgprs: 51
; NumVgprs: 128
; NumAgprs: 0
; TotalNumVgprs: 128
; ScratchSize: 60
; MemoryBound: 0
; FloatMode: 240
; IeeeMode: 1
; LDSByteSize: 784 bytes/workgroup (compile time only)
; SGPRBlocks: 6
; VGPRBlocks: 15
; NumSGPRsForWavesPerEU: 51
; NumVGPRsForWavesPerEU: 128
; AccumOffset: 128
; Occupancy: 4
; WaveLimiterHint : 1
; COMPUTE_PGM_RSRC2:SCRATCH_EN: 1
; COMPUTE_PGM_RSRC2:USER_SGPR: 2
; COMPUTE_PGM_RSRC2:TRAP_HANDLER: 0
; COMPUTE_PGM_RSRC2:TGID_X_EN: 1
; COMPUTE_PGM_RSRC2:TGID_Y_EN: 1
; COMPUTE_PGM_RSRC2:TGID_Z_EN: 1
; COMPUTE_PGM_RSRC2:TIDIG_COMP_CNT: 0
; COMPUTE_PGM_RSRC3_GFX90A:ACCUM_OFFSET: 31
; COMPUTE_PGM_RSRC3_GFX90A:TG_SPLIT: 0
	.section	.text._ZN4vllm25paged_attention_v1_kernelIffLi256ELi32ELi128ELNS_18Fp8KVCacheDataTypeE0ELb0EEEvPT_PKS2_PKT0_S8_ifPKiSA_iPKfiiiSC_SC_iiiii,"axG",@progbits,_ZN4vllm25paged_attention_v1_kernelIffLi256ELi32ELi128ELNS_18Fp8KVCacheDataTypeE0ELb0EEEvPT_PKS2_PKT0_S8_ifPKiSA_iPKfiiiSC_SC_iiiii,comdat
	.protected	_ZN4vllm25paged_attention_v1_kernelIffLi256ELi32ELi128ELNS_18Fp8KVCacheDataTypeE0ELb0EEEvPT_PKS2_PKT0_S8_ifPKiSA_iPKfiiiSC_SC_iiiii ; -- Begin function _ZN4vllm25paged_attention_v1_kernelIffLi256ELi32ELi128ELNS_18Fp8KVCacheDataTypeE0ELb0EEEvPT_PKS2_PKT0_S8_ifPKiSA_iPKfiiiSC_SC_iiiii
	.globl	_ZN4vllm25paged_attention_v1_kernelIffLi256ELi32ELi128ELNS_18Fp8KVCacheDataTypeE0ELb0EEEvPT_PKS2_PKT0_S8_ifPKiSA_iPKfiiiSC_SC_iiiii
	.p2align	8
	.type	_ZN4vllm25paged_attention_v1_kernelIffLi256ELi32ELi128ELNS_18Fp8KVCacheDataTypeE0ELb0EEEvPT_PKS2_PKT0_S8_ifPKiSA_iPKfiiiSC_SC_iiiii,@function
_ZN4vllm25paged_attention_v1_kernelIffLi256ELi32ELi128ELNS_18Fp8KVCacheDataTypeE0ELb0EEEvPT_PKS2_PKT0_S8_ifPKiSA_iPKfiiiSC_SC_iiiii: ; @_ZN4vllm25paged_attention_v1_kernelIffLi256ELi32ELi128ELNS_18Fp8KVCacheDataTypeE0ELb0EEEvPT_PKS2_PKT0_S8_ifPKiSA_iPKfiiiSC_SC_iiiii
; %bb.0:
	s_load_dword s5, s[0:1], 0x80
	s_load_dwordx2 s[6:7], s[0:1], 0x30
	s_load_dwordx2 s[8:9], s[0:1], 0x20
	s_mov_b32 s10, s3
	s_ashr_i32 s11, s3, 31
	s_lshl_b64 s[12:13], s[10:11], 2
	s_waitcnt lgkmcnt(0)
	s_add_u32 s6, s6, s12
	s_addc_u32 s7, s7, s13
	s_abs_i32 s3, s8
	v_mov_b32_e32 v14, v0
	v_cvt_f32_u32_e32 v0, s3
	s_sub_i32 s12, 0, s3
	s_abs_i32 s11, s5
	s_xor_b32 s8, s5, s8
	v_rcp_iflag_f32_e32 v0, v0
	s_ashr_i32 s8, s8, 31
	v_mul_f32_e32 v0, 0x4f7ffffe, v0
	v_cvt_u32_f32_e32 v0, v0
	s_nop 0
	v_readfirstlane_b32 s13, v0
	s_mul_i32 s12, s12, s13
	s_mul_hi_u32 s12, s13, s12
	s_add_i32 s13, s13, s12
	s_mul_hi_u32 s12, s11, s13
	s_mul_i32 s13, s12, s3
	s_sub_i32 s11, s11, s13
	s_add_i32 s13, s12, 1
	s_sub_i32 s14, s11, s3
	s_cmp_ge_u32 s11, s3
	s_cselect_b32 s12, s13, s12
	s_cselect_b32 s11, s14, s11
	s_add_i32 s13, s12, 1
	s_cmp_ge_u32 s11, s3
	s_cselect_b32 s3, s13, s12
	s_xor_b32 s3, s3, s8
	s_sub_i32 s14, s3, s8
	s_abs_i32 s11, s14
	v_cvt_f32_u32_e32 v0, s11
	s_load_dwordx2 s[12:13], s[0:1], 0x40
	s_sub_i32 s3, 0, s11
	s_abs_i32 s18, s2
	v_rcp_iflag_f32_e32 v0, v0
	s_mov_b32 s8, 0
	v_mul_f32_e32 v0, 0x4f7ffffe, v0
	v_cvt_u32_f32_e32 v0, v0
	s_nop 0
	v_readfirstlane_b32 s15, v0
	s_mul_i32 s3, s3, s15
	s_mul_hi_u32 s3, s15, s3
	s_add_i32 s15, s15, s3
	s_waitcnt lgkmcnt(0)
	s_cmp_eq_u64 s[12:13], 0
	s_mul_hi_u32 s19, s18, s15
	s_cbranch_scc1 .LBB53_2
; %bb.1:
	s_ashr_i32 s3, s2, 31
	s_lshl_b64 s[16:17], s[2:3], 2
	s_add_u32 s12, s12, s16
	s_addc_u32 s13, s13, s17
	s_load_dword s8, s[12:13], 0x0
.LBB53_2:
	s_load_dword s33, s[6:7], 0x0
	s_ashr_i32 s7, s14, 31
	s_load_dwordx4 s[12:15], s[0:1], 0x48
	s_ashr_i32 s6, s2, 31
	s_lshl_b32 s16, s2, 8
	s_movk_i32 s2, 0x80
	v_and_b32_e32 v0, 1, v14
	v_cmp_gt_u32_e32 vcc, s2, v14
	v_lshlrev_b32_e32 v1, 3, v14
	v_lshlrev_b32_e32 v15, 2, v14
	s_and_saveexec_b64 s[2:3], vcc
	s_cbranch_execz .LBB53_4
; %bb.3:
	s_load_dwordx2 s[20:21], s[0:1], 0x8
	s_waitcnt lgkmcnt(0)
	s_mul_i32 s22, s12, s10
	s_ashr_i32 s23, s22, 31
	s_lshl_b64 s[22:23], s[22:23], 2
	v_and_b32_e32 v4, 0xff8, v15
	s_add_u32 s12, s20, s22
	s_addc_u32 s15, s21, s23
	s_ashr_i32 s17, s16, 31
	s_lshl_b64 s[20:21], s[16:17], 2
	s_add_u32 s20, s12, s20
	s_addc_u32 s21, s15, s21
	global_load_dwordx2 v[2:3], v1, s[20:21]
	v_lshl_add_u32 v4, v0, 9, v4
	s_waitcnt vmcnt(0)
	ds_write_b64 v4, v[2:3]
.LBB53_4:
	s_or_b64 exec, exec, s[2:3]
	s_waitcnt lgkmcnt(0)
	s_add_i32 s3, s33, 31
	s_ashr_i32 s12, s3, 31
	s_lshr_b32 s12, s12, 27
	s_add_i32 s3, s3, s12
	s_ashr_i32 s17, s3, 5
	s_xor_b32 s3, s6, s7
	s_mul_i32 s6, s19, s11
	s_sub_i32 s6, s18, s6
	s_add_i32 s7, s19, 1
	s_sub_i32 s12, s6, s11
	s_load_dwordx2 s[20:21], s[0:1], 0x28
	s_load_dword s2, s[0:1], 0x38
	s_cmp_ge_u32 s6, s11
	s_cselect_b32 s7, s7, s19
	s_cselect_b32 s6, s12, s6
	s_add_i32 s12, s7, 1
	s_cmp_ge_u32 s6, s11
	s_cselect_b32 s6, s12, s7
	v_lshrrev_b32_e32 v18, 6, v14
	s_xor_b32 s6, s6, s3
	s_waitcnt lgkmcnt(0)
	s_mul_i32 s22, s2, s10
	s_sub_i32 s12, s6, s3
	s_ashr_i32 s23, s22, 31
	v_cmp_gt_i32_e64 s[6:7], s17, v18
	v_cmp_le_i32_e32 vcc, s17, v18
	v_mbcnt_lo_u32_b32 v2, -1, 0
	s_barrier
                                        ; implicit-def: $vgpr10
                                        ; implicit-def: $vgpr7
                                        ; implicit-def: $vgpr8
	s_and_saveexec_b64 s[2:3], vcc
	s_xor_b64 s[2:3], exec, s[2:3]
; %bb.5:
	v_mbcnt_hi_u32_b32 v10, -1, v2
	v_and_b32_e32 v7, 64, v10
	v_add_u32_e32 v8, 64, v7
                                        ; implicit-def: $vgpr1
                                        ; implicit-def: $vgpr0
                                        ; implicit-def: $vgpr2
; %bb.6:
	s_or_saveexec_b64 s[26:27], s[2:3]
	s_load_dwordx2 s[18:19], s[0:1], 0x0
	s_load_dwordx2 s[24:25], s[0:1], 0x18
	s_load_dword s11, s[0:1], 0x88
	v_mov_b32_e32 v21, 0xff7fffff
	s_mul_i32 s14, s12, s14
	v_lshrrev_b32_e32 v19, 4, v14
	scratch_store_dword off, v14, off offset:244 ; 4-byte Folded Spill
	s_xor_b64 exec, exec, s[26:27]
	s_cbranch_execz .LBB53_12
; %bb.7:
	s_load_dwordx2 s[0:1], s[0:1], 0x10
	s_ashr_i32 s15, s14, 31
	s_lshl_b64 s[2:3], s[14:15], 2
	v_bfe_u32 v8, v14, 1, 5
	v_lshlrev_b32_e32 v6, 4, v8
	s_waitcnt lgkmcnt(0)
	s_add_u32 s0, s0, s2
	s_addc_u32 s1, s1, s3
	v_mov_b32_e32 v7, 0
	v_lshl_add_u64 v[4:5], s[0:1], 0, v[6:7]
	v_and_b32_e32 v6, 8, v1
	v_lshlrev_b32_e32 v1, 9, v0
	ds_read_b128 v[10:13], v1
	v_lshl_add_u64 v[4:5], v[4:5], 0, v[6:7]
	v_mbcnt_hi_u32_b32 v3, -1, v2
	scratch_store_dword off, v15, off offset:140 ; 4-byte Folded Spill
	scratch_store_dwordx2 off, v[4:5], off  ; 8-byte Folded Spill
	s_waitcnt lgkmcnt(0)
	scratch_store_dwordx4 off, v[10:13], off offset:16 ; 16-byte Folded Spill
	ds_read_b128 v[10:13], v1 offset:16
	v_and_b32_e32 v4, 64, v3
	v_xor_b32_e32 v2, 1, v3
	s_sub_i32 s15, 1, s33
	s_lshl_b64 s[0:1], s[22:23], 2
	s_waitcnt lgkmcnt(0)
	scratch_store_dwordx4 off, v[10:13], off offset:32 ; 16-byte Folded Spill
	ds_read_b128 v[10:13], v1 offset:32
	v_lshlrev_b32_e32 v9, 2, v8
	s_add_u32 s0, s20, s0
	v_and_b32_e32 v6, 60, v19
	s_addc_u32 s1, s21, s1
	s_waitcnt lgkmcnt(0)
	scratch_store_dwordx4 off, v[10:13], off offset:48 ; 16-byte Folded Spill
	ds_read_b128 v[10:13], v1 offset:48
	s_mov_b32 s12, s13
	v_cmp_neq_f32_e64 s[2:3], s8, 0
	v_lshl_or_b32 v17, v18, 5, v8
	v_lshl_add_u64 v[126:127], s[0:1], 0, v[6:7]
	s_waitcnt lgkmcnt(0)
	scratch_store_dwordx4 off, v[10:13], off offset:64 ; 16-byte Folded Spill
	ds_read_b128 v[10:13], v1 offset:64
	v_mov_b32_e32 v21, 0xff7fffff
	s_mov_b64 s[28:29], 0
	s_movk_i32 s34, 0x1000
	s_movk_i32 s35, 0x2000
	s_waitcnt lgkmcnt(0)
	scratch_store_dwordx4 off, v[10:13], off offset:80 ; 16-byte Folded Spill
	ds_read_b128 v[10:13], v1 offset:80
	s_movk_i32 s36, 0x3000
	s_movk_i32 s37, 0x4000
	;; [unrolled: 1-line block ×4, first 2 shown]
	s_waitcnt lgkmcnt(0)
	scratch_store_dwordx4 off, v[10:13], off offset:100 ; 16-byte Folded Spill
	ds_read_b128 v[10:13], v1 offset:96
	s_movk_i32 s40, 0x7000
	s_waitcnt lgkmcnt(0)
	scratch_store_dwordx4 off, v[10:13], off offset:116 ; 16-byte Folded Spill
	ds_read_b128 v[30:33], v1 offset:112
	ds_read_b128 v[34:37], v1 offset:128
	;; [unrolled: 1-line block ×6, first 2 shown]
	scratch_store_dword off, v4, off offset:164 ; 4-byte Folded Spill
	v_add_u32_e32 v4, 64, v4
	v_cmp_lt_i32_e32 vcc, v2, v4
	scratch_store_dword off, v4, off offset:172 ; 4-byte Folded Spill
	scratch_store_dword off, v3, off offset:156 ; 4-byte Folded Spill
	v_cndmask_b32_e32 v2, v3, v2, vcc
	v_lshlrev_b32_e32 v2, 2, v2
	scratch_store_dword off, v2, off offset:132 ; 4-byte Folded Spill
	ds_read_b128 v[54:57], v1 offset:208
	ds_read_b128 v[58:61], v1 offset:224
	;; [unrolled: 1-line block ×19, first 2 shown]
	v_cmp_eq_u32_e32 vcc, 0, v0
	v_lshl_or_b32 v0, v18, 7, v9
	v_add_u32_e32 v16, 0x410, v0
	scratch_store_dword off, v19, off offset:148 ; 4-byte Folded Spill
	scratch_store_dword off, v18, off offset:96 ; 4-byte Folded Spill
	s_branch .LBB53_9
.LBB53_8:                               ;   in Loop: Header=BB53_9 Depth=1
	s_or_b64 exec, exec, s[30:31]
	v_add_u32_e32 v18, 2, v18
	v_cmp_le_i32_e64 s[0:1], s17, v18
	v_add_u32_e32 v17, 64, v17
	v_add_u32_e32 v16, 0x100, v16
	s_or_b64 s[28:29], s[0:1], s[28:29]
	v_lshl_add_u64 v[126:127], v[126:127], 0, 8
	s_andn2_b64 exec, exec, s[28:29]
	s_cbranch_execz .LBB53_11
.LBB53_9:                               ; =>This Inner Loop Header: Depth=1
	global_load_dword v0, v[126:127], off
	scratch_load_dwordx2 v[6:7], off, off   ; 8-byte Folded Reload
	s_waitcnt vmcnt(1) lgkmcnt(0)
	v_mad_i64_i32 v[0:1], s[0:1], v0, s12, 0
	s_waitcnt vmcnt(0)
	v_lshl_add_u64 v[10:11], v[0:1], 2, v[6:7]
	global_load_dwordx2 v[0:1], v[10:11], off offset:512
	scratch_load_dwordx4 v[6:9], off, off offset:16 ; 16-byte Folded Reload
	v_add_co_u32_e64 v22, s[0:1], s34, v10
	s_waitcnt vmcnt(0)
	v_mul_f32_e32 v19, v8, v0
	v_mul_f32_e32 v20, v9, v1
	global_load_dwordx2 v[0:1], v[10:11], off
	v_addc_co_u32_e64 v23, s[0:1], 0, v11, s[0:1]
	v_add_co_u32_e64 v24, s[0:1], s35, v10
	s_waitcnt vmcnt(0)
	v_fmac_f32_e32 v19, v6, v0
	v_fmac_f32_e32 v20, v7, v1
	global_load_dwordx2 v[0:1], v[10:11], off offset:1024
	scratch_load_dwordx4 v[6:9], off, off offset:32 ; 16-byte Folded Reload
	v_addc_co_u32_e64 v25, s[0:1], 0, v11, s[0:1]
	v_add_co_u32_e64 v14, s[0:1], s36, v10
	s_waitcnt vmcnt(0)
	v_fmac_f32_e32 v19, v6, v0
	v_fmac_f32_e32 v20, v7, v1
	global_load_dwordx2 v[0:1], v[10:11], off offset:1536
	v_addc_co_u32_e64 v15, s[0:1], 0, v11, s[0:1]
	v_add_co_u32_e64 v12, s[0:1], s37, v10
	s_waitcnt vmcnt(0)
	v_fmac_f32_e32 v19, v8, v0
	v_fmac_f32_e32 v20, v9, v1
	global_load_dwordx2 v[0:1], v[10:11], off offset:2048
	scratch_load_dwordx4 v[6:9], off, off offset:48 ; 16-byte Folded Reload
	v_addc_co_u32_e64 v13, s[0:1], 0, v11, s[0:1]
	s_waitcnt vmcnt(0)
	v_fmac_f32_e32 v19, v6, v0
	v_fmac_f32_e32 v20, v7, v1
	global_load_dwordx2 v[0:1], v[10:11], off offset:2560
	s_waitcnt vmcnt(0)
	v_fmac_f32_e32 v19, v8, v0
	v_fmac_f32_e32 v20, v9, v1
	global_load_dwordx2 v[0:1], v[10:11], off offset:3072
	scratch_load_dwordx4 v[26:29], off, off offset:64 ; 16-byte Folded Reload
	v_add_co_u32_e64 v8, s[0:1], s38, v10
	s_waitcnt vmcnt(0)
	v_fmac_f32_e32 v19, v26, v0
	v_addc_co_u32_e64 v9, s[0:1], 0, v11, s[0:1]
	v_add_co_u32_e64 v6, s[0:1], s39, v10
	v_fmac_f32_e32 v20, v27, v1
	s_nop 0
	v_addc_co_u32_e64 v7, s[0:1], 0, v11, s[0:1]
	v_add_co_u32_e64 v0, s[0:1], s40, v10
	s_nop 1
	v_addc_co_u32_e64 v1, s[0:1], 0, v11, s[0:1]
	global_load_dwordx2 v[10:11], v[10:11], off offset:3584
	s_waitcnt vmcnt(0)
	v_fmac_f32_e32 v19, v28, v10
	v_fmac_f32_e32 v20, v29, v11
	global_load_dwordx2 v[10:11], v[24:25], off offset:-4096
	scratch_load_dwordx4 v[26:29], off, off offset:80 ; 16-byte Folded Reload
	s_waitcnt vmcnt(0)
	v_fmac_f32_e32 v19, v26, v10
	v_fmac_f32_e32 v20, v27, v11
	global_load_dwordx2 v[10:11], v[22:23], off offset:512
	s_waitcnt vmcnt(0)
	v_fmac_f32_e32 v19, v28, v10
	v_fmac_f32_e32 v20, v29, v11
	global_load_dwordx2 v[10:11], v[22:23], off offset:1024
	scratch_load_dwordx4 v[26:29], off, off offset:100 ; 16-byte Folded Reload
	s_waitcnt vmcnt(0)
	v_fmac_f32_e32 v19, v26, v10
	v_fmac_f32_e32 v20, v27, v11
	global_load_dwordx2 v[10:11], v[22:23], off offset:1536
	s_waitcnt vmcnt(0)
	v_fmac_f32_e32 v19, v28, v10
	v_fmac_f32_e32 v20, v29, v11
	global_load_dwordx2 v[10:11], v[22:23], off offset:2048
	;; [unrolled: 9-line block ×3, first 2 shown]
	s_waitcnt vmcnt(0) lgkmcnt(14)
	v_fmac_f32_e32 v19, v30, v10
	v_fmac_f32_e32 v20, v31, v11
	global_load_dwordx2 v[10:11], v[22:23], off offset:3584
	s_waitcnt vmcnt(0)
	v_fmac_f32_e32 v19, v32, v10
	v_fmac_f32_e32 v20, v33, v11
	global_load_dwordx2 v[10:11], v[24:25], off
	s_waitcnt vmcnt(0)
	v_fmac_f32_e32 v19, v34, v10
	v_fmac_f32_e32 v20, v35, v11
	global_load_dwordx2 v[10:11], v[24:25], off offset:512
	s_waitcnt vmcnt(0)
	v_fmac_f32_e32 v19, v36, v10
	v_fmac_f32_e32 v20, v37, v11
	global_load_dwordx2 v[10:11], v[24:25], off offset:1024
	;; [unrolled: 4-line block ×7, first 2 shown]
	s_waitcnt vmcnt(0)
	v_fmac_f32_e32 v19, v48, v10
	v_fmac_f32_e32 v20, v49, v11
	global_load_dwordx2 v[10:11], v[12:13], off offset:-4096
	s_waitcnt vmcnt(0)
	v_fmac_f32_e32 v19, v50, v10
	v_fmac_f32_e32 v20, v51, v11
	global_load_dwordx2 v[10:11], v[14:15], off offset:512
	s_waitcnt vmcnt(0)
	v_fmac_f32_e32 v19, v52, v10
	v_fmac_f32_e32 v20, v53, v11
	global_load_dwordx2 v[10:11], v[14:15], off offset:1024
	;; [unrolled: 4-line block ×7, first 2 shown]
	s_waitcnt vmcnt(0)
	v_fmac_f32_e32 v19, v64, v10
	v_fmac_f32_e32 v20, v65, v11
	global_load_dwordx2 v[10:11], v[12:13], off
	s_waitcnt vmcnt(0)
	v_fmac_f32_e32 v19, v66, v10
	v_fmac_f32_e32 v20, v67, v11
	global_load_dwordx2 v[10:11], v[12:13], off offset:512
	s_waitcnt vmcnt(0)
	v_fmac_f32_e32 v19, v68, v10
	v_fmac_f32_e32 v20, v69, v11
	global_load_dwordx2 v[10:11], v[12:13], off offset:1024
	;; [unrolled: 4-line block ×4, first 2 shown]
	s_waitcnt vmcnt(0) lgkmcnt(13)
	v_fmac_f32_e32 v19, v74, v10
	v_fmac_f32_e32 v20, v75, v11
	global_load_dwordx2 v[10:11], v[12:13], off offset:2560
	s_waitcnt vmcnt(0)
	v_fmac_f32_e32 v19, v76, v10
	v_fmac_f32_e32 v20, v77, v11
	global_load_dwordx2 v[10:11], v[12:13], off offset:3072
	s_waitcnt vmcnt(0) lgkmcnt(12)
	v_fmac_f32_e32 v19, v78, v10
	v_fmac_f32_e32 v20, v79, v11
	global_load_dwordx2 v[10:11], v[12:13], off offset:3584
	s_waitcnt vmcnt(0)
	v_fmac_f32_e32 v19, v80, v10
	v_fmac_f32_e32 v20, v81, v11
	global_load_dwordx2 v[10:11], v[6:7], off offset:-4096
	s_waitcnt vmcnt(0) lgkmcnt(11)
	v_fmac_f32_e32 v19, v82, v10
	v_fmac_f32_e32 v20, v83, v11
	global_load_dwordx2 v[10:11], v[8:9], off offset:512
	s_waitcnt vmcnt(0)
	v_fmac_f32_e32 v19, v84, v10
	v_fmac_f32_e32 v20, v85, v11
	global_load_dwordx2 v[10:11], v[8:9], off offset:1024
	s_waitcnt vmcnt(0) lgkmcnt(10)
	v_fmac_f32_e32 v19, v86, v10
	v_fmac_f32_e32 v20, v87, v11
	global_load_dwordx2 v[10:11], v[8:9], off offset:1536
	s_waitcnt vmcnt(0)
	v_fmac_f32_e32 v19, v88, v10
	v_fmac_f32_e32 v20, v89, v11
	global_load_dwordx2 v[10:11], v[8:9], off offset:2048
	;; [unrolled: 8-line block ×3, first 2 shown]
	s_waitcnt vmcnt(0) lgkmcnt(8)
	v_fmac_f32_e32 v19, v94, v10
	global_load_dwordx2 v[8:9], v[8:9], off offset:3584
	v_fmac_f32_e32 v20, v95, v11
	s_waitcnt vmcnt(0)
	v_fmac_f32_e32 v19, v96, v8
	v_fmac_f32_e32 v20, v97, v9
	global_load_dwordx2 v[8:9], v[6:7], off
	s_waitcnt vmcnt(0) lgkmcnt(7)
	v_fmac_f32_e32 v19, v98, v8
	v_fmac_f32_e32 v20, v99, v9
	global_load_dwordx2 v[8:9], v[6:7], off offset:512
	s_waitcnt vmcnt(0)
	v_fmac_f32_e32 v19, v100, v8
	v_fmac_f32_e32 v20, v101, v9
	global_load_dwordx2 v[8:9], v[6:7], off offset:1024
	s_waitcnt vmcnt(0) lgkmcnt(6)
	v_fmac_f32_e32 v19, v102, v8
	v_fmac_f32_e32 v20, v103, v9
	global_load_dwordx2 v[8:9], v[6:7], off offset:1536
	s_waitcnt vmcnt(0)
	v_fmac_f32_e32 v19, v104, v8
	v_fmac_f32_e32 v20, v105, v9
	global_load_dwordx2 v[8:9], v[6:7], off offset:2048
	;; [unrolled: 8-line block ×3, first 2 shown]
	s_waitcnt vmcnt(0) lgkmcnt(4)
	v_fmac_f32_e32 v19, v110, v8
	global_load_dwordx2 v[6:7], v[6:7], off offset:3584
	v_fmac_f32_e32 v20, v111, v9
	s_waitcnt vmcnt(0)
	v_fmac_f32_e32 v19, v112, v6
	v_fmac_f32_e32 v20, v113, v7
	global_load_dwordx2 v[6:7], v[0:1], off
	s_waitcnt vmcnt(0) lgkmcnt(3)
	v_fmac_f32_e32 v19, v114, v6
	v_fmac_f32_e32 v20, v115, v7
	global_load_dwordx2 v[6:7], v[0:1], off offset:512
	s_waitcnt vmcnt(0)
	v_fmac_f32_e32 v19, v116, v6
	v_fmac_f32_e32 v20, v117, v7
	global_load_dwordx2 v[6:7], v[0:1], off offset:1024
	s_waitcnt vmcnt(0) lgkmcnt(2)
	v_fmac_f32_e32 v19, v118, v6
	v_fmac_f32_e32 v20, v119, v7
	global_load_dwordx2 v[6:7], v[0:1], off offset:1536
	s_waitcnt vmcnt(0)
	v_fmac_f32_e32 v19, v120, v6
	v_fmac_f32_e32 v20, v121, v7
	global_load_dwordx2 v[6:7], v[0:1], off offset:2048
	;; [unrolled: 8-line block ×3, first 2 shown]
	s_waitcnt vmcnt(0) lgkmcnt(0)
	v_fmac_f32_e32 v20, v3, v7
	global_load_dwordx2 v[0:1], v[0:1], off offset:3584
	v_fmac_f32_e32 v19, v2, v6
	s_waitcnt vmcnt(0)
	v_fmac_f32_e32 v20, v5, v1
	scratch_load_dword v1, off, off offset:132 ; 4-byte Folded Reload
	v_fmac_f32_e32 v19, v4, v0
	v_add_f32_e32 v0, v19, v20
	s_waitcnt vmcnt(0)
	ds_bpermute_b32 v1, v1, v0
	s_and_saveexec_b64 s[30:31], vcc
	s_cbranch_execz .LBB53_8
; %bb.10:                               ;   in Loop: Header=BB53_9 Depth=1
	v_add_u32_e32 v6, s15, v17
	v_cvt_f32_i32_e32 v6, v6
	s_waitcnt lgkmcnt(0)
	v_add_f32_e32 v0, v0, v1
	v_cmp_gt_i32_e64 s[0:1], s33, v17
	v_max_f32_e32 v1, v21, v21
	v_mul_f32_e32 v6, s8, v6
	v_cndmask_b32_e64 v6, 0, v6, s[2:3]
	v_fmac_f32_e32 v6, s9, v0
	v_cndmask_b32_e64 v0, 0, v6, s[0:1]
	ds_write_b32 v16, v0
	v_max_f32_e32 v0, v1, v6
	v_cndmask_b32_e64 v21, v21, v0, s[0:1]
	s_branch .LBB53_8
.LBB53_11:
	s_or_b64 exec, exec, s[28:29]
	scratch_load_dword v14, off, off offset:244 ; 4-byte Folded Reload
	scratch_load_dword v18, off, off offset:96 ; 4-byte Folded Reload
	;; [unrolled: 1-line block ×7, first 2 shown]
.LBB53_12:
	s_or_b64 exec, exec, s[26:27]
	s_waitcnt vmcnt(2)
	v_xor_b32_e32 v0, 32, v10
	s_waitcnt vmcnt(0)
	v_cmp_lt_i32_e32 vcc, v0, v8
	v_xor_b32_e32 v3, 16, v10
	v_max_f32_e32 v2, v21, v21
	v_cndmask_b32_e32 v0, v10, v0, vcc
	v_lshlrev_b32_e32 v0, 2, v0
	s_waitcnt lgkmcnt(0)
	ds_bpermute_b32 v1, v0, v21
	v_cmp_lt_i32_e32 vcc, v3, v8
	v_xor_b32_e32 v4, 8, v10
	v_xor_b32_e32 v5, 4, v10
	s_waitcnt lgkmcnt(0)
	v_max_f32_e32 v1, v1, v1
	v_max_f32_e32 v2, v2, v1
	v_cndmask_b32_e32 v1, v10, v3, vcc
	v_lshlrev_b32_e32 v1, 2, v1
	ds_bpermute_b32 v3, v1, v2
	v_cmp_lt_i32_e32 vcc, v4, v8
	s_waitcnt lgkmcnt(0)
	v_max_f32_e32 v3, v3, v3
	v_max_f32_e32 v3, v2, v3
	v_cndmask_b32_e32 v2, v10, v4, vcc
	v_lshlrev_b32_e32 v2, 2, v2
	ds_bpermute_b32 v4, v2, v3
	v_cmp_lt_i32_e32 vcc, v5, v8
	s_waitcnt lgkmcnt(0)
	v_max_f32_e32 v4, v4, v4
	v_max_f32_e32 v3, v3, v4
	v_cndmask_b32_e32 v4, v10, v5, vcc
	v_lshlrev_b32_e32 v4, 2, v4
	scratch_store_dword off, v4, off offset:236 ; 4-byte Folded Spill
	ds_bpermute_b32 v4, v4, v3
	v_xor_b32_e32 v5, 2, v10
	v_cmp_lt_i32_e32 vcc, v5, v8
	s_waitcnt lgkmcnt(0)
	v_max_f32_e32 v4, v4, v4
	v_max_f32_e32 v4, v3, v4
	v_cndmask_b32_e32 v3, v10, v5, vcc
	v_lshlrev_b32_e32 v3, 2, v3
	ds_bpermute_b32 v5, v3, v4
	scratch_store_dword off, v3, off offset:240 ; 4-byte Folded Spill
	v_and_b32_e32 v3, 63, v14
	scratch_store_dword off, v3, off offset:252 ; 4-byte Folded Spill
	v_cmp_eq_u32_e32 vcc, 0, v3
	v_lshlrev_b32_e32 v3, 2, v18
	s_and_saveexec_b64 s[0:1], vcc
	s_cbranch_execz .LBB53_14
; %bb.13:
	s_waitcnt lgkmcnt(0)
	v_max_f32_e32 v5, v5, v5
	v_max_f32_e32 v4, v4, v4
	;; [unrolled: 1-line block ×3, first 2 shown]
	ds_write_b32 v3, v4 offset:1024
.LBB53_14:
	s_or_b64 exec, exec, s[0:1]
	v_and_b32_e32 v4, 63, v14
	v_cmp_gt_u32_e64 s[0:1], 2, v4
	s_waitcnt lgkmcnt(0)
	v_mov_b32_e32 v5, 0xff7fffff
	v_lshlrev_b32_e32 v4, 2, v4
	s_barrier
	s_and_saveexec_b64 s[2:3], s[0:1]
; %bb.15:
	ds_read_b32 v5, v4 offset:1024
; %bb.16:
	s_or_b64 exec, exec, s[2:3]
	v_xor_b32_e32 v6, 1, v10
	v_cmp_lt_i32_e64 s[2:3], v6, v8
	s_nop 1
	v_cndmask_b32_e64 v6, v10, v6, s[2:3]
	v_lshlrev_b32_e32 v6, 2, v6
	scratch_store_dword off, v6, off offset:232 ; 4-byte Folded Spill
	s_waitcnt lgkmcnt(0)
	ds_bpermute_b32 v6, v6, v5
	v_max_f32_e32 v5, v5, v5
	s_lshl_b32 s2, s17, 5
	s_min_i32 s12, s2, s33
	v_cmp_gt_i32_e64 s[2:3], s12, v14
	s_waitcnt lgkmcnt(0)
	v_max_f32_e32 v6, v6, v6
	v_max_f32_e32 v5, v5, v6
	v_lshlrev_b32_e32 v6, 2, v7
	ds_bpermute_b32 v6, v6, v5
	v_mov_b32_e32 v5, 0
	s_and_saveexec_b64 s[26:27], s[2:3]
	s_cbranch_execz .LBB53_20
; %bb.17:
	v_mov_b32_e32 v5, 0x410
	v_lshl_add_u32 v7, v14, 2, v5
	v_mov_b32_e32 v5, 0
	s_mov_b64 s[28:29], 0
	v_mov_b32_e32 v8, v14
.LBB53_18:                              ; =>This Inner Loop Header: Depth=1
	ds_read_b32 v9, v7
	v_add_u32_e32 v8, 0x80, v8
	v_cmp_le_i32_e64 s[8:9], s12, v8
	s_or_b64 s[28:29], s[8:9], s[28:29]
	s_waitcnt lgkmcnt(0)
	v_sub_f32_e32 v9, v9, v6
	v_mul_f32_e32 v9, 0x3fb8aa3b, v9
	v_exp_f32_e32 v9, v9
	ds_write_b32 v7, v9
	v_add_f32_e32 v5, v5, v9
	v_add_u32_e32 v7, 0x200, v7
	s_andn2_b64 exec, exec, s[28:29]
	s_cbranch_execnz .LBB53_18
; %bb.19:
	s_or_b64 exec, exec, s[28:29]
.LBB53_20:
	s_or_b64 exec, exec, s[26:27]
	ds_bpermute_b32 v0, v0, v5
	s_waitcnt lgkmcnt(0)
	v_add_f32_e32 v0, v5, v0
	ds_bpermute_b32 v1, v1, v0
	s_waitcnt lgkmcnt(0)
	v_add_f32_e32 v0, v0, v1
	;; [unrolled: 3-line block ×3, first 2 shown]
	scratch_load_dword v1, off, off offset:236 ; 4-byte Folded Reload
	s_waitcnt vmcnt(0)
	ds_bpermute_b32 v1, v1, v0
	s_waitcnt lgkmcnt(0)
	v_add_f32_e32 v0, v0, v1
	scratch_load_dword v1, off, off offset:240 ; 4-byte Folded Reload
	s_waitcnt vmcnt(0)
	ds_bpermute_b32 v1, v1, v0
	s_waitcnt lgkmcnt(0)
	v_add_f32_e32 v0, v0, v1
	;; [unrolled: 5-line block ×3, first 2 shown]
	s_and_saveexec_b64 s[8:9], vcc
; %bb.21:
	ds_write_b32 v3, v0 offset:1032
; %bb.22:
	s_or_b64 exec, exec, s[8:9]
	s_waitcnt lgkmcnt(0)
	s_barrier
	s_and_saveexec_b64 s[8:9], s[0:1]
; %bb.23:
	ds_read_b32 v0, v4 offset:1032
; %bb.24:
	s_or_b64 exec, exec, s[8:9]
	scratch_load_dword v1, off, off offset:232 ; 4-byte Folded Reload
	v_lshlrev_b32_e32 v2, 2, v10
	s_waitcnt vmcnt(0) lgkmcnt(0)
	ds_bpermute_b32 v1, v1, v0
	s_waitcnt lgkmcnt(0)
	v_add_f32_e32 v0, v0, v1
	v_and_b32_e32 v1, 0xffffff00, v2
	ds_bpermute_b32 v0, v1, v0
	s_and_saveexec_b64 s[0:1], s[2:3]
	s_cbranch_execz .LBB53_37
; %bb.25:
	s_waitcnt lgkmcnt(0)
	v_add_f32_e32 v0, 0x358637bd, v0
	v_div_scale_f32 v1, s[2:3], v0, v0, 1.0
	v_rcp_f32_e32 v2, v1
	v_div_scale_f32 v3, vcc, 1.0, v0, 1.0
	s_movk_i32 s2, 0x7f
	v_fma_f32 v4, -v1, v2, 1.0
	v_fmac_f32_e32 v2, v4, v2
	v_mul_f32_e32 v4, v3, v2
	v_fma_f32 v5, -v1, v4, v3
	v_fmac_f32_e32 v4, v5, v2
	v_fma_f32 v1, -v1, v4, v3
	v_div_fmas_f32 v1, v1, v2, v4
	v_xad_u32 v2, v14, -1, s12
	v_div_fixup_f32 v0, v1, v0, 1.0
	v_cmp_lt_u32_e32 vcc, s2, v2
	s_mov_b64 s[8:9], -1
	v_mov_b32_e32 v1, v14
	s_and_saveexec_b64 s[2:3], vcc
	s_cbranch_execz .LBB53_34
; %bb.26:
	v_lshrrev_b32_e32 v2, 7, v2
	v_add_u32_e32 v4, -1, v2
	v_lshrrev_b32_e32 v3, 1, v4
	v_mov_b32_e32 v1, v0
	v_add_u32_e32 v3, 1, v3
	v_cmp_lt_u32_e32 vcc, 13, v4
	v_mov_b32_e32 v6, 0
	s_and_saveexec_b64 s[8:9], vcc
	s_cbranch_execz .LBB53_30
; %bb.27:
	v_mov_b32_e32 v5, 0x410
	v_and_b32_e32 v4, -8, v3
	v_lshl_add_u32 v5, v14, 2, v5
	s_mov_b32 s15, 0
	s_mov_b64 s[26:27], 0
.LBB53_28:                              ; =>This Inner Loop Header: Depth=1
	ds_read2st64_b32 v[6:7], v5 offset1:2
	ds_read2st64_b32 v[8:9], v5 offset0:4 offset1:6
	ds_read2st64_b32 v[10:11], v5 offset0:8 offset1:10
	;; [unrolled: 1-line block ×3, first 2 shown]
	v_add_u32_e32 v4, -8, v4
	s_waitcnt lgkmcnt(3)
	v_pk_mul_f32 v[6:7], v[0:1], v[6:7]
	s_waitcnt lgkmcnt(2)
	v_pk_mul_f32 v[8:9], v[0:1], v[8:9]
	ds_write2st64_b32 v5, v6, v7 offset1:2
	ds_write2st64_b32 v5, v8, v9 offset0:4 offset1:6
	ds_read2st64_b32 v[8:9], v5 offset0:16 offset1:18
	s_waitcnt lgkmcnt(4)
	v_pk_mul_f32 v[6:7], v[0:1], v[10:11]
	ds_write2st64_b32 v5, v6, v7 offset0:8 offset1:10
	s_waitcnt lgkmcnt(4)
	v_pk_mul_f32 v[6:7], v[0:1], v[12:13]
	ds_write2st64_b32 v5, v6, v7 offset0:12 offset1:14
	ds_read2st64_b32 v[6:7], v5 offset0:20 offset1:22
	s_waitcnt lgkmcnt(3)
	v_pk_mul_f32 v[8:9], v[0:1], v[8:9]
	ds_read2st64_b32 v[10:11], v5 offset0:24 offset1:26
	ds_write2st64_b32 v5, v8, v9 offset0:16 offset1:18
	ds_read2st64_b32 v[8:9], v5 offset0:28 offset1:30
	s_waitcnt lgkmcnt(3)
	v_pk_mul_f32 v[6:7], v[0:1], v[6:7]
	ds_write2st64_b32 v5, v6, v7 offset0:20 offset1:22
	s_waitcnt lgkmcnt(3)
	v_pk_mul_f32 v[6:7], v[0:1], v[10:11]
	ds_write2st64_b32 v5, v6, v7 offset0:24 offset1:26
	s_waitcnt lgkmcnt(2)
	v_pk_mul_f32 v[6:7], v[0:1], v[8:9]
	s_add_i32 s15, s15, 16
	v_cmp_eq_u32_e32 vcc, 0, v4
	ds_write2st64_b32 v5, v6, v7 offset0:28 offset1:30
	v_add_u32_e32 v5, 0x2000, v5
	s_or_b64 s[26:27], vcc, s[26:27]
	v_mov_b32_e32 v6, s15
	s_andn2_b64 exec, exec, s[26:27]
	s_cbranch_execnz .LBB53_28
; %bb.29:
	s_or_b64 exec, exec, s[26:27]
.LBB53_30:
	s_or_b64 exec, exec, s[8:9]
	v_and_b32_e32 v3, 7, v3
	v_cmp_ne_u32_e32 vcc, 0, v3
	s_and_saveexec_b64 s[8:9], vcc
	s_cbranch_execz .LBB53_33
; %bb.31:
	v_lshlrev_b32_e32 v4, 9, v6
	s_movk_i32 s15, 0x410
	v_add3_u32 v4, v4, v15, s15
	s_mov_b64 s[26:27], 0
.LBB53_32:                              ; =>This Inner Loop Header: Depth=1
	ds_read2st64_b32 v[6:7], v4 offset1:2
	v_add_u32_e32 v3, -1, v3
	v_cmp_eq_u32_e32 vcc, 0, v3
	s_or_b64 s[26:27], vcc, s[26:27]
	s_waitcnt lgkmcnt(0)
	v_pk_mul_f32 v[6:7], v[0:1], v[6:7]
	ds_write2st64_b32 v4, v6, v7 offset1:2
	v_add_u32_e32 v4, 0x400, v4
	s_andn2_b64 exec, exec, s[26:27]
	s_cbranch_execnz .LBB53_32
.LBB53_33:
	s_or_b64 exec, exec, s[8:9]
	v_add_u32_e32 v2, 1, v2
	v_and_b32_e32 v3, 0x3fffffe, v2
	v_cmp_ne_u32_e32 vcc, v2, v3
	v_lshl_add_u32 v1, v3, 7, v14
	s_orn2_b64 s[8:9], vcc, exec
.LBB53_34:
	s_or_b64 exec, exec, s[2:3]
	s_and_b64 exec, exec, s[8:9]
	s_cbranch_execz .LBB53_37
; %bb.35:
	v_mov_b32_e32 v2, 0x410
	v_lshl_add_u32 v2, v1, 2, v2
	s_mov_b64 s[2:3], 0
.LBB53_36:                              ; =>This Inner Loop Header: Depth=1
	ds_read_b32 v3, v2
	v_add_u32_e32 v1, 0x80, v1
	v_cmp_le_i32_e32 vcc, s12, v1
	s_or_b64 s[2:3], vcc, s[2:3]
	s_waitcnt lgkmcnt(0)
	v_mul_f32_e32 v3, v0, v3
	ds_write_b32 v2, v3
	v_add_u32_e32 v2, 0x200, v2
	s_andn2_b64 exec, exec, s[2:3]
	s_cbranch_execnz .LBB53_36
.LBB53_37:
	s_or_b64 exec, exec, s[0:1]
	s_waitcnt lgkmcnt(0)
	v_and_b32_e32 v0, 7, v14
	s_barrier
	v_mov_b32_e32 v1, 0
	scratch_store_dword off, v0, off offset:248 ; 4-byte Folded Spill
	v_mov_b32_e32 v0, 0
	scratch_store_dwordx2 off, v[0:1], off offset:80 ; 8-byte Folded Spill
	v_mov_b32_e32 v39, 0
	v_mov_b32_e32 v38, 0
	;; [unrolled: 1-line block ×30, first 2 shown]
	s_and_saveexec_b64 s[2:3], s[6:7]
	s_cbranch_execz .LBB53_105
; %bb.38:
	v_and_b32_e32 v1, 28, v15
	v_lshl_or_b32 v14, v18, 5, v1
	scratch_load_dword v1, off, off offset:248 ; 4-byte Folded Reload
	s_ashr_i32 s15, s14, 31
	s_lshl_b64 s[0:1], s[14:15], 2
	s_add_u32 s6, s24, s0
	s_addc_u32 s7, s25, s1
	v_and_b32_e32 v0, 0xfc, v15
	s_add_i32 s14, s17, -1
	v_mov_b32_e32 v7, 0
	s_lshl_b64 s[0:1], s[22:23], 2
	v_or_b32_e32 v4, 0x1f00, v15
	s_add_u32 s0, s20, s0
	v_lshlrev_b32_e32 v0, 2, v0
	v_or_b32_e32 v2, 0xf00, v15
	v_and_b32_e32 v6, 60, v19
	s_addc_u32 s1, s21, s1
	s_mov_b32 s26, s13
	s_mov_b32 s15, s33
	v_lshl_add_u64 v[8:9], s[0:1], 0, v[6:7]
	s_mov_b64 s[8:9], 0
	v_lshlrev_b32_e32 v6, 2, v2
	v_mov_b32_e32 v21, v7
	v_mov_b32_e32 v20, v7
	;; [unrolled: 1-line block ×10, first 2 shown]
	s_waitcnt vmcnt(0)
	v_lshlrev_b32_e32 v1, 4, v1
	v_lshl_or_b32 v1, v18, 7, v1
	v_add_u32_e32 v5, 0x410, v1
	v_mov_b32_e32 v1, v7
	scratch_store_dwordx2 off, v[0:1], off offset:224 ; 8-byte Folded Spill
	v_lshlrev_b32_e32 v0, 2, v4
	scratch_store_dwordx2 off, v[0:1], off offset:196 ; 8-byte Folded Spill
	v_mov_b32_e32 v0, v7
	scratch_store_dwordx2 off, v[0:1], off offset:80 ; 8-byte Folded Spill
	scratch_store_dwordx2 off, v[0:1], off offset:100 ; 8-byte Folded Spill
	;; [unrolled: 1-line block ×11, first 2 shown]
	s_branch .LBB53_40
.LBB53_39:                              ;   in Loop: Header=BB53_40 Depth=1
	s_or_b64 exec, exec, s[12:13]
	s_waitcnt lgkmcnt(0)
	v_mul_f32_e32 v19, v2, v86
	v_fmac_f32_e32 v19, v3, v87
	scratch_load_dwordx2 v[86:87], off, off offset:100 ; 8-byte Folded Reload
	v_mul_f32_e32 v6, v2, v6
	v_fmac_f32_e32 v6, v3, v7
	v_mul_f32_e32 v7, v2, v122
	v_fmac_f32_e32 v7, v3, v123
	v_fmac_f32_e32 v6, v4, v8
	;; [unrolled: 1-line block ×5, first 2 shown]
	v_mul_f32_e32 v8, v2, v118
	v_mul_f32_e32 v9, v2, v114
	v_fmac_f32_e32 v8, v3, v119
	v_fmac_f32_e32 v9, v3, v115
	;; [unrolled: 1-line block ×6, first 2 shown]
	v_mul_f32_e32 v10, v2, v10
	v_fmac_f32_e32 v10, v3, v11
	v_fmac_f32_e32 v10, v4, v12
	v_mul_f32_e32 v11, v2, v106
	v_mul_f32_e32 v12, v2, v102
	v_fmac_f32_e32 v11, v3, v107
	v_fmac_f32_e32 v12, v3, v103
	;; [unrolled: 1-line block ×7, first 2 shown]
	v_mul_f32_e32 v13, v2, v98
	v_mul_f32_e32 v15, v2, v94
	v_fmac_f32_e32 v13, v3, v99
	v_fmac_f32_e32 v15, v3, v95
	;; [unrolled: 1-line block ×6, first 2 shown]
	v_mul_f32_e32 v18, v2, v90
	v_fmac_f32_e32 v18, v3, v91
	v_fmac_f32_e32 v18, v4, v92
	;; [unrolled: 1-line block ×5, first 2 shown]
	v_mul_f32_e32 v82, v2, v82
	v_fmac_f32_e32 v82, v3, v83
	v_fmac_f32_e32 v82, v4, v84
	;; [unrolled: 1-line block ×3, first 2 shown]
	scratch_load_dwordx2 v[84:85], off, off offset:80 ; 8-byte Folded Reload
	v_add_u32_e32 v14, 64, v14
	s_waitcnt vmcnt(1)
	v_add_f32_e32 v87, v87, v6
	v_add_f32_e32 v86, v86, v7
	scratch_load_dwordx2 v[6:7], off, off offset:116 ; 8-byte Folded Reload
	s_waitcnt vmcnt(0)
	v_add_f32_e32 v7, v7, v8
	v_add_f32_e32 v6, v6, v9
	scratch_store_dwordx2 off, v[6:7], off offset:116 ; 8-byte Folded Spill
	scratch_load_dwordx2 v[6:7], off, off offset:132 ; 8-byte Folded Reload
	s_nop 0
	scratch_load_dwordx2 v[8:9], off, off offset:156 ; 8-byte Folded Reload
	s_waitcnt vmcnt(1)
	v_add_f32_e32 v7, v7, v11
	v_add_f32_e32 v6, v6, v12
	scratch_store_dwordx2 off, v[6:7], off offset:132 ; 8-byte Folded Spill
	scratch_load_dwordx2 v[6:7], off, off offset:140 ; 8-byte Folded Reload
	s_waitcnt vmcnt(2)
	v_add_f32_e32 v9, v9, v82
	scratch_store_dwordx2 off, v[86:87], off offset:100 ; 8-byte Folded Spill
	s_waitcnt vmcnt(1)
	v_add_f32_e32 v7, v7, v13
	v_add_f32_e32 v6, v6, v15
	scratch_store_dwordx2 off, v[6:7], off offset:140 ; 8-byte Folded Spill
	scratch_load_dwordx2 v[6:7], off, off offset:148 ; 8-byte Folded Reload
	s_waitcnt vmcnt(0)
	v_add_f32_e32 v7, v7, v18
	v_add_f32_e32 v6, v6, v19
	scratch_store_dwordx2 off, v[6:7], off offset:148 ; 8-byte Folded Spill
	v_mul_f32_e32 v6, v2, v78
	v_fmac_f32_e32 v6, v3, v79
	v_fmac_f32_e32 v6, v4, v80
	v_fmac_f32_e32 v6, v5, v81
	v_add_f32_e32 v8, v8, v6
	scratch_store_dwordx2 off, v[8:9], off offset:156 ; 8-byte Folded Spill
	scratch_load_dwordx2 v[8:9], off, off offset:164 ; 8-byte Folded Reload
	v_mul_f32_e32 v6, v2, v74
	v_fmac_f32_e32 v6, v3, v75
	v_fmac_f32_e32 v6, v4, v76
	;; [unrolled: 1-line block ×3, first 2 shown]
	scratch_load_dword v18, off, off offset:96 ; 4-byte Folded Reload
	s_waitcnt vmcnt(1)
	v_add_f32_e32 v9, v9, v6
	v_mul_f32_e32 v6, v2, v70
	v_fmac_f32_e32 v6, v3, v71
	v_fmac_f32_e32 v6, v4, v72
	;; [unrolled: 1-line block ×3, first 2 shown]
	v_add_f32_e32 v8, v8, v6
	scratch_store_dwordx2 off, v[8:9], off offset:164 ; 8-byte Folded Spill
	scratch_load_dwordx2 v[8:9], off, off offset:172 ; 8-byte Folded Reload
	v_mul_f32_e32 v6, v2, v66
	v_fmac_f32_e32 v6, v3, v67
	v_fmac_f32_e32 v6, v4, v68
	;; [unrolled: 1-line block ×3, first 2 shown]
	s_waitcnt vmcnt(2)
	v_add_u32_e32 v18, 2, v18
	v_cmp_le_i32_e32 vcc, s17, v18
	s_or_b64 s[8:9], vcc, s[8:9]
	s_waitcnt vmcnt(0)
	v_add_f32_e32 v9, v9, v6
	v_mul_f32_e32 v6, v2, v62
	v_fmac_f32_e32 v6, v3, v63
	v_fmac_f32_e32 v6, v4, v64
	;; [unrolled: 1-line block ×3, first 2 shown]
	v_add_f32_e32 v8, v8, v6
	scratch_store_dwordx2 off, v[8:9], off offset:172 ; 8-byte Folded Spill
	scratch_load_dwordx2 v[8:9], off, off offset:180 ; 8-byte Folded Reload
	v_mul_f32_e32 v6, v2, v58
	v_fmac_f32_e32 v6, v3, v59
	v_fmac_f32_e32 v6, v4, v60
	;; [unrolled: 1-line block ×3, first 2 shown]
	s_waitcnt vmcnt(0)
	v_add_f32_e32 v9, v9, v6
	v_mul_f32_e32 v6, v2, v54
	v_fmac_f32_e32 v6, v3, v55
	v_fmac_f32_e32 v6, v4, v56
	v_fmac_f32_e32 v6, v5, v57
	v_add_f32_e32 v8, v8, v6
	v_mul_f32_e32 v6, v2, v50
	v_fmac_f32_e32 v6, v3, v51
	v_fmac_f32_e32 v6, v4, v52
	v_fmac_f32_e32 v6, v5, v53
	;; [unrolled: 5-line block ×8, first 2 shown]
	scratch_store_dwordx2 off, v[8:9], off offset:180 ; 8-byte Folded Spill
	v_add_f32_e32 v127, v127, v6
	scratch_load_dwordx4 v[6:9], off, off offset:64 ; 16-byte Folded Reload
	s_waitcnt vmcnt(0)
	v_mul_f32_e32 v6, v2, v6
	v_fmac_f32_e32 v6, v3, v7
	v_fmac_f32_e32 v6, v4, v8
	v_fmac_f32_e32 v6, v5, v9
	v_add_f32_e32 v126, v126, v6
	scratch_load_dwordx4 v[6:9], off, off offset:48 ; 16-byte Folded Reload
	s_waitcnt vmcnt(0)
	v_mul_f32_e32 v6, v2, v6
	v_fmac_f32_e32 v6, v3, v7
	v_fmac_f32_e32 v6, v4, v8
	v_fmac_f32_e32 v6, v5, v9
	;; [unrolled: 7-line block ×4, first 2 shown]
	v_add_f32_e32 v25, v25, v6
	scratch_load_dwordx4 v[6:9], off, off   ; 16-byte Folded Reload
	v_add_f32_e32 v84, v84, v10
	s_waitcnt vmcnt(0)
	v_mul_f32_e32 v6, v2, v6
	v_fmac_f32_e32 v6, v3, v7
	v_fmac_f32_e32 v6, v4, v8
	v_pk_mul_f32 v[2:3], v[2:3], v[110:111]
	v_fmac_f32_e32 v6, v5, v9
	v_pk_mul_f32 v[4:5], v[4:5], v[112:113]
	v_add_f32_e32 v2, v3, v2
	v_add_f32_e32 v2, v4, v2
	;; [unrolled: 1-line block ×3, first 2 shown]
	scratch_load_dword v5, off, off offset:204 ; 4-byte Folded Reload
	scratch_load_dwordx2 v[8:9], off, off offset:208 ; 8-byte Folded Reload
	v_add_f32_e32 v24, v24, v6
	v_add_f32_e32 v85, v85, v2
	scratch_store_dwordx2 off, v[84:85], off offset:80 ; 8-byte Folded Spill
	s_waitcnt vmcnt(2)
	v_add_u32_e32 v5, 0x100, v5
	s_waitcnt vmcnt(1)
	v_lshl_add_u64 v[8:9], v[8:9], 0, 8
	s_andn2_b64 exec, exec, s[8:9]
	s_cbranch_execz .LBB53_104
.LBB53_40:                              ; =>This Inner Loop Header: Depth=1
	global_load_dword v2, v[8:9], off
	v_add_u32_e32 v19, 1, v14
	scratch_store_dwordx2 off, v[8:9], off offset:208 ; 8-byte Folded Spill
	v_or_b32_e32 v15, 2, v14
	s_waitcnt vmcnt(1)
	v_mad_i64_i32 v[2:3], s[0:1], v2, s26, 0
	v_lshl_add_u64 v[12:13], v[2:3], 2, s[6:7]
	scratch_load_dwordx2 v[2:3], off, off offset:224 ; 8-byte Folded Reload
	v_cmp_eq_u32_e64 s[0:1], s14, v18
	s_waitcnt vmcnt(0)
	v_lshl_add_u64 v[10:11], v[12:13], 0, v[2:3]
	global_load_dwordx4 v[6:9], v[10:11], off
	s_waitcnt vmcnt(0)
	scratch_store_dwordx4 off, v[6:9], off  ; 16-byte Folded Spill
	scratch_store_dword off, v5, off offset:204 ; 4-byte Folded Spill
	ds_read_b128 v[2:5], v5
	scratch_store_dword off, v18, off offset:96 ; 4-byte Folded Spill
	v_or_b32_e32 v18, 3, v14
	s_and_saveexec_b64 s[12:13], s[0:1]
	s_cbranch_execz .LBB53_42
; %bb.41:                               ;   in Loop: Header=BB53_40 Depth=1
	scratch_load_dwordx4 v[6:9], off, off   ; 16-byte Folded Reload
	v_cmp_gt_i32_e32 vcc, s15, v19
	s_waitcnt vmcnt(0)
	s_nop 0
	v_cndmask_b32_e32 v7, 0, v7, vcc
	v_cmp_gt_i32_e32 vcc, s33, v14
	s_nop 1
	v_cndmask_b32_e32 v6, 0, v6, vcc
	v_cmp_gt_i32_e32 vcc, s15, v18
	;; [unrolled: 3-line block ×3, first 2 shown]
	s_nop 1
	v_cndmask_b32_e32 v8, 0, v8, vcc
	scratch_store_dwordx4 off, v[6:9], off  ; 16-byte Folded Spill
.LBB53_42:                              ;   in Loop: Header=BB53_40 Depth=1
	s_or_b64 exec, exec, s[12:13]
	global_load_dwordx4 v[6:9], v[10:11], off offset:1024
	s_waitcnt vmcnt(0)
	scratch_store_dwordx4 off, v[6:9], off offset:16 ; 16-byte Folded Spill
	s_and_saveexec_b64 s[12:13], s[0:1]
	s_cbranch_execz .LBB53_44
; %bb.43:                               ;   in Loop: Header=BB53_40 Depth=1
	scratch_load_dwordx4 v[6:9], off, off offset:16 ; 16-byte Folded Reload
	v_cmp_gt_i32_e32 vcc, s15, v19
	s_waitcnt vmcnt(0)
	s_nop 0
	v_cndmask_b32_e32 v7, 0, v7, vcc
	v_cmp_gt_i32_e32 vcc, s33, v14
	s_nop 1
	v_cndmask_b32_e32 v6, 0, v6, vcc
	v_cmp_gt_i32_e32 vcc, s15, v18
	s_nop 1
	v_cndmask_b32_e32 v9, 0, v9, vcc
	v_cmp_gt_i32_e32 vcc, s33, v15
	s_nop 1
	v_cndmask_b32_e32 v8, 0, v8, vcc
	scratch_store_dwordx4 off, v[6:9], off offset:16 ; 16-byte Folded Spill
.LBB53_44:                              ;   in Loop: Header=BB53_40 Depth=1
	s_or_b64 exec, exec, s[12:13]
	global_load_dwordx4 v[6:9], v[10:11], off offset:2048
	s_waitcnt vmcnt(0)
	scratch_store_dwordx4 off, v[6:9], off offset:32 ; 16-byte Folded Spill
	s_and_saveexec_b64 s[12:13], s[0:1]
	s_cbranch_execz .LBB53_46
; %bb.45:                               ;   in Loop: Header=BB53_40 Depth=1
	scratch_load_dwordx4 v[6:9], off, off offset:32 ; 16-byte Folded Reload
	v_cmp_gt_i32_e32 vcc, s15, v19
	s_waitcnt vmcnt(0)
	s_nop 0
	v_cndmask_b32_e32 v7, 0, v7, vcc
	v_cmp_gt_i32_e32 vcc, s33, v14
	s_nop 1
	v_cndmask_b32_e32 v6, 0, v6, vcc
	v_cmp_gt_i32_e32 vcc, s15, v18
	s_nop 1
	v_cndmask_b32_e32 v9, 0, v9, vcc
	v_cmp_gt_i32_e32 vcc, s33, v15
	s_nop 1
	v_cndmask_b32_e32 v8, 0, v8, vcc
	scratch_store_dwordx4 off, v[6:9], off offset:32 ; 16-byte Folded Spill
.LBB53_46:                              ;   in Loop: Header=BB53_40 Depth=1
	;; [unrolled: 23-line block ×3, first 2 shown]
	s_or_b64 exec, exec, s[12:13]
	s_nop 0
	v_add_co_u32_e32 v6, vcc, 0x1000, v10
	s_nop 1
	v_addc_co_u32_e32 v7, vcc, 0, v11, vcc
	global_load_dwordx4 v[6:9], v[6:7], off
	s_waitcnt vmcnt(0)
	scratch_store_dwordx4 off, v[6:9], off offset:64 ; 16-byte Folded Spill
	s_and_saveexec_b64 s[12:13], s[0:1]
	s_cbranch_execz .LBB53_50
; %bb.49:                               ;   in Loop: Header=BB53_40 Depth=1
	scratch_load_dwordx4 v[6:9], off, off offset:64 ; 16-byte Folded Reload
	v_cmp_gt_i32_e32 vcc, s15, v19
	s_waitcnt vmcnt(0)
	s_nop 0
	v_cndmask_b32_e32 v7, 0, v7, vcc
	v_cmp_gt_i32_e32 vcc, s33, v14
	s_nop 1
	v_cndmask_b32_e32 v6, 0, v6, vcc
	v_cmp_gt_i32_e32 vcc, s15, v18
	;; [unrolled: 3-line block ×3, first 2 shown]
	s_nop 1
	v_cndmask_b32_e32 v8, 0, v8, vcc
	scratch_store_dwordx4 off, v[6:9], off offset:64 ; 16-byte Folded Spill
.LBB53_50:                              ;   in Loop: Header=BB53_40 Depth=1
	s_or_b64 exec, exec, s[12:13]
	s_nop 0
	v_add_co_u32_e32 v6, vcc, 0x1000, v10
	s_nop 1
	v_addc_co_u32_e32 v7, vcc, 0, v11, vcc
	global_load_dwordx4 v[26:29], v[6:7], off offset:1024
	s_and_saveexec_b64 s[12:13], s[0:1]
	s_cbranch_execz .LBB53_52
; %bb.51:                               ;   in Loop: Header=BB53_40 Depth=1
	v_cmp_gt_i32_e32 vcc, s15, v19
	s_waitcnt vmcnt(0)
	s_nop 0
	v_cndmask_b32_e32 v27, 0, v27, vcc
	v_cmp_gt_i32_e32 vcc, s33, v14
	s_nop 1
	v_cndmask_b32_e32 v26, 0, v26, vcc
	v_cmp_gt_i32_e32 vcc, s15, v18
	s_nop 1
	v_cndmask_b32_e32 v29, 0, v29, vcc
	v_cmp_gt_i32_e32 vcc, s33, v15
	s_nop 1
	v_cndmask_b32_e32 v28, 0, v28, vcc
.LBB53_52:                              ;   in Loop: Header=BB53_40 Depth=1
	s_or_b64 exec, exec, s[12:13]
	v_add_co_u32_e32 v6, vcc, 0x1000, v10
	s_nop 1
	v_addc_co_u32_e32 v7, vcc, 0, v11, vcc
	global_load_dwordx4 v[30:33], v[6:7], off offset:2048
	s_and_saveexec_b64 s[12:13], s[0:1]
	s_cbranch_execz .LBB53_54
; %bb.53:                               ;   in Loop: Header=BB53_40 Depth=1
	v_cmp_gt_i32_e32 vcc, s15, v19
	s_waitcnt vmcnt(0)
	s_nop 0
	v_cndmask_b32_e32 v31, 0, v31, vcc
	v_cmp_gt_i32_e32 vcc, s33, v14
	s_nop 1
	v_cndmask_b32_e32 v30, 0, v30, vcc
	v_cmp_gt_i32_e32 vcc, s15, v18
	s_nop 1
	v_cndmask_b32_e32 v33, 0, v33, vcc
	v_cmp_gt_i32_e32 vcc, s33, v15
	s_nop 1
	v_cndmask_b32_e32 v32, 0, v32, vcc
.LBB53_54:                              ;   in Loop: Header=BB53_40 Depth=1
	s_or_b64 exec, exec, s[12:13]
	;; [unrolled: 22-line block ×3, first 2 shown]
	v_add_co_u32_e32 v6, vcc, 0x2000, v10
	s_nop 1
	v_addc_co_u32_e32 v7, vcc, 0, v11, vcc
	global_load_dwordx4 v[38:41], v[6:7], off
	s_and_saveexec_b64 s[12:13], s[0:1]
	s_cbranch_execz .LBB53_58
; %bb.57:                               ;   in Loop: Header=BB53_40 Depth=1
	v_cmp_gt_i32_e32 vcc, s15, v19
	s_waitcnt vmcnt(0)
	s_nop 0
	v_cndmask_b32_e32 v39, 0, v39, vcc
	v_cmp_gt_i32_e32 vcc, s33, v14
	s_nop 1
	v_cndmask_b32_e32 v38, 0, v38, vcc
	v_cmp_gt_i32_e32 vcc, s15, v18
	s_nop 1
	v_cndmask_b32_e32 v41, 0, v41, vcc
	v_cmp_gt_i32_e32 vcc, s33, v15
	s_nop 1
	v_cndmask_b32_e32 v40, 0, v40, vcc
.LBB53_58:                              ;   in Loop: Header=BB53_40 Depth=1
	s_or_b64 exec, exec, s[12:13]
	v_add_co_u32_e32 v6, vcc, 0x2000, v10
	s_nop 1
	v_addc_co_u32_e32 v7, vcc, 0, v11, vcc
	global_load_dwordx4 v[42:45], v[6:7], off offset:1024
	s_and_saveexec_b64 s[12:13], s[0:1]
	s_cbranch_execz .LBB53_60
; %bb.59:                               ;   in Loop: Header=BB53_40 Depth=1
	v_cmp_gt_i32_e32 vcc, s15, v19
	s_waitcnt vmcnt(0)
	s_nop 0
	v_cndmask_b32_e32 v43, 0, v43, vcc
	v_cmp_gt_i32_e32 vcc, s33, v14
	s_nop 1
	v_cndmask_b32_e32 v42, 0, v42, vcc
	v_cmp_gt_i32_e32 vcc, s15, v18
	s_nop 1
	v_cndmask_b32_e32 v45, 0, v45, vcc
	v_cmp_gt_i32_e32 vcc, s33, v15
	s_nop 1
	v_cndmask_b32_e32 v44, 0, v44, vcc
.LBB53_60:                              ;   in Loop: Header=BB53_40 Depth=1
	s_or_b64 exec, exec, s[12:13]
	v_add_co_u32_e32 v6, vcc, 0x2000, v10
	s_nop 1
	v_addc_co_u32_e32 v7, vcc, 0, v11, vcc
	global_load_dwordx4 v[46:49], v[6:7], off offset:2048
	;; [unrolled: 22-line block ×3, first 2 shown]
	s_and_saveexec_b64 s[12:13], s[0:1]
	s_cbranch_execz .LBB53_64
; %bb.63:                               ;   in Loop: Header=BB53_40 Depth=1
	v_cmp_gt_i32_e32 vcc, s15, v19
	s_waitcnt vmcnt(0)
	s_nop 0
	v_cndmask_b32_e32 v51, 0, v51, vcc
	v_cmp_gt_i32_e32 vcc, s33, v14
	s_nop 1
	v_cndmask_b32_e32 v50, 0, v50, vcc
	v_cmp_gt_i32_e32 vcc, s15, v18
	;; [unrolled: 3-line block ×3, first 2 shown]
	s_nop 1
	v_cndmask_b32_e32 v52, 0, v52, vcc
.LBB53_64:                              ;   in Loop: Header=BB53_40 Depth=1
	s_or_b64 exec, exec, s[12:13]
	v_add_co_u32_e32 v6, vcc, 0x3000, v10
	s_nop 1
	v_addc_co_u32_e32 v7, vcc, 0, v11, vcc
	global_load_dwordx4 v[54:57], v[6:7], off
	s_and_saveexec_b64 s[12:13], s[0:1]
	s_cbranch_execz .LBB53_66
; %bb.65:                               ;   in Loop: Header=BB53_40 Depth=1
	v_cmp_gt_i32_e32 vcc, s15, v19
	s_waitcnt vmcnt(0)
	s_nop 0
	v_cndmask_b32_e32 v55, 0, v55, vcc
	v_cmp_gt_i32_e32 vcc, s33, v14
	s_nop 1
	v_cndmask_b32_e32 v54, 0, v54, vcc
	v_cmp_gt_i32_e32 vcc, s15, v18
	;; [unrolled: 3-line block ×3, first 2 shown]
	s_nop 1
	v_cndmask_b32_e32 v56, 0, v56, vcc
.LBB53_66:                              ;   in Loop: Header=BB53_40 Depth=1
	s_or_b64 exec, exec, s[12:13]
	v_add_co_u32_e32 v6, vcc, 0x3000, v10
	s_nop 1
	v_addc_co_u32_e32 v7, vcc, 0, v11, vcc
	global_load_dwordx4 v[58:61], v[6:7], off offset:1024
	s_and_saveexec_b64 s[12:13], s[0:1]
	s_cbranch_execz .LBB53_68
; %bb.67:                               ;   in Loop: Header=BB53_40 Depth=1
	v_cmp_gt_i32_e32 vcc, s15, v19
	s_waitcnt vmcnt(0)
	s_nop 0
	v_cndmask_b32_e32 v59, 0, v59, vcc
	v_cmp_gt_i32_e32 vcc, s33, v14
	s_nop 1
	v_cndmask_b32_e32 v58, 0, v58, vcc
	v_cmp_gt_i32_e32 vcc, s15, v18
	;; [unrolled: 3-line block ×3, first 2 shown]
	s_nop 1
	v_cndmask_b32_e32 v60, 0, v60, vcc
.LBB53_68:                              ;   in Loop: Header=BB53_40 Depth=1
	s_or_b64 exec, exec, s[12:13]
	v_add_co_u32_e32 v6, vcc, 0x3000, v10
	s_nop 1
	v_addc_co_u32_e32 v7, vcc, 0, v11, vcc
	global_load_dwordx4 v[62:65], v[6:7], off offset:2048
	s_and_saveexec_b64 s[12:13], s[0:1]
	s_cbranch_execz .LBB53_70
; %bb.69:                               ;   in Loop: Header=BB53_40 Depth=1
	v_cmp_gt_i32_e32 vcc, s15, v19
	s_waitcnt vmcnt(0)
	s_nop 0
	v_cndmask_b32_e32 v63, 0, v63, vcc
	v_cmp_gt_i32_e32 vcc, s33, v14
	s_nop 1
	v_cndmask_b32_e32 v62, 0, v62, vcc
	v_cmp_gt_i32_e32 vcc, s15, v18
	;; [unrolled: 3-line block ×3, first 2 shown]
	s_nop 1
	v_cndmask_b32_e32 v64, 0, v64, vcc
.LBB53_70:                              ;   in Loop: Header=BB53_40 Depth=1
	s_or_b64 exec, exec, s[12:13]
	scratch_load_dwordx2 v[6:7], off, off offset:188 ; 8-byte Folded Reload
	s_waitcnt vmcnt(0)
	v_lshl_add_u64 v[6:7], v[12:13], 0, v[6:7]
	global_load_dwordx4 v[66:69], v[6:7], off
	s_nop 0
	scratch_store_dwordx2 off, v[12:13], off offset:216 ; 8-byte Folded Spill
	s_and_saveexec_b64 s[12:13], s[0:1]
	s_cbranch_execz .LBB53_72
; %bb.71:                               ;   in Loop: Header=BB53_40 Depth=1
	v_cmp_gt_i32_e32 vcc, s15, v19
	s_waitcnt vmcnt(1)
	s_nop 0
	v_cndmask_b32_e32 v67, 0, v67, vcc
	v_cmp_gt_i32_e32 vcc, s33, v14
	s_nop 1
	v_cndmask_b32_e32 v66, 0, v66, vcc
	v_cmp_gt_i32_e32 vcc, s15, v18
	;; [unrolled: 3-line block ×3, first 2 shown]
	s_nop 1
	v_cndmask_b32_e32 v68, 0, v68, vcc
.LBB53_72:                              ;   in Loop: Header=BB53_40 Depth=1
	s_or_b64 exec, exec, s[12:13]
	v_add_co_u32_e32 v6, vcc, 0x4000, v10
	s_nop 1
	v_addc_co_u32_e32 v7, vcc, 0, v11, vcc
	global_load_dwordx4 v[70:73], v[6:7], off
	s_and_saveexec_b64 s[12:13], s[0:1]
	s_cbranch_execz .LBB53_74
; %bb.73:                               ;   in Loop: Header=BB53_40 Depth=1
	v_cmp_gt_i32_e32 vcc, s15, v19
	s_waitcnt vmcnt(0)
	s_nop 0
	v_cndmask_b32_e32 v71, 0, v71, vcc
	v_cmp_gt_i32_e32 vcc, s33, v14
	s_nop 1
	v_cndmask_b32_e32 v70, 0, v70, vcc
	v_cmp_gt_i32_e32 vcc, s15, v18
	s_nop 1
	v_cndmask_b32_e32 v73, 0, v73, vcc
	v_cmp_gt_i32_e32 vcc, s33, v15
	s_nop 1
	v_cndmask_b32_e32 v72, 0, v72, vcc
.LBB53_74:                              ;   in Loop: Header=BB53_40 Depth=1
	s_or_b64 exec, exec, s[12:13]
	v_add_co_u32_e32 v6, vcc, 0x4000, v10
	s_nop 1
	v_addc_co_u32_e32 v7, vcc, 0, v11, vcc
	global_load_dwordx4 v[74:77], v[6:7], off offset:1024
	s_and_saveexec_b64 s[12:13], s[0:1]
	s_cbranch_execz .LBB53_76
; %bb.75:                               ;   in Loop: Header=BB53_40 Depth=1
	v_cmp_gt_i32_e32 vcc, s15, v19
	s_waitcnt vmcnt(0)
	s_nop 0
	v_cndmask_b32_e32 v75, 0, v75, vcc
	v_cmp_gt_i32_e32 vcc, s33, v14
	s_nop 1
	v_cndmask_b32_e32 v74, 0, v74, vcc
	v_cmp_gt_i32_e32 vcc, s15, v18
	s_nop 1
	v_cndmask_b32_e32 v77, 0, v77, vcc
	v_cmp_gt_i32_e32 vcc, s33, v15
	s_nop 1
	v_cndmask_b32_e32 v76, 0, v76, vcc
.LBB53_76:                              ;   in Loop: Header=BB53_40 Depth=1
	s_or_b64 exec, exec, s[12:13]
	v_add_co_u32_e32 v6, vcc, 0x4000, v10
	s_nop 1
	v_addc_co_u32_e32 v7, vcc, 0, v11, vcc
	global_load_dwordx4 v[78:81], v[6:7], off offset:2048
	;; [unrolled: 22-line block ×3, first 2 shown]
	s_and_saveexec_b64 s[12:13], s[0:1]
	s_cbranch_execz .LBB53_80
; %bb.79:                               ;   in Loop: Header=BB53_40 Depth=1
	v_cmp_gt_i32_e32 vcc, s15, v19
	s_waitcnt vmcnt(0)
	s_nop 0
	v_cndmask_b32_e32 v83, 0, v83, vcc
	v_cmp_gt_i32_e32 vcc, s33, v14
	s_nop 1
	v_cndmask_b32_e32 v82, 0, v82, vcc
	v_cmp_gt_i32_e32 vcc, s15, v18
	;; [unrolled: 3-line block ×3, first 2 shown]
	s_nop 1
	v_cndmask_b32_e32 v84, 0, v84, vcc
.LBB53_80:                              ;   in Loop: Header=BB53_40 Depth=1
	s_or_b64 exec, exec, s[12:13]
	v_add_co_u32_e32 v6, vcc, 0x5000, v10
	s_nop 1
	v_addc_co_u32_e32 v7, vcc, 0, v11, vcc
	global_load_dwordx4 v[86:89], v[6:7], off
	s_and_saveexec_b64 s[12:13], s[0:1]
	s_cbranch_execz .LBB53_82
; %bb.81:                               ;   in Loop: Header=BB53_40 Depth=1
	v_cmp_gt_i32_e32 vcc, s15, v19
	s_waitcnt vmcnt(0)
	s_nop 0
	v_cndmask_b32_e32 v87, 0, v87, vcc
	v_cmp_gt_i32_e32 vcc, s33, v14
	s_nop 1
	v_cndmask_b32_e32 v86, 0, v86, vcc
	v_cmp_gt_i32_e32 vcc, s15, v18
	s_nop 1
	v_cndmask_b32_e32 v89, 0, v89, vcc
	v_cmp_gt_i32_e32 vcc, s33, v15
	s_nop 1
	v_cndmask_b32_e32 v88, 0, v88, vcc
.LBB53_82:                              ;   in Loop: Header=BB53_40 Depth=1
	s_or_b64 exec, exec, s[12:13]
	v_add_co_u32_e32 v6, vcc, 0x5000, v10
	s_nop 1
	v_addc_co_u32_e32 v7, vcc, 0, v11, vcc
	global_load_dwordx4 v[90:93], v[6:7], off offset:1024
	s_and_saveexec_b64 s[12:13], s[0:1]
	s_cbranch_execz .LBB53_84
; %bb.83:                               ;   in Loop: Header=BB53_40 Depth=1
	v_cmp_gt_i32_e32 vcc, s15, v19
	s_waitcnt vmcnt(0)
	s_nop 0
	v_cndmask_b32_e32 v91, 0, v91, vcc
	v_cmp_gt_i32_e32 vcc, s33, v14
	s_nop 1
	v_cndmask_b32_e32 v90, 0, v90, vcc
	v_cmp_gt_i32_e32 vcc, s15, v18
	s_nop 1
	v_cndmask_b32_e32 v93, 0, v93, vcc
	v_cmp_gt_i32_e32 vcc, s33, v15
	s_nop 1
	v_cndmask_b32_e32 v92, 0, v92, vcc
.LBB53_84:                              ;   in Loop: Header=BB53_40 Depth=1
	s_or_b64 exec, exec, s[12:13]
	v_add_co_u32_e32 v6, vcc, 0x5000, v10
	s_nop 1
	v_addc_co_u32_e32 v7, vcc, 0, v11, vcc
	global_load_dwordx4 v[94:97], v[6:7], off offset:2048
	;; [unrolled: 22-line block ×3, first 2 shown]
	s_and_saveexec_b64 s[12:13], s[0:1]
	s_cbranch_execz .LBB53_88
; %bb.87:                               ;   in Loop: Header=BB53_40 Depth=1
	v_cmp_gt_i32_e32 vcc, s15, v19
	s_waitcnt vmcnt(0)
	s_nop 0
	v_cndmask_b32_e32 v99, 0, v99, vcc
	v_cmp_gt_i32_e32 vcc, s33, v14
	s_nop 1
	v_cndmask_b32_e32 v98, 0, v98, vcc
	v_cmp_gt_i32_e32 vcc, s15, v18
	s_nop 1
	v_cndmask_b32_e32 v101, 0, v101, vcc
	v_cmp_gt_i32_e32 vcc, s33, v15
	s_nop 1
	v_cndmask_b32_e32 v100, 0, v100, vcc
.LBB53_88:                              ;   in Loop: Header=BB53_40 Depth=1
	s_or_b64 exec, exec, s[12:13]
	v_add_co_u32_e32 v6, vcc, 0x6000, v10
	s_nop 1
	v_addc_co_u32_e32 v7, vcc, 0, v11, vcc
	global_load_dwordx4 v[102:105], v[6:7], off
	s_and_saveexec_b64 s[12:13], s[0:1]
	s_cbranch_execz .LBB53_90
; %bb.89:                               ;   in Loop: Header=BB53_40 Depth=1
	v_cmp_gt_i32_e32 vcc, s15, v19
	s_waitcnt vmcnt(0)
	s_nop 0
	v_cndmask_b32_e32 v103, 0, v103, vcc
	v_cmp_gt_i32_e32 vcc, s33, v14
	s_nop 1
	v_cndmask_b32_e32 v102, 0, v102, vcc
	v_cmp_gt_i32_e32 vcc, s15, v18
	s_nop 1
	v_cndmask_b32_e32 v105, 0, v105, vcc
	v_cmp_gt_i32_e32 vcc, s33, v15
	s_nop 1
	v_cndmask_b32_e32 v104, 0, v104, vcc
.LBB53_90:                              ;   in Loop: Header=BB53_40 Depth=1
	s_or_b64 exec, exec, s[12:13]
	v_add_co_u32_e32 v6, vcc, 0x6000, v10
	s_nop 1
	v_addc_co_u32_e32 v7, vcc, 0, v11, vcc
	global_load_dwordx4 v[106:109], v[6:7], off offset:1024
	s_and_saveexec_b64 s[12:13], s[0:1]
	s_cbranch_execz .LBB53_92
; %bb.91:                               ;   in Loop: Header=BB53_40 Depth=1
	v_cmp_gt_i32_e32 vcc, s15, v19
	s_waitcnt vmcnt(0)
	s_nop 0
	v_cndmask_b32_e32 v107, 0, v107, vcc
	v_cmp_gt_i32_e32 vcc, s33, v14
	s_nop 1
	v_cndmask_b32_e32 v106, 0, v106, vcc
	v_cmp_gt_i32_e32 vcc, s15, v18
	s_nop 1
	v_cndmask_b32_e32 v109, 0, v109, vcc
	v_cmp_gt_i32_e32 vcc, s33, v15
	s_nop 1
	v_cndmask_b32_e32 v108, 0, v108, vcc
.LBB53_92:                              ;   in Loop: Header=BB53_40 Depth=1
	s_or_b64 exec, exec, s[12:13]
	v_add_co_u32_e32 v6, vcc, 0x6000, v10
	s_nop 1
	v_addc_co_u32_e32 v7, vcc, 0, v11, vcc
	global_load_dwordx4 v[114:117], v[6:7], off offset:2048
	;; [unrolled: 22-line block ×3, first 2 shown]
	s_and_saveexec_b64 s[12:13], s[0:1]
	s_cbranch_execz .LBB53_96
; %bb.95:                               ;   in Loop: Header=BB53_40 Depth=1
	v_cmp_gt_i32_e32 vcc, s15, v19
	s_waitcnt vmcnt(0)
	s_nop 0
	v_cndmask_b32_e32 v119, 0, v119, vcc
	v_cmp_gt_i32_e32 vcc, s33, v14
	s_nop 1
	v_cndmask_b32_e32 v118, 0, v118, vcc
	v_cmp_gt_i32_e32 vcc, s15, v18
	;; [unrolled: 3-line block ×3, first 2 shown]
	s_nop 1
	v_cndmask_b32_e32 v120, 0, v120, vcc
.LBB53_96:                              ;   in Loop: Header=BB53_40 Depth=1
	s_or_b64 exec, exec, s[12:13]
	v_add_co_u32_e32 v6, vcc, 0x7000, v10
	s_nop 1
	v_addc_co_u32_e32 v7, vcc, 0, v11, vcc
	global_load_dwordx4 v[122:125], v[6:7], off
	s_and_saveexec_b64 s[12:13], s[0:1]
	s_cbranch_execz .LBB53_98
; %bb.97:                               ;   in Loop: Header=BB53_40 Depth=1
	v_cmp_gt_i32_e32 vcc, s15, v19
	s_waitcnt vmcnt(0)
	s_nop 0
	v_cndmask_b32_e32 v123, 0, v123, vcc
	v_cmp_gt_i32_e32 vcc, s33, v14
	s_nop 1
	v_cndmask_b32_e32 v122, 0, v122, vcc
	v_cmp_gt_i32_e32 vcc, s15, v18
	;; [unrolled: 3-line block ×3, first 2 shown]
	s_nop 1
	v_cndmask_b32_e32 v124, 0, v124, vcc
.LBB53_98:                              ;   in Loop: Header=BB53_40 Depth=1
	s_or_b64 exec, exec, s[12:13]
	v_add_co_u32_e32 v6, vcc, 0x7000, v10
	s_nop 1
	v_addc_co_u32_e32 v7, vcc, 0, v11, vcc
	global_load_dwordx4 v[6:9], v[6:7], off offset:1024
	s_and_saveexec_b64 s[12:13], s[0:1]
	s_cbranch_execz .LBB53_100
; %bb.99:                               ;   in Loop: Header=BB53_40 Depth=1
	v_cmp_gt_i32_e32 vcc, s15, v19
	s_waitcnt vmcnt(0)
	s_nop 0
	v_cndmask_b32_e32 v7, 0, v7, vcc
	v_cmp_gt_i32_e32 vcc, s33, v14
	s_nop 1
	v_cndmask_b32_e32 v6, 0, v6, vcc
	v_cmp_gt_i32_e32 vcc, s15, v18
	;; [unrolled: 3-line block ×3, first 2 shown]
	s_nop 1
	v_cndmask_b32_e32 v8, 0, v8, vcc
.LBB53_100:                             ;   in Loop: Header=BB53_40 Depth=1
	s_or_b64 exec, exec, s[12:13]
	v_add_co_u32_e32 v10, vcc, 0x7000, v10
	s_nop 1
	v_addc_co_u32_e32 v11, vcc, 0, v11, vcc
	global_load_dwordx4 v[10:13], v[10:11], off offset:2048
	s_and_saveexec_b64 s[12:13], s[0:1]
	s_cbranch_execz .LBB53_102
; %bb.101:                              ;   in Loop: Header=BB53_40 Depth=1
	v_cmp_gt_i32_e32 vcc, s15, v19
	s_waitcnt vmcnt(0)
	s_nop 0
	v_cndmask_b32_e32 v11, 0, v11, vcc
	v_cmp_gt_i32_e32 vcc, s33, v14
	s_nop 1
	v_cndmask_b32_e32 v10, 0, v10, vcc
	v_cmp_gt_i32_e32 vcc, s15, v18
	;; [unrolled: 3-line block ×3, first 2 shown]
	s_nop 1
	v_cndmask_b32_e32 v12, 0, v12, vcc
.LBB53_102:                             ;   in Loop: Header=BB53_40 Depth=1
	s_or_b64 exec, exec, s[12:13]
	scratch_load_dwordx2 v[112:113], off, off offset:188 ; 8-byte Folded Reload
	scratch_load_dwordx2 v[110:111], off, off offset:196 ; 8-byte Folded Reload
	s_waitcnt vmcnt(0)
	v_mov_b32_e32 v112, v110
	scratch_store_dwordx2 off, v[110:111], off offset:196 ; 8-byte Folded Spill
	scratch_load_dwordx2 v[110:111], off, off offset:216 ; 8-byte Folded Reload
	s_waitcnt vmcnt(0)
	v_lshl_add_u64 v[110:111], v[110:111], 0, v[112:113]
	global_load_dwordx4 v[110:113], v[110:111], off
	s_and_saveexec_b64 s[12:13], s[0:1]
	s_cbranch_execz .LBB53_39
; %bb.103:                              ;   in Loop: Header=BB53_40 Depth=1
	v_cmp_gt_i32_e32 vcc, s15, v19
	s_waitcnt vmcnt(0)
	s_nop 0
	v_cndmask_b32_e32 v111, 0, v111, vcc
	v_cmp_gt_i32_e32 vcc, s33, v14
	s_nop 1
	v_cndmask_b32_e32 v110, 0, v110, vcc
	v_cmp_gt_i32_e32 vcc, s15, v18
	;; [unrolled: 3-line block ×3, first 2 shown]
	s_nop 1
	v_cndmask_b32_e32 v112, 0, v112, vcc
	s_branch .LBB53_39
.LBB53_104:
	s_or_b64 exec, exec, s[8:9]
	scratch_load_dwordx2 v[38:39], off, off offset:100 ; 8-byte Folded Reload
	scratch_load_dwordx2 v[40:41], off, off offset:116 ; 8-byte Folded Reload
	scratch_load_dwordx2 v[46:47], off, off offset:132 ; 8-byte Folded Reload
	scratch_load_dwordx2 v[34:35], off, off offset:140 ; 8-byte Folded Reload
	scratch_load_dwordx2 v[28:29], off, off offset:148 ; 8-byte Folded Reload
	scratch_load_dwordx2 v[30:31], off, off offset:156 ; 8-byte Folded Reload
	scratch_load_dwordx2 v[32:33], off, off offset:164 ; 8-byte Folded Reload
	scratch_load_dwordx2 v[26:27], off, off offset:172 ; 8-byte Folded Reload
	scratch_load_dwordx2 v[48:49], off, off offset:180 ; 8-byte Folded Reload
.LBB53_105:
	s_or_b64 exec, exec, s[2:3]
	scratch_load_dword v37, off, off offset:236 ; 4-byte Folded Reload
	scratch_load_dword v43, off, off offset:240 ; 4-byte Folded Reload
	;; [unrolled: 1-line block ×3, first 2 shown]
	s_waitcnt vmcnt(2)
	ds_bpermute_b32 v2, v37, v24
	ds_bpermute_b32 v3, v37, v25
	;; [unrolled: 1-line block ×6, first 2 shown]
	s_waitcnt lgkmcnt(4)
	v_pk_add_f32 v[2:3], v[24:25], v[2:3]
	s_waitcnt vmcnt(1)
	ds_bpermute_b32 v6, v43, v2
	s_waitcnt lgkmcnt(3)
	v_pk_add_f32 v[4:5], v[22:23], v[4:5]
	ds_bpermute_b32 v7, v43, v3
	ds_bpermute_b32 v8, v43, v4
	;; [unrolled: 1-line block ×5, first 2 shown]
	s_waitcnt lgkmcnt(4)
	v_pk_add_f32 v[2:3], v[2:3], v[6:7]
	s_waitcnt vmcnt(0)
	ds_bpermute_b32 v6, v44, v2
	s_waitcnt lgkmcnt(3)
	v_pk_add_f32 v[8:9], v[4:5], v[8:9]
	v_pk_add_f32 v[4:5], v[126:127], v[10:11]
	ds_bpermute_b32 v7, v44, v3
	ds_bpermute_b32 v10, v43, v4
	;; [unrolled: 1-line block ×5, first 2 shown]
	s_waitcnt lgkmcnt(6)
	v_pk_add_f32 v[14:15], v[0:1], v[14:15]
	ds_bpermute_b32 v22, v43, v14
	s_waitcnt lgkmcnt(3)
	v_pk_add_f32 v[10:11], v[4:5], v[10:11]
	v_pk_add_f32 v[4:5], v[2:3], v[6:7]
	s_waitcnt lgkmcnt(1)
	v_pk_add_f32 v[2:3], v[8:9], v[12:13]
	ds_bpermute_b32 v8, v37, v16
	ds_bpermute_b32 v9, v37, v17
	ds_bpermute_b32 v12, v37, v20
	ds_bpermute_b32 v13, v37, v21
	ds_bpermute_b32 v18, v44, v10
	ds_bpermute_b32 v19, v44, v11
	ds_bpermute_b32 v23, v43, v15
	s_waitcnt lgkmcnt(5)
	v_pk_add_f32 v[8:9], v[16:17], v[8:9]
	s_waitcnt lgkmcnt(3)
	v_pk_add_f32 v[12:13], v[20:21], v[12:13]
	ds_bpermute_b32 v16, v43, v12
	s_waitcnt lgkmcnt(2)
	v_pk_add_f32 v[0:1], v[10:11], v[18:19]
	s_waitcnt lgkmcnt(1)
	v_pk_add_f32 v[6:7], v[14:15], v[22:23]
	ds_bpermute_b32 v14, v43, v8
	ds_bpermute_b32 v15, v43, v9
	;; [unrolled: 1-line block ×6, first 2 shown]
	s_waitcnt lgkmcnt(4)
	v_pk_add_f32 v[8:9], v[8:9], v[14:15]
	s_waitcnt lgkmcnt(3)
	v_pk_add_f32 v[16:17], v[12:13], v[16:17]
	ds_bpermute_b32 v11, v44, v7
	s_waitcnt lgkmcnt(2)
	v_pk_add_f32 v[12:13], v[48:49], v[18:19]
	ds_bpermute_b32 v14, v44, v8
	ds_bpermute_b32 v15, v44, v9
	;; [unrolled: 1-line block ×8, first 2 shown]
	s_waitcnt lgkmcnt(4)
	v_pk_add_f32 v[18:19], v[12:13], v[18:19]
	v_pk_add_f32 v[12:13], v[6:7], v[10:11]
	;; [unrolled: 1-line block ×3, first 2 shown]
	s_waitcnt lgkmcnt(1)
	v_pk_add_f32 v[22:23], v[26:27], v[22:23]
	s_waitcnt lgkmcnt(0)
	v_pk_add_f32 v[8:9], v[16:17], v[20:21]
	ds_bpermute_b32 v16, v37, v32
	ds_bpermute_b32 v17, v37, v33
	;; [unrolled: 1-line block ×8, first 2 shown]
	s_waitcnt lgkmcnt(6)
	v_pk_add_f32 v[16:17], v[32:33], v[16:17]
	s_waitcnt lgkmcnt(4)
	v_pk_add_f32 v[20:21], v[30:31], v[20:21]
	;; [unrolled: 2-line block ×3, first 2 shown]
	ds_bpermute_b32 v24, v43, v20
	s_waitcnt lgkmcnt(1)
	v_pk_add_f32 v[14:15], v[22:23], v[26:27]
	ds_bpermute_b32 v22, v43, v16
	ds_bpermute_b32 v23, v43, v17
	;; [unrolled: 1-line block ×6, first 2 shown]
	s_waitcnt lgkmcnt(4)
	v_pk_add_f32 v[16:17], v[16:17], v[22:23]
	s_waitcnt lgkmcnt(3)
	v_pk_add_f32 v[24:25], v[20:21], v[24:25]
	ds_bpermute_b32 v19, v44, v15
	s_waitcnt lgkmcnt(2)
	v_pk_add_f32 v[20:21], v[28:29], v[26:27]
	ds_bpermute_b32 v22, v44, v16
	ds_bpermute_b32 v23, v44, v17
	;; [unrolled: 1-line block ×8, first 2 shown]
	s_waitcnt lgkmcnt(4)
	v_pk_add_f32 v[26:27], v[20:21], v[26:27]
	v_pk_add_f32 v[20:21], v[14:15], v[18:19]
	;; [unrolled: 1-line block ×3, first 2 shown]
	s_waitcnt lgkmcnt(1)
	v_pk_add_f32 v[30:31], v[34:35], v[30:31]
	s_waitcnt lgkmcnt(0)
	v_pk_add_f32 v[16:17], v[24:25], v[28:29]
	ds_bpermute_b32 v28, v37, v40
	ds_bpermute_b32 v29, v37, v41
	;; [unrolled: 1-line block ×8, first 2 shown]
	s_waitcnt lgkmcnt(6)
	v_pk_add_f32 v[28:29], v[40:41], v[28:29]
	s_waitcnt lgkmcnt(4)
	v_pk_add_f32 v[14:15], v[26:27], v[32:33]
	;; [unrolled: 2-line block ×3, first 2 shown]
	ds_bpermute_b32 v32, v43, v28
	ds_bpermute_b32 v33, v43, v29
	;; [unrolled: 1-line block ×4, first 2 shown]
	s_waitcnt lgkmcnt(4)
	v_pk_add_f32 v[24:25], v[46:47], v[24:25]
	scratch_load_dwordx2 v[46:47], off, off offset:80 ; 8-byte Folded Reload
	s_waitcnt lgkmcnt(2)
	v_pk_add_f32 v[32:33], v[28:29], v[32:33]
	ds_bpermute_b32 v26, v44, v22
	s_waitcnt lgkmcnt(1)
	v_pk_add_f32 v[28:29], v[38:39], v[34:35]
	ds_bpermute_b32 v34, v43, v28
	ds_bpermute_b32 v35, v43, v29
	;; [unrolled: 1-line block ×3, first 2 shown]
	s_waitcnt lgkmcnt(0)
	s_barrier
	v_pk_add_f32 v[34:35], v[28:29], v[34:35]
	ds_bpermute_b32 v40, v44, v34
	ds_bpermute_b32 v41, v44, v35
	v_pk_add_f32 v[28:29], v[22:23], v[26:27]
	ds_bpermute_b32 v30, v43, v24
	ds_bpermute_b32 v31, v43, v25
	;; [unrolled: 1-line block ×3, first 2 shown]
	s_waitcnt lgkmcnt(3)
	v_pk_add_f32 v[22:23], v[34:35], v[40:41]
	scratch_load_dword v35, off, off offset:244 ; 4-byte Folded Reload
	s_waitcnt lgkmcnt(1)
	v_pk_add_f32 v[24:25], v[24:25], v[30:31]
	ds_bpermute_b32 v30, v44, v24
	ds_bpermute_b32 v31, v44, v25
	s_waitcnt lgkmcnt(0)
	v_pk_add_f32 v[26:27], v[24:25], v[30:31]
	s_waitcnt vmcnt(1)
	ds_bpermute_b32 v38, v37, v46
	ds_bpermute_b32 v39, v37, v47
	;; [unrolled: 1-line block ×3, first 2 shown]
	s_waitcnt lgkmcnt(1)
	v_pk_add_f32 v[38:39], v[46:47], v[38:39]
	ds_bpermute_b32 v42, v43, v38
	ds_bpermute_b32 v43, v43, v39
	s_waitcnt lgkmcnt(2)
	v_pk_add_f32 v[24:25], v[32:33], v[36:37]
	s_waitcnt lgkmcnt(0)
	v_pk_add_f32 v[30:31], v[38:39], v[42:43]
	ds_bpermute_b32 v32, v44, v30
	ds_bpermute_b32 v33, v44, v31
	s_waitcnt vmcnt(0)
	v_and_b32_e32 v34, 0x3c7, v35
	v_cmp_ne_u32_e32 vcc, 64, v34
	s_and_saveexec_b64 s[0:1], vcc
	s_xor_b64 s[0:1], exec, s[0:1]
; %bb.106:
                                        ; implicit-def: $vgpr36
                                        ; kill: killed $vgpr36
; %bb.107:
	s_or_saveexec_b64 s[0:1], s[0:1]
	s_waitcnt lgkmcnt(0)
	v_pk_add_f32 v[30:31], v[30:31], v[32:33]
	s_xor_b64 exec, exec, s[0:1]
	s_cbranch_execz .LBB53_109
; %bb.108:
	scratch_load_dword v32, off, off offset:252 ; 4-byte Folded Reload
	s_waitcnt vmcnt(0)
	v_lshrrev_b32_e32 v32, 1, v32
	v_add_u32_e32 v32, 0x410, v32
	ds_write2_b32 v32, v4, v5 offset1:8
	ds_write2_b32 v32, v2, v3 offset0:16 offset1:24
	ds_write2_b32 v32, v0, v1 offset0:32 offset1:40
	;; [unrolled: 1-line block ×15, first 2 shown]
.LBB53_109:
	s_or_b64 exec, exec, s[0:1]
	v_cmp_gt_u32_e32 vcc, 64, v35
	v_lshrrev_b32_e32 v32, 3, v35
	s_waitcnt lgkmcnt(0)
	s_barrier
	s_and_saveexec_b64 s[0:1], vcc
	s_cbranch_execz .LBB53_144
; %bb.110:
	scratch_load_dword v33, off, off offset:248 ; 4-byte Folded Reload
	s_waitcnt vmcnt(0)
	v_cmp_eq_u32_e32 vcc, 0, v33
	v_mov_b32_e32 v33, 0x410
	v_lshl_add_u32 v33, v32, 2, v33
	s_and_saveexec_b64 s[2:3], vcc
	s_cbranch_execnz .LBB53_147
; %bb.111:
	s_or_b64 exec, exec, s[2:3]
	s_and_saveexec_b64 s[2:3], vcc
	s_cbranch_execnz .LBB53_148
.LBB53_112:
	s_or_b64 exec, exec, s[2:3]
	s_and_saveexec_b64 s[2:3], vcc
	s_cbranch_execnz .LBB53_149
.LBB53_113:
	s_or_b64 exec, exec, s[2:3]
	s_and_saveexec_b64 s[2:3], vcc
	s_cbranch_execnz .LBB53_150
.LBB53_114:
	s_or_b64 exec, exec, s[2:3]
	s_and_saveexec_b64 s[2:3], vcc
	s_cbranch_execnz .LBB53_151
.LBB53_115:
	s_or_b64 exec, exec, s[2:3]
	s_and_saveexec_b64 s[2:3], vcc
	s_cbranch_execnz .LBB53_152
.LBB53_116:
	s_or_b64 exec, exec, s[2:3]
	s_and_saveexec_b64 s[2:3], vcc
	s_cbranch_execnz .LBB53_153
.LBB53_117:
	s_or_b64 exec, exec, s[2:3]
	s_and_saveexec_b64 s[2:3], vcc
	s_cbranch_execnz .LBB53_154
.LBB53_118:
	s_or_b64 exec, exec, s[2:3]
	s_and_saveexec_b64 s[2:3], vcc
	s_cbranch_execnz .LBB53_155
.LBB53_119:
	s_or_b64 exec, exec, s[2:3]
	s_and_saveexec_b64 s[2:3], vcc
	s_cbranch_execnz .LBB53_156
.LBB53_120:
	s_or_b64 exec, exec, s[2:3]
	s_and_saveexec_b64 s[2:3], vcc
	s_cbranch_execnz .LBB53_157
.LBB53_121:
	s_or_b64 exec, exec, s[2:3]
	s_and_saveexec_b64 s[2:3], vcc
	s_cbranch_execnz .LBB53_158
.LBB53_122:
	s_or_b64 exec, exec, s[2:3]
	s_and_saveexec_b64 s[2:3], vcc
	s_cbranch_execnz .LBB53_159
.LBB53_123:
	s_or_b64 exec, exec, s[2:3]
	s_and_saveexec_b64 s[2:3], vcc
	s_cbranch_execnz .LBB53_160
.LBB53_124:
	s_or_b64 exec, exec, s[2:3]
	s_and_saveexec_b64 s[2:3], vcc
	s_cbranch_execnz .LBB53_161
.LBB53_125:
	s_or_b64 exec, exec, s[2:3]
	s_and_saveexec_b64 s[2:3], vcc
	s_cbranch_execnz .LBB53_162
.LBB53_126:
	s_or_b64 exec, exec, s[2:3]
	s_and_saveexec_b64 s[2:3], vcc
	s_cbranch_execnz .LBB53_163
.LBB53_127:
	s_or_b64 exec, exec, s[2:3]
	s_and_saveexec_b64 s[2:3], vcc
	s_cbranch_execnz .LBB53_164
.LBB53_128:
	s_or_b64 exec, exec, s[2:3]
	s_and_saveexec_b64 s[2:3], vcc
	s_cbranch_execnz .LBB53_165
.LBB53_129:
	s_or_b64 exec, exec, s[2:3]
	s_and_saveexec_b64 s[2:3], vcc
	s_cbranch_execnz .LBB53_166
.LBB53_130:
	s_or_b64 exec, exec, s[2:3]
	s_and_saveexec_b64 s[2:3], vcc
	s_cbranch_execnz .LBB53_167
.LBB53_131:
	s_or_b64 exec, exec, s[2:3]
	s_and_saveexec_b64 s[2:3], vcc
	s_cbranch_execnz .LBB53_168
.LBB53_132:
	s_or_b64 exec, exec, s[2:3]
	s_and_saveexec_b64 s[2:3], vcc
	s_cbranch_execnz .LBB53_169
.LBB53_133:
	s_or_b64 exec, exec, s[2:3]
	s_and_saveexec_b64 s[2:3], vcc
	s_cbranch_execnz .LBB53_170
.LBB53_134:
	s_or_b64 exec, exec, s[2:3]
	s_and_saveexec_b64 s[2:3], vcc
	s_cbranch_execnz .LBB53_171
.LBB53_135:
	s_or_b64 exec, exec, s[2:3]
	s_and_saveexec_b64 s[2:3], vcc
	s_cbranch_execnz .LBB53_172
.LBB53_136:
	s_or_b64 exec, exec, s[2:3]
	s_and_saveexec_b64 s[2:3], vcc
	s_cbranch_execnz .LBB53_173
.LBB53_137:
	s_or_b64 exec, exec, s[2:3]
	s_and_saveexec_b64 s[2:3], vcc
	s_cbranch_execnz .LBB53_174
.LBB53_138:
	s_or_b64 exec, exec, s[2:3]
	s_and_saveexec_b64 s[2:3], vcc
	s_cbranch_execnz .LBB53_175
.LBB53_139:
	s_or_b64 exec, exec, s[2:3]
	s_and_saveexec_b64 s[2:3], vcc
	s_cbranch_execnz .LBB53_176
.LBB53_140:
	s_or_b64 exec, exec, s[2:3]
	s_and_saveexec_b64 s[2:3], vcc
	s_cbranch_execnz .LBB53_177
.LBB53_141:
	s_or_b64 exec, exec, s[2:3]
	s_and_saveexec_b64 s[2:3], vcc
	s_cbranch_execz .LBB53_143
.LBB53_142:
	ds_read_b32 v33, v33 offset:992
	s_waitcnt lgkmcnt(0)
	v_add_f32_e32 v31, v31, v33
.LBB53_143:
	s_or_b64 exec, exec, s[2:3]
.LBB53_144:
	s_or_b64 exec, exec, s[0:1]
	v_cmp_eq_u32_e32 vcc, 0, v34
	s_barrier
	s_and_saveexec_b64 s[0:1], vcc
	s_cbranch_execz .LBB53_146
; %bb.145:
	s_mul_i32 s0, s10, s11
	s_mul_i32 s0, s0, s5
	s_lshl_b32 s0, s0, 8
	s_ashr_i32 s1, s0, 31
	s_lshl_b64 s[0:1], s[0:1], 2
	s_add_u32 s2, s18, s0
	s_mul_i32 s0, s11, s16
	s_addc_u32 s3, s19, s1
	s_ashr_i32 s1, s0, 31
	s_lshl_b64 s[0:1], s[0:1], 2
	s_add_u32 s2, s2, s0
	s_addc_u32 s3, s3, s1
	s_lshl_b32 s0, s4, 8
	s_ashr_i32 s1, s0, 31
	s_lshl_b64 s[0:1], s[0:1], 2
	s_add_u32 s0, s2, s0
	s_addc_u32 s1, s3, s1
	v_lshlrev_b32_e32 v32, 2, v32
	global_store_dword v32, v4, s[0:1]
	global_store_dword v32, v5, s[0:1] offset:32
	global_store_dword v32, v2, s[0:1] offset:64
	;; [unrolled: 1-line block ×31, first 2 shown]
.LBB53_146:
	s_endpgm
.LBB53_147:
	ds_read_b32 v35, v33
	s_waitcnt lgkmcnt(0)
	v_add_f32_e32 v4, v4, v35
	s_or_b64 exec, exec, s[2:3]
	s_and_saveexec_b64 s[2:3], vcc
	s_cbranch_execz .LBB53_112
.LBB53_148:
	ds_read_b32 v35, v33 offset:32
	s_waitcnt lgkmcnt(0)
	v_add_f32_e32 v5, v5, v35
	s_or_b64 exec, exec, s[2:3]
	s_and_saveexec_b64 s[2:3], vcc
	s_cbranch_execz .LBB53_113
.LBB53_149:
	ds_read_b32 v35, v33 offset:64
	s_waitcnt lgkmcnt(0)
	v_add_f32_e32 v2, v2, v35
	s_or_b64 exec, exec, s[2:3]
	s_and_saveexec_b64 s[2:3], vcc
	s_cbranch_execz .LBB53_114
.LBB53_150:
	ds_read_b32 v35, v33 offset:96
	s_waitcnt lgkmcnt(0)
	v_add_f32_e32 v3, v3, v35
	s_or_b64 exec, exec, s[2:3]
	s_and_saveexec_b64 s[2:3], vcc
	s_cbranch_execz .LBB53_115
.LBB53_151:
	ds_read_b32 v35, v33 offset:128
	s_waitcnt lgkmcnt(0)
	v_add_f32_e32 v0, v0, v35
	s_or_b64 exec, exec, s[2:3]
	s_and_saveexec_b64 s[2:3], vcc
	s_cbranch_execz .LBB53_116
.LBB53_152:
	ds_read_b32 v35, v33 offset:160
	s_waitcnt lgkmcnt(0)
	v_add_f32_e32 v1, v1, v35
	s_or_b64 exec, exec, s[2:3]
	s_and_saveexec_b64 s[2:3], vcc
	s_cbranch_execz .LBB53_117
.LBB53_153:
	ds_read_b32 v35, v33 offset:192
	s_waitcnt lgkmcnt(0)
	v_add_f32_e32 v12, v12, v35
	s_or_b64 exec, exec, s[2:3]
	s_and_saveexec_b64 s[2:3], vcc
	s_cbranch_execz .LBB53_118
.LBB53_154:
	ds_read_b32 v35, v33 offset:224
	s_waitcnt lgkmcnt(0)
	v_add_f32_e32 v13, v13, v35
	s_or_b64 exec, exec, s[2:3]
	s_and_saveexec_b64 s[2:3], vcc
	s_cbranch_execz .LBB53_119
.LBB53_155:
	ds_read_b32 v35, v33 offset:256
	s_waitcnt lgkmcnt(0)
	v_add_f32_e32 v10, v10, v35
	s_or_b64 exec, exec, s[2:3]
	s_and_saveexec_b64 s[2:3], vcc
	s_cbranch_execz .LBB53_120
.LBB53_156:
	ds_read_b32 v35, v33 offset:288
	s_waitcnt lgkmcnt(0)
	v_add_f32_e32 v11, v11, v35
	s_or_b64 exec, exec, s[2:3]
	s_and_saveexec_b64 s[2:3], vcc
	s_cbranch_execz .LBB53_121
.LBB53_157:
	ds_read_b32 v35, v33 offset:320
	s_waitcnt lgkmcnt(0)
	v_add_f32_e32 v8, v8, v35
	s_or_b64 exec, exec, s[2:3]
	s_and_saveexec_b64 s[2:3], vcc
	s_cbranch_execz .LBB53_122
.LBB53_158:
	ds_read_b32 v35, v33 offset:352
	s_waitcnt lgkmcnt(0)
	v_add_f32_e32 v9, v9, v35
	s_or_b64 exec, exec, s[2:3]
	s_and_saveexec_b64 s[2:3], vcc
	s_cbranch_execz .LBB53_123
.LBB53_159:
	ds_read_b32 v35, v33 offset:384
	s_waitcnt lgkmcnt(0)
	v_add_f32_e32 v6, v6, v35
	s_or_b64 exec, exec, s[2:3]
	s_and_saveexec_b64 s[2:3], vcc
	s_cbranch_execz .LBB53_124
.LBB53_160:
	ds_read_b32 v35, v33 offset:416
	s_waitcnt lgkmcnt(0)
	v_add_f32_e32 v7, v7, v35
	s_or_b64 exec, exec, s[2:3]
	s_and_saveexec_b64 s[2:3], vcc
	s_cbranch_execz .LBB53_125
.LBB53_161:
	ds_read_b32 v35, v33 offset:448
	s_waitcnt lgkmcnt(0)
	v_add_f32_e32 v20, v20, v35
	s_or_b64 exec, exec, s[2:3]
	s_and_saveexec_b64 s[2:3], vcc
	s_cbranch_execz .LBB53_126
.LBB53_162:
	ds_read_b32 v35, v33 offset:480
	s_waitcnt lgkmcnt(0)
	v_add_f32_e32 v21, v21, v35
	s_or_b64 exec, exec, s[2:3]
	s_and_saveexec_b64 s[2:3], vcc
	s_cbranch_execz .LBB53_127
.LBB53_163:
	ds_read_b32 v35, v33 offset:512
	s_waitcnt lgkmcnt(0)
	v_add_f32_e32 v18, v18, v35
	s_or_b64 exec, exec, s[2:3]
	s_and_saveexec_b64 s[2:3], vcc
	s_cbranch_execz .LBB53_128
.LBB53_164:
	ds_read_b32 v35, v33 offset:544
	s_waitcnt lgkmcnt(0)
	v_add_f32_e32 v19, v19, v35
	s_or_b64 exec, exec, s[2:3]
	s_and_saveexec_b64 s[2:3], vcc
	s_cbranch_execz .LBB53_129
.LBB53_165:
	ds_read_b32 v35, v33 offset:576
	s_waitcnt lgkmcnt(0)
	v_add_f32_e32 v16, v16, v35
	s_or_b64 exec, exec, s[2:3]
	s_and_saveexec_b64 s[2:3], vcc
	s_cbranch_execz .LBB53_130
.LBB53_166:
	ds_read_b32 v35, v33 offset:608
	s_waitcnt lgkmcnt(0)
	v_add_f32_e32 v17, v17, v35
	s_or_b64 exec, exec, s[2:3]
	s_and_saveexec_b64 s[2:3], vcc
	s_cbranch_execz .LBB53_131
.LBB53_167:
	ds_read_b32 v35, v33 offset:640
	s_waitcnt lgkmcnt(0)
	v_add_f32_e32 v14, v14, v35
	s_or_b64 exec, exec, s[2:3]
	s_and_saveexec_b64 s[2:3], vcc
	s_cbranch_execz .LBB53_132
.LBB53_168:
	ds_read_b32 v35, v33 offset:672
	s_waitcnt lgkmcnt(0)
	v_add_f32_e32 v15, v15, v35
	s_or_b64 exec, exec, s[2:3]
	s_and_saveexec_b64 s[2:3], vcc
	s_cbranch_execz .LBB53_133
.LBB53_169:
	ds_read_b32 v35, v33 offset:704
	s_waitcnt lgkmcnt(0)
	v_add_f32_e32 v28, v28, v35
	s_or_b64 exec, exec, s[2:3]
	s_and_saveexec_b64 s[2:3], vcc
	s_cbranch_execz .LBB53_134
.LBB53_170:
	ds_read_b32 v35, v33 offset:736
	s_waitcnt lgkmcnt(0)
	v_add_f32_e32 v29, v29, v35
	s_or_b64 exec, exec, s[2:3]
	s_and_saveexec_b64 s[2:3], vcc
	s_cbranch_execz .LBB53_135
.LBB53_171:
	ds_read_b32 v35, v33 offset:768
	s_waitcnt lgkmcnt(0)
	v_add_f32_e32 v26, v26, v35
	s_or_b64 exec, exec, s[2:3]
	s_and_saveexec_b64 s[2:3], vcc
	s_cbranch_execz .LBB53_136
.LBB53_172:
	ds_read_b32 v35, v33 offset:800
	s_waitcnt lgkmcnt(0)
	v_add_f32_e32 v27, v27, v35
	s_or_b64 exec, exec, s[2:3]
	s_and_saveexec_b64 s[2:3], vcc
	s_cbranch_execz .LBB53_137
.LBB53_173:
	ds_read_b32 v35, v33 offset:832
	s_waitcnt lgkmcnt(0)
	v_add_f32_e32 v24, v24, v35
	s_or_b64 exec, exec, s[2:3]
	s_and_saveexec_b64 s[2:3], vcc
	s_cbranch_execz .LBB53_138
.LBB53_174:
	ds_read_b32 v35, v33 offset:864
	s_waitcnt lgkmcnt(0)
	v_add_f32_e32 v25, v25, v35
	s_or_b64 exec, exec, s[2:3]
	s_and_saveexec_b64 s[2:3], vcc
	s_cbranch_execz .LBB53_139
.LBB53_175:
	ds_read_b32 v35, v33 offset:896
	s_waitcnt lgkmcnt(0)
	v_add_f32_e32 v22, v22, v35
	s_or_b64 exec, exec, s[2:3]
	s_and_saveexec_b64 s[2:3], vcc
	s_cbranch_execz .LBB53_140
.LBB53_176:
	ds_read_b32 v35, v33 offset:928
	s_waitcnt lgkmcnt(0)
	v_add_f32_e32 v23, v23, v35
	s_or_b64 exec, exec, s[2:3]
	s_and_saveexec_b64 s[2:3], vcc
	s_cbranch_execz .LBB53_141
.LBB53_177:
	ds_read_b32 v35, v33 offset:960
	s_waitcnt lgkmcnt(0)
	v_add_f32_e32 v30, v30, v35
	s_or_b64 exec, exec, s[2:3]
	s_and_saveexec_b64 s[2:3], vcc
	s_cbranch_execnz .LBB53_142
	s_branch .LBB53_143
	.section	.rodata,"a",@progbits
	.p2align	6, 0x0
	.amdhsa_kernel _ZN4vllm25paged_attention_v1_kernelIffLi256ELi32ELi128ELNS_18Fp8KVCacheDataTypeE0ELb0EEEvPT_PKS2_PKT0_S8_ifPKiSA_iPKfiiiSC_SC_iiiii
		.amdhsa_group_segment_fixed_size 1040
		.amdhsa_private_segment_fixed_size 260
		.amdhsa_kernarg_size 384
		.amdhsa_user_sgpr_count 2
		.amdhsa_user_sgpr_dispatch_ptr 0
		.amdhsa_user_sgpr_queue_ptr 0
		.amdhsa_user_sgpr_kernarg_segment_ptr 1
		.amdhsa_user_sgpr_dispatch_id 0
		.amdhsa_user_sgpr_kernarg_preload_length 0
		.amdhsa_user_sgpr_kernarg_preload_offset 0
		.amdhsa_user_sgpr_private_segment_size 0
		.amdhsa_uses_dynamic_stack 0
		.amdhsa_enable_private_segment 1
		.amdhsa_system_sgpr_workgroup_id_x 1
		.amdhsa_system_sgpr_workgroup_id_y 1
		.amdhsa_system_sgpr_workgroup_id_z 1
		.amdhsa_system_sgpr_workgroup_info 0
		.amdhsa_system_vgpr_workitem_id 0
		.amdhsa_next_free_vgpr 128
		.amdhsa_next_free_sgpr 41
		.amdhsa_accum_offset 128
		.amdhsa_reserve_vcc 1
		.amdhsa_float_round_mode_32 0
		.amdhsa_float_round_mode_16_64 0
		.amdhsa_float_denorm_mode_32 3
		.amdhsa_float_denorm_mode_16_64 3
		.amdhsa_dx10_clamp 1
		.amdhsa_ieee_mode 1
		.amdhsa_fp16_overflow 0
		.amdhsa_tg_split 0
		.amdhsa_exception_fp_ieee_invalid_op 0
		.amdhsa_exception_fp_denorm_src 0
		.amdhsa_exception_fp_ieee_div_zero 0
		.amdhsa_exception_fp_ieee_overflow 0
		.amdhsa_exception_fp_ieee_underflow 0
		.amdhsa_exception_fp_ieee_inexact 0
		.amdhsa_exception_int_div_zero 0
	.end_amdhsa_kernel
	.section	.text._ZN4vllm25paged_attention_v1_kernelIffLi256ELi32ELi128ELNS_18Fp8KVCacheDataTypeE0ELb0EEEvPT_PKS2_PKT0_S8_ifPKiSA_iPKfiiiSC_SC_iiiii,"axG",@progbits,_ZN4vllm25paged_attention_v1_kernelIffLi256ELi32ELi128ELNS_18Fp8KVCacheDataTypeE0ELb0EEEvPT_PKS2_PKT0_S8_ifPKiSA_iPKfiiiSC_SC_iiiii,comdat
.Lfunc_end53:
	.size	_ZN4vllm25paged_attention_v1_kernelIffLi256ELi32ELi128ELNS_18Fp8KVCacheDataTypeE0ELb0EEEvPT_PKS2_PKT0_S8_ifPKiSA_iPKfiiiSC_SC_iiiii, .Lfunc_end53-_ZN4vllm25paged_attention_v1_kernelIffLi256ELi32ELi128ELNS_18Fp8KVCacheDataTypeE0ELb0EEEvPT_PKS2_PKT0_S8_ifPKiSA_iPKfiiiSC_SC_iiiii
                                        ; -- End function
	.set _ZN4vllm25paged_attention_v1_kernelIffLi256ELi32ELi128ELNS_18Fp8KVCacheDataTypeE0ELb0EEEvPT_PKS2_PKT0_S8_ifPKiSA_iPKfiiiSC_SC_iiiii.num_vgpr, 128
	.set _ZN4vllm25paged_attention_v1_kernelIffLi256ELi32ELi128ELNS_18Fp8KVCacheDataTypeE0ELb0EEEvPT_PKS2_PKT0_S8_ifPKiSA_iPKfiiiSC_SC_iiiii.num_agpr, 0
	.set _ZN4vllm25paged_attention_v1_kernelIffLi256ELi32ELi128ELNS_18Fp8KVCacheDataTypeE0ELb0EEEvPT_PKS2_PKT0_S8_ifPKiSA_iPKfiiiSC_SC_iiiii.numbered_sgpr, 41
	.set _ZN4vllm25paged_attention_v1_kernelIffLi256ELi32ELi128ELNS_18Fp8KVCacheDataTypeE0ELb0EEEvPT_PKS2_PKT0_S8_ifPKiSA_iPKfiiiSC_SC_iiiii.num_named_barrier, 0
	.set _ZN4vllm25paged_attention_v1_kernelIffLi256ELi32ELi128ELNS_18Fp8KVCacheDataTypeE0ELb0EEEvPT_PKS2_PKT0_S8_ifPKiSA_iPKfiiiSC_SC_iiiii.private_seg_size, 260
	.set _ZN4vllm25paged_attention_v1_kernelIffLi256ELi32ELi128ELNS_18Fp8KVCacheDataTypeE0ELb0EEEvPT_PKS2_PKT0_S8_ifPKiSA_iPKfiiiSC_SC_iiiii.uses_vcc, 1
	.set _ZN4vllm25paged_attention_v1_kernelIffLi256ELi32ELi128ELNS_18Fp8KVCacheDataTypeE0ELb0EEEvPT_PKS2_PKT0_S8_ifPKiSA_iPKfiiiSC_SC_iiiii.uses_flat_scratch, 0
	.set _ZN4vllm25paged_attention_v1_kernelIffLi256ELi32ELi128ELNS_18Fp8KVCacheDataTypeE0ELb0EEEvPT_PKS2_PKT0_S8_ifPKiSA_iPKfiiiSC_SC_iiiii.has_dyn_sized_stack, 0
	.set _ZN4vllm25paged_attention_v1_kernelIffLi256ELi32ELi128ELNS_18Fp8KVCacheDataTypeE0ELb0EEEvPT_PKS2_PKT0_S8_ifPKiSA_iPKfiiiSC_SC_iiiii.has_recursion, 0
	.set _ZN4vllm25paged_attention_v1_kernelIffLi256ELi32ELi128ELNS_18Fp8KVCacheDataTypeE0ELb0EEEvPT_PKS2_PKT0_S8_ifPKiSA_iPKfiiiSC_SC_iiiii.has_indirect_call, 0
	.section	.AMDGPU.csdata,"",@progbits
; Kernel info:
; codeLenInByte = 12212
; TotalNumSgprs: 47
; NumVgprs: 128
; NumAgprs: 0
; TotalNumVgprs: 128
; ScratchSize: 260
; MemoryBound: 0
; FloatMode: 240
; IeeeMode: 1
; LDSByteSize: 1040 bytes/workgroup (compile time only)
; SGPRBlocks: 5
; VGPRBlocks: 15
; NumSGPRsForWavesPerEU: 47
; NumVGPRsForWavesPerEU: 128
; AccumOffset: 128
; Occupancy: 4
; WaveLimiterHint : 1
; COMPUTE_PGM_RSRC2:SCRATCH_EN: 1
; COMPUTE_PGM_RSRC2:USER_SGPR: 2
; COMPUTE_PGM_RSRC2:TRAP_HANDLER: 0
; COMPUTE_PGM_RSRC2:TGID_X_EN: 1
; COMPUTE_PGM_RSRC2:TGID_Y_EN: 1
; COMPUTE_PGM_RSRC2:TGID_Z_EN: 1
; COMPUTE_PGM_RSRC2:TIDIG_COMP_CNT: 0
; COMPUTE_PGM_RSRC3_GFX90A:ACCUM_OFFSET: 31
; COMPUTE_PGM_RSRC3_GFX90A:TG_SPLIT: 0
	.section	.text._ZN4vllm25paged_attention_v1_kernelIttLi32ELi8ELi128ELNS_18Fp8KVCacheDataTypeE0ELb1EEEvPT_PKS2_PKT0_S8_ifPKiSA_iPKfiiiSC_SC_iiiii,"axG",@progbits,_ZN4vllm25paged_attention_v1_kernelIttLi32ELi8ELi128ELNS_18Fp8KVCacheDataTypeE0ELb1EEEvPT_PKS2_PKT0_S8_ifPKiSA_iPKfiiiSC_SC_iiiii,comdat
	.protected	_ZN4vllm25paged_attention_v1_kernelIttLi32ELi8ELi128ELNS_18Fp8KVCacheDataTypeE0ELb1EEEvPT_PKS2_PKT0_S8_ifPKiSA_iPKfiiiSC_SC_iiiii ; -- Begin function _ZN4vllm25paged_attention_v1_kernelIttLi32ELi8ELi128ELNS_18Fp8KVCacheDataTypeE0ELb1EEEvPT_PKS2_PKT0_S8_ifPKiSA_iPKfiiiSC_SC_iiiii
	.globl	_ZN4vllm25paged_attention_v1_kernelIttLi32ELi8ELi128ELNS_18Fp8KVCacheDataTypeE0ELb1EEEvPT_PKS2_PKT0_S8_ifPKiSA_iPKfiiiSC_SC_iiiii
	.p2align	8
	.type	_ZN4vllm25paged_attention_v1_kernelIttLi32ELi8ELi128ELNS_18Fp8KVCacheDataTypeE0ELb1EEEvPT_PKS2_PKT0_S8_ifPKiSA_iPKfiiiSC_SC_iiiii,@function
_ZN4vllm25paged_attention_v1_kernelIttLi32ELi8ELi128ELNS_18Fp8KVCacheDataTypeE0ELb1EEEvPT_PKS2_PKT0_S8_ifPKiSA_iPKfiiiSC_SC_iiiii: ; @_ZN4vllm25paged_attention_v1_kernelIttLi32ELi8ELi128ELNS_18Fp8KVCacheDataTypeE0ELb1EEEvPT_PKS2_PKT0_S8_ifPKiSA_iPKfiiiSC_SC_iiiii
; %bb.0:
	s_load_dword s5, s[0:1], 0x80
	s_load_dwordx2 s[6:7], s[0:1], 0x30
	s_load_dwordx2 s[30:31], s[0:1], 0x20
	s_mov_b32 s10, s3
	s_ashr_i32 s11, s3, 31
	s_lshl_b64 s[8:9], s[10:11], 2
	s_waitcnt lgkmcnt(0)
	s_add_u32 s6, s6, s8
	s_addc_u32 s7, s7, s9
	s_abs_i32 s3, s30
	v_cvt_f32_u32_e32 v1, s3
	s_sub_i32 s11, 0, s3
	s_abs_i32 s9, s5
	s_xor_b32 s8, s5, s30
	v_rcp_iflag_f32_e32 v1, v1
	s_ashr_i32 s8, s8, 31
	s_mov_b32 s42, 0
	v_mul_f32_e32 v1, 0x4f7ffffe, v1
	v_cvt_u32_f32_e32 v1, v1
	s_nop 0
	v_readfirstlane_b32 s12, v1
	s_mul_i32 s11, s11, s12
	s_mul_hi_u32 s11, s12, s11
	s_add_i32 s12, s12, s11
	s_mul_hi_u32 s11, s9, s12
	s_mul_i32 s12, s11, s3
	s_sub_i32 s9, s9, s12
	s_add_i32 s12, s11, 1
	s_sub_i32 s13, s9, s3
	s_cmp_ge_u32 s9, s3
	s_cselect_b32 s11, s12, s11
	s_cselect_b32 s9, s13, s9
	s_add_i32 s12, s11, 1
	s_cmp_ge_u32 s9, s3
	s_cselect_b32 s3, s12, s11
	s_xor_b32 s3, s3, s8
	s_sub_i32 s16, s3, s8
	s_abs_i32 s22, s16
	v_cvt_f32_u32_e32 v1, s22
	s_load_dwordx2 s[8:9], s[0:1], 0x40
	s_sub_i32 s3, 0, s22
	s_abs_i32 s23, s2
	v_rcp_iflag_f32_e32 v1, v1
	s_nop 0
	v_mul_f32_e32 v1, 0x4f7ffffe, v1
	v_cvt_u32_f32_e32 v1, v1
	s_nop 0
	v_readfirstlane_b32 s11, v1
	s_mul_i32 s3, s3, s11
	s_mul_hi_u32 s3, s11, s3
	s_add_i32 s11, s11, s3
	s_waitcnt lgkmcnt(0)
	s_cmp_eq_u64 s[8:9], 0
	s_mul_hi_u32 s24, s23, s11
	s_cbranch_scc1 .LBB54_2
; %bb.1:
	s_ashr_i32 s3, s2, 31
	s_lshl_b64 s[12:13], s[2:3], 2
	s_add_u32 s8, s8, s12
	s_addc_u32 s9, s9, s13
	s_load_dword s42, s[8:9], 0x0
.LBB54_2:
	s_load_dword s11, s[6:7], 0x0
	s_load_dwordx4 s[12:15], s[0:1], 0x48
	s_ashr_i32 s8, s2, 31
	s_ashr_i32 s9, s16, 31
	v_and_b32_e32 v4, 7, v0
	s_lshl_b32 s20, s2, 5
	v_cmp_gt_u32_e32 vcc, 32, v0
	s_and_saveexec_b64 s[6:7], vcc
	s_cbranch_execz .LBB54_4
; %bb.3:
	s_load_dwordx2 s[16:17], s[0:1], 0x8
	s_waitcnt lgkmcnt(0)
	s_mul_i32 s18, s12, s10
	s_ashr_i32 s19, s18, 31
	s_lshl_b64 s[18:19], s[18:19], 1
	v_lshlrev_b32_e32 v1, 1, v0
	s_add_u32 s3, s16, s18
	s_addc_u32 s12, s17, s19
	s_ashr_i32 s21, s20, 31
	s_lshl_b64 s[16:17], s[20:21], 1
	s_add_u32 s16, s3, s16
	s_addc_u32 s17, s12, s17
	global_load_ushort v1, v1, s[16:17]
	v_lshrrev_b32_e32 v2, 2, v0
	v_and_b32_e32 v2, 0xfe, v2
	v_lshl_add_u32 v2, v4, 3, v2
	s_waitcnt vmcnt(0)
	ds_write_b16 v2, v1
.LBB54_4:
	s_or_b64 exec, exec, s[6:7]
	s_mul_i32 s7, s24, s22
	s_sub_i32 s7, s23, s7
	s_xor_b32 s6, s8, s9
	s_add_i32 s8, s24, 1
	s_sub_i32 s9, s7, s22
	s_load_dwordx4 s[16:19], s[0:1], 0x68
	s_load_dword s3, s[0:1], 0x78
	s_cmp_ge_u32 s7, s22
	s_cselect_b32 s8, s8, s24
	s_cselect_b32 s7, s9, s7
	s_add_i32 s9, s8, 1
	s_cmp_ge_u32 s7, s22
	s_cselect_b32 s7, s9, s8
	s_waitcnt lgkmcnt(0)
	s_abs_i32 s21, s19
	v_cvt_f32_u32_e32 v1, s21
	s_xor_b32 s7, s7, s6
	s_sub_i32 s8, s7, s6
	s_sub_i32 s6, 0, s21
	v_rcp_iflag_f32_e32 v1, v1
	s_add_i32 s15, s11, -1
	s_abs_i32 s9, s15
	v_mul_f32_e32 v1, 0x4f7ffffe, v1
	v_cvt_u32_f32_e32 v1, v1
	s_barrier
	v_readfirstlane_b32 s33, v1
	s_mul_i32 s6, s6, s33
	s_mul_hi_u32 s6, s33, s6
	s_add_i32 s33, s33, s6
	s_cmp_lt_i32 s3, 0
	s_mul_hi_u32 s12, s9, s33
	s_cbranch_scc0 .LBB54_6
; %bb.5:
	s_mul_i32 s6, s16, s30
	s_add_i32 s6, s8, s6
	s_mul_i32 s6, s6, s3
	s_sub_i32 s40, 1, s6
	s_mov_b64 s[6:7], 0
	s_branch .LBB54_7
.LBB54_6:
	s_mov_b64 s[6:7], -1
                                        ; implicit-def: $sgpr40
.LBB54_7:
	s_load_dwordx2 s[24:25], s[0:1], 0x28
	s_ashr_i32 s15, s15, 31
	s_andn2_b64 vcc, exec, s[6:7]
	s_ashr_i32 s19, s19, 31
	s_cbranch_vccnz .LBB54_9
; %bb.8:
	s_mul_i32 s6, s5, s16
	s_add_i32 s2, s6, s2
	s_mul_i32 s2, s2, s3
	s_add_i32 s40, s2, 1
.LBB54_9:
	s_load_dword s2, s[0:1], 0x38
	s_load_dwordx2 s[22:23], s[0:1], 0x0
	s_load_dwordx2 s[28:29], s[0:1], 0x18
	s_load_dword s16, s[0:1], 0x88
	s_xor_b32 s3, s15, s19
	s_waitcnt lgkmcnt(0)
	s_mul_i32 s26, s2, s10
	s_mul_i32 s2, s12, s21
	s_sub_i32 s2, s9, s2
	s_ashr_i32 s27, s26, 31
	s_add_i32 s6, s12, 1
	s_sub_i32 s7, s2, s21
	s_cmp_ge_u32 s2, s21
	s_cselect_b32 s6, s6, s12
	s_cselect_b32 s2, s7, s2
	s_add_i32 s7, s6, 1
	s_cmp_ge_u32 s2, s21
	s_cselect_b32 s2, s7, s6
	s_xor_b32 s2, s2, s3
	s_sub_i32 s12, s2, s3
	s_add_i32 s2, s11, 7
	s_ashr_i32 s3, s2, 31
	s_lshr_b32 s3, s3, 29
	s_add_i32 s2, s2, s3
	s_ashr_i32 s41, s2, 3
	v_lshrrev_b32_e32 v12, 6, v0
	v_cmp_gt_i32_e64 s[2:3], s41, v12
	v_mov_b32_e32 v9, 0xff7fffff
	s_mul_i32 s14, s8, s14
	v_lshrrev_b32_e32 v1, 4, v0
	v_lshlrev_b32_e32 v13, 3, v12
	v_mbcnt_lo_u32_b32 v6, -1, 0
	s_and_saveexec_b64 s[34:35], s[2:3]
	s_cbranch_execz .LBB54_21
; %bb.10:
	s_load_dwordx2 s[0:1], s[0:1], 0x10
	s_ashr_i32 s15, s14, 31
	s_sub_i32 s30, s12, s17
	s_lshl_b64 s[6:7], s[14:15], 1
	v_bfe_u32 v7, v0, 3, 3
	s_waitcnt lgkmcnt(0)
	s_add_u32 s0, s0, s6
	s_addc_u32 s1, s1, s7
	s_abs_i32 s15, s18
	v_cvt_f32_u32_e32 v2, s15
	v_lshlrev_b32_e32 v14, 4, v7
	v_mov_b32_e32 v15, 0
	s_sub_i32 s6, 0, s15
	v_rcp_iflag_f32_e32 v5, v2
	v_cmp_eq_u32_e32 vcc, 0, v4
	v_lshl_add_u64 v[2:3], s[0:1], 0, v[14:15]
	v_lshlrev_b32_e32 v14, 1, v4
	v_mul_f32_e32 v5, 0x4f7ffffe, v5
	v_cvt_u32_f32_e32 v5, v5
	v_lshlrev_b32_e32 v8, 3, v4
	v_lshl_add_u64 v[2:3], v[2:3], 0, v[14:15]
	v_and_b32_e32 v14, 60, v1
	v_mul_lo_u32 v4, s6, v5
	s_lshl_b64 s[6:7], s[26:27], 2
	s_add_u32 s6, s24, s6
	v_mul_hi_u32 v4, v5, v4
	s_addc_u32 s7, s25, s7
	v_subrev_u32_e32 v9, s11, v7
	v_add_u32_e32 v10, v5, v4
	v_lshl_add_u64 v[4:5], s[6:7], 0, v[14:15]
	v_add_u32_e32 v14, 1, v9
	v_lshlrev_b32_e32 v9, 2, v7
	v_lshl_or_b32 v9, v12, 5, v9
	v_mbcnt_hi_u32_b32 v17, -1, v6
	v_add_u32_e32 v15, 0x50, v9
	v_and_b32_e32 v9, 64, v17
	s_mov_b32 s43, s13
	v_cmp_neq_f32_e64 s[0:1], s42, 0
	v_lshlrev_b32_e32 v11, 3, v12
	v_mov_b32_e32 v16, 0xff7fffff
	s_mov_b64 s[36:37], 0
	v_add_u32_e32 v18, 64, v9
	v_xor_b32_e32 v19, 4, v17
	v_xor_b32_e32 v20, 2, v17
	;; [unrolled: 1-line block ×3, first 2 shown]
	v_mov_b32_e32 v9, 0xff7fffff
	v_mov_b32_e32 v22, v12
	s_branch .LBB54_13
.LBB54_11:                              ;   in Loop: Header=BB54_13 Depth=1
	s_or_b64 exec, exec, s[38:39]
.LBB54_12:                              ;   in Loop: Header=BB54_13 Depth=1
	s_or_b64 exec, exec, s[8:9]
	v_add_u32_e32 v22, 2, v22
	v_cmp_le_i32_e64 s[6:7], s41, v22
	v_lshl_add_u64 v[4:5], v[4:5], 0, 8
	v_add_u32_e32 v11, 16, v11
	s_or_b64 s[36:37], s[6:7], s[36:37]
	v_add_u32_e32 v15, 64, v15
	s_andn2_b64 exec, exec, s[36:37]
	s_cbranch_execz .LBB54_20
.LBB54_13:                              ; =>This Inner Loop Header: Depth=1
	v_mul_hi_u32 v23, v11, s33
	s_waitcnt lgkmcnt(0)
	v_mul_lo_u32 v24, v23, s21
	v_sub_u32_e32 v24, v11, v24
	v_add_u32_e32 v25, 1, v23
	v_cmp_le_u32_e64 s[6:7], s21, v24
	s_nop 1
	v_cndmask_b32_e64 v23, v23, v25, s[6:7]
	v_subrev_u32_e32 v25, s21, v24
	v_cndmask_b32_e64 v24, v24, v25, s[6:7]
	v_add_u32_e32 v25, 1, v23
	v_cmp_le_u32_e64 s[6:7], s21, v24
	s_nop 1
	v_cndmask_b32_e64 v23, v23, v25, s[6:7]
	v_xor_b32_e32 v23, s19, v23
	v_subrev_u32_e32 v23, s19, v23
	v_add_u32_e32 v24, s40, v23
	v_sub_u32_e32 v26, 0, v24
	v_ashrrev_i32_e32 v25, 31, v24
	v_max_i32_e32 v24, v24, v26
	v_mul_hi_u32 v26, v24, v10
	v_mul_lo_u32 v26, v26, s15
	v_sub_u32_e32 v24, v24, v26
	v_subrev_u32_e32 v26, s15, v24
	v_cmp_le_u32_e64 s[6:7], s15, v24
	v_cmp_ge_i32_e64 s[8:9], s30, v23
	s_nop 0
	v_cndmask_b32_e64 v24, v24, v26, s[6:7]
	v_subrev_u32_e32 v26, s15, v24
	v_cmp_le_u32_e64 s[6:7], s15, v24
	s_nop 1
	v_cndmask_b32_e64 v24, v24, v26, s[6:7]
	v_xor_b32_e32 v24, v24, v25
	v_sub_u32_e32 v24, v24, v25
	v_cmp_ne_u32_e64 s[6:7], 0, v24
	s_and_b64 s[6:7], s[6:7], s[8:9]
	s_and_saveexec_b64 s[8:9], s[6:7]
	s_xor_b64 s[6:7], exec, s[8:9]
	s_cbranch_execz .LBB54_17
; %bb.14:                               ;   in Loop: Header=BB54_13 Depth=1
	s_and_saveexec_b64 s[8:9], vcc
; %bb.15:                               ;   in Loop: Header=BB54_13 Depth=1
	ds_write_b32 v15, v16
; %bb.16:                               ;   in Loop: Header=BB54_13 Depth=1
	s_or_b64 exec, exec, s[8:9]
.LBB54_17:                              ;   in Loop: Header=BB54_13 Depth=1
	s_andn2_saveexec_b64 s[8:9], s[6:7]
	s_cbranch_execz .LBB54_12
; %bb.18:                               ;   in Loop: Header=BB54_13 Depth=1
	global_load_dword v23, v[4:5], off
	s_waitcnt vmcnt(0)
	v_mad_i64_i32 v[24:25], s[6:7], v23, s43, 0
	v_lshl_add_u64 v[24:25], v[24:25], 1, v[2:3]
	global_load_ushort v26, v[24:25], off
	global_load_ushort v27, v[24:25], off offset:128
	global_load_ushort v29, v[24:25], off offset:256
	global_load_ushort v30, v[24:25], off offset:384
	ds_read_u16 v23, v8
	s_waitcnt lgkmcnt(0)
	;;#ASMSTART
	v_cvt_f32_f16 v23, v23;
	;;#ASMEND
	v_cmp_lt_i32_e64 s[6:7], v19, v18
	s_waitcnt vmcnt(3)
	;;#ASMSTART
	v_cvt_f32_f16 v24, v26;
	;;#ASMEND
	ds_read_u16 v25, v8 offset:2
	s_waitcnt lgkmcnt(0)
	;;#ASMSTART
	v_cvt_f32_f16 v25, v25;
	;;#ASMEND
	s_waitcnt vmcnt(2)
	;;#ASMSTART
	v_cvt_f32_f16 v26, v27;
	;;#ASMEND
	ds_read_u16 v28, v8 offset:4
	v_mul_f32_e32 v25, v25, v26
	v_fmac_f32_e32 v25, v23, v24
	v_cndmask_b32_e64 v27, v17, v19, s[6:7]
	s_waitcnt lgkmcnt(0)
	;;#ASMSTART
	v_cvt_f32_f16 v28, v28;
	;;#ASMEND
	s_waitcnt vmcnt(1)
	;;#ASMSTART
	v_cvt_f32_f16 v29, v29;
	;;#ASMEND
	ds_read_u16 v31, v8 offset:6
	v_fmac_f32_e32 v25, v28, v29
	v_lshlrev_b32_e32 v27, 2, v27
	s_waitcnt lgkmcnt(0)
	;;#ASMSTART
	v_cvt_f32_f16 v23, v31;
	;;#ASMEND
	s_waitcnt vmcnt(0)
	;;#ASMSTART
	v_cvt_f32_f16 v24, v30;
	;;#ASMEND
	v_cmp_lt_i32_e64 s[6:7], v20, v18
	v_fmac_f32_e32 v25, v23, v24
	ds_bpermute_b32 v23, v27, v25
	v_cndmask_b32_e64 v24, v17, v20, s[6:7]
	v_lshlrev_b32_e32 v24, 2, v24
	v_cmp_lt_i32_e64 s[6:7], v21, v18
	s_waitcnt lgkmcnt(0)
	v_add_f32_e32 v23, v25, v23
	ds_bpermute_b32 v24, v24, v23
	v_cndmask_b32_e64 v25, v17, v21, s[6:7]
	s_waitcnt lgkmcnt(0)
	v_add_f32_e32 v23, v23, v24
	v_lshlrev_b32_e32 v24, 2, v25
	ds_bpermute_b32 v24, v24, v23
	s_and_saveexec_b64 s[38:39], vcc
	s_cbranch_execz .LBB54_11
; %bb.19:                               ;   in Loop: Header=BB54_13 Depth=1
	v_add_u32_e32 v25, v14, v11
	v_cvt_f32_i32_e32 v25, v25
	s_waitcnt lgkmcnt(0)
	v_add_f32_e32 v23, v23, v24
	v_add_u32_e32 v26, v7, v11
	v_cmp_gt_i32_e64 s[6:7], s11, v26
	v_mul_f32_e32 v24, s42, v25
	v_cndmask_b32_e64 v24, 0, v24, s[0:1]
	v_fmac_f32_e32 v24, s31, v23
	v_cndmask_b32_e64 v23, 0, v24, s[6:7]
	ds_write_b32 v15, v23
	v_max_f32_e32 v23, v9, v9
	v_max_f32_e32 v23, v23, v24
	v_cndmask_b32_e64 v9, v9, v23, s[6:7]
	s_branch .LBB54_11
.LBB54_20:
	s_or_b64 exec, exec, s[36:37]
.LBB54_21:
	s_or_b64 exec, exec, s[34:35]
	v_mbcnt_hi_u32_b32 v2, -1, v6
	v_and_b32_e32 v10, 64, v2
	v_add_u32_e32 v3, 64, v10
	v_xor_b32_e32 v4, 32, v2
	v_cmp_lt_i32_e32 vcc, v4, v3
	v_xor_b32_e32 v7, 16, v2
	v_max_f32_e32 v6, v9, v9
	v_cndmask_b32_e32 v4, v2, v4, vcc
	v_lshlrev_b32_e32 v5, 2, v4
	ds_bpermute_b32 v4, v5, v9
	v_cmp_lt_i32_e32 vcc, v7, v3
	v_xor_b32_e32 v8, 8, v2
	v_and_b32_e32 v14, 63, v0
	s_waitcnt lgkmcnt(0)
	v_max_f32_e32 v4, v4, v4
	v_max_f32_e32 v4, v6, v4
	v_cndmask_b32_e32 v6, v2, v7, vcc
	v_lshlrev_b32_e32 v7, 2, v6
	ds_bpermute_b32 v6, v7, v4
	v_cmp_lt_i32_e32 vcc, v8, v3
	s_waitcnt lgkmcnt(0)
	v_max_f32_e32 v6, v6, v6
	v_max_f32_e32 v6, v4, v6
	v_cndmask_b32_e32 v4, v2, v8, vcc
	v_lshlrev_b32_e32 v9, 2, v4
	ds_bpermute_b32 v8, v9, v6
	v_cmp_eq_u32_e32 vcc, 0, v14
	v_lshlrev_b32_e32 v4, 2, v12
	s_and_saveexec_b64 s[0:1], vcc
	s_cbranch_execz .LBB54_23
; %bb.22:
	s_waitcnt lgkmcnt(0)
	v_max_f32_e32 v8, v8, v8
	v_max_f32_e32 v6, v6, v6
	;; [unrolled: 1-line block ×3, first 2 shown]
	ds_write_b32 v4, v6 offset:64
.LBB54_23:
	s_or_b64 exec, exec, s[0:1]
	v_cmp_gt_u32_e64 s[0:1], 2, v14
	v_mov_b32_e32 v11, 0xff7fffff
	v_lshlrev_b32_e32 v6, 2, v14
	s_waitcnt lgkmcnt(0)
	s_barrier
	s_and_saveexec_b64 s[6:7], s[0:1]
; %bb.24:
	ds_read_b32 v11, v6 offset:64
; %bb.25:
	s_or_b64 exec, exec, s[6:7]
	v_xor_b32_e32 v8, 1, v2
	v_cmp_lt_i32_e64 s[6:7], v8, v3
	v_lshlrev_b32_e32 v10, 2, v10
	s_nop 0
	v_cndmask_b32_e64 v8, v2, v8, s[6:7]
	v_lshlrev_b32_e32 v8, 2, v8
	s_waitcnt lgkmcnt(0)
	ds_bpermute_b32 v15, v8, v11
	v_max_f32_e32 v11, v11, v11
	s_lshl_b32 s6, s41, 3
	s_min_i32 s15, s6, s11
	v_cmp_gt_i32_e64 s[6:7], s15, v0
	s_waitcnt lgkmcnt(0)
	v_max_f32_e32 v15, v15, v15
	v_max_f32_e32 v11, v11, v15
	ds_bpermute_b32 v11, v10, v11
	v_mov_b32_e32 v10, 0
	s_and_saveexec_b64 s[30:31], s[6:7]
	s_cbranch_execz .LBB54_29
; %bb.26:
	v_mov_b32_e32 v10, 0x50
	v_lshl_add_u32 v15, v0, 2, v10
	v_mov_b32_e32 v10, 0
	s_mov_b64 s[34:35], 0
	v_mov_b32_e32 v16, v0
.LBB54_27:                              ; =>This Inner Loop Header: Depth=1
	ds_read_b32 v17, v15
	v_add_u32_e32 v16, 0x80, v16
	v_cmp_le_i32_e64 s[8:9], s15, v16
	s_or_b64 s[34:35], s[8:9], s[34:35]
	s_waitcnt lgkmcnt(0)
	v_sub_f32_e32 v17, v17, v11
	v_mul_f32_e32 v17, 0x3fb8aa3b, v17
	v_exp_f32_e32 v17, v17
	ds_write_b32 v15, v17
	v_add_f32_e32 v10, v10, v17
	v_add_u32_e32 v15, 0x200, v15
	s_andn2_b64 exec, exec, s[34:35]
	s_cbranch_execnz .LBB54_27
; %bb.28:
	s_or_b64 exec, exec, s[34:35]
.LBB54_29:
	s_or_b64 exec, exec, s[30:31]
	ds_bpermute_b32 v5, v5, v10
	s_waitcnt lgkmcnt(0)
	v_add_f32_e32 v5, v10, v5
	ds_bpermute_b32 v7, v7, v5
	s_waitcnt lgkmcnt(0)
	v_add_f32_e32 v5, v5, v7
	ds_bpermute_b32 v7, v9, v5
	v_xor_b32_e32 v9, 4, v2
	v_cmp_lt_i32_e64 s[8:9], v9, v3
	s_waitcnt lgkmcnt(0)
	v_add_f32_e32 v5, v5, v7
	v_cndmask_b32_e64 v9, v2, v9, s[8:9]
	v_lshlrev_b32_e32 v9, 2, v9
	ds_bpermute_b32 v7, v9, v5
	v_xor_b32_e32 v9, 2, v2
	v_cmp_lt_i32_e64 s[8:9], v9, v3
	s_waitcnt lgkmcnt(0)
	v_add_f32_e32 v5, v5, v7
	v_cndmask_b32_e64 v3, v2, v9, s[8:9]
	v_lshlrev_b32_e32 v3, 2, v3
	ds_bpermute_b32 v3, v3, v5
	s_waitcnt lgkmcnt(0)
	v_add_f32_e32 v3, v5, v3
	ds_bpermute_b32 v5, v8, v3
	s_waitcnt lgkmcnt(0)
	v_add_f32_e32 v3, v3, v5
	s_and_saveexec_b64 s[8:9], vcc
; %bb.30:
	ds_write_b32 v4, v3 offset:72
; %bb.31:
	s_or_b64 exec, exec, s[8:9]
	s_waitcnt lgkmcnt(0)
	s_barrier
	s_and_saveexec_b64 s[8:9], s[0:1]
; %bb.32:
	ds_read_b32 v3, v6 offset:72
; %bb.33:
	s_or_b64 exec, exec, s[8:9]
	s_waitcnt lgkmcnt(0)
	ds_bpermute_b32 v4, v8, v3
	v_lshlrev_b32_e32 v2, 2, v2
	v_and_b32_e32 v2, 0x100, v2
	s_waitcnt lgkmcnt(0)
	v_add_f32_e32 v3, v3, v4
	ds_bpermute_b32 v2, v2, v3
	s_and_saveexec_b64 s[0:1], s[6:7]
	s_cbranch_execz .LBB54_46
; %bb.34:
	s_waitcnt lgkmcnt(0)
	v_add_f32_e32 v2, 0x358637bd, v2
	v_div_scale_f32 v3, s[6:7], v2, v2, 1.0
	v_rcp_f32_e32 v4, v3
	v_div_scale_f32 v5, vcc, 1.0, v2, 1.0
	s_movk_i32 s6, 0x7f
	v_fma_f32 v6, -v3, v4, 1.0
	v_fmac_f32_e32 v4, v6, v4
	v_mul_f32_e32 v6, v5, v4
	v_fma_f32 v7, -v3, v6, v5
	v_fmac_f32_e32 v6, v7, v4
	v_fma_f32 v3, -v3, v6, v5
	v_div_fmas_f32 v3, v3, v4, v6
	v_xad_u32 v4, v0, -1, s15
	v_div_fixup_f32 v2, v3, v2, 1.0
	v_cmp_lt_u32_e32 vcc, s6, v4
	s_mov_b64 s[8:9], -1
	v_mov_b32_e32 v3, v0
	s_and_saveexec_b64 s[6:7], vcc
	s_cbranch_execz .LBB54_43
; %bb.35:
	v_lshrrev_b32_e32 v4, 7, v4
	v_add_u32_e32 v6, -1, v4
	v_lshrrev_b32_e32 v5, 1, v6
	v_mov_b32_e32 v3, v2
	v_add_u32_e32 v5, 1, v5
	v_cmp_lt_u32_e32 vcc, 13, v6
	v_mov_b32_e32 v8, 0
	s_and_saveexec_b64 s[8:9], vcc
	s_cbranch_execz .LBB54_39
; %bb.36:
	v_mov_b32_e32 v7, 0x50
	v_and_b32_e32 v6, -8, v5
	v_lshl_add_u32 v7, v0, 2, v7
	s_mov_b32 s34, 0
	s_mov_b64 s[30:31], 0
.LBB54_37:                              ; =>This Inner Loop Header: Depth=1
	ds_read2st64_b32 v[8:9], v7 offset1:2
	ds_read2st64_b32 v[10:11], v7 offset0:4 offset1:6
	ds_read2st64_b32 v[16:17], v7 offset0:8 offset1:10
	;; [unrolled: 1-line block ×3, first 2 shown]
	v_add_u32_e32 v6, -8, v6
	s_waitcnt lgkmcnt(3)
	v_pk_mul_f32 v[8:9], v[2:3], v[8:9]
	s_waitcnt lgkmcnt(2)
	v_pk_mul_f32 v[10:11], v[2:3], v[10:11]
	ds_write2st64_b32 v7, v8, v9 offset1:2
	ds_write2st64_b32 v7, v10, v11 offset0:4 offset1:6
	ds_read2st64_b32 v[10:11], v7 offset0:16 offset1:18
	s_waitcnt lgkmcnt(4)
	v_pk_mul_f32 v[8:9], v[2:3], v[16:17]
	ds_write2st64_b32 v7, v8, v9 offset0:8 offset1:10
	s_waitcnt lgkmcnt(4)
	v_pk_mul_f32 v[8:9], v[2:3], v[18:19]
	ds_write2st64_b32 v7, v8, v9 offset0:12 offset1:14
	ds_read2st64_b32 v[8:9], v7 offset0:20 offset1:22
	s_waitcnt lgkmcnt(3)
	v_pk_mul_f32 v[10:11], v[2:3], v[10:11]
	ds_read2st64_b32 v[16:17], v7 offset0:24 offset1:26
	ds_write2st64_b32 v7, v10, v11 offset0:16 offset1:18
	ds_read2st64_b32 v[10:11], v7 offset0:28 offset1:30
	s_waitcnt lgkmcnt(3)
	v_pk_mul_f32 v[8:9], v[2:3], v[8:9]
	ds_write2st64_b32 v7, v8, v9 offset0:20 offset1:22
	s_waitcnt lgkmcnt(3)
	v_pk_mul_f32 v[8:9], v[2:3], v[16:17]
	ds_write2st64_b32 v7, v8, v9 offset0:24 offset1:26
	s_waitcnt lgkmcnt(2)
	v_pk_mul_f32 v[8:9], v[2:3], v[10:11]
	s_add_i32 s34, s34, 16
	v_cmp_eq_u32_e32 vcc, 0, v6
	ds_write2st64_b32 v7, v8, v9 offset0:28 offset1:30
	v_add_u32_e32 v7, 0x2000, v7
	s_or_b64 s[30:31], vcc, s[30:31]
	v_mov_b32_e32 v8, s34
	s_andn2_b64 exec, exec, s[30:31]
	s_cbranch_execnz .LBB54_37
; %bb.38:
	s_or_b64 exec, exec, s[30:31]
.LBB54_39:
	s_or_b64 exec, exec, s[8:9]
	v_and_b32_e32 v5, 7, v5
	v_cmp_ne_u32_e32 vcc, 0, v5
	s_and_saveexec_b64 s[8:9], vcc
	s_cbranch_execz .LBB54_42
; %bb.40:
	v_lshlrev_b32_e32 v6, 9, v8
	v_lshlrev_b32_e32 v7, 2, v0
	s_movk_i32 s30, 0x50
	v_add3_u32 v6, v6, v7, s30
	s_mov_b64 s[30:31], 0
.LBB54_41:                              ; =>This Inner Loop Header: Depth=1
	ds_read2st64_b32 v[8:9], v6 offset1:2
	v_add_u32_e32 v5, -1, v5
	v_cmp_eq_u32_e32 vcc, 0, v5
	s_or_b64 s[30:31], vcc, s[30:31]
	s_waitcnt lgkmcnt(0)
	v_pk_mul_f32 v[8:9], v[2:3], v[8:9]
	ds_write2st64_b32 v6, v8, v9 offset1:2
	v_add_u32_e32 v6, 0x400, v6
	s_andn2_b64 exec, exec, s[30:31]
	s_cbranch_execnz .LBB54_41
.LBB54_42:
	s_or_b64 exec, exec, s[8:9]
	v_add_u32_e32 v4, 1, v4
	v_and_b32_e32 v5, 0x3fffffe, v4
	v_cmp_ne_u32_e32 vcc, v4, v5
	v_lshl_add_u32 v3, v5, 7, v0
	s_orn2_b64 s[8:9], vcc, exec
.LBB54_43:
	s_or_b64 exec, exec, s[6:7]
	s_and_b64 exec, exec, s[8:9]
	s_cbranch_execz .LBB54_46
; %bb.44:
	v_mov_b32_e32 v4, 0x50
	v_lshl_add_u32 v4, v3, 2, v4
	s_mov_b64 s[6:7], 0
.LBB54_45:                              ; =>This Inner Loop Header: Depth=1
	ds_read_b32 v5, v4
	v_add_u32_e32 v3, 0x80, v3
	v_cmp_le_i32_e32 vcc, s15, v3
	s_or_b64 s[6:7], vcc, s[6:7]
	s_waitcnt lgkmcnt(0)
	v_mul_f32_e32 v5, v2, v5
	ds_write_b32 v4, v5
	v_add_u32_e32 v4, 0x200, v4
	s_andn2_b64 exec, exec, s[6:7]
	s_cbranch_execnz .LBB54_45
.LBB54_46:
	s_or_b64 exec, exec, s[0:1]
	v_mov_b32_e32 v15, 0
	s_waitcnt lgkmcnt(0)
	s_barrier
	s_and_saveexec_b64 s[6:7], s[2:3]
	s_cbranch_execz .LBB54_56
; %bb.47:
	s_ashr_i32 s15, s14, 31
	s_sub_i32 s17, s12, s17
	s_lshl_b64 s[0:1], s[14:15], 1
	s_add_u32 s2, s28, s0
	s_addc_u32 s3, s29, s1
	s_abs_i32 s18, s18
	v_cvt_f32_u32_e32 v2, s18
	v_lshlrev_b32_e32 v6, 4, v14
	v_mov_b32_e32 v7, 0
	v_lshl_add_u64 v[8:9], s[2:3], 0, v[6:7]
	v_rcp_iflag_f32_e32 v2, v2
	s_sub_i32 s2, 0, s18
	s_add_i32 s29, s41, -1
	v_and_b32_e32 v6, 60, v1
	v_mul_f32_e32 v2, 0x4f7ffffe, v2
	v_cvt_u32_f32_e32 v2, v2
	v_mov_b32_e32 v1, 0x50
	s_mov_b32 s28, s13
	v_cmp_gt_u32_e64 s[0:1], 32, v14
	v_mul_lo_u32 v3, s2, v2
	s_lshl_b64 s[2:3], s[26:27], 2
	s_add_u32 s2, s24, s2
	v_mul_hi_u32 v3, v2, v3
	s_addc_u32 s3, s25, s3
	s_mov_b32 s30, s11
	v_add_u32_e32 v16, v2, v3
	v_lshl_add_u64 v[10:11], s[2:3], 0, v[6:7]
	v_lshl_add_u32 v17, v12, 5, v1
	s_mov_b64 s[8:9], 0
	s_mov_b32 s24, 0xffff
	v_mov_b32_e32 v15, 0
	s_branch .LBB54_51
.LBB54_48:                              ;   in Loop: Header=BB54_51 Depth=1
	s_or_b64 exec, exec, s[14:15]
	v_and_b32_e32 v18, 0xffff, v18
	v_lshlrev_b32_e32 v6, 16, v6
	v_lshlrev_b32_e32 v1, 16, v1
	v_lshl_or_b32 v18, v19, 16, v18
	v_and_b32_e32 v19, 0xffff, v20
	v_and_or_b32 v2, v2, s24, v6
	v_and_or_b32 v1, v3, s24, v1
	v_lshlrev_b32_e32 v3, 16, v26
	v_lshl_or_b32 v19, v21, 16, v19
	v_and_b32_e32 v20, 0xffff, v22
	v_and_b32_e32 v21, 0xffff, v24
	v_and_or_b32 v3, v4, s24, v3
	;;#ASMSTART
	v_pk_mul_f16 v2, v18, v2;

	;;#ASMEND
	;;#ASMSTART
	v_pk_mul_f16 v1, v19, v1;

	;;#ASMEND
	v_lshl_or_b32 v20, v23, 16, v20
	v_lshl_or_b32 v21, v25, 16, v21
	;;#ASMSTART
	v_pk_mul_f16 v3, v20, v3;

	;;#ASMEND
	;;#ASMSTART
	v_pk_mul_f16 v4, v21, v5;

	;;#ASMEND
	;;#ASMSTART
	v_pk_add_f16 v1, v2, v1;

	;;#ASMEND
	s_nop 0
	;;#ASMSTART
	v_pk_add_f16 v1, v1, v3;

	;;#ASMEND
	s_nop 0
	;; [unrolled: 5-line block ×3, first 2 shown]
	v_lshrrev_b32_e32 v2, 16, v1
	v_and_b32_e32 v1, 0xffff, v1
	;;#ASMSTART
	v_cvt_f32_f16 v1, v1;
	;;#ASMEND
	;;#ASMSTART
	v_cvt_f32_f16 v2, v2;
	;;#ASMEND
	s_nop 0
	v_add_f32_e32 v1, v1, v2
	v_add_f32_e32 v15, v15, v1
.LBB54_49:                              ;   in Loop: Header=BB54_51 Depth=1
	s_or_b64 exec, exec, s[12:13]
.LBB54_50:                              ;   in Loop: Header=BB54_51 Depth=1
	s_or_b64 exec, exec, s[2:3]
	v_add_u32_e32 v12, 2, v12
	v_cmp_le_i32_e32 vcc, s41, v12
	v_lshl_add_u64 v[10:11], v[10:11], 0, 8
	v_add_u32_e32 v13, 16, v13
	s_or_b64 s[8:9], vcc, s[8:9]
	v_add_u32_e32 v17, 64, v17
	s_andn2_b64 exec, exec, s[8:9]
	s_cbranch_execz .LBB54_55
.LBB54_51:                              ; =>This Inner Loop Header: Depth=1
	v_mul_hi_u32 v1, v13, s33
	v_mul_lo_u32 v2, v1, s21
	v_sub_u32_e32 v2, v13, v2
	v_add_u32_e32 v3, 1, v1
	v_cmp_le_u32_e32 vcc, s21, v2
	s_nop 1
	v_cndmask_b32_e32 v1, v1, v3, vcc
	v_subrev_u32_e32 v3, s21, v2
	v_cndmask_b32_e32 v2, v2, v3, vcc
	v_add_u32_e32 v3, 1, v1
	v_cmp_le_u32_e32 vcc, s21, v2
	s_nop 1
	v_cndmask_b32_e32 v1, v1, v3, vcc
	v_xor_b32_e32 v1, s19, v1
	v_subrev_u32_e32 v1, s19, v1
	v_add_u32_e32 v2, s40, v1
	v_sub_u32_e32 v4, 0, v2
	v_ashrrev_i32_e32 v3, 31, v2
	v_max_i32_e32 v2, v2, v4
	v_mul_hi_u32 v4, v2, v16
	v_mul_lo_u32 v4, v4, s18
	v_sub_u32_e32 v2, v2, v4
	v_subrev_u32_e32 v4, s18, v2
	v_cmp_le_u32_e32 vcc, s18, v2
	v_cmp_lt_i32_e64 s[2:3], s17, v1
	s_nop 0
	v_cndmask_b32_e32 v2, v2, v4, vcc
	v_subrev_u32_e32 v4, s18, v2
	v_cmp_le_u32_e32 vcc, s18, v2
	s_nop 1
	v_cndmask_b32_e32 v2, v2, v4, vcc
	v_xor_b32_e32 v2, v2, v3
	v_sub_u32_e32 v2, v2, v3
	v_cmp_eq_u32_e32 vcc, 0, v2
	s_or_b64 s[12:13], vcc, s[2:3]
	s_and_saveexec_b64 s[2:3], s[12:13]
	s_cbranch_execz .LBB54_50
; %bb.52:                               ;   in Loop: Header=BB54_51 Depth=1
	ds_read2_b64 v[2:5], v17 offset1:1
	ds_read2_b64 v[22:25], v17 offset0:2 offset1:3
	s_waitcnt lgkmcnt(1)
	;;#ASMSTART
	v_cvt_f16_f32 v18, v2;

	;;#ASMEND
	;;#ASMSTART
	v_cvt_f16_f32 v19, v3;

	;;#ASMEND
	;; [unrolled: 4-line block ×4, first 2 shown]
	s_waitcnt lgkmcnt(0)
	;;#ASMSTART
	v_cvt_f16_f32 v22, v22;

	;;#ASMEND
	;;#ASMSTART
	v_cvt_f16_f32 v23, v23;

	;;#ASMEND
	;; [unrolled: 4-line block ×4, first 2 shown]
	s_and_saveexec_b64 s[12:13], s[0:1]
	s_cbranch_execz .LBB54_49
; %bb.53:                               ;   in Loop: Header=BB54_51 Depth=1
	global_load_dword v1, v[10:11], off
	v_cmp_eq_u32_e32 vcc, s29, v12
	s_waitcnt vmcnt(0)
	v_mad_i64_i32 v[2:3], s[14:15], v1, s28, 0
	v_lshl_add_u64 v[2:3], v[2:3], 1, v[8:9]
	global_load_dwordx4 v[2:5], v[2:3], off
	s_waitcnt vmcnt(0)
	v_lshrrev_b32_e32 v1, 16, v3
	v_lshrrev_b32_e32 v6, 16, v2
	;; [unrolled: 1-line block ×3, first 2 shown]
	s_and_saveexec_b64 s[14:15], vcc
	s_cbranch_execz .LBB54_48
; %bb.54:                               ;   in Loop: Header=BB54_51 Depth=1
	v_cmp_gt_i32_e32 vcc, s11, v13
	v_add_u32_e32 v29, 2, v13
	v_or_b32_e32 v27, 3, v13
	v_cndmask_b32_e32 v2, 0, v2, vcc
	v_cmp_gt_i32_e32 vcc, s11, v29
	v_or_b32_e32 v28, 1, v13
	s_nop 0
	v_cndmask_b32_e32 v3, 0, v3, vcc
	v_cmp_gt_i32_e32 vcc, s30, v27
	v_add_u32_e32 v27, 4, v13
	s_nop 0
	v_cndmask_b32_e32 v1, 0, v1, vcc
	v_cmp_gt_i32_e32 vcc, s11, v28
	v_add_u32_e32 v28, 7, v13
	;; [unrolled: 4-line block ×4, first 2 shown]
	s_nop 0
	v_cndmask_b32_e32 v26, 0, v26, vcc
	v_cmp_gt_i32_e32 vcc, s11, v27
	s_nop 1
	v_cndmask_b32_sdwa v27, v7, v5, vcc dst_sel:DWORD dst_unused:UNUSED_PAD src0_sel:DWORD src1_sel:WORD_0
	v_and_b32_e32 v5, 0xffff0000, v5
	v_cmp_gt_i32_e32 vcc, s11, v28
	s_nop 1
	v_cndmask_b32_e32 v5, 0, v5, vcc
	v_or_b32_e32 v5, v27, v5
	s_branch .LBB54_48
.LBB54_55:
	s_or_b64 exec, exec, s[8:9]
.LBB54_56:
	s_or_b64 exec, exec, s[6:7]
	v_and_b32_e32 v1, 0x3c0, v0
	v_cmp_eq_u32_e64 s[0:1], 64, v1
	v_cmp_gt_u32_e64 s[2:3], 32, v14
	v_mov_b32_e32 v1, 0x50
	v_cmp_lt_u32_e32 vcc, 31, v14
	v_lshl_add_u32 v1, v14, 2, v1
	s_and_b64 s[2:3], s[0:1], s[2:3]
	s_barrier
	s_and_saveexec_b64 s[0:1], s[2:3]
; %bb.57:
	ds_write_b32 v1, v15
; %bb.58:
	s_or_b64 exec, exec, s[0:1]
	v_cmp_gt_u32_e64 s[0:1], 64, v0
	s_xor_b64 s[2:3], vcc, -1
	s_and_b64 s[2:3], s[0:1], s[2:3]
	s_waitcnt lgkmcnt(0)
	s_barrier
	s_and_saveexec_b64 s[0:1], s[2:3]
	s_cbranch_execz .LBB54_60
; %bb.59:
	ds_read_b32 v1, v1
	s_waitcnt lgkmcnt(0)
	v_add_f32_e32 v15, v15, v1
.LBB54_60:
	s_or_b64 exec, exec, s[0:1]
	v_cmp_gt_u32_e32 vcc, 64, v0
	v_cmp_gt_u32_e64 s[0:1], 32, v14
	s_and_b64 s[0:1], vcc, s[0:1]
	s_barrier
	s_and_saveexec_b64 s[2:3], s[0:1]
	s_cbranch_execz .LBB54_62
; %bb.61:
	s_mul_i32 s0, s10, s16
	s_mul_i32 s0, s0, s5
	s_lshl_b32 s0, s0, 5
	s_ashr_i32 s1, s0, 31
	s_lshl_b64 s[0:1], s[0:1], 1
	s_add_u32 s2, s22, s0
	s_mul_i32 s0, s16, s20
	s_addc_u32 s3, s23, s1
	s_ashr_i32 s1, s0, 31
	s_lshl_b64 s[0:1], s[0:1], 1
	s_add_u32 s2, s2, s0
	s_addc_u32 s3, s3, s1
	s_lshl_b32 s0, s4, 5
	s_ashr_i32 s1, s0, 31
	s_lshl_b64 s[0:1], s[0:1], 1
	s_add_u32 s0, s2, s0
	s_addc_u32 s1, s3, s1
	v_lshlrev_b32_e32 v0, 1, v14
	;;#ASMSTART
	v_cvt_f16_f32 v1, v15;

	;;#ASMEND
	global_store_short v0, v1, s[0:1]
.LBB54_62:
	s_endpgm
	.section	.rodata,"a",@progbits
	.p2align	6, 0x0
	.amdhsa_kernel _ZN4vllm25paged_attention_v1_kernelIttLi32ELi8ELi128ELNS_18Fp8KVCacheDataTypeE0ELb1EEEvPT_PKS2_PKT0_S8_ifPKiSA_iPKfiiiSC_SC_iiiii
		.amdhsa_group_segment_fixed_size 80
		.amdhsa_private_segment_fixed_size 0
		.amdhsa_kernarg_size 384
		.amdhsa_user_sgpr_count 2
		.amdhsa_user_sgpr_dispatch_ptr 0
		.amdhsa_user_sgpr_queue_ptr 0
		.amdhsa_user_sgpr_kernarg_segment_ptr 1
		.amdhsa_user_sgpr_dispatch_id 0
		.amdhsa_user_sgpr_kernarg_preload_length 0
		.amdhsa_user_sgpr_kernarg_preload_offset 0
		.amdhsa_user_sgpr_private_segment_size 0
		.amdhsa_uses_dynamic_stack 0
		.amdhsa_enable_private_segment 0
		.amdhsa_system_sgpr_workgroup_id_x 1
		.amdhsa_system_sgpr_workgroup_id_y 1
		.amdhsa_system_sgpr_workgroup_id_z 1
		.amdhsa_system_sgpr_workgroup_info 0
		.amdhsa_system_vgpr_workitem_id 0
		.amdhsa_next_free_vgpr 32
		.amdhsa_next_free_sgpr 44
		.amdhsa_accum_offset 32
		.amdhsa_reserve_vcc 1
		.amdhsa_float_round_mode_32 0
		.amdhsa_float_round_mode_16_64 0
		.amdhsa_float_denorm_mode_32 3
		.amdhsa_float_denorm_mode_16_64 3
		.amdhsa_dx10_clamp 1
		.amdhsa_ieee_mode 1
		.amdhsa_fp16_overflow 0
		.amdhsa_tg_split 0
		.amdhsa_exception_fp_ieee_invalid_op 0
		.amdhsa_exception_fp_denorm_src 0
		.amdhsa_exception_fp_ieee_div_zero 0
		.amdhsa_exception_fp_ieee_overflow 0
		.amdhsa_exception_fp_ieee_underflow 0
		.amdhsa_exception_fp_ieee_inexact 0
		.amdhsa_exception_int_div_zero 0
	.end_amdhsa_kernel
	.section	.text._ZN4vllm25paged_attention_v1_kernelIttLi32ELi8ELi128ELNS_18Fp8KVCacheDataTypeE0ELb1EEEvPT_PKS2_PKT0_S8_ifPKiSA_iPKfiiiSC_SC_iiiii,"axG",@progbits,_ZN4vllm25paged_attention_v1_kernelIttLi32ELi8ELi128ELNS_18Fp8KVCacheDataTypeE0ELb1EEEvPT_PKS2_PKT0_S8_ifPKiSA_iPKfiiiSC_SC_iiiii,comdat
.Lfunc_end54:
	.size	_ZN4vllm25paged_attention_v1_kernelIttLi32ELi8ELi128ELNS_18Fp8KVCacheDataTypeE0ELb1EEEvPT_PKS2_PKT0_S8_ifPKiSA_iPKfiiiSC_SC_iiiii, .Lfunc_end54-_ZN4vllm25paged_attention_v1_kernelIttLi32ELi8ELi128ELNS_18Fp8KVCacheDataTypeE0ELb1EEEvPT_PKS2_PKT0_S8_ifPKiSA_iPKfiiiSC_SC_iiiii
                                        ; -- End function
	.set _ZN4vllm25paged_attention_v1_kernelIttLi32ELi8ELi128ELNS_18Fp8KVCacheDataTypeE0ELb1EEEvPT_PKS2_PKT0_S8_ifPKiSA_iPKfiiiSC_SC_iiiii.num_vgpr, 32
	.set _ZN4vllm25paged_attention_v1_kernelIttLi32ELi8ELi128ELNS_18Fp8KVCacheDataTypeE0ELb1EEEvPT_PKS2_PKT0_S8_ifPKiSA_iPKfiiiSC_SC_iiiii.num_agpr, 0
	.set _ZN4vllm25paged_attention_v1_kernelIttLi32ELi8ELi128ELNS_18Fp8KVCacheDataTypeE0ELb1EEEvPT_PKS2_PKT0_S8_ifPKiSA_iPKfiiiSC_SC_iiiii.numbered_sgpr, 44
	.set _ZN4vllm25paged_attention_v1_kernelIttLi32ELi8ELi128ELNS_18Fp8KVCacheDataTypeE0ELb1EEEvPT_PKS2_PKT0_S8_ifPKiSA_iPKfiiiSC_SC_iiiii.num_named_barrier, 0
	.set _ZN4vllm25paged_attention_v1_kernelIttLi32ELi8ELi128ELNS_18Fp8KVCacheDataTypeE0ELb1EEEvPT_PKS2_PKT0_S8_ifPKiSA_iPKfiiiSC_SC_iiiii.private_seg_size, 0
	.set _ZN4vllm25paged_attention_v1_kernelIttLi32ELi8ELi128ELNS_18Fp8KVCacheDataTypeE0ELb1EEEvPT_PKS2_PKT0_S8_ifPKiSA_iPKfiiiSC_SC_iiiii.uses_vcc, 1
	.set _ZN4vllm25paged_attention_v1_kernelIttLi32ELi8ELi128ELNS_18Fp8KVCacheDataTypeE0ELb1EEEvPT_PKS2_PKT0_S8_ifPKiSA_iPKfiiiSC_SC_iiiii.uses_flat_scratch, 0
	.set _ZN4vllm25paged_attention_v1_kernelIttLi32ELi8ELi128ELNS_18Fp8KVCacheDataTypeE0ELb1EEEvPT_PKS2_PKT0_S8_ifPKiSA_iPKfiiiSC_SC_iiiii.has_dyn_sized_stack, 0
	.set _ZN4vllm25paged_attention_v1_kernelIttLi32ELi8ELi128ELNS_18Fp8KVCacheDataTypeE0ELb1EEEvPT_PKS2_PKT0_S8_ifPKiSA_iPKfiiiSC_SC_iiiii.has_recursion, 0
	.set _ZN4vllm25paged_attention_v1_kernelIttLi32ELi8ELi128ELNS_18Fp8KVCacheDataTypeE0ELb1EEEvPT_PKS2_PKT0_S8_ifPKiSA_iPKfiiiSC_SC_iiiii.has_indirect_call, 0
	.section	.AMDGPU.csdata,"",@progbits
; Kernel info:
; codeLenInByte = 4396
; TotalNumSgprs: 50
; NumVgprs: 32
; NumAgprs: 0
; TotalNumVgprs: 32
; ScratchSize: 0
; MemoryBound: 0
; FloatMode: 240
; IeeeMode: 1
; LDSByteSize: 80 bytes/workgroup (compile time only)
; SGPRBlocks: 6
; VGPRBlocks: 3
; NumSGPRsForWavesPerEU: 50
; NumVGPRsForWavesPerEU: 32
; AccumOffset: 32
; Occupancy: 8
; WaveLimiterHint : 1
; COMPUTE_PGM_RSRC2:SCRATCH_EN: 0
; COMPUTE_PGM_RSRC2:USER_SGPR: 2
; COMPUTE_PGM_RSRC2:TRAP_HANDLER: 0
; COMPUTE_PGM_RSRC2:TGID_X_EN: 1
; COMPUTE_PGM_RSRC2:TGID_Y_EN: 1
; COMPUTE_PGM_RSRC2:TGID_Z_EN: 1
; COMPUTE_PGM_RSRC2:TIDIG_COMP_CNT: 0
; COMPUTE_PGM_RSRC3_GFX90A:ACCUM_OFFSET: 7
; COMPUTE_PGM_RSRC3_GFX90A:TG_SPLIT: 0
	.section	.text._ZN4vllm25paged_attention_v1_kernelIttLi64ELi8ELi128ELNS_18Fp8KVCacheDataTypeE0ELb1EEEvPT_PKS2_PKT0_S8_ifPKiSA_iPKfiiiSC_SC_iiiii,"axG",@progbits,_ZN4vllm25paged_attention_v1_kernelIttLi64ELi8ELi128ELNS_18Fp8KVCacheDataTypeE0ELb1EEEvPT_PKS2_PKT0_S8_ifPKiSA_iPKfiiiSC_SC_iiiii,comdat
	.protected	_ZN4vllm25paged_attention_v1_kernelIttLi64ELi8ELi128ELNS_18Fp8KVCacheDataTypeE0ELb1EEEvPT_PKS2_PKT0_S8_ifPKiSA_iPKfiiiSC_SC_iiiii ; -- Begin function _ZN4vllm25paged_attention_v1_kernelIttLi64ELi8ELi128ELNS_18Fp8KVCacheDataTypeE0ELb1EEEvPT_PKS2_PKT0_S8_ifPKiSA_iPKfiiiSC_SC_iiiii
	.globl	_ZN4vllm25paged_attention_v1_kernelIttLi64ELi8ELi128ELNS_18Fp8KVCacheDataTypeE0ELb1EEEvPT_PKS2_PKT0_S8_ifPKiSA_iPKfiiiSC_SC_iiiii
	.p2align	8
	.type	_ZN4vllm25paged_attention_v1_kernelIttLi64ELi8ELi128ELNS_18Fp8KVCacheDataTypeE0ELb1EEEvPT_PKS2_PKT0_S8_ifPKiSA_iPKfiiiSC_SC_iiiii,@function
_ZN4vllm25paged_attention_v1_kernelIttLi64ELi8ELi128ELNS_18Fp8KVCacheDataTypeE0ELb1EEEvPT_PKS2_PKT0_S8_ifPKiSA_iPKfiiiSC_SC_iiiii: ; @_ZN4vllm25paged_attention_v1_kernelIttLi64ELi8ELi128ELNS_18Fp8KVCacheDataTypeE0ELb1EEEvPT_PKS2_PKT0_S8_ifPKiSA_iPKfiiiSC_SC_iiiii
; %bb.0:
	s_load_dword s5, s[0:1], 0x80
	s_load_dwordx2 s[6:7], s[0:1], 0x30
	s_load_dwordx2 s[34:35], s[0:1], 0x20
	s_mov_b32 s20, s3
	s_ashr_i32 s21, s3, 31
	s_lshl_b64 s[8:9], s[20:21], 2
	s_waitcnt lgkmcnt(0)
	s_add_u32 s6, s6, s8
	s_addc_u32 s7, s7, s9
	s_abs_i32 s3, s34
	v_cvt_f32_u32_e32 v1, s3
	s_sub_i32 s10, 0, s3
	s_abs_i32 s9, s5
	s_xor_b32 s8, s5, s34
	v_rcp_iflag_f32_e32 v1, v1
	s_ashr_i32 s8, s8, 31
	s_mov_b32 s44, 0
	v_mul_f32_e32 v1, 0x4f7ffffe, v1
	v_cvt_u32_f32_e32 v1, v1
	s_nop 0
	v_readfirstlane_b32 s11, v1
	s_mul_i32 s10, s10, s11
	s_mul_hi_u32 s10, s11, s10
	s_add_i32 s11, s11, s10
	s_mul_hi_u32 s10, s9, s11
	s_mul_i32 s11, s10, s3
	s_sub_i32 s9, s9, s11
	s_add_i32 s11, s10, 1
	s_sub_i32 s12, s9, s3
	s_cmp_ge_u32 s9, s3
	s_cselect_b32 s10, s11, s10
	s_cselect_b32 s9, s12, s9
	s_add_i32 s11, s10, 1
	s_cmp_ge_u32 s9, s3
	s_cselect_b32 s3, s11, s10
	s_xor_b32 s3, s3, s8
	s_sub_i32 s16, s3, s8
	s_abs_i32 s10, s16
	v_cvt_f32_u32_e32 v1, s10
	s_load_dwordx2 s[8:9], s[0:1], 0x40
	s_sub_i32 s3, 0, s10
	s_abs_i32 s11, s2
	v_rcp_iflag_f32_e32 v1, v1
	s_nop 0
	v_mul_f32_e32 v1, 0x4f7ffffe, v1
	v_cvt_u32_f32_e32 v1, v1
	s_nop 0
	v_readfirstlane_b32 s12, v1
	s_mul_i32 s3, s3, s12
	s_mul_hi_u32 s3, s12, s3
	s_add_i32 s12, s12, s3
	s_waitcnt lgkmcnt(0)
	s_cmp_eq_u64 s[8:9], 0
	s_mul_hi_u32 s24, s11, s12
	s_cbranch_scc1 .LBB55_2
; %bb.1:
	s_ashr_i32 s3, s2, 31
	s_lshl_b64 s[12:13], s[2:3], 2
	s_add_u32 s8, s8, s12
	s_addc_u32 s9, s9, s13
	s_load_dword s44, s[8:9], 0x0
.LBB55_2:
	s_load_dword s21, s[6:7], 0x0
	s_load_dwordx4 s[12:15], s[0:1], 0x48
	s_ashr_i32 s25, s2, 31
	s_waitcnt lgkmcnt(0)
	s_ashr_i32 s15, s16, 31
	v_and_b32_e32 v4, 7, v0
	s_lshl_b32 s22, s2, 6
	v_cmp_gt_u32_e64 s[6:7], 64, v0
	s_and_saveexec_b64 s[8:9], s[6:7]
	s_cbranch_execz .LBB55_4
; %bb.3:
	s_load_dwordx2 s[16:17], s[0:1], 0x8
	s_mul_i32 s18, s12, s20
	s_ashr_i32 s19, s18, 31
	s_lshl_b64 s[18:19], s[18:19], 1
	v_lshlrev_b32_e32 v1, 1, v0
	s_waitcnt lgkmcnt(0)
	s_add_u32 s3, s16, s18
	s_addc_u32 s12, s17, s19
	s_ashr_i32 s23, s22, 31
	s_lshl_b64 s[16:17], s[22:23], 1
	s_add_u32 s16, s3, s16
	s_addc_u32 s17, s12, s17
	global_load_ushort v1, v1, s[16:17]
	v_lshrrev_b32_e32 v2, 2, v0
	v_and_b32_e32 v2, 0xfe, v2
	v_lshl_add_u32 v2, v4, 4, v2
	s_waitcnt vmcnt(0)
	ds_write_b16 v2, v1
.LBB55_4:
	s_or_b64 exec, exec, s[8:9]
	s_mul_i32 s9, s24, s10
	s_sub_i32 s9, s11, s9
	s_xor_b32 s8, s25, s15
	s_add_i32 s11, s24, 1
	s_sub_i32 s12, s9, s10
	s_load_dwordx4 s[16:19], s[0:1], 0x68
	s_load_dword s3, s[0:1], 0x78
	s_cmp_ge_u32 s9, s10
	s_cselect_b32 s11, s11, s24
	s_cselect_b32 s9, s12, s9
	s_add_i32 s12, s11, 1
	s_cmp_ge_u32 s9, s10
	s_cselect_b32 s9, s12, s11
	s_waitcnt lgkmcnt(0)
	s_abs_i32 s12, s19
	v_cvt_f32_u32_e32 v1, s12
	s_xor_b32 s9, s9, s8
	s_sub_i32 s10, s9, s8
	s_sub_i32 s8, 0, s12
	v_rcp_iflag_f32_e32 v1, v1
	s_add_i32 s24, s21, -1
	s_abs_i32 s11, s24
	v_mul_f32_e32 v1, 0x4f7ffffe, v1
	v_cvt_u32_f32_e32 v1, v1
	s_barrier
	v_readfirstlane_b32 s23, v1
	s_mul_i32 s8, s8, s23
	s_mul_hi_u32 s8, s23, s8
	s_add_i32 s23, s23, s8
	s_cmp_lt_i32 s3, 0
	s_mul_hi_u32 s15, s11, s23
	s_cbranch_scc0 .LBB55_6
; %bb.5:
	s_mul_i32 s8, s16, s34
	s_add_i32 s8, s10, s8
	s_mul_i32 s8, s8, s3
	s_sub_i32 s33, 1, s8
	s_mov_b64 s[8:9], 0
	s_branch .LBB55_7
.LBB55_6:
	s_mov_b64 s[8:9], -1
                                        ; implicit-def: $sgpr33
.LBB55_7:
	s_load_dwordx2 s[26:27], s[0:1], 0x28
	s_ashr_i32 s28, s24, 31
	s_andn2_b64 vcc, exec, s[8:9]
	s_ashr_i32 s19, s19, 31
	s_cbranch_vccnz .LBB55_9
; %bb.8:
	s_mul_i32 s8, s5, s16
	s_add_i32 s2, s8, s2
	s_mul_i32 s2, s2, s3
	s_add_i32 s33, s2, 1
.LBB55_9:
	s_load_dword s2, s[0:1], 0x38
	s_load_dwordx2 s[24:25], s[0:1], 0x0
	s_load_dwordx2 s[30:31], s[0:1], 0x18
	s_load_dword s16, s[0:1], 0x88
	s_xor_b32 s3, s28, s19
	s_waitcnt lgkmcnt(0)
	s_mul_i32 s28, s2, s20
	s_mul_i32 s2, s15, s12
	s_sub_i32 s2, s11, s2
	s_ashr_i32 s29, s28, 31
	s_add_i32 s8, s15, 1
	s_sub_i32 s9, s2, s12
	s_cmp_ge_u32 s2, s12
	s_cselect_b32 s8, s8, s15
	s_cselect_b32 s2, s9, s2
	s_add_i32 s9, s8, 1
	s_cmp_ge_u32 s2, s12
	s_cselect_b32 s2, s9, s8
	s_xor_b32 s2, s2, s3
	s_sub_i32 s43, s2, s3
	s_add_i32 s2, s21, 7
	s_ashr_i32 s3, s2, 31
	s_lshr_b32 s3, s3, 29
	s_add_i32 s2, s2, s3
	s_ashr_i32 s42, s2, 3
	v_lshrrev_b32_e32 v12, 6, v0
	v_cmp_gt_i32_e64 s[2:3], s42, v12
	v_mov_b32_e32 v9, 0xff7fffff
	s_mul_i32 s14, s10, s14
	v_lshrrev_b32_e32 v1, 4, v0
	v_lshlrev_b32_e32 v13, 3, v12
	v_mbcnt_lo_u32_b32 v6, -1, 0
	s_and_saveexec_b64 s[36:37], s[2:3]
	s_cbranch_execz .LBB55_21
; %bb.10:
	s_load_dwordx2 s[0:1], s[0:1], 0x10
	s_ashr_i32 s15, s14, 31
	s_sub_i32 s34, s43, s17
	s_lshl_b64 s[8:9], s[14:15], 1
	v_bfe_u32 v7, v0, 3, 3
	s_waitcnt lgkmcnt(0)
	s_add_u32 s0, s0, s8
	s_addc_u32 s1, s1, s9
	s_abs_i32 s15, s18
	v_cvt_f32_u32_e32 v2, s15
	v_lshlrev_b32_e32 v14, 4, v7
	v_mov_b32_e32 v15, 0
	s_sub_i32 s8, 0, s15
	v_rcp_iflag_f32_e32 v5, v2
	v_cmp_eq_u32_e32 vcc, 0, v4
	v_lshl_add_u64 v[2:3], s[0:1], 0, v[14:15]
	v_lshlrev_b32_e32 v14, 1, v4
	v_mul_f32_e32 v5, 0x4f7ffffe, v5
	v_cvt_u32_f32_e32 v5, v5
	v_lshlrev_b32_e32 v8, 4, v4
	v_lshl_add_u64 v[2:3], v[2:3], 0, v[14:15]
	v_and_b32_e32 v14, 60, v1
	v_mul_lo_u32 v4, s8, v5
	s_lshl_b64 s[8:9], s[28:29], 2
	s_add_u32 s8, s26, s8
	v_mul_hi_u32 v4, v5, v4
	s_addc_u32 s9, s27, s9
	v_subrev_u32_e32 v9, s21, v7
	v_add_u32_e32 v10, v5, v4
	v_lshl_add_u64 v[4:5], s[8:9], 0, v[14:15]
	v_add_u32_e32 v14, 1, v9
	v_lshlrev_b32_e32 v9, 2, v7
	v_lshl_or_b32 v9, v12, 5, v9
	v_mbcnt_hi_u32_b32 v17, -1, v6
	v_add_u32_e32 v15, 0x90, v9
	v_and_b32_e32 v9, 64, v17
	s_mov_b32 s45, s13
	v_cmp_neq_f32_e64 s[0:1], s44, 0
	v_lshlrev_b32_e32 v11, 3, v12
	v_mov_b32_e32 v16, 0xff7fffff
	s_mov_b64 s[38:39], 0
	v_add_u32_e32 v18, 64, v9
	v_xor_b32_e32 v19, 4, v17
	v_xor_b32_e32 v20, 2, v17
	;; [unrolled: 1-line block ×3, first 2 shown]
	v_mov_b32_e32 v9, 0xff7fffff
	v_mov_b32_e32 v22, v12
	s_branch .LBB55_13
.LBB55_11:                              ;   in Loop: Header=BB55_13 Depth=1
	s_or_b64 exec, exec, s[40:41]
.LBB55_12:                              ;   in Loop: Header=BB55_13 Depth=1
	s_or_b64 exec, exec, s[10:11]
	v_add_u32_e32 v22, 2, v22
	v_cmp_le_i32_e64 s[8:9], s42, v22
	v_lshl_add_u64 v[4:5], v[4:5], 0, 8
	v_add_u32_e32 v11, 16, v11
	s_or_b64 s[38:39], s[8:9], s[38:39]
	v_add_u32_e32 v15, 64, v15
	s_andn2_b64 exec, exec, s[38:39]
	s_cbranch_execz .LBB55_20
.LBB55_13:                              ; =>This Inner Loop Header: Depth=1
	v_mul_hi_u32 v23, v11, s23
	s_waitcnt lgkmcnt(0)
	v_mul_lo_u32 v24, v23, s12
	v_sub_u32_e32 v24, v11, v24
	v_add_u32_e32 v25, 1, v23
	v_cmp_le_u32_e64 s[8:9], s12, v24
	s_nop 1
	v_cndmask_b32_e64 v23, v23, v25, s[8:9]
	v_subrev_u32_e32 v25, s12, v24
	v_cndmask_b32_e64 v24, v24, v25, s[8:9]
	v_add_u32_e32 v25, 1, v23
	v_cmp_le_u32_e64 s[8:9], s12, v24
	s_nop 1
	v_cndmask_b32_e64 v23, v23, v25, s[8:9]
	v_xor_b32_e32 v23, s19, v23
	v_subrev_u32_e32 v23, s19, v23
	v_add_u32_e32 v24, s33, v23
	v_sub_u32_e32 v26, 0, v24
	v_ashrrev_i32_e32 v25, 31, v24
	v_max_i32_e32 v24, v24, v26
	v_mul_hi_u32 v26, v24, v10
	v_mul_lo_u32 v26, v26, s15
	v_sub_u32_e32 v24, v24, v26
	v_subrev_u32_e32 v26, s15, v24
	v_cmp_le_u32_e64 s[8:9], s15, v24
	v_cmp_ge_i32_e64 s[10:11], s34, v23
	s_nop 0
	v_cndmask_b32_e64 v24, v24, v26, s[8:9]
	v_subrev_u32_e32 v26, s15, v24
	v_cmp_le_u32_e64 s[8:9], s15, v24
	s_nop 1
	v_cndmask_b32_e64 v24, v24, v26, s[8:9]
	v_xor_b32_e32 v24, v24, v25
	v_sub_u32_e32 v24, v24, v25
	v_cmp_ne_u32_e64 s[8:9], 0, v24
	s_and_b64 s[8:9], s[8:9], s[10:11]
	s_and_saveexec_b64 s[10:11], s[8:9]
	s_xor_b64 s[8:9], exec, s[10:11]
	s_cbranch_execz .LBB55_17
; %bb.14:                               ;   in Loop: Header=BB55_13 Depth=1
	s_and_saveexec_b64 s[10:11], vcc
; %bb.15:                               ;   in Loop: Header=BB55_13 Depth=1
	ds_write_b32 v15, v16
; %bb.16:                               ;   in Loop: Header=BB55_13 Depth=1
	s_or_b64 exec, exec, s[10:11]
.LBB55_17:                              ;   in Loop: Header=BB55_13 Depth=1
	s_andn2_saveexec_b64 s[10:11], s[8:9]
	s_cbranch_execz .LBB55_12
; %bb.18:                               ;   in Loop: Header=BB55_13 Depth=1
	global_load_dword v23, v[4:5], off
	s_waitcnt vmcnt(0)
	v_mad_i64_i32 v[24:25], s[8:9], v23, s45, 0
	v_lshl_add_u64 v[24:25], v[24:25], 1, v[2:3]
	global_load_ushort v26, v[24:25], off
	global_load_ushort v27, v[24:25], off offset:128
	global_load_ushort v28, v[24:25], off offset:256
	global_load_ushort v30, v[24:25], off offset:384
	global_load_ushort v32, v[24:25], off offset:512
	global_load_ushort v35, v[24:25], off offset:640
	global_load_ushort v36, v[24:25], off offset:768
	global_load_ushort v37, v[24:25], off offset:896
	ds_read_u16 v23, v8
	s_waitcnt lgkmcnt(0)
	;;#ASMSTART
	v_cvt_f32_f16 v23, v23;
	;;#ASMEND
	v_cmp_lt_i32_e64 s[8:9], v19, v18
	s_waitcnt vmcnt(7)
	;;#ASMSTART
	v_cvt_f32_f16 v24, v26;
	;;#ASMEND
	ds_read_u16 v25, v8 offset:2
	s_waitcnt lgkmcnt(0)
	;;#ASMSTART
	v_cvt_f32_f16 v25, v25;
	;;#ASMEND
	s_waitcnt vmcnt(6)
	;;#ASMSTART
	v_cvt_f32_f16 v26, v27;
	;;#ASMEND
	ds_read_u16 v27, v8 offset:4
	v_mul_f32_e32 v25, v25, v26
	v_fmac_f32_e32 v25, v23, v24
	s_waitcnt lgkmcnt(0)
	;;#ASMSTART
	v_cvt_f32_f16 v27, v27;
	;;#ASMEND
	s_waitcnt vmcnt(5)
	;;#ASMSTART
	v_cvt_f32_f16 v28, v28;
	;;#ASMEND
	ds_read_u16 v29, v8 offset:6
	v_fmac_f32_e32 v25, v27, v28
	s_waitcnt lgkmcnt(0)
	;;#ASMSTART
	v_cvt_f32_f16 v29, v29;
	;;#ASMEND
	s_waitcnt vmcnt(4)
	;;#ASMSTART
	v_cvt_f32_f16 v30, v30;
	;;#ASMEND
	ds_read_u16 v31, v8 offset:8
	;; [unrolled: 10-line block ×3, first 2 shown]
	v_fmac_f32_e32 v25, v31, v32
	s_waitcnt lgkmcnt(0)
	;;#ASMSTART
	v_cvt_f32_f16 v34, v34;
	;;#ASMEND
	s_waitcnt vmcnt(2)
	;;#ASMSTART
	v_cvt_f32_f16 v35, v35;
	;;#ASMEND
	v_cndmask_b32_e64 v33, v17, v19, s[8:9]
	v_fmac_f32_e32 v25, v34, v35
	ds_read_u16 v38, v8 offset:12
	s_waitcnt lgkmcnt(0)
	;;#ASMSTART
	v_cvt_f32_f16 v23, v38;
	;;#ASMEND
	s_waitcnt vmcnt(1)
	;;#ASMSTART
	v_cvt_f32_f16 v24, v36;
	;;#ASMEND
	v_lshlrev_b32_e32 v33, 2, v33
	v_fmac_f32_e32 v25, v23, v24
	ds_read_u16 v26, v8 offset:14
	s_waitcnt lgkmcnt(0)
	;;#ASMSTART
	v_cvt_f32_f16 v23, v26;
	;;#ASMEND
	s_waitcnt vmcnt(0)
	;;#ASMSTART
	v_cvt_f32_f16 v24, v37;
	;;#ASMEND
	v_cmp_lt_i32_e64 s[8:9], v20, v18
	v_fmac_f32_e32 v25, v23, v24
	ds_bpermute_b32 v23, v33, v25
	v_cndmask_b32_e64 v24, v17, v20, s[8:9]
	v_lshlrev_b32_e32 v24, 2, v24
	v_cmp_lt_i32_e64 s[8:9], v21, v18
	s_waitcnt lgkmcnt(0)
	v_add_f32_e32 v23, v25, v23
	ds_bpermute_b32 v24, v24, v23
	v_cndmask_b32_e64 v25, v17, v21, s[8:9]
	s_waitcnt lgkmcnt(0)
	v_add_f32_e32 v23, v23, v24
	v_lshlrev_b32_e32 v24, 2, v25
	ds_bpermute_b32 v24, v24, v23
	s_and_saveexec_b64 s[40:41], vcc
	s_cbranch_execz .LBB55_11
; %bb.19:                               ;   in Loop: Header=BB55_13 Depth=1
	v_add_u32_e32 v25, v14, v11
	v_cvt_f32_i32_e32 v25, v25
	s_waitcnt lgkmcnt(0)
	v_add_f32_e32 v23, v23, v24
	v_add_u32_e32 v26, v7, v11
	v_cmp_gt_i32_e64 s[8:9], s21, v26
	v_mul_f32_e32 v24, s44, v25
	v_cndmask_b32_e64 v24, 0, v24, s[0:1]
	v_fmac_f32_e32 v24, s35, v23
	v_cndmask_b32_e64 v23, 0, v24, s[8:9]
	ds_write_b32 v15, v23
	v_max_f32_e32 v23, v9, v9
	v_max_f32_e32 v23, v23, v24
	v_cndmask_b32_e64 v9, v9, v23, s[8:9]
	s_branch .LBB55_11
.LBB55_20:
	s_or_b64 exec, exec, s[38:39]
.LBB55_21:
	s_or_b64 exec, exec, s[36:37]
	v_mbcnt_hi_u32_b32 v2, -1, v6
	v_and_b32_e32 v10, 64, v2
	v_add_u32_e32 v3, 64, v10
	v_xor_b32_e32 v4, 32, v2
	v_cmp_lt_i32_e32 vcc, v4, v3
	v_xor_b32_e32 v7, 16, v2
	v_max_f32_e32 v6, v9, v9
	v_cndmask_b32_e32 v4, v2, v4, vcc
	v_lshlrev_b32_e32 v5, 2, v4
	ds_bpermute_b32 v4, v5, v9
	v_cmp_lt_i32_e32 vcc, v7, v3
	v_xor_b32_e32 v8, 8, v2
	v_and_b32_e32 v14, 63, v0
	s_waitcnt lgkmcnt(0)
	v_max_f32_e32 v4, v4, v4
	v_max_f32_e32 v4, v6, v4
	v_cndmask_b32_e32 v6, v2, v7, vcc
	v_lshlrev_b32_e32 v7, 2, v6
	ds_bpermute_b32 v6, v7, v4
	v_cmp_lt_i32_e32 vcc, v8, v3
	s_waitcnt lgkmcnt(0)
	v_max_f32_e32 v6, v6, v6
	v_max_f32_e32 v6, v4, v6
	v_cndmask_b32_e32 v4, v2, v8, vcc
	v_lshlrev_b32_e32 v9, 2, v4
	ds_bpermute_b32 v8, v9, v6
	v_cmp_eq_u32_e32 vcc, 0, v14
	v_lshlrev_b32_e32 v4, 2, v12
	s_and_saveexec_b64 s[0:1], vcc
	s_cbranch_execz .LBB55_23
; %bb.22:
	s_waitcnt lgkmcnt(0)
	v_max_f32_e32 v8, v8, v8
	v_max_f32_e32 v6, v6, v6
	v_max_f32_e32 v6, v6, v8
	ds_write_b32 v4, v6 offset:128
.LBB55_23:
	s_or_b64 exec, exec, s[0:1]
	v_cmp_gt_u32_e64 s[0:1], 2, v14
	v_mov_b32_e32 v11, 0xff7fffff
	v_lshlrev_b32_e32 v6, 2, v14
	s_waitcnt lgkmcnt(0)
	s_barrier
	s_and_saveexec_b64 s[8:9], s[0:1]
; %bb.24:
	ds_read_b32 v11, v6 offset:128
; %bb.25:
	s_or_b64 exec, exec, s[8:9]
	v_xor_b32_e32 v8, 1, v2
	v_cmp_lt_i32_e64 s[8:9], v8, v3
	v_lshlrev_b32_e32 v10, 2, v10
	s_nop 0
	v_cndmask_b32_e64 v8, v2, v8, s[8:9]
	v_lshlrev_b32_e32 v8, 2, v8
	s_waitcnt lgkmcnt(0)
	ds_bpermute_b32 v15, v8, v11
	v_max_f32_e32 v11, v11, v11
	s_lshl_b32 s8, s42, 3
	s_min_i32 s15, s8, s21
	v_cmp_gt_i32_e64 s[8:9], s15, v0
	s_waitcnt lgkmcnt(0)
	v_max_f32_e32 v15, v15, v15
	v_max_f32_e32 v11, v11, v15
	ds_bpermute_b32 v11, v10, v11
	v_mov_b32_e32 v10, 0
	s_and_saveexec_b64 s[34:35], s[8:9]
	s_cbranch_execz .LBB55_29
; %bb.26:
	v_mov_b32_e32 v10, 0x90
	v_lshl_add_u32 v15, v0, 2, v10
	v_mov_b32_e32 v10, 0
	s_mov_b64 s[36:37], 0
	v_mov_b32_e32 v16, v0
.LBB55_27:                              ; =>This Inner Loop Header: Depth=1
	ds_read_b32 v17, v15
	v_add_u32_e32 v16, 0x80, v16
	v_cmp_le_i32_e64 s[10:11], s15, v16
	s_or_b64 s[36:37], s[10:11], s[36:37]
	s_waitcnt lgkmcnt(0)
	v_sub_f32_e32 v17, v17, v11
	v_mul_f32_e32 v17, 0x3fb8aa3b, v17
	v_exp_f32_e32 v17, v17
	ds_write_b32 v15, v17
	v_add_f32_e32 v10, v10, v17
	v_add_u32_e32 v15, 0x200, v15
	s_andn2_b64 exec, exec, s[36:37]
	s_cbranch_execnz .LBB55_27
; %bb.28:
	s_or_b64 exec, exec, s[36:37]
.LBB55_29:
	s_or_b64 exec, exec, s[34:35]
	ds_bpermute_b32 v5, v5, v10
	s_waitcnt lgkmcnt(0)
	v_add_f32_e32 v5, v10, v5
	ds_bpermute_b32 v7, v7, v5
	s_waitcnt lgkmcnt(0)
	v_add_f32_e32 v5, v5, v7
	ds_bpermute_b32 v7, v9, v5
	v_xor_b32_e32 v9, 4, v2
	v_cmp_lt_i32_e64 s[10:11], v9, v3
	s_waitcnt lgkmcnt(0)
	v_add_f32_e32 v5, v5, v7
	v_cndmask_b32_e64 v9, v2, v9, s[10:11]
	v_lshlrev_b32_e32 v9, 2, v9
	ds_bpermute_b32 v7, v9, v5
	v_xor_b32_e32 v9, 2, v2
	v_cmp_lt_i32_e64 s[10:11], v9, v3
	s_waitcnt lgkmcnt(0)
	v_add_f32_e32 v5, v5, v7
	v_cndmask_b32_e64 v3, v2, v9, s[10:11]
	v_lshlrev_b32_e32 v3, 2, v3
	ds_bpermute_b32 v3, v3, v5
	s_waitcnt lgkmcnt(0)
	v_add_f32_e32 v3, v5, v3
	ds_bpermute_b32 v5, v8, v3
	s_waitcnt lgkmcnt(0)
	v_add_f32_e32 v3, v3, v5
	s_and_saveexec_b64 s[10:11], vcc
; %bb.30:
	ds_write_b32 v4, v3 offset:136
; %bb.31:
	s_or_b64 exec, exec, s[10:11]
	s_waitcnt lgkmcnt(0)
	s_barrier
	s_and_saveexec_b64 s[10:11], s[0:1]
; %bb.32:
	ds_read_b32 v3, v6 offset:136
; %bb.33:
	s_or_b64 exec, exec, s[10:11]
	s_waitcnt lgkmcnt(0)
	ds_bpermute_b32 v4, v8, v3
	v_lshlrev_b32_e32 v2, 2, v2
	v_and_b32_e32 v2, 0x100, v2
	s_waitcnt lgkmcnt(0)
	v_add_f32_e32 v3, v3, v4
	ds_bpermute_b32 v2, v2, v3
	s_and_saveexec_b64 s[0:1], s[8:9]
	s_cbranch_execz .LBB55_46
; %bb.34:
	s_waitcnt lgkmcnt(0)
	v_add_f32_e32 v2, 0x358637bd, v2
	v_div_scale_f32 v3, s[8:9], v2, v2, 1.0
	v_rcp_f32_e32 v4, v3
	v_div_scale_f32 v5, vcc, 1.0, v2, 1.0
	s_movk_i32 s8, 0x7f
	v_fma_f32 v6, -v3, v4, 1.0
	v_fmac_f32_e32 v4, v6, v4
	v_mul_f32_e32 v6, v5, v4
	v_fma_f32 v7, -v3, v6, v5
	v_fmac_f32_e32 v6, v7, v4
	v_fma_f32 v3, -v3, v6, v5
	v_div_fmas_f32 v3, v3, v4, v6
	v_xad_u32 v4, v0, -1, s15
	v_div_fixup_f32 v2, v3, v2, 1.0
	v_cmp_lt_u32_e32 vcc, s8, v4
	s_mov_b64 s[10:11], -1
	v_mov_b32_e32 v3, v0
	s_and_saveexec_b64 s[8:9], vcc
	s_cbranch_execz .LBB55_43
; %bb.35:
	v_lshrrev_b32_e32 v4, 7, v4
	v_add_u32_e32 v6, -1, v4
	v_lshrrev_b32_e32 v5, 1, v6
	v_mov_b32_e32 v3, v2
	v_add_u32_e32 v5, 1, v5
	v_cmp_lt_u32_e32 vcc, 13, v6
	v_mov_b32_e32 v8, 0
	s_and_saveexec_b64 s[10:11], vcc
	s_cbranch_execz .LBB55_39
; %bb.36:
	v_mov_b32_e32 v7, 0x90
	v_and_b32_e32 v6, -8, v5
	v_lshl_add_u32 v7, v0, 2, v7
	s_mov_b32 s36, 0
	s_mov_b64 s[34:35], 0
.LBB55_37:                              ; =>This Inner Loop Header: Depth=1
	ds_read2st64_b32 v[8:9], v7 offset1:2
	ds_read2st64_b32 v[10:11], v7 offset0:4 offset1:6
	ds_read2st64_b32 v[16:17], v7 offset0:8 offset1:10
	;; [unrolled: 1-line block ×3, first 2 shown]
	v_add_u32_e32 v6, -8, v6
	s_waitcnt lgkmcnt(3)
	v_pk_mul_f32 v[8:9], v[2:3], v[8:9]
	s_waitcnt lgkmcnt(2)
	v_pk_mul_f32 v[10:11], v[2:3], v[10:11]
	ds_write2st64_b32 v7, v8, v9 offset1:2
	ds_write2st64_b32 v7, v10, v11 offset0:4 offset1:6
	ds_read2st64_b32 v[10:11], v7 offset0:16 offset1:18
	s_waitcnt lgkmcnt(4)
	v_pk_mul_f32 v[8:9], v[2:3], v[16:17]
	ds_write2st64_b32 v7, v8, v9 offset0:8 offset1:10
	s_waitcnt lgkmcnt(4)
	v_pk_mul_f32 v[8:9], v[2:3], v[18:19]
	ds_write2st64_b32 v7, v8, v9 offset0:12 offset1:14
	ds_read2st64_b32 v[8:9], v7 offset0:20 offset1:22
	s_waitcnt lgkmcnt(3)
	v_pk_mul_f32 v[10:11], v[2:3], v[10:11]
	ds_read2st64_b32 v[16:17], v7 offset0:24 offset1:26
	ds_write2st64_b32 v7, v10, v11 offset0:16 offset1:18
	ds_read2st64_b32 v[10:11], v7 offset0:28 offset1:30
	s_waitcnt lgkmcnt(3)
	v_pk_mul_f32 v[8:9], v[2:3], v[8:9]
	ds_write2st64_b32 v7, v8, v9 offset0:20 offset1:22
	s_waitcnt lgkmcnt(3)
	v_pk_mul_f32 v[8:9], v[2:3], v[16:17]
	ds_write2st64_b32 v7, v8, v9 offset0:24 offset1:26
	s_waitcnt lgkmcnt(2)
	v_pk_mul_f32 v[8:9], v[2:3], v[10:11]
	s_add_i32 s36, s36, 16
	v_cmp_eq_u32_e32 vcc, 0, v6
	ds_write2st64_b32 v7, v8, v9 offset0:28 offset1:30
	v_add_u32_e32 v7, 0x2000, v7
	s_or_b64 s[34:35], vcc, s[34:35]
	v_mov_b32_e32 v8, s36
	s_andn2_b64 exec, exec, s[34:35]
	s_cbranch_execnz .LBB55_37
; %bb.38:
	s_or_b64 exec, exec, s[34:35]
.LBB55_39:
	s_or_b64 exec, exec, s[10:11]
	v_and_b32_e32 v5, 7, v5
	v_cmp_ne_u32_e32 vcc, 0, v5
	s_and_saveexec_b64 s[10:11], vcc
	s_cbranch_execz .LBB55_42
; %bb.40:
	v_lshlrev_b32_e32 v6, 9, v8
	v_lshlrev_b32_e32 v7, 2, v0
	s_movk_i32 s34, 0x90
	v_add3_u32 v6, v6, v7, s34
	s_mov_b64 s[34:35], 0
.LBB55_41:                              ; =>This Inner Loop Header: Depth=1
	ds_read2st64_b32 v[8:9], v6 offset1:2
	v_add_u32_e32 v5, -1, v5
	v_cmp_eq_u32_e32 vcc, 0, v5
	s_or_b64 s[34:35], vcc, s[34:35]
	s_waitcnt lgkmcnt(0)
	v_pk_mul_f32 v[8:9], v[2:3], v[8:9]
	ds_write2st64_b32 v6, v8, v9 offset1:2
	v_add_u32_e32 v6, 0x400, v6
	s_andn2_b64 exec, exec, s[34:35]
	s_cbranch_execnz .LBB55_41
.LBB55_42:
	s_or_b64 exec, exec, s[10:11]
	v_add_u32_e32 v4, 1, v4
	v_and_b32_e32 v5, 0x3fffffe, v4
	v_cmp_ne_u32_e32 vcc, v4, v5
	v_lshl_add_u32 v3, v5, 7, v0
	s_orn2_b64 s[10:11], vcc, exec
.LBB55_43:
	s_or_b64 exec, exec, s[8:9]
	s_and_b64 exec, exec, s[10:11]
	s_cbranch_execz .LBB55_46
; %bb.44:
	v_mov_b32_e32 v4, 0x90
	v_lshl_add_u32 v4, v3, 2, v4
	s_mov_b64 s[8:9], 0
.LBB55_45:                              ; =>This Inner Loop Header: Depth=1
	ds_read_b32 v5, v4
	v_add_u32_e32 v3, 0x80, v3
	v_cmp_le_i32_e32 vcc, s15, v3
	s_or_b64 s[8:9], vcc, s[8:9]
	s_waitcnt lgkmcnt(0)
	v_mul_f32_e32 v5, v2, v5
	ds_write_b32 v4, v5
	v_add_u32_e32 v4, 0x200, v4
	s_andn2_b64 exec, exec, s[8:9]
	s_cbranch_execnz .LBB55_45
.LBB55_46:
	s_or_b64 exec, exec, s[0:1]
	v_mov_b32_e32 v15, 0
	s_waitcnt lgkmcnt(0)
	s_barrier
	s_and_saveexec_b64 s[8:9], s[2:3]
	s_cbranch_execz .LBB55_54
; %bb.47:
	s_ashr_i32 s15, s14, 31
	s_sub_i32 s17, s43, s17
	s_lshl_b64 s[0:1], s[14:15], 1
	s_add_u32 s0, s30, s0
	s_addc_u32 s1, s31, s1
	s_abs_i32 s14, s18
	v_cvt_f32_u32_e32 v2, s14
	v_lshlrev_b32_e32 v6, 4, v14
	v_mov_b32_e32 v7, 0
	v_lshl_add_u64 v[8:9], s[0:1], 0, v[6:7]
	v_rcp_iflag_f32_e32 v2, v2
	s_sub_i32 s0, 0, s14
	s_add_i32 s18, s42, -1
	v_and_b32_e32 v6, 60, v1
	v_mul_f32_e32 v2, 0x4f7ffffe, v2
	v_cvt_u32_f32_e32 v2, v2
	v_mov_b32_e32 v1, 0x90
	s_mov_b32 s15, s21
	v_lshl_add_u32 v17, v12, 5, v1
	v_mul_lo_u32 v3, s0, v2
	s_lshl_b64 s[0:1], s[28:29], 2
	s_add_u32 s0, s26, s0
	v_mul_hi_u32 v3, v2, v3
	s_addc_u32 s1, s27, s1
	v_add_u32_e32 v16, v2, v3
	v_lshl_add_u64 v[10:11], s[0:1], 0, v[6:7]
	s_mov_b64 s[2:3], 0
	s_mov_b32 s26, 0xffff
	v_mov_b32_e32 v15, 0
	s_branch .LBB55_50
.LBB55_48:                              ;   in Loop: Header=BB55_50 Depth=1
	s_or_b64 exec, exec, s[10:11]
	v_and_b32_e32 v18, 0xffff, v18
	v_lshlrev_b32_e32 v6, 16, v6
	v_lshlrev_b32_e32 v1, 16, v1
	v_lshl_or_b32 v18, v19, 16, v18
	v_and_b32_e32 v19, 0xffff, v20
	v_and_or_b32 v2, v2, s26, v6
	v_and_or_b32 v1, v3, s26, v1
	v_lshlrev_b32_e32 v3, 16, v26
	v_lshl_or_b32 v19, v21, 16, v19
	v_and_b32_e32 v20, 0xffff, v22
	v_and_b32_e32 v21, 0xffff, v24
	v_and_or_b32 v3, v4, s26, v3
	;;#ASMSTART
	v_pk_mul_f16 v2, v18, v2;

	;;#ASMEND
	;;#ASMSTART
	v_pk_mul_f16 v1, v19, v1;

	;;#ASMEND
	v_lshl_or_b32 v20, v23, 16, v20
	v_lshl_or_b32 v21, v25, 16, v21
	;;#ASMSTART
	v_pk_mul_f16 v3, v20, v3;

	;;#ASMEND
	;;#ASMSTART
	v_pk_mul_f16 v4, v21, v5;

	;;#ASMEND
	;;#ASMSTART
	v_pk_add_f16 v1, v2, v1;

	;;#ASMEND
	s_nop 0
	;;#ASMSTART
	v_pk_add_f16 v1, v1, v3;

	;;#ASMEND
	s_nop 0
	;; [unrolled: 5-line block ×3, first 2 shown]
	v_lshrrev_b32_e32 v2, 16, v1
	v_and_b32_e32 v1, 0xffff, v1
	;;#ASMSTART
	v_cvt_f32_f16 v1, v1;
	;;#ASMEND
	;;#ASMSTART
	v_cvt_f32_f16 v2, v2;
	;;#ASMEND
	s_nop 0
	v_add_f32_e32 v1, v1, v2
	v_add_f32_e32 v15, v15, v1
.LBB55_49:                              ;   in Loop: Header=BB55_50 Depth=1
	s_or_b64 exec, exec, s[0:1]
	v_add_u32_e32 v12, 2, v12
	v_cmp_le_i32_e32 vcc, s42, v12
	v_lshl_add_u64 v[10:11], v[10:11], 0, 8
	v_add_u32_e32 v13, 16, v13
	s_or_b64 s[2:3], vcc, s[2:3]
	v_add_u32_e32 v17, 64, v17
	s_andn2_b64 exec, exec, s[2:3]
	s_cbranch_execz .LBB55_53
.LBB55_50:                              ; =>This Inner Loop Header: Depth=1
	v_mul_hi_u32 v1, v13, s23
	v_mul_lo_u32 v2, v1, s12
	v_sub_u32_e32 v2, v13, v2
	v_add_u32_e32 v3, 1, v1
	v_cmp_le_u32_e32 vcc, s12, v2
	s_nop 1
	v_cndmask_b32_e32 v1, v1, v3, vcc
	v_subrev_u32_e32 v3, s12, v2
	v_cndmask_b32_e32 v2, v2, v3, vcc
	v_add_u32_e32 v3, 1, v1
	v_cmp_le_u32_e32 vcc, s12, v2
	s_nop 1
	v_cndmask_b32_e32 v1, v1, v3, vcc
	v_xor_b32_e32 v1, s19, v1
	v_subrev_u32_e32 v1, s19, v1
	v_add_u32_e32 v2, s33, v1
	v_sub_u32_e32 v4, 0, v2
	v_ashrrev_i32_e32 v3, 31, v2
	v_max_i32_e32 v2, v2, v4
	v_mul_hi_u32 v4, v2, v16
	v_mul_lo_u32 v4, v4, s14
	v_sub_u32_e32 v2, v2, v4
	v_subrev_u32_e32 v4, s14, v2
	v_cmp_le_u32_e32 vcc, s14, v2
	v_cmp_lt_i32_e64 s[0:1], s17, v1
	s_nop 0
	v_cndmask_b32_e32 v2, v2, v4, vcc
	v_subrev_u32_e32 v4, s14, v2
	v_cmp_le_u32_e32 vcc, s14, v2
	s_nop 1
	v_cndmask_b32_e32 v2, v2, v4, vcc
	v_xor_b32_e32 v2, v2, v3
	v_sub_u32_e32 v2, v2, v3
	v_cmp_eq_u32_e32 vcc, 0, v2
	s_or_b64 s[10:11], vcc, s[0:1]
	s_and_saveexec_b64 s[0:1], s[10:11]
	s_cbranch_execz .LBB55_49
; %bb.51:                               ;   in Loop: Header=BB55_50 Depth=1
	global_load_dword v1, v[10:11], off
	ds_read2_b64 v[2:5], v17 offset1:1
	ds_read2_b64 v[22:25], v17 offset0:2 offset1:3
	v_cmp_eq_u32_e32 vcc, s18, v12
	s_waitcnt lgkmcnt(1)
	;;#ASMSTART
	v_cvt_f16_f32 v18, v2;

	;;#ASMEND
	;;#ASMSTART
	v_cvt_f16_f32 v19, v3;

	;;#ASMEND
	;;#ASMSTART
	v_cvt_f16_f32 v20, v4;

	;;#ASMEND
	;;#ASMSTART
	v_cvt_f16_f32 v21, v5;

	;;#ASMEND
	s_waitcnt lgkmcnt(0)
	;;#ASMSTART
	v_cvt_f16_f32 v22, v22;

	;;#ASMEND
	;;#ASMSTART
	v_cvt_f16_f32 v23, v23;

	;;#ASMEND
	;; [unrolled: 4-line block ×4, first 2 shown]
	s_waitcnt vmcnt(0)
	v_mad_i64_i32 v[2:3], s[10:11], v1, s13, 0
	v_lshl_add_u64 v[2:3], v[2:3], 1, v[8:9]
	global_load_dwordx4 v[2:5], v[2:3], off
	s_waitcnt vmcnt(0)
	v_lshrrev_b32_e32 v1, 16, v3
	v_lshrrev_b32_e32 v6, 16, v2
	;; [unrolled: 1-line block ×3, first 2 shown]
	s_and_saveexec_b64 s[10:11], vcc
	s_cbranch_execz .LBB55_48
; %bb.52:                               ;   in Loop: Header=BB55_50 Depth=1
	v_cmp_gt_i32_e32 vcc, s21, v13
	v_add_u32_e32 v29, 2, v13
	v_or_b32_e32 v27, 3, v13
	v_cndmask_b32_e32 v2, 0, v2, vcc
	v_cmp_gt_i32_e32 vcc, s21, v29
	v_or_b32_e32 v28, 1, v13
	s_nop 0
	v_cndmask_b32_e32 v3, 0, v3, vcc
	v_cmp_gt_i32_e32 vcc, s15, v27
	v_add_u32_e32 v27, 4, v13
	s_nop 0
	v_cndmask_b32_e32 v1, 0, v1, vcc
	v_cmp_gt_i32_e32 vcc, s21, v28
	v_add_u32_e32 v28, 7, v13
	s_nop 0
	v_cndmask_b32_e32 v6, 0, v6, vcc
	v_cmp_gt_i32_e32 vcc, s21, v27
	v_add_u32_e32 v27, 5, v13
	s_nop 0
	v_cndmask_b32_e32 v4, 0, v4, vcc
	v_cmp_gt_i32_e32 vcc, s21, v27
	v_add_u32_e32 v27, 6, v13
	s_nop 0
	v_cndmask_b32_e32 v26, 0, v26, vcc
	v_cmp_gt_i32_e32 vcc, s21, v27
	s_nop 1
	v_cndmask_b32_sdwa v27, v7, v5, vcc dst_sel:DWORD dst_unused:UNUSED_PAD src0_sel:DWORD src1_sel:WORD_0
	v_and_b32_e32 v5, 0xffff0000, v5
	v_cmp_gt_i32_e32 vcc, s21, v28
	s_nop 1
	v_cndmask_b32_e32 v5, 0, v5, vcc
	v_or_b32_e32 v5, v27, v5
	s_branch .LBB55_48
.LBB55_53:
	s_or_b64 exec, exec, s[2:3]
.LBB55_54:
	s_or_b64 exec, exec, s[8:9]
	v_and_b32_e32 v0, 0x3c0, v0
	v_cmp_eq_u32_e32 vcc, 64, v0
	v_mov_b32_e32 v0, 0x90
	v_lshl_add_u32 v0, v14, 2, v0
	s_barrier
	s_and_saveexec_b64 s[0:1], vcc
; %bb.55:
	ds_write_b32 v0, v15
; %bb.56:
	s_or_b64 exec, exec, s[0:1]
	s_waitcnt lgkmcnt(0)
	s_barrier
	s_and_saveexec_b64 s[0:1], s[6:7]
	s_cbranch_execz .LBB55_58
; %bb.57:
	ds_read_b32 v0, v0
	s_waitcnt lgkmcnt(0)
	v_add_f32_e32 v15, v15, v0
.LBB55_58:
	s_or_b64 exec, exec, s[0:1]
	s_barrier
	s_and_saveexec_b64 s[0:1], s[6:7]
	s_cbranch_execz .LBB55_60
; %bb.59:
	s_mul_i32 s0, s20, s16
	s_mul_i32 s0, s0, s5
	s_lshl_b32 s0, s0, 6
	s_ashr_i32 s1, s0, 31
	s_lshl_b64 s[0:1], s[0:1], 1
	s_add_u32 s2, s24, s0
	s_mul_i32 s0, s16, s22
	s_addc_u32 s3, s25, s1
	s_ashr_i32 s1, s0, 31
	s_lshl_b64 s[0:1], s[0:1], 1
	s_add_u32 s2, s2, s0
	s_addc_u32 s3, s3, s1
	s_lshl_b32 s0, s4, 6
	s_ashr_i32 s1, s0, 31
	s_lshl_b64 s[0:1], s[0:1], 1
	s_add_u32 s0, s2, s0
	s_addc_u32 s1, s3, s1
	v_lshlrev_b32_e32 v0, 1, v14
	;;#ASMSTART
	v_cvt_f16_f32 v1, v15;

	;;#ASMEND
	global_store_short v0, v1, s[0:1]
.LBB55_60:
	s_endpgm
	.section	.rodata,"a",@progbits
	.p2align	6, 0x0
	.amdhsa_kernel _ZN4vllm25paged_attention_v1_kernelIttLi64ELi8ELi128ELNS_18Fp8KVCacheDataTypeE0ELb1EEEvPT_PKS2_PKT0_S8_ifPKiSA_iPKfiiiSC_SC_iiiii
		.amdhsa_group_segment_fixed_size 144
		.amdhsa_private_segment_fixed_size 0
		.amdhsa_kernarg_size 384
		.amdhsa_user_sgpr_count 2
		.amdhsa_user_sgpr_dispatch_ptr 0
		.amdhsa_user_sgpr_queue_ptr 0
		.amdhsa_user_sgpr_kernarg_segment_ptr 1
		.amdhsa_user_sgpr_dispatch_id 0
		.amdhsa_user_sgpr_kernarg_preload_length 0
		.amdhsa_user_sgpr_kernarg_preload_offset 0
		.amdhsa_user_sgpr_private_segment_size 0
		.amdhsa_uses_dynamic_stack 0
		.amdhsa_enable_private_segment 0
		.amdhsa_system_sgpr_workgroup_id_x 1
		.amdhsa_system_sgpr_workgroup_id_y 1
		.amdhsa_system_sgpr_workgroup_id_z 1
		.amdhsa_system_sgpr_workgroup_info 0
		.amdhsa_system_vgpr_workitem_id 0
		.amdhsa_next_free_vgpr 39
		.amdhsa_next_free_sgpr 46
		.amdhsa_accum_offset 40
		.amdhsa_reserve_vcc 1
		.amdhsa_float_round_mode_32 0
		.amdhsa_float_round_mode_16_64 0
		.amdhsa_float_denorm_mode_32 3
		.amdhsa_float_denorm_mode_16_64 3
		.amdhsa_dx10_clamp 1
		.amdhsa_ieee_mode 1
		.amdhsa_fp16_overflow 0
		.amdhsa_tg_split 0
		.amdhsa_exception_fp_ieee_invalid_op 0
		.amdhsa_exception_fp_denorm_src 0
		.amdhsa_exception_fp_ieee_div_zero 0
		.amdhsa_exception_fp_ieee_overflow 0
		.amdhsa_exception_fp_ieee_underflow 0
		.amdhsa_exception_fp_ieee_inexact 0
		.amdhsa_exception_int_div_zero 0
	.end_amdhsa_kernel
	.section	.text._ZN4vllm25paged_attention_v1_kernelIttLi64ELi8ELi128ELNS_18Fp8KVCacheDataTypeE0ELb1EEEvPT_PKS2_PKT0_S8_ifPKiSA_iPKfiiiSC_SC_iiiii,"axG",@progbits,_ZN4vllm25paged_attention_v1_kernelIttLi64ELi8ELi128ELNS_18Fp8KVCacheDataTypeE0ELb1EEEvPT_PKS2_PKT0_S8_ifPKiSA_iPKfiiiSC_SC_iiiii,comdat
.Lfunc_end55:
	.size	_ZN4vllm25paged_attention_v1_kernelIttLi64ELi8ELi128ELNS_18Fp8KVCacheDataTypeE0ELb1EEEvPT_PKS2_PKT0_S8_ifPKiSA_iPKfiiiSC_SC_iiiii, .Lfunc_end55-_ZN4vllm25paged_attention_v1_kernelIttLi64ELi8ELi128ELNS_18Fp8KVCacheDataTypeE0ELb1EEEvPT_PKS2_PKT0_S8_ifPKiSA_iPKfiiiSC_SC_iiiii
                                        ; -- End function
	.set _ZN4vllm25paged_attention_v1_kernelIttLi64ELi8ELi128ELNS_18Fp8KVCacheDataTypeE0ELb1EEEvPT_PKS2_PKT0_S8_ifPKiSA_iPKfiiiSC_SC_iiiii.num_vgpr, 39
	.set _ZN4vllm25paged_attention_v1_kernelIttLi64ELi8ELi128ELNS_18Fp8KVCacheDataTypeE0ELb1EEEvPT_PKS2_PKT0_S8_ifPKiSA_iPKfiiiSC_SC_iiiii.num_agpr, 0
	.set _ZN4vllm25paged_attention_v1_kernelIttLi64ELi8ELi128ELNS_18Fp8KVCacheDataTypeE0ELb1EEEvPT_PKS2_PKT0_S8_ifPKiSA_iPKfiiiSC_SC_iiiii.numbered_sgpr, 46
	.set _ZN4vllm25paged_attention_v1_kernelIttLi64ELi8ELi128ELNS_18Fp8KVCacheDataTypeE0ELb1EEEvPT_PKS2_PKT0_S8_ifPKiSA_iPKfiiiSC_SC_iiiii.num_named_barrier, 0
	.set _ZN4vllm25paged_attention_v1_kernelIttLi64ELi8ELi128ELNS_18Fp8KVCacheDataTypeE0ELb1EEEvPT_PKS2_PKT0_S8_ifPKiSA_iPKfiiiSC_SC_iiiii.private_seg_size, 0
	.set _ZN4vllm25paged_attention_v1_kernelIttLi64ELi8ELi128ELNS_18Fp8KVCacheDataTypeE0ELb1EEEvPT_PKS2_PKT0_S8_ifPKiSA_iPKfiiiSC_SC_iiiii.uses_vcc, 1
	.set _ZN4vllm25paged_attention_v1_kernelIttLi64ELi8ELi128ELNS_18Fp8KVCacheDataTypeE0ELb1EEEvPT_PKS2_PKT0_S8_ifPKiSA_iPKfiiiSC_SC_iiiii.uses_flat_scratch, 0
	.set _ZN4vllm25paged_attention_v1_kernelIttLi64ELi8ELi128ELNS_18Fp8KVCacheDataTypeE0ELb1EEEvPT_PKS2_PKT0_S8_ifPKiSA_iPKfiiiSC_SC_iiiii.has_dyn_sized_stack, 0
	.set _ZN4vllm25paged_attention_v1_kernelIttLi64ELi8ELi128ELNS_18Fp8KVCacheDataTypeE0ELb1EEEvPT_PKS2_PKT0_S8_ifPKiSA_iPKfiiiSC_SC_iiiii.has_recursion, 0
	.set _ZN4vllm25paged_attention_v1_kernelIttLi64ELi8ELi128ELNS_18Fp8KVCacheDataTypeE0ELb1EEEvPT_PKS2_PKT0_S8_ifPKiSA_iPKfiiiSC_SC_iiiii.has_indirect_call, 0
	.section	.AMDGPU.csdata,"",@progbits
; Kernel info:
; codeLenInByte = 4568
; TotalNumSgprs: 52
; NumVgprs: 39
; NumAgprs: 0
; TotalNumVgprs: 39
; ScratchSize: 0
; MemoryBound: 0
; FloatMode: 240
; IeeeMode: 1
; LDSByteSize: 144 bytes/workgroup (compile time only)
; SGPRBlocks: 6
; VGPRBlocks: 4
; NumSGPRsForWavesPerEU: 52
; NumVGPRsForWavesPerEU: 39
; AccumOffset: 40
; Occupancy: 8
; WaveLimiterHint : 1
; COMPUTE_PGM_RSRC2:SCRATCH_EN: 0
; COMPUTE_PGM_RSRC2:USER_SGPR: 2
; COMPUTE_PGM_RSRC2:TRAP_HANDLER: 0
; COMPUTE_PGM_RSRC2:TGID_X_EN: 1
; COMPUTE_PGM_RSRC2:TGID_Y_EN: 1
; COMPUTE_PGM_RSRC2:TGID_Z_EN: 1
; COMPUTE_PGM_RSRC2:TIDIG_COMP_CNT: 0
; COMPUTE_PGM_RSRC3_GFX90A:ACCUM_OFFSET: 9
; COMPUTE_PGM_RSRC3_GFX90A:TG_SPLIT: 0
	.section	.text._ZN4vllm25paged_attention_v1_kernelIttLi80ELi8ELi128ELNS_18Fp8KVCacheDataTypeE0ELb1EEEvPT_PKS2_PKT0_S8_ifPKiSA_iPKfiiiSC_SC_iiiii,"axG",@progbits,_ZN4vllm25paged_attention_v1_kernelIttLi80ELi8ELi128ELNS_18Fp8KVCacheDataTypeE0ELb1EEEvPT_PKS2_PKT0_S8_ifPKiSA_iPKfiiiSC_SC_iiiii,comdat
	.protected	_ZN4vllm25paged_attention_v1_kernelIttLi80ELi8ELi128ELNS_18Fp8KVCacheDataTypeE0ELb1EEEvPT_PKS2_PKT0_S8_ifPKiSA_iPKfiiiSC_SC_iiiii ; -- Begin function _ZN4vllm25paged_attention_v1_kernelIttLi80ELi8ELi128ELNS_18Fp8KVCacheDataTypeE0ELb1EEEvPT_PKS2_PKT0_S8_ifPKiSA_iPKfiiiSC_SC_iiiii
	.globl	_ZN4vllm25paged_attention_v1_kernelIttLi80ELi8ELi128ELNS_18Fp8KVCacheDataTypeE0ELb1EEEvPT_PKS2_PKT0_S8_ifPKiSA_iPKfiiiSC_SC_iiiii
	.p2align	8
	.type	_ZN4vllm25paged_attention_v1_kernelIttLi80ELi8ELi128ELNS_18Fp8KVCacheDataTypeE0ELb1EEEvPT_PKS2_PKT0_S8_ifPKiSA_iPKfiiiSC_SC_iiiii,@function
_ZN4vllm25paged_attention_v1_kernelIttLi80ELi8ELi128ELNS_18Fp8KVCacheDataTypeE0ELb1EEEvPT_PKS2_PKT0_S8_ifPKiSA_iPKfiiiSC_SC_iiiii: ; @_ZN4vllm25paged_attention_v1_kernelIttLi80ELi8ELi128ELNS_18Fp8KVCacheDataTypeE0ELb1EEEvPT_PKS2_PKT0_S8_ifPKiSA_iPKfiiiSC_SC_iiiii
; %bb.0:
	s_load_dword s5, s[0:1], 0x80
	s_load_dwordx2 s[6:7], s[0:1], 0x30
	s_load_dwordx2 s[34:35], s[0:1], 0x20
	s_mov_b32 s20, s3
	s_ashr_i32 s21, s3, 31
	s_lshl_b64 s[8:9], s[20:21], 2
	s_waitcnt lgkmcnt(0)
	s_add_u32 s6, s6, s8
	s_addc_u32 s7, s7, s9
	s_abs_i32 s3, s34
	v_cvt_f32_u32_e32 v1, s3
	s_sub_i32 s10, 0, s3
	s_abs_i32 s9, s5
	s_xor_b32 s8, s5, s34
	v_rcp_iflag_f32_e32 v1, v1
	s_ashr_i32 s8, s8, 31
	s_mov_b32 s46, 0
	v_mul_f32_e32 v1, 0x4f7ffffe, v1
	v_cvt_u32_f32_e32 v1, v1
	s_nop 0
	v_readfirstlane_b32 s11, v1
	s_mul_i32 s10, s10, s11
	s_mul_hi_u32 s10, s11, s10
	s_add_i32 s11, s11, s10
	s_mul_hi_u32 s10, s9, s11
	s_mul_i32 s11, s10, s3
	s_sub_i32 s9, s9, s11
	s_add_i32 s11, s10, 1
	s_sub_i32 s12, s9, s3
	s_cmp_ge_u32 s9, s3
	s_cselect_b32 s10, s11, s10
	s_cselect_b32 s9, s12, s9
	s_add_i32 s11, s10, 1
	s_cmp_ge_u32 s9, s3
	s_cselect_b32 s3, s11, s10
	s_xor_b32 s3, s3, s8
	s_sub_i32 s12, s3, s8
	s_abs_i32 s10, s12
	v_cvt_f32_u32_e32 v1, s10
	s_load_dwordx2 s[8:9], s[0:1], 0x40
	s_sub_i32 s3, 0, s10
	s_abs_i32 s11, s2
	v_rcp_iflag_f32_e32 v1, v1
	s_nop 0
	v_mul_f32_e32 v1, 0x4f7ffffe, v1
	v_cvt_u32_f32_e32 v1, v1
	s_nop 0
	v_readfirstlane_b32 s13, v1
	s_mul_i32 s3, s3, s13
	s_mul_hi_u32 s3, s13, s3
	s_add_i32 s13, s13, s3
	s_waitcnt lgkmcnt(0)
	s_cmp_eq_u64 s[8:9], 0
	s_mul_hi_u32 s24, s11, s13
	s_cbranch_scc1 .LBB56_2
; %bb.1:
	s_ashr_i32 s3, s2, 31
	s_lshl_b64 s[14:15], s[2:3], 2
	s_add_u32 s8, s8, s14
	s_addc_u32 s9, s9, s15
	s_load_dword s46, s[8:9], 0x0
.LBB56_2:
	s_load_dword s21, s[6:7], 0x0
	s_ashr_i32 s26, s12, 31
	s_load_dwordx4 s[12:15], s[0:1], 0x48
	s_movk_i32 s3, 0x50
	s_ashr_i32 s25, s2, 31
	v_and_b32_e32 v4, 7, v0
	s_mul_i32 s22, s2, 0x50
	v_cmp_gt_u32_e64 s[6:7], s3, v0
	v_lshlrev_b32_e32 v6, 1, v0
	s_and_saveexec_b64 s[8:9], s[6:7]
	s_cbranch_execz .LBB56_4
; %bb.3:
	s_load_dwordx2 s[16:17], s[0:1], 0x8
	s_waitcnt lgkmcnt(0)
	s_mul_i32 s18, s12, s20
	s_ashr_i32 s19, s18, 31
	s_lshl_b64 s[18:19], s[18:19], 1
	v_lshrrev_b32_e32 v2, 2, v0
	s_add_u32 s3, s16, s18
	s_addc_u32 s12, s17, s19
	s_ashr_i32 s23, s22, 31
	s_lshl_b64 s[16:17], s[22:23], 1
	s_add_u32 s16, s3, s16
	s_addc_u32 s17, s12, s17
	global_load_ushort v1, v6, s[16:17]
	v_and_b32_e32 v2, 0xfe, v2
	v_mad_u32_u24 v2, v4, 20, v2
	s_waitcnt vmcnt(0)
	ds_write_b16 v2, v1
.LBB56_4:
	s_or_b64 exec, exec, s[8:9]
	s_mul_i32 s9, s24, s10
	s_sub_i32 s9, s11, s9
	s_xor_b32 s8, s25, s26
	s_add_i32 s11, s24, 1
	s_waitcnt lgkmcnt(0)
	s_sub_i32 s12, s9, s10
	s_load_dwordx4 s[16:19], s[0:1], 0x68
	s_load_dword s3, s[0:1], 0x78
	s_cmp_ge_u32 s9, s10
	s_cselect_b32 s11, s11, s24
	s_cselect_b32 s9, s12, s9
	s_add_i32 s12, s11, 1
	s_cmp_ge_u32 s9, s10
	s_cselect_b32 s9, s12, s11
	s_waitcnt lgkmcnt(0)
	s_abs_i32 s33, s19
	v_cvt_f32_u32_e32 v1, s33
	s_xor_b32 s9, s9, s8
	s_sub_i32 s10, s9, s8
	s_sub_i32 s8, 0, s33
	v_rcp_iflag_f32_e32 v1, v1
	s_add_i32 s15, s21, -1
	s_abs_i32 s11, s15
	v_mul_f32_e32 v1, 0x4f7ffffe, v1
	v_cvt_u32_f32_e32 v1, v1
	s_barrier
	v_readfirstlane_b32 s42, v1
	s_mul_i32 s8, s8, s42
	s_mul_hi_u32 s8, s42, s8
	s_add_i32 s42, s42, s8
	s_cmp_lt_i32 s3, 0
	s_mul_hi_u32 s12, s11, s42
	s_cbranch_scc0 .LBB56_6
; %bb.5:
	s_mul_i32 s8, s16, s34
	s_add_i32 s8, s10, s8
	s_mul_i32 s8, s8, s3
	s_sub_i32 s43, 1, s8
	s_mov_b64 s[8:9], 0
	s_branch .LBB56_7
.LBB56_6:
	s_mov_b64 s[8:9], -1
                                        ; implicit-def: $sgpr43
.LBB56_7:
	s_load_dwordx2 s[26:27], s[0:1], 0x28
	s_ashr_i32 s15, s15, 31
	s_andn2_b64 vcc, exec, s[8:9]
	s_ashr_i32 s44, s19, 31
	s_cbranch_vccnz .LBB56_9
; %bb.8:
	s_mul_i32 s8, s5, s16
	s_add_i32 s2, s8, s2
	s_mul_i32 s2, s2, s3
	s_add_i32 s43, s2, 1
.LBB56_9:
	s_load_dword s2, s[0:1], 0x38
	s_load_dwordx2 s[24:25], s[0:1], 0x0
	s_load_dwordx2 s[30:31], s[0:1], 0x18
	s_load_dword s23, s[0:1], 0x88
	s_xor_b32 s3, s15, s44
	s_waitcnt lgkmcnt(0)
	s_mul_i32 s28, s2, s20
	s_mul_i32 s2, s12, s33
	s_sub_i32 s2, s11, s2
	s_ashr_i32 s29, s28, 31
	s_add_i32 s8, s12, 1
	s_sub_i32 s9, s2, s33
	s_cmp_ge_u32 s2, s33
	s_cselect_b32 s8, s8, s12
	s_cselect_b32 s2, s9, s2
	s_add_i32 s9, s8, 1
	s_cmp_ge_u32 s2, s33
	s_cselect_b32 s2, s9, s8
	s_xor_b32 s2, s2, s3
	s_sub_i32 s12, s2, s3
	s_add_i32 s2, s21, 7
	s_ashr_i32 s3, s2, 31
	s_lshr_b32 s3, s3, 29
	s_add_i32 s2, s2, s3
	s_ashr_i32 s45, s2, 3
	v_lshrrev_b32_e32 v7, 6, v0
	v_cmp_gt_i32_e64 s[2:3], s45, v7
	v_mov_b32_e32 v11, 0xff7fffff
	s_mul_i32 s14, s10, s14
	v_lshrrev_b32_e32 v1, 4, v0
	v_lshlrev_b32_e32 v17, 3, v7
	v_mbcnt_lo_u32_b32 v8, -1, 0
	s_and_saveexec_b64 s[36:37], s[2:3]
	s_cbranch_execz .LBB56_21
; %bb.10:
	s_load_dwordx2 s[0:1], s[0:1], 0x10
	s_ashr_i32 s15, s14, 31
	s_sub_i32 s16, s12, s17
	s_lshl_b64 s[8:9], s[14:15], 1
	v_bfe_u32 v9, v0, 3, 3
	s_waitcnt lgkmcnt(0)
	s_add_u32 s0, s0, s8
	s_addc_u32 s1, s1, s9
	s_abs_i32 s15, s18
	v_cvt_f32_u32_e32 v2, s15
	v_lshlrev_b32_e32 v14, 4, v9
	v_mov_b32_e32 v15, 0
	s_sub_i32 s8, 0, s15
	v_rcp_iflag_f32_e32 v5, v2
	v_cmp_eq_u32_e32 vcc, 0, v4
	v_lshl_add_u64 v[2:3], s[0:1], 0, v[14:15]
	v_lshlrev_b32_e32 v14, 1, v4
	v_mul_f32_e32 v5, 0x4f7ffffe, v5
	v_cvt_u32_f32_e32 v5, v5
	v_mul_u32_u24_e32 v10, 20, v4
	v_lshl_add_u64 v[2:3], v[2:3], 0, v[14:15]
	v_and_b32_e32 v14, 60, v1
	v_mul_lo_u32 v4, s8, v5
	s_lshl_b64 s[8:9], s[28:29], 2
	s_add_u32 s8, s26, s8
	v_mul_hi_u32 v4, v5, v4
	s_addc_u32 s9, s27, s9
	v_subrev_u32_e32 v11, s21, v9
	v_add_u32_e32 v12, v5, v4
	v_lshl_add_u64 v[4:5], s[8:9], 0, v[14:15]
	v_add_u32_e32 v14, 1, v11
	v_lshlrev_b32_e32 v11, 2, v9
	v_lshl_or_b32 v11, v7, 5, v11
	v_mbcnt_hi_u32_b32 v18, -1, v8
	v_add_u32_e32 v15, 0xb0, v11
	v_and_b32_e32 v11, 64, v18
	s_mov_b32 s19, s13
	v_cmp_neq_f32_e64 s[0:1], s46, 0
	v_lshlrev_b32_e32 v13, 3, v7
	v_mov_b32_e32 v16, 0xff7fffff
	s_mov_b64 s[38:39], 0
	v_add_u32_e32 v19, 64, v11
	v_xor_b32_e32 v20, 4, v18
	v_xor_b32_e32 v21, 2, v18
	;; [unrolled: 1-line block ×3, first 2 shown]
	v_mov_b32_e32 v11, 0xff7fffff
	v_mov_b32_e32 v23, v7
	s_branch .LBB56_13
.LBB56_11:                              ;   in Loop: Header=BB56_13 Depth=1
	s_or_b64 exec, exec, s[40:41]
.LBB56_12:                              ;   in Loop: Header=BB56_13 Depth=1
	s_or_b64 exec, exec, s[10:11]
	v_add_u32_e32 v23, 2, v23
	v_cmp_le_i32_e64 s[8:9], s45, v23
	v_lshl_add_u64 v[4:5], v[4:5], 0, 8
	v_add_u32_e32 v13, 16, v13
	s_or_b64 s[38:39], s[8:9], s[38:39]
	v_add_u32_e32 v15, 64, v15
	s_andn2_b64 exec, exec, s[38:39]
	s_cbranch_execz .LBB56_20
.LBB56_13:                              ; =>This Inner Loop Header: Depth=1
	v_mul_hi_u32 v24, v13, s42
	s_waitcnt lgkmcnt(0)
	v_mul_lo_u32 v25, v24, s33
	v_sub_u32_e32 v25, v13, v25
	v_add_u32_e32 v26, 1, v24
	v_cmp_le_u32_e64 s[8:9], s33, v25
	s_nop 1
	v_cndmask_b32_e64 v24, v24, v26, s[8:9]
	v_subrev_u32_e32 v26, s33, v25
	v_cndmask_b32_e64 v25, v25, v26, s[8:9]
	v_add_u32_e32 v26, 1, v24
	v_cmp_le_u32_e64 s[8:9], s33, v25
	s_nop 1
	v_cndmask_b32_e64 v24, v24, v26, s[8:9]
	v_xor_b32_e32 v24, s44, v24
	v_subrev_u32_e32 v24, s44, v24
	v_add_u32_e32 v25, s43, v24
	v_sub_u32_e32 v27, 0, v25
	v_ashrrev_i32_e32 v26, 31, v25
	v_max_i32_e32 v25, v25, v27
	v_mul_hi_u32 v27, v25, v12
	v_mul_lo_u32 v27, v27, s15
	v_sub_u32_e32 v25, v25, v27
	v_subrev_u32_e32 v27, s15, v25
	v_cmp_le_u32_e64 s[8:9], s15, v25
	v_cmp_ge_i32_e64 s[10:11], s16, v24
	s_nop 0
	v_cndmask_b32_e64 v25, v25, v27, s[8:9]
	v_subrev_u32_e32 v27, s15, v25
	v_cmp_le_u32_e64 s[8:9], s15, v25
	s_nop 1
	v_cndmask_b32_e64 v25, v25, v27, s[8:9]
	v_xor_b32_e32 v25, v25, v26
	v_sub_u32_e32 v25, v25, v26
	v_cmp_ne_u32_e64 s[8:9], 0, v25
	s_and_b64 s[8:9], s[8:9], s[10:11]
	s_and_saveexec_b64 s[10:11], s[8:9]
	s_xor_b64 s[8:9], exec, s[10:11]
	s_cbranch_execz .LBB56_17
; %bb.14:                               ;   in Loop: Header=BB56_13 Depth=1
	s_and_saveexec_b64 s[10:11], vcc
; %bb.15:                               ;   in Loop: Header=BB56_13 Depth=1
	ds_write_b32 v15, v16
; %bb.16:                               ;   in Loop: Header=BB56_13 Depth=1
	s_or_b64 exec, exec, s[10:11]
.LBB56_17:                              ;   in Loop: Header=BB56_13 Depth=1
	s_andn2_saveexec_b64 s[10:11], s[8:9]
	s_cbranch_execz .LBB56_12
; %bb.18:                               ;   in Loop: Header=BB56_13 Depth=1
	global_load_dword v24, v[4:5], off
	s_waitcnt vmcnt(0)
	v_mad_i64_i32 v[24:25], s[8:9], v24, s19, 0
	v_lshl_add_u64 v[24:25], v[24:25], 1, v[2:3]
	global_load_ushort v26, v[24:25], off
	global_load_ushort v27, v[24:25], off offset:128
	global_load_ushort v29, v[24:25], off offset:256
	global_load_ushort v31, v[24:25], off offset:384
	global_load_ushort v33, v[24:25], off offset:512
	global_load_ushort v35, v[24:25], off offset:640
	global_load_ushort v37, v[24:25], off offset:768
	global_load_ushort v39, v[24:25], off offset:896
	global_load_ushort v40, v[24:25], off offset:1024
	global_load_ushort v41, v[24:25], off offset:1152
	ds_read_u16 v24, v10
	s_waitcnt lgkmcnt(0)
	;;#ASMSTART
	v_cvt_f32_f16 v24, v24;
	;;#ASMEND
	v_cmp_lt_i32_e64 s[8:9], v20, v19
	s_waitcnt vmcnt(9)
	;;#ASMSTART
	v_cvt_f32_f16 v25, v26;
	;;#ASMEND
	ds_read_u16 v26, v10 offset:2
	s_waitcnt lgkmcnt(0)
	;;#ASMSTART
	v_cvt_f32_f16 v26, v26;
	;;#ASMEND
	s_waitcnt vmcnt(8)
	;;#ASMSTART
	v_cvt_f32_f16 v27, v27;
	;;#ASMEND
	ds_read_u16 v28, v10 offset:4
	v_mul_f32_e32 v26, v26, v27
	v_fmac_f32_e32 v26, v24, v25
	s_waitcnt lgkmcnt(0)
	;;#ASMSTART
	v_cvt_f32_f16 v28, v28;
	;;#ASMEND
	s_waitcnt vmcnt(7)
	;;#ASMSTART
	v_cvt_f32_f16 v29, v29;
	;;#ASMEND
	ds_read_u16 v30, v10 offset:6
	v_fmac_f32_e32 v26, v28, v29
	s_waitcnt lgkmcnt(0)
	;;#ASMSTART
	v_cvt_f32_f16 v30, v30;
	;;#ASMEND
	s_waitcnt vmcnt(6)
	;;#ASMSTART
	v_cvt_f32_f16 v31, v31;
	;;#ASMEND
	ds_read_u16 v32, v10 offset:8
	;; [unrolled: 10-line block ×5, first 2 shown]
	v_fmac_f32_e32 v26, v36, v37
	s_waitcnt lgkmcnt(0)
	;;#ASMSTART
	v_cvt_f32_f16 v27, v42;
	;;#ASMEND
	s_waitcnt vmcnt(2)
	;;#ASMSTART
	v_cvt_f32_f16 v39, v39;
	;;#ASMEND
	v_cndmask_b32_e64 v38, v18, v20, s[8:9]
	v_fmac_f32_e32 v26, v27, v39
	ds_read_u16 v42, v10 offset:16
	s_waitcnt lgkmcnt(0)
	;;#ASMSTART
	v_cvt_f32_f16 v24, v42;
	;;#ASMEND
	s_waitcnt vmcnt(1)
	;;#ASMSTART
	v_cvt_f32_f16 v25, v40;
	;;#ASMEND
	v_lshlrev_b32_e32 v38, 2, v38
	v_fmac_f32_e32 v26, v24, v25
	ds_read_u16 v28, v10 offset:18
	s_waitcnt lgkmcnt(0)
	;;#ASMSTART
	v_cvt_f32_f16 v24, v28;
	;;#ASMEND
	s_waitcnt vmcnt(0)
	;;#ASMSTART
	v_cvt_f32_f16 v25, v41;
	;;#ASMEND
	v_cmp_lt_i32_e64 s[8:9], v21, v19
	v_fmac_f32_e32 v26, v24, v25
	ds_bpermute_b32 v24, v38, v26
	v_cndmask_b32_e64 v25, v18, v21, s[8:9]
	v_lshlrev_b32_e32 v25, 2, v25
	v_cmp_lt_i32_e64 s[8:9], v22, v19
	s_waitcnt lgkmcnt(0)
	v_add_f32_e32 v24, v26, v24
	ds_bpermute_b32 v25, v25, v24
	v_cndmask_b32_e64 v26, v18, v22, s[8:9]
	s_waitcnt lgkmcnt(0)
	v_add_f32_e32 v24, v24, v25
	v_lshlrev_b32_e32 v25, 2, v26
	ds_bpermute_b32 v25, v25, v24
	s_and_saveexec_b64 s[40:41], vcc
	s_cbranch_execz .LBB56_11
; %bb.19:                               ;   in Loop: Header=BB56_13 Depth=1
	v_add_u32_e32 v26, v14, v13
	v_cvt_f32_i32_e32 v26, v26
	s_waitcnt lgkmcnt(0)
	v_add_f32_e32 v24, v24, v25
	v_add_u32_e32 v27, v9, v13
	v_cmp_gt_i32_e64 s[8:9], s21, v27
	v_mul_f32_e32 v25, s46, v26
	v_cndmask_b32_e64 v25, 0, v25, s[0:1]
	v_fmac_f32_e32 v25, s35, v24
	v_cndmask_b32_e64 v24, 0, v25, s[8:9]
	ds_write_b32 v15, v24
	v_max_f32_e32 v24, v11, v11
	v_max_f32_e32 v24, v24, v25
	v_cndmask_b32_e64 v11, v11, v24, s[8:9]
	s_branch .LBB56_11
.LBB56_20:
	s_or_b64 exec, exec, s[38:39]
.LBB56_21:
	s_or_b64 exec, exec, s[36:37]
	v_mbcnt_hi_u32_b32 v2, -1, v8
	v_and_b32_e32 v12, 64, v2
	v_add_u32_e32 v3, 64, v12
	v_xor_b32_e32 v4, 32, v2
	v_cmp_lt_i32_e32 vcc, v4, v3
	v_xor_b32_e32 v9, 16, v2
	v_max_f32_e32 v8, v11, v11
	v_cndmask_b32_e32 v4, v2, v4, vcc
	v_lshlrev_b32_e32 v5, 2, v4
	ds_bpermute_b32 v4, v5, v11
	v_cmp_lt_i32_e32 vcc, v9, v3
	v_xor_b32_e32 v10, 8, v2
	v_and_b32_e32 v18, 63, v0
	s_waitcnt lgkmcnt(0)
	v_max_f32_e32 v4, v4, v4
	v_max_f32_e32 v4, v8, v4
	v_cndmask_b32_e32 v8, v2, v9, vcc
	v_lshlrev_b32_e32 v9, 2, v8
	ds_bpermute_b32 v8, v9, v4
	v_cmp_lt_i32_e32 vcc, v10, v3
	s_waitcnt lgkmcnt(0)
	v_max_f32_e32 v8, v8, v8
	v_max_f32_e32 v8, v4, v8
	v_cndmask_b32_e32 v4, v2, v10, vcc
	v_lshlrev_b32_e32 v11, 2, v4
	ds_bpermute_b32 v10, v11, v8
	v_cmp_eq_u32_e32 vcc, 0, v18
	v_lshlrev_b32_e32 v4, 2, v7
	s_and_saveexec_b64 s[0:1], vcc
	s_cbranch_execz .LBB56_23
; %bb.22:
	s_waitcnt lgkmcnt(0)
	v_max_f32_e32 v10, v10, v10
	v_max_f32_e32 v8, v8, v8
	;; [unrolled: 1-line block ×3, first 2 shown]
	ds_write_b32 v4, v8 offset:160
.LBB56_23:
	s_or_b64 exec, exec, s[0:1]
	v_cmp_gt_u32_e64 s[0:1], 2, v18
	v_mov_b32_e32 v13, 0xff7fffff
	v_lshlrev_b32_e32 v8, 2, v18
	s_waitcnt lgkmcnt(0)
	s_barrier
	s_and_saveexec_b64 s[8:9], s[0:1]
; %bb.24:
	ds_read_b32 v13, v8 offset:160
; %bb.25:
	s_or_b64 exec, exec, s[8:9]
	v_xor_b32_e32 v10, 1, v2
	v_cmp_lt_i32_e64 s[8:9], v10, v3
	v_lshlrev_b32_e32 v12, 2, v12
	s_nop 0
	v_cndmask_b32_e64 v10, v2, v10, s[8:9]
	v_lshlrev_b32_e32 v10, 2, v10
	s_waitcnt lgkmcnt(0)
	ds_bpermute_b32 v14, v10, v13
	v_max_f32_e32 v13, v13, v13
	s_lshl_b32 s8, s45, 3
	s_min_i32 s15, s8, s21
	v_cmp_gt_i32_e64 s[8:9], s15, v0
	s_waitcnt lgkmcnt(0)
	v_max_f32_e32 v14, v14, v14
	v_max_f32_e32 v13, v13, v14
	ds_bpermute_b32 v13, v12, v13
	v_mov_b32_e32 v12, 0
	s_and_saveexec_b64 s[34:35], s[8:9]
	s_cbranch_execz .LBB56_29
; %bb.26:
	v_mov_b32_e32 v12, 0xb0
	v_lshl_add_u32 v14, v0, 2, v12
	v_mov_b32_e32 v12, 0
	s_mov_b64 s[36:37], 0
	v_mov_b32_e32 v15, v0
.LBB56_27:                              ; =>This Inner Loop Header: Depth=1
	ds_read_b32 v16, v14
	v_add_u32_e32 v15, 0x80, v15
	v_cmp_le_i32_e64 s[10:11], s15, v15
	s_or_b64 s[36:37], s[10:11], s[36:37]
	s_waitcnt lgkmcnt(0)
	v_sub_f32_e32 v16, v16, v13
	v_mul_f32_e32 v16, 0x3fb8aa3b, v16
	v_exp_f32_e32 v16, v16
	ds_write_b32 v14, v16
	v_add_f32_e32 v12, v12, v16
	v_add_u32_e32 v14, 0x200, v14
	s_andn2_b64 exec, exec, s[36:37]
	s_cbranch_execnz .LBB56_27
; %bb.28:
	s_or_b64 exec, exec, s[36:37]
.LBB56_29:
	s_or_b64 exec, exec, s[34:35]
	ds_bpermute_b32 v5, v5, v12
	s_waitcnt lgkmcnt(0)
	v_add_f32_e32 v5, v12, v5
	ds_bpermute_b32 v9, v9, v5
	s_waitcnt lgkmcnt(0)
	v_add_f32_e32 v5, v5, v9
	ds_bpermute_b32 v9, v11, v5
	v_xor_b32_e32 v11, 4, v2
	v_cmp_lt_i32_e64 s[10:11], v11, v3
	s_waitcnt lgkmcnt(0)
	v_add_f32_e32 v5, v5, v9
	v_cndmask_b32_e64 v11, v2, v11, s[10:11]
	v_lshlrev_b32_e32 v11, 2, v11
	ds_bpermute_b32 v9, v11, v5
	v_xor_b32_e32 v11, 2, v2
	v_cmp_lt_i32_e64 s[10:11], v11, v3
	s_waitcnt lgkmcnt(0)
	v_add_f32_e32 v5, v5, v9
	v_cndmask_b32_e64 v3, v2, v11, s[10:11]
	v_lshlrev_b32_e32 v3, 2, v3
	ds_bpermute_b32 v3, v3, v5
	s_waitcnt lgkmcnt(0)
	v_add_f32_e32 v3, v5, v3
	ds_bpermute_b32 v5, v10, v3
	s_waitcnt lgkmcnt(0)
	v_add_f32_e32 v3, v3, v5
	s_and_saveexec_b64 s[10:11], vcc
; %bb.30:
	ds_write_b32 v4, v3 offset:168
; %bb.31:
	s_or_b64 exec, exec, s[10:11]
	s_waitcnt lgkmcnt(0)
	s_barrier
	s_and_saveexec_b64 s[10:11], s[0:1]
; %bb.32:
	ds_read_b32 v3, v8 offset:168
; %bb.33:
	s_or_b64 exec, exec, s[10:11]
	s_waitcnt lgkmcnt(0)
	ds_bpermute_b32 v4, v10, v3
	v_lshlrev_b32_e32 v2, 2, v2
	v_and_b32_e32 v2, 0x100, v2
	s_waitcnt lgkmcnt(0)
	v_add_f32_e32 v3, v3, v4
	ds_bpermute_b32 v2, v2, v3
	s_and_saveexec_b64 s[0:1], s[8:9]
	s_cbranch_execz .LBB56_46
; %bb.34:
	s_waitcnt lgkmcnt(0)
	v_add_f32_e32 v2, 0x358637bd, v2
	v_div_scale_f32 v3, s[8:9], v2, v2, 1.0
	v_rcp_f32_e32 v4, v3
	v_div_scale_f32 v5, vcc, 1.0, v2, 1.0
	s_movk_i32 s8, 0x7f
	v_fma_f32 v8, -v3, v4, 1.0
	v_fmac_f32_e32 v4, v8, v4
	v_mul_f32_e32 v8, v5, v4
	v_fma_f32 v9, -v3, v8, v5
	v_fmac_f32_e32 v8, v9, v4
	v_fma_f32 v3, -v3, v8, v5
	v_div_fmas_f32 v3, v3, v4, v8
	v_xad_u32 v4, v0, -1, s15
	v_div_fixup_f32 v2, v3, v2, 1.0
	v_cmp_lt_u32_e32 vcc, s8, v4
	s_mov_b64 s[10:11], -1
	v_mov_b32_e32 v3, v0
	s_and_saveexec_b64 s[8:9], vcc
	s_cbranch_execz .LBB56_43
; %bb.35:
	v_lshrrev_b32_e32 v4, 7, v4
	v_add_u32_e32 v8, -1, v4
	v_lshrrev_b32_e32 v5, 1, v8
	v_mov_b32_e32 v3, v2
	v_add_u32_e32 v5, 1, v5
	v_cmp_lt_u32_e32 vcc, 13, v8
	v_mov_b32_e32 v10, 0
	s_and_saveexec_b64 s[10:11], vcc
	s_cbranch_execz .LBB56_39
; %bb.36:
	v_mov_b32_e32 v9, 0xb0
	v_and_b32_e32 v8, -8, v5
	v_lshl_add_u32 v9, v0, 2, v9
	s_mov_b32 s16, 0
	s_mov_b64 s[34:35], 0
.LBB56_37:                              ; =>This Inner Loop Header: Depth=1
	ds_read2st64_b32 v[10:11], v9 offset1:2
	ds_read2st64_b32 v[12:13], v9 offset0:4 offset1:6
	ds_read2st64_b32 v[14:15], v9 offset0:8 offset1:10
	;; [unrolled: 1-line block ×3, first 2 shown]
	v_add_u32_e32 v8, -8, v8
	s_waitcnt lgkmcnt(3)
	v_pk_mul_f32 v[10:11], v[2:3], v[10:11]
	s_waitcnt lgkmcnt(2)
	v_pk_mul_f32 v[12:13], v[2:3], v[12:13]
	ds_write2st64_b32 v9, v10, v11 offset1:2
	ds_write2st64_b32 v9, v12, v13 offset0:4 offset1:6
	ds_read2st64_b32 v[12:13], v9 offset0:16 offset1:18
	s_waitcnt lgkmcnt(4)
	v_pk_mul_f32 v[10:11], v[2:3], v[14:15]
	ds_write2st64_b32 v9, v10, v11 offset0:8 offset1:10
	s_waitcnt lgkmcnt(4)
	v_pk_mul_f32 v[10:11], v[2:3], v[20:21]
	ds_write2st64_b32 v9, v10, v11 offset0:12 offset1:14
	ds_read2st64_b32 v[10:11], v9 offset0:20 offset1:22
	s_waitcnt lgkmcnt(3)
	v_pk_mul_f32 v[12:13], v[2:3], v[12:13]
	ds_read2st64_b32 v[14:15], v9 offset0:24 offset1:26
	ds_write2st64_b32 v9, v12, v13 offset0:16 offset1:18
	ds_read2st64_b32 v[12:13], v9 offset0:28 offset1:30
	s_waitcnt lgkmcnt(3)
	v_pk_mul_f32 v[10:11], v[2:3], v[10:11]
	ds_write2st64_b32 v9, v10, v11 offset0:20 offset1:22
	s_waitcnt lgkmcnt(3)
	v_pk_mul_f32 v[10:11], v[2:3], v[14:15]
	ds_write2st64_b32 v9, v10, v11 offset0:24 offset1:26
	s_waitcnt lgkmcnt(2)
	v_pk_mul_f32 v[10:11], v[2:3], v[12:13]
	s_add_i32 s16, s16, 16
	v_cmp_eq_u32_e32 vcc, 0, v8
	ds_write2st64_b32 v9, v10, v11 offset0:28 offset1:30
	v_add_u32_e32 v9, 0x2000, v9
	s_or_b64 s[34:35], vcc, s[34:35]
	v_mov_b32_e32 v10, s16
	s_andn2_b64 exec, exec, s[34:35]
	s_cbranch_execnz .LBB56_37
; %bb.38:
	s_or_b64 exec, exec, s[34:35]
.LBB56_39:
	s_or_b64 exec, exec, s[10:11]
	v_and_b32_e32 v5, 7, v5
	v_cmp_ne_u32_e32 vcc, 0, v5
	s_and_saveexec_b64 s[10:11], vcc
	s_cbranch_execz .LBB56_42
; %bb.40:
	v_lshlrev_b32_e32 v8, 9, v10
	v_lshlrev_b32_e32 v9, 2, v0
	s_movk_i32 s16, 0xb0
	v_add3_u32 v8, v8, v9, s16
	s_mov_b64 s[34:35], 0
.LBB56_41:                              ; =>This Inner Loop Header: Depth=1
	ds_read2st64_b32 v[10:11], v8 offset1:2
	v_add_u32_e32 v5, -1, v5
	v_cmp_eq_u32_e32 vcc, 0, v5
	s_or_b64 s[34:35], vcc, s[34:35]
	s_waitcnt lgkmcnt(0)
	v_pk_mul_f32 v[10:11], v[2:3], v[10:11]
	ds_write2st64_b32 v8, v10, v11 offset1:2
	v_add_u32_e32 v8, 0x400, v8
	s_andn2_b64 exec, exec, s[34:35]
	s_cbranch_execnz .LBB56_41
.LBB56_42:
	s_or_b64 exec, exec, s[10:11]
	v_add_u32_e32 v4, 1, v4
	v_and_b32_e32 v5, 0x3fffffe, v4
	v_cmp_ne_u32_e32 vcc, v4, v5
	v_lshl_add_u32 v3, v5, 7, v0
	s_orn2_b64 s[10:11], vcc, exec
.LBB56_43:
	s_or_b64 exec, exec, s[8:9]
	s_and_b64 exec, exec, s[10:11]
	s_cbranch_execz .LBB56_46
; %bb.44:
	v_mov_b32_e32 v4, 0xb0
	v_lshl_add_u32 v4, v3, 2, v4
	s_mov_b64 s[8:9], 0
.LBB56_45:                              ; =>This Inner Loop Header: Depth=1
	ds_read_b32 v5, v4
	v_add_u32_e32 v3, 0x80, v3
	v_cmp_le_i32_e32 vcc, s15, v3
	s_or_b64 s[8:9], vcc, s[8:9]
	s_waitcnt lgkmcnt(0)
	v_mul_f32_e32 v5, v2, v5
	ds_write_b32 v4, v5
	v_add_u32_e32 v4, 0x200, v4
	s_andn2_b64 exec, exec, s[8:9]
	s_cbranch_execnz .LBB56_45
.LBB56_46:
	s_or_b64 exec, exec, s[0:1]
	v_mov_b32_e32 v20, 0
	v_mov_b32_e32 v19, 0
	s_waitcnt lgkmcnt(0)
	s_barrier
	s_and_saveexec_b64 s[8:9], s[2:3]
	s_cbranch_execz .LBB56_58
; %bb.47:
	s_ashr_i32 s15, s14, 31
	s_sub_i32 s34, s12, s17
	s_lshl_b64 s[0:1], s[14:15], 1
	s_add_u32 s10, s30, s0
	s_addc_u32 s11, s31, s1
	s_abs_i32 s30, s18
	v_cvt_f32_u32_e32 v3, s30
	v_or_b32_e32 v4, 64, v18
	s_movk_i32 s0, 0x50
	v_cmp_gt_u32_e64 s[2:3], s0, v4
	v_rcp_iflag_f32_e32 v3, v3
	s_sub_i32 s0, 0, s30
	s_add_i32 s31, s45, -1
	v_lshlrev_b32_e32 v2, 3, v18
	v_mul_f32_e32 v3, 0x4f7ffffe, v3
	v_cvt_u32_f32_e32 v3, v3
	v_mov_b32_e32 v9, 0
	v_lshlrev_b32_e32 v4, 3, v4
	v_and_b32_e32 v8, 60, v1
	v_mul_lo_u32 v5, s0, v3
	s_lshl_b64 s[0:1], s[28:29], 2
	s_add_u32 s0, s26, s0
	v_mul_hi_u32 v5, v3, v5
	s_addc_u32 s1, s27, s1
	v_mov_b32_e32 v1, 0xb0
	s_mov_b32 s35, s13
	s_mov_b32 s36, s21
	v_add_u32_e32 v21, v3, v5
	v_lshl_add_u64 v[10:11], s[0:1], 0, v[8:9]
	v_lshl_add_u32 v22, v7, 5, v1
	s_mov_b64 s[12:13], 0
	v_lshlrev_b32_e32 v8, 1, v2
	s_mov_b32 s26, 0xffff
	v_lshlrev_b32_e32 v12, 1, v4
	v_mov_b32_e32 v19, v9
	v_mov_b32_e32 v20, v9
	s_branch .LBB56_51
.LBB56_48:                              ;   in Loop: Header=BB56_51 Depth=1
	s_or_b64 exec, exec, s[18:19]
	v_lshlrev_b32_e32 v14, 16, v14
	v_lshlrev_b32_e32 v1, 16, v1
	v_and_or_b32 v2, v2, s26, v14
	v_and_or_b32 v1, v3, s26, v1
	v_lshlrev_b32_e32 v3, 16, v13
	v_and_or_b32 v3, v4, s26, v3
	;;#ASMSTART
	v_pk_mul_f16 v2, v25, v2;

	;;#ASMEND
	;;#ASMSTART
	v_pk_mul_f16 v1, v26, v1;

	;;#ASMEND
	;; [unrolled: 4-line block ×4, first 2 shown]
	s_nop 0
	;;#ASMSTART
	v_pk_add_f16 v1, v2, v1;

	;;#ASMEND
	s_nop 0
	;;#ASMSTART
	v_pk_add_f16 v1, v1, v3;

	;;#ASMEND
	;; [unrolled: 5-line block ×3, first 2 shown]
	s_nop 0
	v_lshrrev_b32_e32 v2, 16, v1
	v_and_b32_e32 v1, 0xffff, v1
	;;#ASMSTART
	v_cvt_f32_f16 v1, v1;
	;;#ASMEND
	;;#ASMSTART
	v_cvt_f32_f16 v2, v2;
	;;#ASMEND
	s_nop 0
	v_add_f32_e32 v1, v1, v2
	v_add_f32_e32 v19, v19, v1
.LBB56_49:                              ;   in Loop: Header=BB56_51 Depth=1
	s_or_b64 exec, exec, s[16:17]
	v_add_f32_e32 v1, v16, v23
	v_add_f32_e32 v20, v20, v1
.LBB56_50:                              ;   in Loop: Header=BB56_51 Depth=1
	s_or_b64 exec, exec, s[14:15]
	v_add_u32_e32 v7, 2, v7
	v_cmp_le_i32_e32 vcc, s45, v7
	v_lshl_add_u64 v[10:11], v[10:11], 0, 8
	v_add_u32_e32 v17, 16, v17
	s_or_b64 s[12:13], vcc, s[12:13]
	v_add_u32_e32 v22, 64, v22
	s_andn2_b64 exec, exec, s[12:13]
	s_cbranch_execz .LBB56_57
.LBB56_51:                              ; =>This Inner Loop Header: Depth=1
	v_mul_hi_u32 v1, v17, s42
	v_mul_lo_u32 v2, v1, s33
	v_sub_u32_e32 v2, v17, v2
	v_add_u32_e32 v3, 1, v1
	v_cmp_le_u32_e32 vcc, s33, v2
	s_nop 1
	v_cndmask_b32_e32 v1, v1, v3, vcc
	v_subrev_u32_e32 v3, s33, v2
	v_cndmask_b32_e32 v2, v2, v3, vcc
	v_add_u32_e32 v3, 1, v1
	v_cmp_le_u32_e32 vcc, s33, v2
	s_nop 1
	v_cndmask_b32_e32 v1, v1, v3, vcc
	v_xor_b32_e32 v1, s44, v1
	v_subrev_u32_e32 v1, s44, v1
	v_add_u32_e32 v2, s43, v1
	v_sub_u32_e32 v4, 0, v2
	v_ashrrev_i32_e32 v3, 31, v2
	v_max_i32_e32 v2, v2, v4
	v_mul_hi_u32 v4, v2, v21
	v_mul_lo_u32 v4, v4, s30
	v_sub_u32_e32 v2, v2, v4
	v_subrev_u32_e32 v4, s30, v2
	v_cmp_le_u32_e32 vcc, s30, v2
	v_cmp_lt_i32_e64 s[0:1], s34, v1
	s_nop 0
	v_cndmask_b32_e32 v2, v2, v4, vcc
	v_subrev_u32_e32 v4, s30, v2
	v_cmp_le_u32_e32 vcc, s30, v2
	s_nop 1
	v_cndmask_b32_e32 v2, v2, v4, vcc
	v_xor_b32_e32 v2, v2, v3
	v_sub_u32_e32 v2, v2, v3
	v_cmp_eq_u32_e32 vcc, 0, v2
	s_or_b64 s[0:1], vcc, s[0:1]
	s_and_saveexec_b64 s[14:15], s[0:1]
	s_cbranch_execz .LBB56_50
; %bb.52:                               ;   in Loop: Header=BB56_51 Depth=1
	global_load_dword v1, v[10:11], off
	ds_read2_b64 v[2:5], v22 offset1:1
	ds_read2_b64 v[28:31], v22 offset0:2 offset1:3
	s_waitcnt lgkmcnt(1)
	;;#ASMSTART
	v_cvt_f16_f32 v13, v2;

	;;#ASMEND
	;;#ASMSTART
	v_cvt_f16_f32 v23, v3;

	;;#ASMEND
	;; [unrolled: 4-line block ×4, first 2 shown]
	s_waitcnt lgkmcnt(0)
	;;#ASMSTART
	v_cvt_f16_f32 v27, v28;

	;;#ASMEND
	;;#ASMSTART
	v_cvt_f16_f32 v28, v29;

	;;#ASMEND
	;; [unrolled: 4-line block ×4, first 2 shown]
	s_waitcnt vmcnt(0)
	v_mad_i64_i32 v[2:3], s[0:1], v1, s35, 0
	v_lshl_add_u64 v[14:15], v[2:3], 1, s[10:11]
	v_lshl_add_u64 v[2:3], v[14:15], 0, v[8:9]
	global_load_dwordx4 v[2:5], v[2:3], off
	v_cmp_eq_u32_e64 s[0:1], s31, v7
	s_waitcnt vmcnt(0)
	v_lshrrev_b32_e32 v1, 16, v3
	v_lshrrev_b32_e32 v16, 16, v2
	;; [unrolled: 1-line block ×3, first 2 shown]
	s_and_saveexec_b64 s[16:17], s[0:1]
	s_cbranch_execz .LBB56_54
; %bb.53:                               ;   in Loop: Header=BB56_51 Depth=1
	v_cmp_gt_i32_e32 vcc, s21, v17
	v_add_u32_e32 v33, 2, v17
	v_or_b32_e32 v25, 3, v17
	v_cndmask_b32_e32 v2, 0, v2, vcc
	v_cmp_gt_i32_e32 vcc, s21, v33
	v_or_b32_e32 v32, 1, v17
	s_nop 0
	v_cndmask_b32_e32 v3, 0, v3, vcc
	v_cmp_gt_i32_e32 vcc, s36, v25
	v_add_u32_e32 v25, 4, v17
	s_nop 0
	v_cndmask_b32_e32 v1, 0, v1, vcc
	v_cmp_gt_i32_e32 vcc, s21, v32
	v_add_u32_e32 v32, 7, v17
	;; [unrolled: 4-line block ×4, first 2 shown]
	s_nop 0
	v_cndmask_b32_e32 v31, 0, v31, vcc
	v_cmp_gt_i32_e32 vcc, s21, v25
	s_nop 1
	v_cndmask_b32_sdwa v25, v9, v5, vcc dst_sel:DWORD dst_unused:UNUSED_PAD src0_sel:DWORD src1_sel:WORD_0
	v_and_b32_e32 v5, 0xffff0000, v5
	v_cmp_gt_i32_e32 vcc, s21, v32
	s_nop 1
	v_cndmask_b32_e32 v5, 0, v5, vcc
	v_or_b32_e32 v5, v25, v5
.LBB56_54:                              ;   in Loop: Header=BB56_51 Depth=1
	s_or_b64 exec, exec, s[16:17]
	v_and_b32_e32 v13, 0xffff, v13
	v_lshl_or_b32 v25, v23, 16, v13
	v_and_b32_e32 v13, 0xffff, v24
	v_lshl_or_b32 v26, v26, 16, v13
	;; [unrolled: 2-line block ×4, first 2 shown]
	v_lshlrev_b32_e32 v13, 16, v16
	v_lshlrev_b32_e32 v1, 16, v1
	v_and_or_b32 v2, v2, s26, v13
	v_and_or_b32 v1, v3, s26, v1
	v_lshlrev_b32_e32 v3, 16, v31
	v_and_or_b32 v3, v4, s26, v3
	;;#ASMSTART
	v_pk_mul_f16 v2, v25, v2;

	;;#ASMEND
	;;#ASMSTART
	v_pk_mul_f16 v1, v26, v1;

	;;#ASMEND
	;; [unrolled: 4-line block ×4, first 2 shown]
	s_nop 0
	;;#ASMSTART
	v_pk_add_f16 v1, v2, v1;

	;;#ASMEND
	s_nop 0
	;;#ASMSTART
	v_pk_add_f16 v1, v1, v3;

	;;#ASMEND
	;; [unrolled: 5-line block ×3, first 2 shown]
	s_nop 0
	v_lshrrev_b32_e32 v2, 16, v1
	v_and_b32_e32 v1, 0xffff, v1
	;;#ASMSTART
	v_cvt_f32_f16 v16, v1;
	;;#ASMEND
	;;#ASMSTART
	v_cvt_f32_f16 v23, v2;
	;;#ASMEND
	s_and_saveexec_b64 s[16:17], s[2:3]
	s_cbranch_execz .LBB56_49
; %bb.55:                               ;   in Loop: Header=BB56_51 Depth=1
	v_mov_b32_e32 v13, v9
	v_lshl_add_u64 v[2:3], v[14:15], 0, v[12:13]
	global_load_dwordx4 v[2:5], v[2:3], off
	s_waitcnt vmcnt(0)
	v_lshrrev_b32_e32 v1, 16, v3
	v_lshrrev_b32_e32 v14, 16, v2
	;; [unrolled: 1-line block ×3, first 2 shown]
	s_and_saveexec_b64 s[18:19], s[0:1]
	s_cbranch_execz .LBB56_48
; %bb.56:                               ;   in Loop: Header=BB56_51 Depth=1
	v_cmp_gt_i32_e32 vcc, s21, v17
	v_add_u32_e32 v29, 2, v17
	v_or_b32_e32 v15, 3, v17
	v_cndmask_b32_e32 v2, 0, v2, vcc
	v_cmp_gt_i32_e32 vcc, s21, v29
	v_or_b32_e32 v28, 1, v17
	s_nop 0
	v_cndmask_b32_e32 v3, 0, v3, vcc
	v_cmp_gt_i32_e32 vcc, s36, v15
	v_add_u32_e32 v15, 4, v17
	s_nop 0
	v_cndmask_b32_e32 v1, 0, v1, vcc
	v_cmp_gt_i32_e32 vcc, s21, v28
	v_add_u32_e32 v28, 7, v17
	;; [unrolled: 4-line block ×4, first 2 shown]
	s_nop 0
	v_cndmask_b32_e32 v13, 0, v13, vcc
	v_cmp_gt_i32_e32 vcc, s21, v15
	s_nop 1
	v_cndmask_b32_sdwa v15, v9, v5, vcc dst_sel:DWORD dst_unused:UNUSED_PAD src0_sel:DWORD src1_sel:WORD_0
	v_and_b32_e32 v5, 0xffff0000, v5
	v_cmp_gt_i32_e32 vcc, s21, v28
	s_nop 1
	v_cndmask_b32_e32 v5, 0, v5, vcc
	v_or_b32_e32 v5, v15, v5
	s_branch .LBB56_48
.LBB56_57:
	s_or_b64 exec, exec, s[12:13]
.LBB56_58:
	s_or_b64 exec, exec, s[8:9]
	v_and_b32_e32 v1, 0x3c0, v0
	v_cmp_eq_u32_e32 vcc, 64, v1
	s_barrier
	s_and_saveexec_b64 s[0:1], vcc
	s_cbranch_execz .LBB56_61
; %bb.59:
	v_mov_b32_e32 v1, 0xb0
	v_lshl_add_u32 v2, v18, 2, v1
	ds_write_b32 v2, v20
	s_and_b64 exec, exec, s[6:7]
; %bb.60:
	v_lshl_add_u32 v1, v0, 2, v1
	ds_write_b32 v1, v19
.LBB56_61:
	s_or_b64 exec, exec, s[0:1]
	v_cmp_gt_u32_e32 vcc, 64, v0
	v_or_b32_e32 v1, 64, v0
	s_waitcnt lgkmcnt(0)
	s_barrier
	s_and_saveexec_b64 s[2:3], vcc
	s_cbranch_execz .LBB56_65
; %bb.62:
	v_mov_b32_e32 v2, 0xb0
	v_lshl_add_u32 v2, v0, 2, v2
	ds_read_b32 v0, v2
	s_movk_i32 s0, 0x50
	v_cmp_gt_u32_e64 s[0:1], s0, v1
	s_and_saveexec_b64 s[6:7], s[0:1]
	s_cbranch_execz .LBB56_64
; %bb.63:
	ds_read_b32 v2, v2 offset:256
	s_waitcnt lgkmcnt(0)
	v_add_f32_e32 v19, v19, v2
.LBB56_64:
	s_or_b64 exec, exec, s[6:7]
	s_waitcnt lgkmcnt(0)
	v_add_f32_e32 v20, v20, v0
.LBB56_65:
	s_or_b64 exec, exec, s[2:3]
	s_barrier
	s_and_saveexec_b64 s[0:1], vcc
	s_cbranch_execz .LBB56_68
; %bb.66:
	s_mul_i32 s0, s20, s23
	s_mul_i32 s0, s0, s5
	s_mulk_i32 s0, 0x50
	s_ashr_i32 s1, s0, 31
	s_lshl_b64 s[0:1], s[0:1], 1
	s_add_u32 s3, s24, s0
	s_mul_i32 s0, s23, s22
	s_addc_u32 s5, s25, s1
	s_ashr_i32 s1, s0, 31
	s_lshl_b64 s[0:1], s[0:1], 1
	s_add_u32 s3, s3, s0
	s_mul_i32 s0, s4, 0x50
	s_addc_u32 s5, s5, s1
	s_ashr_i32 s1, s0, 31
	s_lshl_b64 s[0:1], s[0:1], 1
	s_movk_i32 s2, 0x50
	s_add_u32 s0, s3, s0
	s_addc_u32 s1, s5, s1
	v_cmp_gt_u32_e32 vcc, s2, v1
	;;#ASMSTART
	v_cvt_f16_f32 v0, v20;

	;;#ASMEND
	global_store_short v6, v0, s[0:1]
	s_and_b64 exec, exec, vcc
	s_cbranch_execz .LBB56_68
; %bb.67:
	v_mov_b32_e32 v7, 0
	v_lshl_add_u64 v[0:1], s[0:1], 0, v[6:7]
	;;#ASMSTART
	v_cvt_f16_f32 v2, v19;

	;;#ASMEND
	global_store_short v[0:1], v2, off offset:128
.LBB56_68:
	s_endpgm
	.section	.rodata,"a",@progbits
	.p2align	6, 0x0
	.amdhsa_kernel _ZN4vllm25paged_attention_v1_kernelIttLi80ELi8ELi128ELNS_18Fp8KVCacheDataTypeE0ELb1EEEvPT_PKS2_PKT0_S8_ifPKiSA_iPKfiiiSC_SC_iiiii
		.amdhsa_group_segment_fixed_size 176
		.amdhsa_private_segment_fixed_size 0
		.amdhsa_kernarg_size 384
		.amdhsa_user_sgpr_count 2
		.amdhsa_user_sgpr_dispatch_ptr 0
		.amdhsa_user_sgpr_queue_ptr 0
		.amdhsa_user_sgpr_kernarg_segment_ptr 1
		.amdhsa_user_sgpr_dispatch_id 0
		.amdhsa_user_sgpr_kernarg_preload_length 0
		.amdhsa_user_sgpr_kernarg_preload_offset 0
		.amdhsa_user_sgpr_private_segment_size 0
		.amdhsa_uses_dynamic_stack 0
		.amdhsa_enable_private_segment 0
		.amdhsa_system_sgpr_workgroup_id_x 1
		.amdhsa_system_sgpr_workgroup_id_y 1
		.amdhsa_system_sgpr_workgroup_id_z 1
		.amdhsa_system_sgpr_workgroup_info 0
		.amdhsa_system_vgpr_workitem_id 0
		.amdhsa_next_free_vgpr 43
		.amdhsa_next_free_sgpr 47
		.amdhsa_accum_offset 44
		.amdhsa_reserve_vcc 1
		.amdhsa_float_round_mode_32 0
		.amdhsa_float_round_mode_16_64 0
		.amdhsa_float_denorm_mode_32 3
		.amdhsa_float_denorm_mode_16_64 3
		.amdhsa_dx10_clamp 1
		.amdhsa_ieee_mode 1
		.amdhsa_fp16_overflow 0
		.amdhsa_tg_split 0
		.amdhsa_exception_fp_ieee_invalid_op 0
		.amdhsa_exception_fp_denorm_src 0
		.amdhsa_exception_fp_ieee_div_zero 0
		.amdhsa_exception_fp_ieee_overflow 0
		.amdhsa_exception_fp_ieee_underflow 0
		.amdhsa_exception_fp_ieee_inexact 0
		.amdhsa_exception_int_div_zero 0
	.end_amdhsa_kernel
	.section	.text._ZN4vllm25paged_attention_v1_kernelIttLi80ELi8ELi128ELNS_18Fp8KVCacheDataTypeE0ELb1EEEvPT_PKS2_PKT0_S8_ifPKiSA_iPKfiiiSC_SC_iiiii,"axG",@progbits,_ZN4vllm25paged_attention_v1_kernelIttLi80ELi8ELi128ELNS_18Fp8KVCacheDataTypeE0ELb1EEEvPT_PKS2_PKT0_S8_ifPKiSA_iPKfiiiSC_SC_iiiii,comdat
.Lfunc_end56:
	.size	_ZN4vllm25paged_attention_v1_kernelIttLi80ELi8ELi128ELNS_18Fp8KVCacheDataTypeE0ELb1EEEvPT_PKS2_PKT0_S8_ifPKiSA_iPKfiiiSC_SC_iiiii, .Lfunc_end56-_ZN4vllm25paged_attention_v1_kernelIttLi80ELi8ELi128ELNS_18Fp8KVCacheDataTypeE0ELb1EEEvPT_PKS2_PKT0_S8_ifPKiSA_iPKfiiiSC_SC_iiiii
                                        ; -- End function
	.set _ZN4vllm25paged_attention_v1_kernelIttLi80ELi8ELi128ELNS_18Fp8KVCacheDataTypeE0ELb1EEEvPT_PKS2_PKT0_S8_ifPKiSA_iPKfiiiSC_SC_iiiii.num_vgpr, 43
	.set _ZN4vllm25paged_attention_v1_kernelIttLi80ELi8ELi128ELNS_18Fp8KVCacheDataTypeE0ELb1EEEvPT_PKS2_PKT0_S8_ifPKiSA_iPKfiiiSC_SC_iiiii.num_agpr, 0
	.set _ZN4vllm25paged_attention_v1_kernelIttLi80ELi8ELi128ELNS_18Fp8KVCacheDataTypeE0ELb1EEEvPT_PKS2_PKT0_S8_ifPKiSA_iPKfiiiSC_SC_iiiii.numbered_sgpr, 47
	.set _ZN4vllm25paged_attention_v1_kernelIttLi80ELi8ELi128ELNS_18Fp8KVCacheDataTypeE0ELb1EEEvPT_PKS2_PKT0_S8_ifPKiSA_iPKfiiiSC_SC_iiiii.num_named_barrier, 0
	.set _ZN4vllm25paged_attention_v1_kernelIttLi80ELi8ELi128ELNS_18Fp8KVCacheDataTypeE0ELb1EEEvPT_PKS2_PKT0_S8_ifPKiSA_iPKfiiiSC_SC_iiiii.private_seg_size, 0
	.set _ZN4vllm25paged_attention_v1_kernelIttLi80ELi8ELi128ELNS_18Fp8KVCacheDataTypeE0ELb1EEEvPT_PKS2_PKT0_S8_ifPKiSA_iPKfiiiSC_SC_iiiii.uses_vcc, 1
	.set _ZN4vllm25paged_attention_v1_kernelIttLi80ELi8ELi128ELNS_18Fp8KVCacheDataTypeE0ELb1EEEvPT_PKS2_PKT0_S8_ifPKiSA_iPKfiiiSC_SC_iiiii.uses_flat_scratch, 0
	.set _ZN4vllm25paged_attention_v1_kernelIttLi80ELi8ELi128ELNS_18Fp8KVCacheDataTypeE0ELb1EEEvPT_PKS2_PKT0_S8_ifPKiSA_iPKfiiiSC_SC_iiiii.has_dyn_sized_stack, 0
	.set _ZN4vllm25paged_attention_v1_kernelIttLi80ELi8ELi128ELNS_18Fp8KVCacheDataTypeE0ELb1EEEvPT_PKS2_PKT0_S8_ifPKiSA_iPKfiiiSC_SC_iiiii.has_recursion, 0
	.set _ZN4vllm25paged_attention_v1_kernelIttLi80ELi8ELi128ELNS_18Fp8KVCacheDataTypeE0ELb1EEEvPT_PKS2_PKT0_S8_ifPKiSA_iPKfiiiSC_SC_iiiii.has_indirect_call, 0
	.section	.AMDGPU.csdata,"",@progbits
; Kernel info:
; codeLenInByte = 5296
; TotalNumSgprs: 53
; NumVgprs: 43
; NumAgprs: 0
; TotalNumVgprs: 43
; ScratchSize: 0
; MemoryBound: 0
; FloatMode: 240
; IeeeMode: 1
; LDSByteSize: 176 bytes/workgroup (compile time only)
; SGPRBlocks: 6
; VGPRBlocks: 5
; NumSGPRsForWavesPerEU: 53
; NumVGPRsForWavesPerEU: 43
; AccumOffset: 44
; Occupancy: 8
; WaveLimiterHint : 1
; COMPUTE_PGM_RSRC2:SCRATCH_EN: 0
; COMPUTE_PGM_RSRC2:USER_SGPR: 2
; COMPUTE_PGM_RSRC2:TRAP_HANDLER: 0
; COMPUTE_PGM_RSRC2:TGID_X_EN: 1
; COMPUTE_PGM_RSRC2:TGID_Y_EN: 1
; COMPUTE_PGM_RSRC2:TGID_Z_EN: 1
; COMPUTE_PGM_RSRC2:TIDIG_COMP_CNT: 0
; COMPUTE_PGM_RSRC3_GFX90A:ACCUM_OFFSET: 10
; COMPUTE_PGM_RSRC3_GFX90A:TG_SPLIT: 0
	.section	.text._ZN4vllm25paged_attention_v1_kernelIttLi96ELi8ELi128ELNS_18Fp8KVCacheDataTypeE0ELb1EEEvPT_PKS2_PKT0_S8_ifPKiSA_iPKfiiiSC_SC_iiiii,"axG",@progbits,_ZN4vllm25paged_attention_v1_kernelIttLi96ELi8ELi128ELNS_18Fp8KVCacheDataTypeE0ELb1EEEvPT_PKS2_PKT0_S8_ifPKiSA_iPKfiiiSC_SC_iiiii,comdat
	.protected	_ZN4vllm25paged_attention_v1_kernelIttLi96ELi8ELi128ELNS_18Fp8KVCacheDataTypeE0ELb1EEEvPT_PKS2_PKT0_S8_ifPKiSA_iPKfiiiSC_SC_iiiii ; -- Begin function _ZN4vllm25paged_attention_v1_kernelIttLi96ELi8ELi128ELNS_18Fp8KVCacheDataTypeE0ELb1EEEvPT_PKS2_PKT0_S8_ifPKiSA_iPKfiiiSC_SC_iiiii
	.globl	_ZN4vllm25paged_attention_v1_kernelIttLi96ELi8ELi128ELNS_18Fp8KVCacheDataTypeE0ELb1EEEvPT_PKS2_PKT0_S8_ifPKiSA_iPKfiiiSC_SC_iiiii
	.p2align	8
	.type	_ZN4vllm25paged_attention_v1_kernelIttLi96ELi8ELi128ELNS_18Fp8KVCacheDataTypeE0ELb1EEEvPT_PKS2_PKT0_S8_ifPKiSA_iPKfiiiSC_SC_iiiii,@function
_ZN4vllm25paged_attention_v1_kernelIttLi96ELi8ELi128ELNS_18Fp8KVCacheDataTypeE0ELb1EEEvPT_PKS2_PKT0_S8_ifPKiSA_iPKfiiiSC_SC_iiiii: ; @_ZN4vllm25paged_attention_v1_kernelIttLi96ELi8ELi128ELNS_18Fp8KVCacheDataTypeE0ELb1EEEvPT_PKS2_PKT0_S8_ifPKiSA_iPKfiiiSC_SC_iiiii
; %bb.0:
	s_load_dword s5, s[0:1], 0x80
	s_load_dwordx2 s[6:7], s[0:1], 0x30
	s_load_dwordx2 s[34:35], s[0:1], 0x20
	s_mov_b32 s20, s3
	s_ashr_i32 s21, s3, 31
	s_lshl_b64 s[8:9], s[20:21], 2
	s_waitcnt lgkmcnt(0)
	s_add_u32 s6, s6, s8
	s_addc_u32 s7, s7, s9
	s_abs_i32 s3, s34
	v_cvt_f32_u32_e32 v1, s3
	s_sub_i32 s10, 0, s3
	s_abs_i32 s9, s5
	s_xor_b32 s8, s5, s34
	v_rcp_iflag_f32_e32 v1, v1
	s_ashr_i32 s8, s8, 31
	s_mov_b32 s46, 0
	v_mul_f32_e32 v1, 0x4f7ffffe, v1
	v_cvt_u32_f32_e32 v1, v1
	s_nop 0
	v_readfirstlane_b32 s11, v1
	s_mul_i32 s10, s10, s11
	s_mul_hi_u32 s10, s11, s10
	s_add_i32 s11, s11, s10
	s_mul_hi_u32 s10, s9, s11
	s_mul_i32 s11, s10, s3
	s_sub_i32 s9, s9, s11
	s_add_i32 s11, s10, 1
	s_sub_i32 s12, s9, s3
	s_cmp_ge_u32 s9, s3
	s_cselect_b32 s10, s11, s10
	s_cselect_b32 s9, s12, s9
	s_add_i32 s11, s10, 1
	s_cmp_ge_u32 s9, s3
	s_cselect_b32 s3, s11, s10
	s_xor_b32 s3, s3, s8
	s_sub_i32 s12, s3, s8
	s_abs_i32 s10, s12
	v_cvt_f32_u32_e32 v1, s10
	s_load_dwordx2 s[8:9], s[0:1], 0x40
	s_sub_i32 s3, 0, s10
	s_abs_i32 s11, s2
	v_rcp_iflag_f32_e32 v1, v1
	s_nop 0
	v_mul_f32_e32 v1, 0x4f7ffffe, v1
	v_cvt_u32_f32_e32 v1, v1
	s_nop 0
	v_readfirstlane_b32 s13, v1
	s_mul_i32 s3, s3, s13
	s_mul_hi_u32 s3, s13, s3
	s_add_i32 s13, s13, s3
	s_waitcnt lgkmcnt(0)
	s_cmp_eq_u64 s[8:9], 0
	s_mul_hi_u32 s24, s11, s13
	s_cbranch_scc1 .LBB57_2
; %bb.1:
	s_ashr_i32 s3, s2, 31
	s_lshl_b64 s[14:15], s[2:3], 2
	s_add_u32 s8, s8, s14
	s_addc_u32 s9, s9, s15
	s_load_dword s46, s[8:9], 0x0
.LBB57_2:
	s_load_dword s21, s[6:7], 0x0
	s_ashr_i32 s26, s12, 31
	s_load_dwordx4 s[12:15], s[0:1], 0x48
	s_movk_i32 s3, 0x60
	s_ashr_i32 s25, s2, 31
	v_and_b32_e32 v4, 7, v0
	s_mul_i32 s22, s2, 0x60
	v_cmp_gt_u32_e64 s[6:7], s3, v0
	v_lshlrev_b32_e32 v6, 1, v0
	s_and_saveexec_b64 s[8:9], s[6:7]
	s_cbranch_execz .LBB57_4
; %bb.3:
	s_load_dwordx2 s[16:17], s[0:1], 0x8
	s_waitcnt lgkmcnt(0)
	s_mul_i32 s18, s12, s20
	s_ashr_i32 s19, s18, 31
	s_lshl_b64 s[18:19], s[18:19], 1
	v_lshrrev_b32_e32 v2, 2, v0
	s_add_u32 s3, s16, s18
	s_addc_u32 s12, s17, s19
	s_ashr_i32 s23, s22, 31
	s_lshl_b64 s[16:17], s[22:23], 1
	s_add_u32 s16, s3, s16
	s_addc_u32 s17, s12, s17
	global_load_ushort v1, v6, s[16:17]
	v_and_b32_e32 v2, 0xfe, v2
	v_mad_u32_u24 v2, v4, 24, v2
	s_waitcnt vmcnt(0)
	ds_write_b16 v2, v1
.LBB57_4:
	s_or_b64 exec, exec, s[8:9]
	s_mul_i32 s9, s24, s10
	s_sub_i32 s9, s11, s9
	s_xor_b32 s8, s25, s26
	s_add_i32 s11, s24, 1
	s_waitcnt lgkmcnt(0)
	s_sub_i32 s12, s9, s10
	s_load_dwordx4 s[16:19], s[0:1], 0x68
	s_load_dword s3, s[0:1], 0x78
	s_cmp_ge_u32 s9, s10
	s_cselect_b32 s11, s11, s24
	s_cselect_b32 s9, s12, s9
	s_add_i32 s12, s11, 1
	s_cmp_ge_u32 s9, s10
	s_cselect_b32 s9, s12, s11
	s_waitcnt lgkmcnt(0)
	s_abs_i32 s33, s19
	v_cvt_f32_u32_e32 v1, s33
	s_xor_b32 s9, s9, s8
	s_sub_i32 s10, s9, s8
	s_sub_i32 s8, 0, s33
	v_rcp_iflag_f32_e32 v1, v1
	s_add_i32 s15, s21, -1
	s_abs_i32 s11, s15
	v_mul_f32_e32 v1, 0x4f7ffffe, v1
	v_cvt_u32_f32_e32 v1, v1
	s_barrier
	v_readfirstlane_b32 s42, v1
	s_mul_i32 s8, s8, s42
	s_mul_hi_u32 s8, s42, s8
	s_add_i32 s42, s42, s8
	s_cmp_lt_i32 s3, 0
	s_mul_hi_u32 s12, s11, s42
	s_cbranch_scc0 .LBB57_6
; %bb.5:
	s_mul_i32 s8, s16, s34
	s_add_i32 s8, s10, s8
	s_mul_i32 s8, s8, s3
	s_sub_i32 s43, 1, s8
	s_mov_b64 s[8:9], 0
	s_branch .LBB57_7
.LBB57_6:
	s_mov_b64 s[8:9], -1
                                        ; implicit-def: $sgpr43
.LBB57_7:
	s_load_dwordx2 s[26:27], s[0:1], 0x28
	s_ashr_i32 s15, s15, 31
	s_andn2_b64 vcc, exec, s[8:9]
	s_ashr_i32 s44, s19, 31
	s_cbranch_vccnz .LBB57_9
; %bb.8:
	s_mul_i32 s8, s5, s16
	s_add_i32 s2, s8, s2
	s_mul_i32 s2, s2, s3
	s_add_i32 s43, s2, 1
.LBB57_9:
	s_load_dword s2, s[0:1], 0x38
	s_load_dwordx2 s[24:25], s[0:1], 0x0
	s_load_dwordx2 s[30:31], s[0:1], 0x18
	s_load_dword s23, s[0:1], 0x88
	s_xor_b32 s3, s15, s44
	s_waitcnt lgkmcnt(0)
	s_mul_i32 s28, s2, s20
	s_mul_i32 s2, s12, s33
	s_sub_i32 s2, s11, s2
	s_ashr_i32 s29, s28, 31
	s_add_i32 s8, s12, 1
	s_sub_i32 s9, s2, s33
	s_cmp_ge_u32 s2, s33
	s_cselect_b32 s8, s8, s12
	s_cselect_b32 s2, s9, s2
	s_add_i32 s9, s8, 1
	s_cmp_ge_u32 s2, s33
	s_cselect_b32 s2, s9, s8
	s_xor_b32 s2, s2, s3
	s_sub_i32 s12, s2, s3
	s_add_i32 s2, s21, 7
	s_ashr_i32 s3, s2, 31
	s_lshr_b32 s3, s3, 29
	s_add_i32 s2, s2, s3
	s_ashr_i32 s45, s2, 3
	v_lshrrev_b32_e32 v7, 6, v0
	v_cmp_gt_i32_e64 s[2:3], s45, v7
	v_mov_b32_e32 v11, 0xff7fffff
	s_mul_i32 s14, s10, s14
	v_lshrrev_b32_e32 v1, 4, v0
	v_lshlrev_b32_e32 v17, 3, v7
	v_mbcnt_lo_u32_b32 v8, -1, 0
	s_and_saveexec_b64 s[36:37], s[2:3]
	s_cbranch_execz .LBB57_21
; %bb.10:
	s_load_dwordx2 s[0:1], s[0:1], 0x10
	s_ashr_i32 s15, s14, 31
	s_sub_i32 s16, s12, s17
	s_lshl_b64 s[8:9], s[14:15], 1
	v_bfe_u32 v9, v0, 3, 3
	s_waitcnt lgkmcnt(0)
	s_add_u32 s0, s0, s8
	s_addc_u32 s1, s1, s9
	s_abs_i32 s15, s18
	v_cvt_f32_u32_e32 v2, s15
	v_lshlrev_b32_e32 v14, 4, v9
	v_mov_b32_e32 v15, 0
	s_sub_i32 s8, 0, s15
	v_rcp_iflag_f32_e32 v5, v2
	v_cmp_eq_u32_e32 vcc, 0, v4
	v_lshl_add_u64 v[2:3], s[0:1], 0, v[14:15]
	v_lshlrev_b32_e32 v14, 1, v4
	v_mul_f32_e32 v5, 0x4f7ffffe, v5
	v_cvt_u32_f32_e32 v5, v5
	v_mul_u32_u24_e32 v10, 24, v4
	v_lshl_add_u64 v[2:3], v[2:3], 0, v[14:15]
	v_and_b32_e32 v14, 60, v1
	v_mul_lo_u32 v4, s8, v5
	s_lshl_b64 s[8:9], s[28:29], 2
	s_add_u32 s8, s26, s8
	v_mul_hi_u32 v4, v5, v4
	s_addc_u32 s9, s27, s9
	v_subrev_u32_e32 v11, s21, v9
	v_add_u32_e32 v12, v5, v4
	v_lshl_add_u64 v[4:5], s[8:9], 0, v[14:15]
	v_add_u32_e32 v14, 1, v11
	v_lshlrev_b32_e32 v11, 2, v9
	v_lshl_or_b32 v11, v7, 5, v11
	v_mbcnt_hi_u32_b32 v18, -1, v8
	v_add_u32_e32 v15, 0xd0, v11
	v_and_b32_e32 v11, 64, v18
	s_mov_b32 s19, s13
	v_cmp_neq_f32_e64 s[0:1], s46, 0
	v_lshlrev_b32_e32 v13, 3, v7
	v_mov_b32_e32 v16, 0xff7fffff
	s_mov_b64 s[38:39], 0
	v_add_u32_e32 v19, 64, v11
	v_xor_b32_e32 v20, 4, v18
	v_xor_b32_e32 v21, 2, v18
	;; [unrolled: 1-line block ×3, first 2 shown]
	v_mov_b32_e32 v11, 0xff7fffff
	v_mov_b32_e32 v23, v7
	s_branch .LBB57_13
.LBB57_11:                              ;   in Loop: Header=BB57_13 Depth=1
	s_or_b64 exec, exec, s[40:41]
.LBB57_12:                              ;   in Loop: Header=BB57_13 Depth=1
	s_or_b64 exec, exec, s[10:11]
	v_add_u32_e32 v23, 2, v23
	v_cmp_le_i32_e64 s[8:9], s45, v23
	v_lshl_add_u64 v[4:5], v[4:5], 0, 8
	v_add_u32_e32 v13, 16, v13
	s_or_b64 s[38:39], s[8:9], s[38:39]
	v_add_u32_e32 v15, 64, v15
	s_andn2_b64 exec, exec, s[38:39]
	s_cbranch_execz .LBB57_20
.LBB57_13:                              ; =>This Inner Loop Header: Depth=1
	v_mul_hi_u32 v24, v13, s42
	s_waitcnt lgkmcnt(0)
	v_mul_lo_u32 v25, v24, s33
	v_sub_u32_e32 v25, v13, v25
	v_add_u32_e32 v26, 1, v24
	v_cmp_le_u32_e64 s[8:9], s33, v25
	s_nop 1
	v_cndmask_b32_e64 v24, v24, v26, s[8:9]
	v_subrev_u32_e32 v26, s33, v25
	v_cndmask_b32_e64 v25, v25, v26, s[8:9]
	v_add_u32_e32 v26, 1, v24
	v_cmp_le_u32_e64 s[8:9], s33, v25
	s_nop 1
	v_cndmask_b32_e64 v24, v24, v26, s[8:9]
	v_xor_b32_e32 v24, s44, v24
	v_subrev_u32_e32 v24, s44, v24
	v_add_u32_e32 v25, s43, v24
	v_sub_u32_e32 v27, 0, v25
	v_ashrrev_i32_e32 v26, 31, v25
	v_max_i32_e32 v25, v25, v27
	v_mul_hi_u32 v27, v25, v12
	v_mul_lo_u32 v27, v27, s15
	v_sub_u32_e32 v25, v25, v27
	v_subrev_u32_e32 v27, s15, v25
	v_cmp_le_u32_e64 s[8:9], s15, v25
	v_cmp_ge_i32_e64 s[10:11], s16, v24
	s_nop 0
	v_cndmask_b32_e64 v25, v25, v27, s[8:9]
	v_subrev_u32_e32 v27, s15, v25
	v_cmp_le_u32_e64 s[8:9], s15, v25
	s_nop 1
	v_cndmask_b32_e64 v25, v25, v27, s[8:9]
	v_xor_b32_e32 v25, v25, v26
	v_sub_u32_e32 v25, v25, v26
	v_cmp_ne_u32_e64 s[8:9], 0, v25
	s_and_b64 s[8:9], s[8:9], s[10:11]
	s_and_saveexec_b64 s[10:11], s[8:9]
	s_xor_b64 s[8:9], exec, s[10:11]
	s_cbranch_execz .LBB57_17
; %bb.14:                               ;   in Loop: Header=BB57_13 Depth=1
	s_and_saveexec_b64 s[10:11], vcc
; %bb.15:                               ;   in Loop: Header=BB57_13 Depth=1
	ds_write_b32 v15, v16
; %bb.16:                               ;   in Loop: Header=BB57_13 Depth=1
	s_or_b64 exec, exec, s[10:11]
.LBB57_17:                              ;   in Loop: Header=BB57_13 Depth=1
	s_andn2_saveexec_b64 s[10:11], s[8:9]
	s_cbranch_execz .LBB57_12
; %bb.18:                               ;   in Loop: Header=BB57_13 Depth=1
	global_load_dword v24, v[4:5], off
	s_waitcnt vmcnt(0)
	v_mad_i64_i32 v[24:25], s[8:9], v24, s19, 0
	v_lshl_add_u64 v[24:25], v[24:25], 1, v[2:3]
	global_load_ushort v26, v[24:25], off
	global_load_ushort v27, v[24:25], off offset:128
	global_load_ushort v29, v[24:25], off offset:256
	global_load_ushort v31, v[24:25], off offset:384
	global_load_ushort v33, v[24:25], off offset:512
	global_load_ushort v35, v[24:25], off offset:640
	global_load_ushort v37, v[24:25], off offset:768
	global_load_ushort v39, v[24:25], off offset:896
	global_load_ushort v42, v[24:25], off offset:1024
	global_load_ushort v43, v[24:25], off offset:1152
	global_load_ushort v44, v[24:25], off offset:1280
	ds_read_u16 v28, v10
	global_load_ushort v45, v[24:25], off offset:1408
	s_waitcnt lgkmcnt(0)
	;;#ASMSTART
	v_cvt_f32_f16 v24, v28;
	;;#ASMEND
	v_cmp_lt_i32_e64 s[8:9], v20, v19
	s_waitcnt vmcnt(11)
	;;#ASMSTART
	v_cvt_f32_f16 v25, v26;
	;;#ASMEND
	ds_read_u16 v26, v10 offset:2
	s_waitcnt lgkmcnt(0)
	;;#ASMSTART
	v_cvt_f32_f16 v26, v26;
	;;#ASMEND
	s_waitcnt vmcnt(10)
	;;#ASMSTART
	v_cvt_f32_f16 v27, v27;
	;;#ASMEND
	ds_read_u16 v28, v10 offset:4
	v_mul_f32_e32 v26, v26, v27
	v_fmac_f32_e32 v26, v24, v25
	s_waitcnt lgkmcnt(0)
	;;#ASMSTART
	v_cvt_f32_f16 v28, v28;
	;;#ASMEND
	s_waitcnt vmcnt(9)
	;;#ASMSTART
	v_cvt_f32_f16 v29, v29;
	;;#ASMEND
	ds_read_u16 v30, v10 offset:6
	v_fmac_f32_e32 v26, v28, v29
	s_waitcnt lgkmcnt(0)
	;;#ASMSTART
	v_cvt_f32_f16 v30, v30;
	;;#ASMEND
	s_waitcnt vmcnt(8)
	;;#ASMSTART
	v_cvt_f32_f16 v31, v31;
	;;#ASMEND
	ds_read_u16 v32, v10 offset:8
	;; [unrolled: 10-line block ×8, first 2 shown]
	v_fmac_f32_e32 v26, v24, v25
	v_cndmask_b32_e64 v40, v18, v20, s[8:9]
	s_waitcnt lgkmcnt(0)
	;;#ASMSTART
	v_cvt_f32_f16 v27, v27;
	;;#ASMEND
	s_waitcnt vmcnt(1)
	;;#ASMSTART
	v_cvt_f32_f16 v28, v44;
	;;#ASMEND
	v_lshlrev_b32_e32 v40, 2, v40
	v_fmac_f32_e32 v26, v27, v28
	ds_read_u16 v29, v10 offset:22
	s_waitcnt lgkmcnt(0)
	;;#ASMSTART
	v_cvt_f32_f16 v24, v29;
	;;#ASMEND
	s_waitcnt vmcnt(0)
	;;#ASMSTART
	v_cvt_f32_f16 v25, v45;
	;;#ASMEND
	v_cmp_lt_i32_e64 s[8:9], v21, v19
	v_fmac_f32_e32 v26, v24, v25
	ds_bpermute_b32 v24, v40, v26
	v_cndmask_b32_e64 v25, v18, v21, s[8:9]
	v_lshlrev_b32_e32 v25, 2, v25
	v_cmp_lt_i32_e64 s[8:9], v22, v19
	s_waitcnt lgkmcnt(0)
	v_add_f32_e32 v24, v26, v24
	ds_bpermute_b32 v25, v25, v24
	v_cndmask_b32_e64 v26, v18, v22, s[8:9]
	s_waitcnt lgkmcnt(0)
	v_add_f32_e32 v24, v24, v25
	v_lshlrev_b32_e32 v25, 2, v26
	ds_bpermute_b32 v25, v25, v24
	s_and_saveexec_b64 s[40:41], vcc
	s_cbranch_execz .LBB57_11
; %bb.19:                               ;   in Loop: Header=BB57_13 Depth=1
	v_add_u32_e32 v26, v14, v13
	v_cvt_f32_i32_e32 v26, v26
	s_waitcnt lgkmcnt(0)
	v_add_f32_e32 v24, v24, v25
	v_add_u32_e32 v27, v9, v13
	v_cmp_gt_i32_e64 s[8:9], s21, v27
	v_mul_f32_e32 v25, s46, v26
	v_cndmask_b32_e64 v25, 0, v25, s[0:1]
	v_fmac_f32_e32 v25, s35, v24
	v_cndmask_b32_e64 v24, 0, v25, s[8:9]
	ds_write_b32 v15, v24
	v_max_f32_e32 v24, v11, v11
	v_max_f32_e32 v24, v24, v25
	v_cndmask_b32_e64 v11, v11, v24, s[8:9]
	s_branch .LBB57_11
.LBB57_20:
	s_or_b64 exec, exec, s[38:39]
.LBB57_21:
	s_or_b64 exec, exec, s[36:37]
	v_mbcnt_hi_u32_b32 v2, -1, v8
	v_and_b32_e32 v12, 64, v2
	v_add_u32_e32 v3, 64, v12
	v_xor_b32_e32 v4, 32, v2
	v_cmp_lt_i32_e32 vcc, v4, v3
	v_xor_b32_e32 v9, 16, v2
	v_max_f32_e32 v8, v11, v11
	v_cndmask_b32_e32 v4, v2, v4, vcc
	v_lshlrev_b32_e32 v5, 2, v4
	ds_bpermute_b32 v4, v5, v11
	v_cmp_lt_i32_e32 vcc, v9, v3
	v_xor_b32_e32 v10, 8, v2
	v_and_b32_e32 v18, 63, v0
	s_waitcnt lgkmcnt(0)
	v_max_f32_e32 v4, v4, v4
	v_max_f32_e32 v4, v8, v4
	v_cndmask_b32_e32 v8, v2, v9, vcc
	v_lshlrev_b32_e32 v9, 2, v8
	ds_bpermute_b32 v8, v9, v4
	v_cmp_lt_i32_e32 vcc, v10, v3
	s_waitcnt lgkmcnt(0)
	v_max_f32_e32 v8, v8, v8
	v_max_f32_e32 v8, v4, v8
	v_cndmask_b32_e32 v4, v2, v10, vcc
	v_lshlrev_b32_e32 v11, 2, v4
	ds_bpermute_b32 v10, v11, v8
	v_cmp_eq_u32_e32 vcc, 0, v18
	v_lshlrev_b32_e32 v4, 2, v7
	s_and_saveexec_b64 s[0:1], vcc
	s_cbranch_execz .LBB57_23
; %bb.22:
	s_waitcnt lgkmcnt(0)
	v_max_f32_e32 v10, v10, v10
	v_max_f32_e32 v8, v8, v8
	;; [unrolled: 1-line block ×3, first 2 shown]
	ds_write_b32 v4, v8 offset:192
.LBB57_23:
	s_or_b64 exec, exec, s[0:1]
	v_cmp_gt_u32_e64 s[0:1], 2, v18
	v_mov_b32_e32 v13, 0xff7fffff
	v_lshlrev_b32_e32 v8, 2, v18
	s_waitcnt lgkmcnt(0)
	s_barrier
	s_and_saveexec_b64 s[8:9], s[0:1]
; %bb.24:
	ds_read_b32 v13, v8 offset:192
; %bb.25:
	s_or_b64 exec, exec, s[8:9]
	v_xor_b32_e32 v10, 1, v2
	v_cmp_lt_i32_e64 s[8:9], v10, v3
	v_lshlrev_b32_e32 v12, 2, v12
	s_nop 0
	v_cndmask_b32_e64 v10, v2, v10, s[8:9]
	v_lshlrev_b32_e32 v10, 2, v10
	s_waitcnt lgkmcnt(0)
	ds_bpermute_b32 v14, v10, v13
	v_max_f32_e32 v13, v13, v13
	s_lshl_b32 s8, s45, 3
	s_min_i32 s15, s8, s21
	v_cmp_gt_i32_e64 s[8:9], s15, v0
	s_waitcnt lgkmcnt(0)
	v_max_f32_e32 v14, v14, v14
	v_max_f32_e32 v13, v13, v14
	ds_bpermute_b32 v13, v12, v13
	v_mov_b32_e32 v12, 0
	s_and_saveexec_b64 s[34:35], s[8:9]
	s_cbranch_execz .LBB57_29
; %bb.26:
	v_mov_b32_e32 v12, 0xd0
	v_lshl_add_u32 v14, v0, 2, v12
	v_mov_b32_e32 v12, 0
	s_mov_b64 s[36:37], 0
	v_mov_b32_e32 v15, v0
.LBB57_27:                              ; =>This Inner Loop Header: Depth=1
	ds_read_b32 v16, v14
	v_add_u32_e32 v15, 0x80, v15
	v_cmp_le_i32_e64 s[10:11], s15, v15
	s_or_b64 s[36:37], s[10:11], s[36:37]
	s_waitcnt lgkmcnt(0)
	v_sub_f32_e32 v16, v16, v13
	v_mul_f32_e32 v16, 0x3fb8aa3b, v16
	v_exp_f32_e32 v16, v16
	ds_write_b32 v14, v16
	v_add_f32_e32 v12, v12, v16
	v_add_u32_e32 v14, 0x200, v14
	s_andn2_b64 exec, exec, s[36:37]
	s_cbranch_execnz .LBB57_27
; %bb.28:
	s_or_b64 exec, exec, s[36:37]
.LBB57_29:
	s_or_b64 exec, exec, s[34:35]
	ds_bpermute_b32 v5, v5, v12
	s_waitcnt lgkmcnt(0)
	v_add_f32_e32 v5, v12, v5
	ds_bpermute_b32 v9, v9, v5
	s_waitcnt lgkmcnt(0)
	v_add_f32_e32 v5, v5, v9
	ds_bpermute_b32 v9, v11, v5
	v_xor_b32_e32 v11, 4, v2
	v_cmp_lt_i32_e64 s[10:11], v11, v3
	s_waitcnt lgkmcnt(0)
	v_add_f32_e32 v5, v5, v9
	v_cndmask_b32_e64 v11, v2, v11, s[10:11]
	v_lshlrev_b32_e32 v11, 2, v11
	ds_bpermute_b32 v9, v11, v5
	v_xor_b32_e32 v11, 2, v2
	v_cmp_lt_i32_e64 s[10:11], v11, v3
	s_waitcnt lgkmcnt(0)
	v_add_f32_e32 v5, v5, v9
	v_cndmask_b32_e64 v3, v2, v11, s[10:11]
	v_lshlrev_b32_e32 v3, 2, v3
	ds_bpermute_b32 v3, v3, v5
	s_waitcnt lgkmcnt(0)
	v_add_f32_e32 v3, v5, v3
	ds_bpermute_b32 v5, v10, v3
	s_waitcnt lgkmcnt(0)
	v_add_f32_e32 v3, v3, v5
	s_and_saveexec_b64 s[10:11], vcc
; %bb.30:
	ds_write_b32 v4, v3 offset:200
; %bb.31:
	s_or_b64 exec, exec, s[10:11]
	s_waitcnt lgkmcnt(0)
	s_barrier
	s_and_saveexec_b64 s[10:11], s[0:1]
; %bb.32:
	ds_read_b32 v3, v8 offset:200
; %bb.33:
	s_or_b64 exec, exec, s[10:11]
	s_waitcnt lgkmcnt(0)
	ds_bpermute_b32 v4, v10, v3
	v_lshlrev_b32_e32 v2, 2, v2
	v_and_b32_e32 v2, 0x100, v2
	s_waitcnt lgkmcnt(0)
	v_add_f32_e32 v3, v3, v4
	ds_bpermute_b32 v2, v2, v3
	s_and_saveexec_b64 s[0:1], s[8:9]
	s_cbranch_execz .LBB57_46
; %bb.34:
	s_waitcnt lgkmcnt(0)
	v_add_f32_e32 v2, 0x358637bd, v2
	v_div_scale_f32 v3, s[8:9], v2, v2, 1.0
	v_rcp_f32_e32 v4, v3
	v_div_scale_f32 v5, vcc, 1.0, v2, 1.0
	s_movk_i32 s8, 0x7f
	v_fma_f32 v8, -v3, v4, 1.0
	v_fmac_f32_e32 v4, v8, v4
	v_mul_f32_e32 v8, v5, v4
	v_fma_f32 v9, -v3, v8, v5
	v_fmac_f32_e32 v8, v9, v4
	v_fma_f32 v3, -v3, v8, v5
	v_div_fmas_f32 v3, v3, v4, v8
	v_xad_u32 v4, v0, -1, s15
	v_div_fixup_f32 v2, v3, v2, 1.0
	v_cmp_lt_u32_e32 vcc, s8, v4
	s_mov_b64 s[10:11], -1
	v_mov_b32_e32 v3, v0
	s_and_saveexec_b64 s[8:9], vcc
	s_cbranch_execz .LBB57_43
; %bb.35:
	v_lshrrev_b32_e32 v4, 7, v4
	v_add_u32_e32 v8, -1, v4
	v_lshrrev_b32_e32 v5, 1, v8
	v_mov_b32_e32 v3, v2
	v_add_u32_e32 v5, 1, v5
	v_cmp_lt_u32_e32 vcc, 13, v8
	v_mov_b32_e32 v10, 0
	s_and_saveexec_b64 s[10:11], vcc
	s_cbranch_execz .LBB57_39
; %bb.36:
	v_mov_b32_e32 v9, 0xd0
	v_and_b32_e32 v8, -8, v5
	v_lshl_add_u32 v9, v0, 2, v9
	s_mov_b32 s16, 0
	s_mov_b64 s[34:35], 0
.LBB57_37:                              ; =>This Inner Loop Header: Depth=1
	ds_read2st64_b32 v[10:11], v9 offset1:2
	ds_read2st64_b32 v[12:13], v9 offset0:4 offset1:6
	ds_read2st64_b32 v[14:15], v9 offset0:8 offset1:10
	;; [unrolled: 1-line block ×3, first 2 shown]
	v_add_u32_e32 v8, -8, v8
	s_waitcnt lgkmcnt(3)
	v_pk_mul_f32 v[10:11], v[2:3], v[10:11]
	s_waitcnt lgkmcnt(2)
	v_pk_mul_f32 v[12:13], v[2:3], v[12:13]
	ds_write2st64_b32 v9, v10, v11 offset1:2
	ds_write2st64_b32 v9, v12, v13 offset0:4 offset1:6
	ds_read2st64_b32 v[12:13], v9 offset0:16 offset1:18
	s_waitcnt lgkmcnt(4)
	v_pk_mul_f32 v[10:11], v[2:3], v[14:15]
	ds_write2st64_b32 v9, v10, v11 offset0:8 offset1:10
	s_waitcnt lgkmcnt(4)
	v_pk_mul_f32 v[10:11], v[2:3], v[20:21]
	ds_write2st64_b32 v9, v10, v11 offset0:12 offset1:14
	ds_read2st64_b32 v[10:11], v9 offset0:20 offset1:22
	s_waitcnt lgkmcnt(3)
	v_pk_mul_f32 v[12:13], v[2:3], v[12:13]
	ds_read2st64_b32 v[14:15], v9 offset0:24 offset1:26
	ds_write2st64_b32 v9, v12, v13 offset0:16 offset1:18
	ds_read2st64_b32 v[12:13], v9 offset0:28 offset1:30
	s_waitcnt lgkmcnt(3)
	v_pk_mul_f32 v[10:11], v[2:3], v[10:11]
	ds_write2st64_b32 v9, v10, v11 offset0:20 offset1:22
	s_waitcnt lgkmcnt(3)
	v_pk_mul_f32 v[10:11], v[2:3], v[14:15]
	ds_write2st64_b32 v9, v10, v11 offset0:24 offset1:26
	s_waitcnt lgkmcnt(2)
	v_pk_mul_f32 v[10:11], v[2:3], v[12:13]
	s_add_i32 s16, s16, 16
	v_cmp_eq_u32_e32 vcc, 0, v8
	ds_write2st64_b32 v9, v10, v11 offset0:28 offset1:30
	v_add_u32_e32 v9, 0x2000, v9
	s_or_b64 s[34:35], vcc, s[34:35]
	v_mov_b32_e32 v10, s16
	s_andn2_b64 exec, exec, s[34:35]
	s_cbranch_execnz .LBB57_37
; %bb.38:
	s_or_b64 exec, exec, s[34:35]
.LBB57_39:
	s_or_b64 exec, exec, s[10:11]
	v_and_b32_e32 v5, 7, v5
	v_cmp_ne_u32_e32 vcc, 0, v5
	s_and_saveexec_b64 s[10:11], vcc
	s_cbranch_execz .LBB57_42
; %bb.40:
	v_lshlrev_b32_e32 v8, 9, v10
	v_lshlrev_b32_e32 v9, 2, v0
	s_movk_i32 s16, 0xd0
	v_add3_u32 v8, v8, v9, s16
	s_mov_b64 s[34:35], 0
.LBB57_41:                              ; =>This Inner Loop Header: Depth=1
	ds_read2st64_b32 v[10:11], v8 offset1:2
	v_add_u32_e32 v5, -1, v5
	v_cmp_eq_u32_e32 vcc, 0, v5
	s_or_b64 s[34:35], vcc, s[34:35]
	s_waitcnt lgkmcnt(0)
	v_pk_mul_f32 v[10:11], v[2:3], v[10:11]
	ds_write2st64_b32 v8, v10, v11 offset1:2
	v_add_u32_e32 v8, 0x400, v8
	s_andn2_b64 exec, exec, s[34:35]
	s_cbranch_execnz .LBB57_41
.LBB57_42:
	s_or_b64 exec, exec, s[10:11]
	v_add_u32_e32 v4, 1, v4
	v_and_b32_e32 v5, 0x3fffffe, v4
	v_cmp_ne_u32_e32 vcc, v4, v5
	v_lshl_add_u32 v3, v5, 7, v0
	s_orn2_b64 s[10:11], vcc, exec
.LBB57_43:
	s_or_b64 exec, exec, s[8:9]
	s_and_b64 exec, exec, s[10:11]
	s_cbranch_execz .LBB57_46
; %bb.44:
	v_mov_b32_e32 v4, 0xd0
	v_lshl_add_u32 v4, v3, 2, v4
	s_mov_b64 s[8:9], 0
.LBB57_45:                              ; =>This Inner Loop Header: Depth=1
	ds_read_b32 v5, v4
	v_add_u32_e32 v3, 0x80, v3
	v_cmp_le_i32_e32 vcc, s15, v3
	s_or_b64 s[8:9], vcc, s[8:9]
	s_waitcnt lgkmcnt(0)
	v_mul_f32_e32 v5, v2, v5
	ds_write_b32 v4, v5
	v_add_u32_e32 v4, 0x200, v4
	s_andn2_b64 exec, exec, s[8:9]
	s_cbranch_execnz .LBB57_45
.LBB57_46:
	s_or_b64 exec, exec, s[0:1]
	v_mov_b32_e32 v20, 0
	v_mov_b32_e32 v19, 0
	s_waitcnt lgkmcnt(0)
	s_barrier
	s_and_saveexec_b64 s[8:9], s[2:3]
	s_cbranch_execz .LBB57_58
; %bb.47:
	s_ashr_i32 s15, s14, 31
	s_sub_i32 s34, s12, s17
	s_lshl_b64 s[0:1], s[14:15], 1
	s_add_u32 s10, s30, s0
	s_addc_u32 s11, s31, s1
	s_abs_i32 s30, s18
	v_cvt_f32_u32_e32 v3, s30
	v_or_b32_e32 v4, 64, v18
	s_movk_i32 s0, 0x60
	v_cmp_gt_u32_e64 s[2:3], s0, v4
	v_rcp_iflag_f32_e32 v3, v3
	s_sub_i32 s0, 0, s30
	s_add_i32 s31, s45, -1
	v_lshlrev_b32_e32 v2, 3, v18
	v_mul_f32_e32 v3, 0x4f7ffffe, v3
	v_cvt_u32_f32_e32 v3, v3
	v_mov_b32_e32 v9, 0
	v_lshlrev_b32_e32 v4, 3, v4
	v_and_b32_e32 v8, 60, v1
	v_mul_lo_u32 v5, s0, v3
	s_lshl_b64 s[0:1], s[28:29], 2
	s_add_u32 s0, s26, s0
	v_mul_hi_u32 v5, v3, v5
	s_addc_u32 s1, s27, s1
	v_mov_b32_e32 v1, 0xd0
	s_mov_b32 s35, s13
	s_mov_b32 s36, s21
	v_add_u32_e32 v21, v3, v5
	v_lshl_add_u64 v[10:11], s[0:1], 0, v[8:9]
	v_lshl_add_u32 v22, v7, 5, v1
	s_mov_b64 s[12:13], 0
	v_lshlrev_b32_e32 v8, 1, v2
	s_mov_b32 s26, 0xffff
	v_lshlrev_b32_e32 v12, 1, v4
	v_mov_b32_e32 v19, v9
	v_mov_b32_e32 v20, v9
	s_branch .LBB57_51
.LBB57_48:                              ;   in Loop: Header=BB57_51 Depth=1
	s_or_b64 exec, exec, s[18:19]
	v_lshlrev_b32_e32 v14, 16, v14
	v_lshlrev_b32_e32 v1, 16, v1
	v_and_or_b32 v2, v2, s26, v14
	v_and_or_b32 v1, v3, s26, v1
	v_lshlrev_b32_e32 v3, 16, v13
	v_and_or_b32 v3, v4, s26, v3
	;;#ASMSTART
	v_pk_mul_f16 v2, v25, v2;

	;;#ASMEND
	;;#ASMSTART
	v_pk_mul_f16 v1, v26, v1;

	;;#ASMEND
	;; [unrolled: 4-line block ×4, first 2 shown]
	s_nop 0
	;;#ASMSTART
	v_pk_add_f16 v1, v2, v1;

	;;#ASMEND
	s_nop 0
	;;#ASMSTART
	v_pk_add_f16 v1, v1, v3;

	;;#ASMEND
	;; [unrolled: 5-line block ×3, first 2 shown]
	s_nop 0
	v_lshrrev_b32_e32 v2, 16, v1
	v_and_b32_e32 v1, 0xffff, v1
	;;#ASMSTART
	v_cvt_f32_f16 v1, v1;
	;;#ASMEND
	;;#ASMSTART
	v_cvt_f32_f16 v2, v2;
	;;#ASMEND
	s_nop 0
	v_add_f32_e32 v1, v1, v2
	v_add_f32_e32 v19, v19, v1
.LBB57_49:                              ;   in Loop: Header=BB57_51 Depth=1
	s_or_b64 exec, exec, s[16:17]
	v_add_f32_e32 v1, v16, v23
	v_add_f32_e32 v20, v20, v1
.LBB57_50:                              ;   in Loop: Header=BB57_51 Depth=1
	s_or_b64 exec, exec, s[14:15]
	v_add_u32_e32 v7, 2, v7
	v_cmp_le_i32_e32 vcc, s45, v7
	v_lshl_add_u64 v[10:11], v[10:11], 0, 8
	v_add_u32_e32 v17, 16, v17
	s_or_b64 s[12:13], vcc, s[12:13]
	v_add_u32_e32 v22, 64, v22
	s_andn2_b64 exec, exec, s[12:13]
	s_cbranch_execz .LBB57_57
.LBB57_51:                              ; =>This Inner Loop Header: Depth=1
	v_mul_hi_u32 v1, v17, s42
	v_mul_lo_u32 v2, v1, s33
	v_sub_u32_e32 v2, v17, v2
	v_add_u32_e32 v3, 1, v1
	v_cmp_le_u32_e32 vcc, s33, v2
	s_nop 1
	v_cndmask_b32_e32 v1, v1, v3, vcc
	v_subrev_u32_e32 v3, s33, v2
	v_cndmask_b32_e32 v2, v2, v3, vcc
	v_add_u32_e32 v3, 1, v1
	v_cmp_le_u32_e32 vcc, s33, v2
	s_nop 1
	v_cndmask_b32_e32 v1, v1, v3, vcc
	v_xor_b32_e32 v1, s44, v1
	v_subrev_u32_e32 v1, s44, v1
	v_add_u32_e32 v2, s43, v1
	v_sub_u32_e32 v4, 0, v2
	v_ashrrev_i32_e32 v3, 31, v2
	v_max_i32_e32 v2, v2, v4
	v_mul_hi_u32 v4, v2, v21
	v_mul_lo_u32 v4, v4, s30
	v_sub_u32_e32 v2, v2, v4
	v_subrev_u32_e32 v4, s30, v2
	v_cmp_le_u32_e32 vcc, s30, v2
	v_cmp_lt_i32_e64 s[0:1], s34, v1
	s_nop 0
	v_cndmask_b32_e32 v2, v2, v4, vcc
	v_subrev_u32_e32 v4, s30, v2
	v_cmp_le_u32_e32 vcc, s30, v2
	s_nop 1
	v_cndmask_b32_e32 v2, v2, v4, vcc
	v_xor_b32_e32 v2, v2, v3
	v_sub_u32_e32 v2, v2, v3
	v_cmp_eq_u32_e32 vcc, 0, v2
	s_or_b64 s[0:1], vcc, s[0:1]
	s_and_saveexec_b64 s[14:15], s[0:1]
	s_cbranch_execz .LBB57_50
; %bb.52:                               ;   in Loop: Header=BB57_51 Depth=1
	global_load_dword v1, v[10:11], off
	ds_read2_b64 v[2:5], v22 offset1:1
	ds_read2_b64 v[28:31], v22 offset0:2 offset1:3
	s_waitcnt lgkmcnt(1)
	;;#ASMSTART
	v_cvt_f16_f32 v13, v2;

	;;#ASMEND
	;;#ASMSTART
	v_cvt_f16_f32 v23, v3;

	;;#ASMEND
	;; [unrolled: 4-line block ×4, first 2 shown]
	s_waitcnt lgkmcnt(0)
	;;#ASMSTART
	v_cvt_f16_f32 v27, v28;

	;;#ASMEND
	;;#ASMSTART
	v_cvt_f16_f32 v28, v29;

	;;#ASMEND
	;; [unrolled: 4-line block ×4, first 2 shown]
	s_waitcnt vmcnt(0)
	v_mad_i64_i32 v[2:3], s[0:1], v1, s35, 0
	v_lshl_add_u64 v[14:15], v[2:3], 1, s[10:11]
	v_lshl_add_u64 v[2:3], v[14:15], 0, v[8:9]
	global_load_dwordx4 v[2:5], v[2:3], off
	v_cmp_eq_u32_e64 s[0:1], s31, v7
	s_waitcnt vmcnt(0)
	v_lshrrev_b32_e32 v1, 16, v3
	v_lshrrev_b32_e32 v16, 16, v2
	;; [unrolled: 1-line block ×3, first 2 shown]
	s_and_saveexec_b64 s[16:17], s[0:1]
	s_cbranch_execz .LBB57_54
; %bb.53:                               ;   in Loop: Header=BB57_51 Depth=1
	v_cmp_gt_i32_e32 vcc, s21, v17
	v_add_u32_e32 v33, 2, v17
	v_or_b32_e32 v25, 3, v17
	v_cndmask_b32_e32 v2, 0, v2, vcc
	v_cmp_gt_i32_e32 vcc, s21, v33
	v_or_b32_e32 v32, 1, v17
	s_nop 0
	v_cndmask_b32_e32 v3, 0, v3, vcc
	v_cmp_gt_i32_e32 vcc, s36, v25
	v_add_u32_e32 v25, 4, v17
	s_nop 0
	v_cndmask_b32_e32 v1, 0, v1, vcc
	v_cmp_gt_i32_e32 vcc, s21, v32
	v_add_u32_e32 v32, 7, v17
	s_nop 0
	v_cndmask_b32_e32 v16, 0, v16, vcc
	v_cmp_gt_i32_e32 vcc, s21, v25
	v_add_u32_e32 v25, 5, v17
	s_nop 0
	v_cndmask_b32_e32 v4, 0, v4, vcc
	v_cmp_gt_i32_e32 vcc, s21, v25
	v_add_u32_e32 v25, 6, v17
	s_nop 0
	v_cndmask_b32_e32 v31, 0, v31, vcc
	v_cmp_gt_i32_e32 vcc, s21, v25
	s_nop 1
	v_cndmask_b32_sdwa v25, v9, v5, vcc dst_sel:DWORD dst_unused:UNUSED_PAD src0_sel:DWORD src1_sel:WORD_0
	v_and_b32_e32 v5, 0xffff0000, v5
	v_cmp_gt_i32_e32 vcc, s21, v32
	s_nop 1
	v_cndmask_b32_e32 v5, 0, v5, vcc
	v_or_b32_e32 v5, v25, v5
.LBB57_54:                              ;   in Loop: Header=BB57_51 Depth=1
	s_or_b64 exec, exec, s[16:17]
	v_and_b32_e32 v13, 0xffff, v13
	v_lshl_or_b32 v25, v23, 16, v13
	v_and_b32_e32 v13, 0xffff, v24
	v_lshl_or_b32 v26, v26, 16, v13
	;; [unrolled: 2-line block ×4, first 2 shown]
	v_lshlrev_b32_e32 v13, 16, v16
	v_lshlrev_b32_e32 v1, 16, v1
	v_and_or_b32 v2, v2, s26, v13
	v_and_or_b32 v1, v3, s26, v1
	v_lshlrev_b32_e32 v3, 16, v31
	v_and_or_b32 v3, v4, s26, v3
	;;#ASMSTART
	v_pk_mul_f16 v2, v25, v2;

	;;#ASMEND
	;;#ASMSTART
	v_pk_mul_f16 v1, v26, v1;

	;;#ASMEND
	;; [unrolled: 4-line block ×4, first 2 shown]
	s_nop 0
	;;#ASMSTART
	v_pk_add_f16 v1, v2, v1;

	;;#ASMEND
	s_nop 0
	;;#ASMSTART
	v_pk_add_f16 v1, v1, v3;

	;;#ASMEND
	;; [unrolled: 5-line block ×3, first 2 shown]
	s_nop 0
	v_lshrrev_b32_e32 v2, 16, v1
	v_and_b32_e32 v1, 0xffff, v1
	;;#ASMSTART
	v_cvt_f32_f16 v16, v1;
	;;#ASMEND
	;;#ASMSTART
	v_cvt_f32_f16 v23, v2;
	;;#ASMEND
	s_and_saveexec_b64 s[16:17], s[2:3]
	s_cbranch_execz .LBB57_49
; %bb.55:                               ;   in Loop: Header=BB57_51 Depth=1
	v_mov_b32_e32 v13, v9
	v_lshl_add_u64 v[2:3], v[14:15], 0, v[12:13]
	global_load_dwordx4 v[2:5], v[2:3], off
	s_waitcnt vmcnt(0)
	v_lshrrev_b32_e32 v1, 16, v3
	v_lshrrev_b32_e32 v14, 16, v2
	v_lshrrev_b32_e32 v13, 16, v4
	s_and_saveexec_b64 s[18:19], s[0:1]
	s_cbranch_execz .LBB57_48
; %bb.56:                               ;   in Loop: Header=BB57_51 Depth=1
	v_cmp_gt_i32_e32 vcc, s21, v17
	v_add_u32_e32 v29, 2, v17
	v_or_b32_e32 v15, 3, v17
	v_cndmask_b32_e32 v2, 0, v2, vcc
	v_cmp_gt_i32_e32 vcc, s21, v29
	v_or_b32_e32 v28, 1, v17
	s_nop 0
	v_cndmask_b32_e32 v3, 0, v3, vcc
	v_cmp_gt_i32_e32 vcc, s36, v15
	v_add_u32_e32 v15, 4, v17
	s_nop 0
	v_cndmask_b32_e32 v1, 0, v1, vcc
	v_cmp_gt_i32_e32 vcc, s21, v28
	v_add_u32_e32 v28, 7, v17
	s_nop 0
	v_cndmask_b32_e32 v14, 0, v14, vcc
	v_cmp_gt_i32_e32 vcc, s21, v15
	v_add_u32_e32 v15, 5, v17
	s_nop 0
	v_cndmask_b32_e32 v4, 0, v4, vcc
	v_cmp_gt_i32_e32 vcc, s21, v15
	v_add_u32_e32 v15, 6, v17
	s_nop 0
	v_cndmask_b32_e32 v13, 0, v13, vcc
	v_cmp_gt_i32_e32 vcc, s21, v15
	s_nop 1
	v_cndmask_b32_sdwa v15, v9, v5, vcc dst_sel:DWORD dst_unused:UNUSED_PAD src0_sel:DWORD src1_sel:WORD_0
	v_and_b32_e32 v5, 0xffff0000, v5
	v_cmp_gt_i32_e32 vcc, s21, v28
	s_nop 1
	v_cndmask_b32_e32 v5, 0, v5, vcc
	v_or_b32_e32 v5, v15, v5
	s_branch .LBB57_48
.LBB57_57:
	s_or_b64 exec, exec, s[12:13]
.LBB57_58:
	s_or_b64 exec, exec, s[8:9]
	v_and_b32_e32 v1, 0x3c0, v0
	v_cmp_eq_u32_e32 vcc, 64, v1
	s_barrier
	s_and_saveexec_b64 s[0:1], vcc
	s_cbranch_execz .LBB57_61
; %bb.59:
	v_mov_b32_e32 v1, 0xd0
	v_lshl_add_u32 v2, v18, 2, v1
	ds_write_b32 v2, v20
	s_and_b64 exec, exec, s[6:7]
; %bb.60:
	v_lshl_add_u32 v1, v0, 2, v1
	ds_write_b32 v1, v19
.LBB57_61:
	s_or_b64 exec, exec, s[0:1]
	v_cmp_gt_u32_e32 vcc, 64, v0
	v_or_b32_e32 v1, 64, v0
	s_waitcnt lgkmcnt(0)
	s_barrier
	s_and_saveexec_b64 s[2:3], vcc
	s_cbranch_execz .LBB57_65
; %bb.62:
	v_mov_b32_e32 v2, 0xd0
	v_lshl_add_u32 v2, v0, 2, v2
	ds_read_b32 v0, v2
	s_movk_i32 s0, 0x60
	v_cmp_gt_u32_e64 s[0:1], s0, v1
	s_and_saveexec_b64 s[6:7], s[0:1]
	s_cbranch_execz .LBB57_64
; %bb.63:
	ds_read_b32 v2, v2 offset:256
	s_waitcnt lgkmcnt(0)
	v_add_f32_e32 v19, v19, v2
.LBB57_64:
	s_or_b64 exec, exec, s[6:7]
	s_waitcnt lgkmcnt(0)
	v_add_f32_e32 v20, v20, v0
.LBB57_65:
	s_or_b64 exec, exec, s[2:3]
	s_barrier
	s_and_saveexec_b64 s[0:1], vcc
	s_cbranch_execz .LBB57_68
; %bb.66:
	s_mul_i32 s0, s20, s23
	s_mul_i32 s0, s0, s5
	s_mulk_i32 s0, 0x60
	s_ashr_i32 s1, s0, 31
	s_lshl_b64 s[0:1], s[0:1], 1
	s_add_u32 s3, s24, s0
	s_mul_i32 s0, s23, s22
	s_addc_u32 s5, s25, s1
	s_ashr_i32 s1, s0, 31
	s_lshl_b64 s[0:1], s[0:1], 1
	s_add_u32 s3, s3, s0
	s_mul_i32 s0, s4, 0x60
	s_addc_u32 s5, s5, s1
	s_ashr_i32 s1, s0, 31
	s_lshl_b64 s[0:1], s[0:1], 1
	s_movk_i32 s2, 0x60
	s_add_u32 s0, s3, s0
	s_addc_u32 s1, s5, s1
	v_cmp_gt_u32_e32 vcc, s2, v1
	;;#ASMSTART
	v_cvt_f16_f32 v0, v20;

	;;#ASMEND
	global_store_short v6, v0, s[0:1]
	s_and_b64 exec, exec, vcc
	s_cbranch_execz .LBB57_68
; %bb.67:
	v_mov_b32_e32 v7, 0
	v_lshl_add_u64 v[0:1], s[0:1], 0, v[6:7]
	;;#ASMSTART
	v_cvt_f16_f32 v2, v19;

	;;#ASMEND
	global_store_short v[0:1], v2, off offset:128
.LBB57_68:
	s_endpgm
	.section	.rodata,"a",@progbits
	.p2align	6, 0x0
	.amdhsa_kernel _ZN4vllm25paged_attention_v1_kernelIttLi96ELi8ELi128ELNS_18Fp8KVCacheDataTypeE0ELb1EEEvPT_PKS2_PKT0_S8_ifPKiSA_iPKfiiiSC_SC_iiiii
		.amdhsa_group_segment_fixed_size 208
		.amdhsa_private_segment_fixed_size 0
		.amdhsa_kernarg_size 384
		.amdhsa_user_sgpr_count 2
		.amdhsa_user_sgpr_dispatch_ptr 0
		.amdhsa_user_sgpr_queue_ptr 0
		.amdhsa_user_sgpr_kernarg_segment_ptr 1
		.amdhsa_user_sgpr_dispatch_id 0
		.amdhsa_user_sgpr_kernarg_preload_length 0
		.amdhsa_user_sgpr_kernarg_preload_offset 0
		.amdhsa_user_sgpr_private_segment_size 0
		.amdhsa_uses_dynamic_stack 0
		.amdhsa_enable_private_segment 0
		.amdhsa_system_sgpr_workgroup_id_x 1
		.amdhsa_system_sgpr_workgroup_id_y 1
		.amdhsa_system_sgpr_workgroup_id_z 1
		.amdhsa_system_sgpr_workgroup_info 0
		.amdhsa_system_vgpr_workitem_id 0
		.amdhsa_next_free_vgpr 47
		.amdhsa_next_free_sgpr 47
		.amdhsa_accum_offset 48
		.amdhsa_reserve_vcc 1
		.amdhsa_float_round_mode_32 0
		.amdhsa_float_round_mode_16_64 0
		.amdhsa_float_denorm_mode_32 3
		.amdhsa_float_denorm_mode_16_64 3
		.amdhsa_dx10_clamp 1
		.amdhsa_ieee_mode 1
		.amdhsa_fp16_overflow 0
		.amdhsa_tg_split 0
		.amdhsa_exception_fp_ieee_invalid_op 0
		.amdhsa_exception_fp_denorm_src 0
		.amdhsa_exception_fp_ieee_div_zero 0
		.amdhsa_exception_fp_ieee_overflow 0
		.amdhsa_exception_fp_ieee_underflow 0
		.amdhsa_exception_fp_ieee_inexact 0
		.amdhsa_exception_int_div_zero 0
	.end_amdhsa_kernel
	.section	.text._ZN4vllm25paged_attention_v1_kernelIttLi96ELi8ELi128ELNS_18Fp8KVCacheDataTypeE0ELb1EEEvPT_PKS2_PKT0_S8_ifPKiSA_iPKfiiiSC_SC_iiiii,"axG",@progbits,_ZN4vllm25paged_attention_v1_kernelIttLi96ELi8ELi128ELNS_18Fp8KVCacheDataTypeE0ELb1EEEvPT_PKS2_PKT0_S8_ifPKiSA_iPKfiiiSC_SC_iiiii,comdat
.Lfunc_end57:
	.size	_ZN4vllm25paged_attention_v1_kernelIttLi96ELi8ELi128ELNS_18Fp8KVCacheDataTypeE0ELb1EEEvPT_PKS2_PKT0_S8_ifPKiSA_iPKfiiiSC_SC_iiiii, .Lfunc_end57-_ZN4vllm25paged_attention_v1_kernelIttLi96ELi8ELi128ELNS_18Fp8KVCacheDataTypeE0ELb1EEEvPT_PKS2_PKT0_S8_ifPKiSA_iPKfiiiSC_SC_iiiii
                                        ; -- End function
	.set _ZN4vllm25paged_attention_v1_kernelIttLi96ELi8ELi128ELNS_18Fp8KVCacheDataTypeE0ELb1EEEvPT_PKS2_PKT0_S8_ifPKiSA_iPKfiiiSC_SC_iiiii.num_vgpr, 47
	.set _ZN4vllm25paged_attention_v1_kernelIttLi96ELi8ELi128ELNS_18Fp8KVCacheDataTypeE0ELb1EEEvPT_PKS2_PKT0_S8_ifPKiSA_iPKfiiiSC_SC_iiiii.num_agpr, 0
	.set _ZN4vllm25paged_attention_v1_kernelIttLi96ELi8ELi128ELNS_18Fp8KVCacheDataTypeE0ELb1EEEvPT_PKS2_PKT0_S8_ifPKiSA_iPKfiiiSC_SC_iiiii.numbered_sgpr, 47
	.set _ZN4vllm25paged_attention_v1_kernelIttLi96ELi8ELi128ELNS_18Fp8KVCacheDataTypeE0ELb1EEEvPT_PKS2_PKT0_S8_ifPKiSA_iPKfiiiSC_SC_iiiii.num_named_barrier, 0
	.set _ZN4vllm25paged_attention_v1_kernelIttLi96ELi8ELi128ELNS_18Fp8KVCacheDataTypeE0ELb1EEEvPT_PKS2_PKT0_S8_ifPKiSA_iPKfiiiSC_SC_iiiii.private_seg_size, 0
	.set _ZN4vllm25paged_attention_v1_kernelIttLi96ELi8ELi128ELNS_18Fp8KVCacheDataTypeE0ELb1EEEvPT_PKS2_PKT0_S8_ifPKiSA_iPKfiiiSC_SC_iiiii.uses_vcc, 1
	.set _ZN4vllm25paged_attention_v1_kernelIttLi96ELi8ELi128ELNS_18Fp8KVCacheDataTypeE0ELb1EEEvPT_PKS2_PKT0_S8_ifPKiSA_iPKfiiiSC_SC_iiiii.uses_flat_scratch, 0
	.set _ZN4vllm25paged_attention_v1_kernelIttLi96ELi8ELi128ELNS_18Fp8KVCacheDataTypeE0ELb1EEEvPT_PKS2_PKT0_S8_ifPKiSA_iPKfiiiSC_SC_iiiii.has_dyn_sized_stack, 0
	.set _ZN4vllm25paged_attention_v1_kernelIttLi96ELi8ELi128ELNS_18Fp8KVCacheDataTypeE0ELb1EEEvPT_PKS2_PKT0_S8_ifPKiSA_iPKfiiiSC_SC_iiiii.has_recursion, 0
	.set _ZN4vllm25paged_attention_v1_kernelIttLi96ELi8ELi128ELNS_18Fp8KVCacheDataTypeE0ELb1EEEvPT_PKS2_PKT0_S8_ifPKiSA_iPKfiiiSC_SC_iiiii.has_indirect_call, 0
	.section	.AMDGPU.csdata,"",@progbits
; Kernel info:
; codeLenInByte = 5416
; TotalNumSgprs: 53
; NumVgprs: 47
; NumAgprs: 0
; TotalNumVgprs: 47
; ScratchSize: 0
; MemoryBound: 0
; FloatMode: 240
; IeeeMode: 1
; LDSByteSize: 208 bytes/workgroup (compile time only)
; SGPRBlocks: 6
; VGPRBlocks: 5
; NumSGPRsForWavesPerEU: 53
; NumVGPRsForWavesPerEU: 47
; AccumOffset: 48
; Occupancy: 8
; WaveLimiterHint : 1
; COMPUTE_PGM_RSRC2:SCRATCH_EN: 0
; COMPUTE_PGM_RSRC2:USER_SGPR: 2
; COMPUTE_PGM_RSRC2:TRAP_HANDLER: 0
; COMPUTE_PGM_RSRC2:TGID_X_EN: 1
; COMPUTE_PGM_RSRC2:TGID_Y_EN: 1
; COMPUTE_PGM_RSRC2:TGID_Z_EN: 1
; COMPUTE_PGM_RSRC2:TIDIG_COMP_CNT: 0
; COMPUTE_PGM_RSRC3_GFX90A:ACCUM_OFFSET: 11
; COMPUTE_PGM_RSRC3_GFX90A:TG_SPLIT: 0
	.section	.text._ZN4vllm25paged_attention_v1_kernelIttLi112ELi8ELi128ELNS_18Fp8KVCacheDataTypeE0ELb1EEEvPT_PKS2_PKT0_S8_ifPKiSA_iPKfiiiSC_SC_iiiii,"axG",@progbits,_ZN4vllm25paged_attention_v1_kernelIttLi112ELi8ELi128ELNS_18Fp8KVCacheDataTypeE0ELb1EEEvPT_PKS2_PKT0_S8_ifPKiSA_iPKfiiiSC_SC_iiiii,comdat
	.protected	_ZN4vllm25paged_attention_v1_kernelIttLi112ELi8ELi128ELNS_18Fp8KVCacheDataTypeE0ELb1EEEvPT_PKS2_PKT0_S8_ifPKiSA_iPKfiiiSC_SC_iiiii ; -- Begin function _ZN4vllm25paged_attention_v1_kernelIttLi112ELi8ELi128ELNS_18Fp8KVCacheDataTypeE0ELb1EEEvPT_PKS2_PKT0_S8_ifPKiSA_iPKfiiiSC_SC_iiiii
	.globl	_ZN4vllm25paged_attention_v1_kernelIttLi112ELi8ELi128ELNS_18Fp8KVCacheDataTypeE0ELb1EEEvPT_PKS2_PKT0_S8_ifPKiSA_iPKfiiiSC_SC_iiiii
	.p2align	8
	.type	_ZN4vllm25paged_attention_v1_kernelIttLi112ELi8ELi128ELNS_18Fp8KVCacheDataTypeE0ELb1EEEvPT_PKS2_PKT0_S8_ifPKiSA_iPKfiiiSC_SC_iiiii,@function
_ZN4vllm25paged_attention_v1_kernelIttLi112ELi8ELi128ELNS_18Fp8KVCacheDataTypeE0ELb1EEEvPT_PKS2_PKT0_S8_ifPKiSA_iPKfiiiSC_SC_iiiii: ; @_ZN4vllm25paged_attention_v1_kernelIttLi112ELi8ELi128ELNS_18Fp8KVCacheDataTypeE0ELb1EEEvPT_PKS2_PKT0_S8_ifPKiSA_iPKfiiiSC_SC_iiiii
; %bb.0:
	s_load_dword s5, s[0:1], 0x80
	s_load_dwordx2 s[6:7], s[0:1], 0x30
	s_load_dwordx2 s[34:35], s[0:1], 0x20
	s_mov_b32 s20, s3
	s_ashr_i32 s21, s3, 31
	s_lshl_b64 s[8:9], s[20:21], 2
	s_waitcnt lgkmcnt(0)
	s_add_u32 s6, s6, s8
	s_addc_u32 s7, s7, s9
	s_abs_i32 s3, s34
	v_cvt_f32_u32_e32 v1, s3
	s_sub_i32 s10, 0, s3
	s_abs_i32 s9, s5
	s_xor_b32 s8, s5, s34
	v_rcp_iflag_f32_e32 v1, v1
	s_ashr_i32 s8, s8, 31
	s_mov_b32 s46, 0
	v_mul_f32_e32 v1, 0x4f7ffffe, v1
	v_cvt_u32_f32_e32 v1, v1
	s_nop 0
	v_readfirstlane_b32 s11, v1
	s_mul_i32 s10, s10, s11
	s_mul_hi_u32 s10, s11, s10
	s_add_i32 s11, s11, s10
	s_mul_hi_u32 s10, s9, s11
	s_mul_i32 s11, s10, s3
	s_sub_i32 s9, s9, s11
	s_add_i32 s11, s10, 1
	s_sub_i32 s12, s9, s3
	s_cmp_ge_u32 s9, s3
	s_cselect_b32 s10, s11, s10
	s_cselect_b32 s9, s12, s9
	s_add_i32 s11, s10, 1
	s_cmp_ge_u32 s9, s3
	s_cselect_b32 s3, s11, s10
	s_xor_b32 s3, s3, s8
	s_sub_i32 s12, s3, s8
	s_abs_i32 s10, s12
	v_cvt_f32_u32_e32 v1, s10
	s_load_dwordx2 s[8:9], s[0:1], 0x40
	s_sub_i32 s3, 0, s10
	s_abs_i32 s11, s2
	v_rcp_iflag_f32_e32 v1, v1
	s_nop 0
	v_mul_f32_e32 v1, 0x4f7ffffe, v1
	v_cvt_u32_f32_e32 v1, v1
	s_nop 0
	v_readfirstlane_b32 s13, v1
	s_mul_i32 s3, s3, s13
	s_mul_hi_u32 s3, s13, s3
	s_add_i32 s13, s13, s3
	s_waitcnt lgkmcnt(0)
	s_cmp_eq_u64 s[8:9], 0
	s_mul_hi_u32 s24, s11, s13
	s_cbranch_scc1 .LBB58_2
; %bb.1:
	s_ashr_i32 s3, s2, 31
	s_lshl_b64 s[14:15], s[2:3], 2
	s_add_u32 s8, s8, s14
	s_addc_u32 s9, s9, s15
	s_load_dword s46, s[8:9], 0x0
.LBB58_2:
	s_load_dword s21, s[6:7], 0x0
	s_ashr_i32 s26, s12, 31
	s_load_dwordx4 s[12:15], s[0:1], 0x48
	s_movk_i32 s3, 0x70
	s_ashr_i32 s25, s2, 31
	v_and_b32_e32 v4, 7, v0
	s_mul_i32 s22, s2, 0x70
	v_cmp_gt_u32_e64 s[6:7], s3, v0
	v_lshlrev_b32_e32 v6, 1, v0
	s_and_saveexec_b64 s[8:9], s[6:7]
	s_cbranch_execz .LBB58_4
; %bb.3:
	s_load_dwordx2 s[16:17], s[0:1], 0x8
	s_waitcnt lgkmcnt(0)
	s_mul_i32 s18, s12, s20
	s_ashr_i32 s19, s18, 31
	s_lshl_b64 s[18:19], s[18:19], 1
	v_lshrrev_b32_e32 v2, 2, v0
	s_add_u32 s3, s16, s18
	s_addc_u32 s12, s17, s19
	s_ashr_i32 s23, s22, 31
	s_lshl_b64 s[16:17], s[22:23], 1
	s_add_u32 s16, s3, s16
	s_addc_u32 s17, s12, s17
	global_load_ushort v1, v6, s[16:17]
	v_and_b32_e32 v2, 0xfe, v2
	v_mad_u32_u24 v2, v4, 28, v2
	s_waitcnt vmcnt(0)
	ds_write_b16 v2, v1
.LBB58_4:
	s_or_b64 exec, exec, s[8:9]
	s_mul_i32 s9, s24, s10
	s_sub_i32 s9, s11, s9
	s_xor_b32 s8, s25, s26
	s_add_i32 s11, s24, 1
	s_waitcnt lgkmcnt(0)
	s_sub_i32 s12, s9, s10
	s_load_dwordx4 s[16:19], s[0:1], 0x68
	s_load_dword s3, s[0:1], 0x78
	s_cmp_ge_u32 s9, s10
	s_cselect_b32 s11, s11, s24
	s_cselect_b32 s9, s12, s9
	s_add_i32 s12, s11, 1
	s_cmp_ge_u32 s9, s10
	s_cselect_b32 s9, s12, s11
	s_waitcnt lgkmcnt(0)
	s_abs_i32 s33, s19
	v_cvt_f32_u32_e32 v1, s33
	s_xor_b32 s9, s9, s8
	s_sub_i32 s10, s9, s8
	s_sub_i32 s8, 0, s33
	v_rcp_iflag_f32_e32 v1, v1
	s_add_i32 s15, s21, -1
	s_abs_i32 s11, s15
	v_mul_f32_e32 v1, 0x4f7ffffe, v1
	v_cvt_u32_f32_e32 v1, v1
	s_barrier
	v_readfirstlane_b32 s42, v1
	s_mul_i32 s8, s8, s42
	s_mul_hi_u32 s8, s42, s8
	s_add_i32 s42, s42, s8
	s_cmp_lt_i32 s3, 0
	s_mul_hi_u32 s12, s11, s42
	s_cbranch_scc0 .LBB58_6
; %bb.5:
	s_mul_i32 s8, s16, s34
	s_add_i32 s8, s10, s8
	s_mul_i32 s8, s8, s3
	s_sub_i32 s43, 1, s8
	s_mov_b64 s[8:9], 0
	s_branch .LBB58_7
.LBB58_6:
	s_mov_b64 s[8:9], -1
                                        ; implicit-def: $sgpr43
.LBB58_7:
	s_load_dwordx2 s[26:27], s[0:1], 0x28
	s_ashr_i32 s15, s15, 31
	s_andn2_b64 vcc, exec, s[8:9]
	s_ashr_i32 s44, s19, 31
	s_cbranch_vccnz .LBB58_9
; %bb.8:
	s_mul_i32 s8, s5, s16
	s_add_i32 s2, s8, s2
	s_mul_i32 s2, s2, s3
	s_add_i32 s43, s2, 1
.LBB58_9:
	s_load_dword s2, s[0:1], 0x38
	s_load_dwordx2 s[24:25], s[0:1], 0x0
	s_load_dwordx2 s[30:31], s[0:1], 0x18
	s_load_dword s23, s[0:1], 0x88
	s_xor_b32 s3, s15, s44
	s_waitcnt lgkmcnt(0)
	s_mul_i32 s28, s2, s20
	s_mul_i32 s2, s12, s33
	s_sub_i32 s2, s11, s2
	s_ashr_i32 s29, s28, 31
	s_add_i32 s8, s12, 1
	s_sub_i32 s9, s2, s33
	s_cmp_ge_u32 s2, s33
	s_cselect_b32 s8, s8, s12
	s_cselect_b32 s2, s9, s2
	s_add_i32 s9, s8, 1
	s_cmp_ge_u32 s2, s33
	s_cselect_b32 s2, s9, s8
	s_xor_b32 s2, s2, s3
	s_sub_i32 s12, s2, s3
	s_add_i32 s2, s21, 7
	s_ashr_i32 s3, s2, 31
	s_lshr_b32 s3, s3, 29
	s_add_i32 s2, s2, s3
	s_ashr_i32 s45, s2, 3
	v_lshrrev_b32_e32 v7, 6, v0
	v_cmp_gt_i32_e64 s[2:3], s45, v7
	v_mov_b32_e32 v11, 0xff7fffff
	s_mul_i32 s14, s10, s14
	v_lshrrev_b32_e32 v1, 4, v0
	v_lshlrev_b32_e32 v17, 3, v7
	v_mbcnt_lo_u32_b32 v8, -1, 0
	s_and_saveexec_b64 s[36:37], s[2:3]
	s_cbranch_execz .LBB58_21
; %bb.10:
	s_load_dwordx2 s[0:1], s[0:1], 0x10
	s_ashr_i32 s15, s14, 31
	s_sub_i32 s16, s12, s17
	s_lshl_b64 s[8:9], s[14:15], 1
	v_bfe_u32 v9, v0, 3, 3
	s_waitcnt lgkmcnt(0)
	s_add_u32 s0, s0, s8
	s_addc_u32 s1, s1, s9
	s_abs_i32 s15, s18
	v_cvt_f32_u32_e32 v2, s15
	v_lshlrev_b32_e32 v14, 4, v9
	v_mov_b32_e32 v15, 0
	s_sub_i32 s8, 0, s15
	v_rcp_iflag_f32_e32 v5, v2
	v_cmp_eq_u32_e32 vcc, 0, v4
	v_lshl_add_u64 v[2:3], s[0:1], 0, v[14:15]
	v_lshlrev_b32_e32 v14, 1, v4
	v_mul_f32_e32 v5, 0x4f7ffffe, v5
	v_cvt_u32_f32_e32 v5, v5
	v_mul_u32_u24_e32 v10, 28, v4
	v_lshl_add_u64 v[2:3], v[2:3], 0, v[14:15]
	v_and_b32_e32 v14, 60, v1
	v_mul_lo_u32 v4, s8, v5
	s_lshl_b64 s[8:9], s[28:29], 2
	s_add_u32 s8, s26, s8
	v_mul_hi_u32 v4, v5, v4
	s_addc_u32 s9, s27, s9
	v_subrev_u32_e32 v11, s21, v9
	v_add_u32_e32 v12, v5, v4
	v_lshl_add_u64 v[4:5], s[8:9], 0, v[14:15]
	v_add_u32_e32 v14, 1, v11
	v_lshlrev_b32_e32 v11, 2, v9
	v_lshl_or_b32 v11, v7, 5, v11
	v_mbcnt_hi_u32_b32 v18, -1, v8
	v_add_u32_e32 v15, 0xf0, v11
	v_and_b32_e32 v11, 64, v18
	s_mov_b32 s19, s13
	v_cmp_neq_f32_e64 s[0:1], s46, 0
	v_lshlrev_b32_e32 v13, 3, v7
	v_mov_b32_e32 v16, 0xff7fffff
	s_mov_b64 s[38:39], 0
	v_add_u32_e32 v19, 64, v11
	v_xor_b32_e32 v20, 4, v18
	v_xor_b32_e32 v21, 2, v18
	;; [unrolled: 1-line block ×3, first 2 shown]
	v_mov_b32_e32 v11, 0xff7fffff
	v_mov_b32_e32 v23, v7
	s_branch .LBB58_13
.LBB58_11:                              ;   in Loop: Header=BB58_13 Depth=1
	s_or_b64 exec, exec, s[40:41]
.LBB58_12:                              ;   in Loop: Header=BB58_13 Depth=1
	s_or_b64 exec, exec, s[10:11]
	v_add_u32_e32 v23, 2, v23
	v_cmp_le_i32_e64 s[8:9], s45, v23
	v_lshl_add_u64 v[4:5], v[4:5], 0, 8
	v_add_u32_e32 v13, 16, v13
	s_or_b64 s[38:39], s[8:9], s[38:39]
	v_add_u32_e32 v15, 64, v15
	s_andn2_b64 exec, exec, s[38:39]
	s_cbranch_execz .LBB58_20
.LBB58_13:                              ; =>This Inner Loop Header: Depth=1
	v_mul_hi_u32 v24, v13, s42
	s_waitcnt lgkmcnt(0)
	v_mul_lo_u32 v25, v24, s33
	v_sub_u32_e32 v25, v13, v25
	v_add_u32_e32 v26, 1, v24
	v_cmp_le_u32_e64 s[8:9], s33, v25
	s_nop 1
	v_cndmask_b32_e64 v24, v24, v26, s[8:9]
	v_subrev_u32_e32 v26, s33, v25
	v_cndmask_b32_e64 v25, v25, v26, s[8:9]
	v_add_u32_e32 v26, 1, v24
	v_cmp_le_u32_e64 s[8:9], s33, v25
	s_nop 1
	v_cndmask_b32_e64 v24, v24, v26, s[8:9]
	v_xor_b32_e32 v24, s44, v24
	v_subrev_u32_e32 v24, s44, v24
	v_add_u32_e32 v25, s43, v24
	v_sub_u32_e32 v27, 0, v25
	v_ashrrev_i32_e32 v26, 31, v25
	v_max_i32_e32 v25, v25, v27
	v_mul_hi_u32 v27, v25, v12
	v_mul_lo_u32 v27, v27, s15
	v_sub_u32_e32 v25, v25, v27
	v_subrev_u32_e32 v27, s15, v25
	v_cmp_le_u32_e64 s[8:9], s15, v25
	v_cmp_ge_i32_e64 s[10:11], s16, v24
	s_nop 0
	v_cndmask_b32_e64 v25, v25, v27, s[8:9]
	v_subrev_u32_e32 v27, s15, v25
	v_cmp_le_u32_e64 s[8:9], s15, v25
	s_nop 1
	v_cndmask_b32_e64 v25, v25, v27, s[8:9]
	v_xor_b32_e32 v25, v25, v26
	v_sub_u32_e32 v25, v25, v26
	v_cmp_ne_u32_e64 s[8:9], 0, v25
	s_and_b64 s[8:9], s[8:9], s[10:11]
	s_and_saveexec_b64 s[10:11], s[8:9]
	s_xor_b64 s[8:9], exec, s[10:11]
	s_cbranch_execz .LBB58_17
; %bb.14:                               ;   in Loop: Header=BB58_13 Depth=1
	s_and_saveexec_b64 s[10:11], vcc
; %bb.15:                               ;   in Loop: Header=BB58_13 Depth=1
	ds_write_b32 v15, v16
; %bb.16:                               ;   in Loop: Header=BB58_13 Depth=1
	s_or_b64 exec, exec, s[10:11]
.LBB58_17:                              ;   in Loop: Header=BB58_13 Depth=1
	s_andn2_saveexec_b64 s[10:11], s[8:9]
	s_cbranch_execz .LBB58_12
; %bb.18:                               ;   in Loop: Header=BB58_13 Depth=1
	global_load_dword v24, v[4:5], off
	s_waitcnt vmcnt(0)
	v_mad_i64_i32 v[24:25], s[8:9], v24, s19, 0
	v_lshl_add_u64 v[24:25], v[24:25], 1, v[2:3]
	global_load_ushort v26, v[24:25], off
	global_load_ushort v27, v[24:25], off offset:128
	global_load_ushort v29, v[24:25], off offset:256
	;; [unrolled: 1-line block ×10, first 2 shown]
	ds_read_u16 v28, v10
	global_load_ushort v46, v[24:25], off offset:1408
	global_load_ushort v47, v[24:25], off offset:1536
	;; [unrolled: 1-line block ×3, first 2 shown]
	s_waitcnt lgkmcnt(0)
	;;#ASMSTART
	v_cvt_f32_f16 v24, v28;
	;;#ASMEND
	v_cmp_lt_i32_e64 s[8:9], v20, v19
	s_waitcnt vmcnt(13)
	;;#ASMSTART
	v_cvt_f32_f16 v25, v26;
	;;#ASMEND
	ds_read_u16 v26, v10 offset:2
	s_waitcnt lgkmcnt(0)
	;;#ASMSTART
	v_cvt_f32_f16 v26, v26;
	;;#ASMEND
	s_waitcnt vmcnt(12)
	;;#ASMSTART
	v_cvt_f32_f16 v27, v27;
	;;#ASMEND
	ds_read_u16 v28, v10 offset:4
	v_mul_f32_e32 v26, v26, v27
	v_fmac_f32_e32 v26, v24, v25
	s_waitcnt lgkmcnt(0)
	;;#ASMSTART
	v_cvt_f32_f16 v28, v28;
	;;#ASMEND
	s_waitcnt vmcnt(11)
	;;#ASMSTART
	v_cvt_f32_f16 v29, v29;
	;;#ASMEND
	ds_read_u16 v30, v10 offset:6
	v_fmac_f32_e32 v26, v28, v29
	s_waitcnt lgkmcnt(0)
	;;#ASMSTART
	v_cvt_f32_f16 v30, v30;
	;;#ASMEND
	s_waitcnt vmcnt(10)
	;;#ASMSTART
	v_cvt_f32_f16 v31, v31;
	;;#ASMEND
	ds_read_u16 v32, v10 offset:8
	;; [unrolled: 10-line block ×10, first 2 shown]
	v_fmac_f32_e32 v26, v24, v25
	v_cndmask_b32_e64 v44, v18, v20, s[8:9]
	s_waitcnt lgkmcnt(0)
	;;#ASMSTART
	v_cvt_f32_f16 v28, v28;
	;;#ASMEND
	s_waitcnt vmcnt(1)
	;;#ASMSTART
	v_cvt_f32_f16 v29, v47;
	;;#ASMEND
	v_lshlrev_b32_e32 v44, 2, v44
	v_fmac_f32_e32 v26, v28, v29
	ds_read_u16 v30, v10 offset:26
	s_waitcnt lgkmcnt(0)
	;;#ASMSTART
	v_cvt_f32_f16 v24, v30;
	;;#ASMEND
	s_waitcnt vmcnt(0)
	;;#ASMSTART
	v_cvt_f32_f16 v25, v48;
	;;#ASMEND
	v_cmp_lt_i32_e64 s[8:9], v21, v19
	v_fmac_f32_e32 v26, v24, v25
	ds_bpermute_b32 v24, v44, v26
	v_cndmask_b32_e64 v25, v18, v21, s[8:9]
	v_lshlrev_b32_e32 v25, 2, v25
	v_cmp_lt_i32_e64 s[8:9], v22, v19
	s_waitcnt lgkmcnt(0)
	v_add_f32_e32 v24, v26, v24
	ds_bpermute_b32 v25, v25, v24
	v_cndmask_b32_e64 v26, v18, v22, s[8:9]
	s_waitcnt lgkmcnt(0)
	v_add_f32_e32 v24, v24, v25
	v_lshlrev_b32_e32 v25, 2, v26
	ds_bpermute_b32 v25, v25, v24
	s_and_saveexec_b64 s[40:41], vcc
	s_cbranch_execz .LBB58_11
; %bb.19:                               ;   in Loop: Header=BB58_13 Depth=1
	v_add_u32_e32 v26, v14, v13
	v_cvt_f32_i32_e32 v26, v26
	s_waitcnt lgkmcnt(0)
	v_add_f32_e32 v24, v24, v25
	v_add_u32_e32 v27, v9, v13
	v_cmp_gt_i32_e64 s[8:9], s21, v27
	v_mul_f32_e32 v25, s46, v26
	v_cndmask_b32_e64 v25, 0, v25, s[0:1]
	v_fmac_f32_e32 v25, s35, v24
	v_cndmask_b32_e64 v24, 0, v25, s[8:9]
	ds_write_b32 v15, v24
	v_max_f32_e32 v24, v11, v11
	v_max_f32_e32 v24, v24, v25
	v_cndmask_b32_e64 v11, v11, v24, s[8:9]
	s_branch .LBB58_11
.LBB58_20:
	s_or_b64 exec, exec, s[38:39]
.LBB58_21:
	s_or_b64 exec, exec, s[36:37]
	v_mbcnt_hi_u32_b32 v2, -1, v8
	v_and_b32_e32 v12, 64, v2
	v_add_u32_e32 v3, 64, v12
	v_xor_b32_e32 v4, 32, v2
	v_cmp_lt_i32_e32 vcc, v4, v3
	v_xor_b32_e32 v9, 16, v2
	v_max_f32_e32 v8, v11, v11
	v_cndmask_b32_e32 v4, v2, v4, vcc
	v_lshlrev_b32_e32 v5, 2, v4
	ds_bpermute_b32 v4, v5, v11
	v_cmp_lt_i32_e32 vcc, v9, v3
	v_xor_b32_e32 v10, 8, v2
	v_and_b32_e32 v18, 63, v0
	s_waitcnt lgkmcnt(0)
	v_max_f32_e32 v4, v4, v4
	v_max_f32_e32 v4, v8, v4
	v_cndmask_b32_e32 v8, v2, v9, vcc
	v_lshlrev_b32_e32 v9, 2, v8
	ds_bpermute_b32 v8, v9, v4
	v_cmp_lt_i32_e32 vcc, v10, v3
	s_waitcnt lgkmcnt(0)
	v_max_f32_e32 v8, v8, v8
	v_max_f32_e32 v8, v4, v8
	v_cndmask_b32_e32 v4, v2, v10, vcc
	v_lshlrev_b32_e32 v11, 2, v4
	ds_bpermute_b32 v10, v11, v8
	v_cmp_eq_u32_e32 vcc, 0, v18
	v_lshlrev_b32_e32 v4, 2, v7
	s_and_saveexec_b64 s[0:1], vcc
	s_cbranch_execz .LBB58_23
; %bb.22:
	s_waitcnt lgkmcnt(0)
	v_max_f32_e32 v10, v10, v10
	v_max_f32_e32 v8, v8, v8
	;; [unrolled: 1-line block ×3, first 2 shown]
	ds_write_b32 v4, v8 offset:224
.LBB58_23:
	s_or_b64 exec, exec, s[0:1]
	v_cmp_gt_u32_e64 s[0:1], 2, v18
	v_mov_b32_e32 v13, 0xff7fffff
	v_lshlrev_b32_e32 v8, 2, v18
	s_waitcnt lgkmcnt(0)
	s_barrier
	s_and_saveexec_b64 s[8:9], s[0:1]
; %bb.24:
	ds_read_b32 v13, v8 offset:224
; %bb.25:
	s_or_b64 exec, exec, s[8:9]
	v_xor_b32_e32 v10, 1, v2
	v_cmp_lt_i32_e64 s[8:9], v10, v3
	v_lshlrev_b32_e32 v12, 2, v12
	s_nop 0
	v_cndmask_b32_e64 v10, v2, v10, s[8:9]
	v_lshlrev_b32_e32 v10, 2, v10
	s_waitcnt lgkmcnt(0)
	ds_bpermute_b32 v14, v10, v13
	v_max_f32_e32 v13, v13, v13
	s_lshl_b32 s8, s45, 3
	s_min_i32 s15, s8, s21
	v_cmp_gt_i32_e64 s[8:9], s15, v0
	s_waitcnt lgkmcnt(0)
	v_max_f32_e32 v14, v14, v14
	v_max_f32_e32 v13, v13, v14
	ds_bpermute_b32 v13, v12, v13
	v_mov_b32_e32 v12, 0
	s_and_saveexec_b64 s[34:35], s[8:9]
	s_cbranch_execz .LBB58_29
; %bb.26:
	v_mov_b32_e32 v12, 0xf0
	v_lshl_add_u32 v14, v0, 2, v12
	v_mov_b32_e32 v12, 0
	s_mov_b64 s[36:37], 0
	v_mov_b32_e32 v15, v0
.LBB58_27:                              ; =>This Inner Loop Header: Depth=1
	ds_read_b32 v16, v14
	v_add_u32_e32 v15, 0x80, v15
	v_cmp_le_i32_e64 s[10:11], s15, v15
	s_or_b64 s[36:37], s[10:11], s[36:37]
	s_waitcnt lgkmcnt(0)
	v_sub_f32_e32 v16, v16, v13
	v_mul_f32_e32 v16, 0x3fb8aa3b, v16
	v_exp_f32_e32 v16, v16
	ds_write_b32 v14, v16
	v_add_f32_e32 v12, v12, v16
	v_add_u32_e32 v14, 0x200, v14
	s_andn2_b64 exec, exec, s[36:37]
	s_cbranch_execnz .LBB58_27
; %bb.28:
	s_or_b64 exec, exec, s[36:37]
.LBB58_29:
	s_or_b64 exec, exec, s[34:35]
	ds_bpermute_b32 v5, v5, v12
	s_waitcnt lgkmcnt(0)
	v_add_f32_e32 v5, v12, v5
	ds_bpermute_b32 v9, v9, v5
	s_waitcnt lgkmcnt(0)
	v_add_f32_e32 v5, v5, v9
	ds_bpermute_b32 v9, v11, v5
	v_xor_b32_e32 v11, 4, v2
	v_cmp_lt_i32_e64 s[10:11], v11, v3
	s_waitcnt lgkmcnt(0)
	v_add_f32_e32 v5, v5, v9
	v_cndmask_b32_e64 v11, v2, v11, s[10:11]
	v_lshlrev_b32_e32 v11, 2, v11
	ds_bpermute_b32 v9, v11, v5
	v_xor_b32_e32 v11, 2, v2
	v_cmp_lt_i32_e64 s[10:11], v11, v3
	s_waitcnt lgkmcnt(0)
	v_add_f32_e32 v5, v5, v9
	v_cndmask_b32_e64 v3, v2, v11, s[10:11]
	v_lshlrev_b32_e32 v3, 2, v3
	ds_bpermute_b32 v3, v3, v5
	s_waitcnt lgkmcnt(0)
	v_add_f32_e32 v3, v5, v3
	ds_bpermute_b32 v5, v10, v3
	s_waitcnt lgkmcnt(0)
	v_add_f32_e32 v3, v3, v5
	s_and_saveexec_b64 s[10:11], vcc
; %bb.30:
	ds_write_b32 v4, v3 offset:232
; %bb.31:
	s_or_b64 exec, exec, s[10:11]
	s_waitcnt lgkmcnt(0)
	s_barrier
	s_and_saveexec_b64 s[10:11], s[0:1]
; %bb.32:
	ds_read_b32 v3, v8 offset:232
; %bb.33:
	s_or_b64 exec, exec, s[10:11]
	s_waitcnt lgkmcnt(0)
	ds_bpermute_b32 v4, v10, v3
	v_lshlrev_b32_e32 v2, 2, v2
	v_and_b32_e32 v2, 0x100, v2
	s_waitcnt lgkmcnt(0)
	v_add_f32_e32 v3, v3, v4
	ds_bpermute_b32 v2, v2, v3
	s_and_saveexec_b64 s[0:1], s[8:9]
	s_cbranch_execz .LBB58_46
; %bb.34:
	s_waitcnt lgkmcnt(0)
	v_add_f32_e32 v2, 0x358637bd, v2
	v_div_scale_f32 v3, s[8:9], v2, v2, 1.0
	v_rcp_f32_e32 v4, v3
	v_div_scale_f32 v5, vcc, 1.0, v2, 1.0
	s_movk_i32 s8, 0x7f
	v_fma_f32 v8, -v3, v4, 1.0
	v_fmac_f32_e32 v4, v8, v4
	v_mul_f32_e32 v8, v5, v4
	v_fma_f32 v9, -v3, v8, v5
	v_fmac_f32_e32 v8, v9, v4
	v_fma_f32 v3, -v3, v8, v5
	v_div_fmas_f32 v3, v3, v4, v8
	v_xad_u32 v4, v0, -1, s15
	v_div_fixup_f32 v2, v3, v2, 1.0
	v_cmp_lt_u32_e32 vcc, s8, v4
	s_mov_b64 s[10:11], -1
	v_mov_b32_e32 v3, v0
	s_and_saveexec_b64 s[8:9], vcc
	s_cbranch_execz .LBB58_43
; %bb.35:
	v_lshrrev_b32_e32 v4, 7, v4
	v_add_u32_e32 v8, -1, v4
	v_lshrrev_b32_e32 v5, 1, v8
	v_mov_b32_e32 v3, v2
	v_add_u32_e32 v5, 1, v5
	v_cmp_lt_u32_e32 vcc, 13, v8
	v_mov_b32_e32 v10, 0
	s_and_saveexec_b64 s[10:11], vcc
	s_cbranch_execz .LBB58_39
; %bb.36:
	v_mov_b32_e32 v9, 0xf0
	v_and_b32_e32 v8, -8, v5
	v_lshl_add_u32 v9, v0, 2, v9
	s_mov_b32 s16, 0
	s_mov_b64 s[34:35], 0
.LBB58_37:                              ; =>This Inner Loop Header: Depth=1
	ds_read2st64_b32 v[10:11], v9 offset1:2
	ds_read2st64_b32 v[12:13], v9 offset0:4 offset1:6
	ds_read2st64_b32 v[14:15], v9 offset0:8 offset1:10
	;; [unrolled: 1-line block ×3, first 2 shown]
	v_add_u32_e32 v8, -8, v8
	s_waitcnt lgkmcnt(3)
	v_pk_mul_f32 v[10:11], v[2:3], v[10:11]
	s_waitcnt lgkmcnt(2)
	v_pk_mul_f32 v[12:13], v[2:3], v[12:13]
	ds_write2st64_b32 v9, v10, v11 offset1:2
	ds_write2st64_b32 v9, v12, v13 offset0:4 offset1:6
	ds_read2st64_b32 v[12:13], v9 offset0:16 offset1:18
	s_waitcnt lgkmcnt(4)
	v_pk_mul_f32 v[10:11], v[2:3], v[14:15]
	ds_write2st64_b32 v9, v10, v11 offset0:8 offset1:10
	s_waitcnt lgkmcnt(4)
	v_pk_mul_f32 v[10:11], v[2:3], v[20:21]
	ds_write2st64_b32 v9, v10, v11 offset0:12 offset1:14
	ds_read2st64_b32 v[10:11], v9 offset0:20 offset1:22
	s_waitcnt lgkmcnt(3)
	v_pk_mul_f32 v[12:13], v[2:3], v[12:13]
	ds_read2st64_b32 v[14:15], v9 offset0:24 offset1:26
	ds_write2st64_b32 v9, v12, v13 offset0:16 offset1:18
	ds_read2st64_b32 v[12:13], v9 offset0:28 offset1:30
	s_waitcnt lgkmcnt(3)
	v_pk_mul_f32 v[10:11], v[2:3], v[10:11]
	ds_write2st64_b32 v9, v10, v11 offset0:20 offset1:22
	s_waitcnt lgkmcnt(3)
	v_pk_mul_f32 v[10:11], v[2:3], v[14:15]
	ds_write2st64_b32 v9, v10, v11 offset0:24 offset1:26
	s_waitcnt lgkmcnt(2)
	v_pk_mul_f32 v[10:11], v[2:3], v[12:13]
	s_add_i32 s16, s16, 16
	v_cmp_eq_u32_e32 vcc, 0, v8
	ds_write2st64_b32 v9, v10, v11 offset0:28 offset1:30
	v_add_u32_e32 v9, 0x2000, v9
	s_or_b64 s[34:35], vcc, s[34:35]
	v_mov_b32_e32 v10, s16
	s_andn2_b64 exec, exec, s[34:35]
	s_cbranch_execnz .LBB58_37
; %bb.38:
	s_or_b64 exec, exec, s[34:35]
.LBB58_39:
	s_or_b64 exec, exec, s[10:11]
	v_and_b32_e32 v5, 7, v5
	v_cmp_ne_u32_e32 vcc, 0, v5
	s_and_saveexec_b64 s[10:11], vcc
	s_cbranch_execz .LBB58_42
; %bb.40:
	v_lshlrev_b32_e32 v8, 9, v10
	v_lshlrev_b32_e32 v9, 2, v0
	s_movk_i32 s16, 0xf0
	v_add3_u32 v8, v8, v9, s16
	s_mov_b64 s[34:35], 0
.LBB58_41:                              ; =>This Inner Loop Header: Depth=1
	ds_read2st64_b32 v[10:11], v8 offset1:2
	v_add_u32_e32 v5, -1, v5
	v_cmp_eq_u32_e32 vcc, 0, v5
	s_or_b64 s[34:35], vcc, s[34:35]
	s_waitcnt lgkmcnt(0)
	v_pk_mul_f32 v[10:11], v[2:3], v[10:11]
	ds_write2st64_b32 v8, v10, v11 offset1:2
	v_add_u32_e32 v8, 0x400, v8
	s_andn2_b64 exec, exec, s[34:35]
	s_cbranch_execnz .LBB58_41
.LBB58_42:
	s_or_b64 exec, exec, s[10:11]
	v_add_u32_e32 v4, 1, v4
	v_and_b32_e32 v5, 0x3fffffe, v4
	v_cmp_ne_u32_e32 vcc, v4, v5
	v_lshl_add_u32 v3, v5, 7, v0
	s_orn2_b64 s[10:11], vcc, exec
.LBB58_43:
	s_or_b64 exec, exec, s[8:9]
	s_and_b64 exec, exec, s[10:11]
	s_cbranch_execz .LBB58_46
; %bb.44:
	v_mov_b32_e32 v4, 0xf0
	v_lshl_add_u32 v4, v3, 2, v4
	s_mov_b64 s[8:9], 0
.LBB58_45:                              ; =>This Inner Loop Header: Depth=1
	ds_read_b32 v5, v4
	v_add_u32_e32 v3, 0x80, v3
	v_cmp_le_i32_e32 vcc, s15, v3
	s_or_b64 s[8:9], vcc, s[8:9]
	s_waitcnt lgkmcnt(0)
	v_mul_f32_e32 v5, v2, v5
	ds_write_b32 v4, v5
	v_add_u32_e32 v4, 0x200, v4
	s_andn2_b64 exec, exec, s[8:9]
	s_cbranch_execnz .LBB58_45
.LBB58_46:
	s_or_b64 exec, exec, s[0:1]
	v_mov_b32_e32 v20, 0
	v_mov_b32_e32 v19, 0
	s_waitcnt lgkmcnt(0)
	s_barrier
	s_and_saveexec_b64 s[8:9], s[2:3]
	s_cbranch_execz .LBB58_58
; %bb.47:
	s_ashr_i32 s15, s14, 31
	s_sub_i32 s34, s12, s17
	s_lshl_b64 s[0:1], s[14:15], 1
	s_add_u32 s10, s30, s0
	s_addc_u32 s11, s31, s1
	s_abs_i32 s30, s18
	v_cvt_f32_u32_e32 v3, s30
	v_or_b32_e32 v4, 64, v18
	s_movk_i32 s0, 0x70
	v_cmp_gt_u32_e64 s[2:3], s0, v4
	v_rcp_iflag_f32_e32 v3, v3
	s_sub_i32 s0, 0, s30
	s_add_i32 s31, s45, -1
	v_lshlrev_b32_e32 v2, 3, v18
	v_mul_f32_e32 v3, 0x4f7ffffe, v3
	v_cvt_u32_f32_e32 v3, v3
	v_mov_b32_e32 v9, 0
	v_lshlrev_b32_e32 v4, 3, v4
	v_and_b32_e32 v8, 60, v1
	v_mul_lo_u32 v5, s0, v3
	s_lshl_b64 s[0:1], s[28:29], 2
	s_add_u32 s0, s26, s0
	v_mul_hi_u32 v5, v3, v5
	s_addc_u32 s1, s27, s1
	v_mov_b32_e32 v1, 0xf0
	s_mov_b32 s35, s13
	s_mov_b32 s36, s21
	v_add_u32_e32 v21, v3, v5
	v_lshl_add_u64 v[10:11], s[0:1], 0, v[8:9]
	v_lshl_add_u32 v22, v7, 5, v1
	s_mov_b64 s[12:13], 0
	v_lshlrev_b32_e32 v8, 1, v2
	s_mov_b32 s26, 0xffff
	v_lshlrev_b32_e32 v12, 1, v4
	v_mov_b32_e32 v19, v9
	v_mov_b32_e32 v20, v9
	s_branch .LBB58_51
.LBB58_48:                              ;   in Loop: Header=BB58_51 Depth=1
	s_or_b64 exec, exec, s[18:19]
	v_lshlrev_b32_e32 v14, 16, v14
	v_lshlrev_b32_e32 v1, 16, v1
	v_and_or_b32 v2, v2, s26, v14
	v_and_or_b32 v1, v3, s26, v1
	v_lshlrev_b32_e32 v3, 16, v13
	v_and_or_b32 v3, v4, s26, v3
	;;#ASMSTART
	v_pk_mul_f16 v2, v25, v2;

	;;#ASMEND
	;;#ASMSTART
	v_pk_mul_f16 v1, v26, v1;

	;;#ASMEND
	;;#ASMSTART
	v_pk_mul_f16 v3, v27, v3;

	;;#ASMEND
	;;#ASMSTART
	v_pk_mul_f16 v4, v24, v5;

	;;#ASMEND
	s_nop 0
	;;#ASMSTART
	v_pk_add_f16 v1, v2, v1;

	;;#ASMEND
	s_nop 0
	;;#ASMSTART
	v_pk_add_f16 v1, v1, v3;

	;;#ASMEND
	;; [unrolled: 5-line block ×3, first 2 shown]
	s_nop 0
	v_lshrrev_b32_e32 v2, 16, v1
	v_and_b32_e32 v1, 0xffff, v1
	;;#ASMSTART
	v_cvt_f32_f16 v1, v1;
	;;#ASMEND
	;;#ASMSTART
	v_cvt_f32_f16 v2, v2;
	;;#ASMEND
	s_nop 0
	v_add_f32_e32 v1, v1, v2
	v_add_f32_e32 v19, v19, v1
.LBB58_49:                              ;   in Loop: Header=BB58_51 Depth=1
	s_or_b64 exec, exec, s[16:17]
	v_add_f32_e32 v1, v16, v23
	v_add_f32_e32 v20, v20, v1
.LBB58_50:                              ;   in Loop: Header=BB58_51 Depth=1
	s_or_b64 exec, exec, s[14:15]
	v_add_u32_e32 v7, 2, v7
	v_cmp_le_i32_e32 vcc, s45, v7
	v_lshl_add_u64 v[10:11], v[10:11], 0, 8
	v_add_u32_e32 v17, 16, v17
	s_or_b64 s[12:13], vcc, s[12:13]
	v_add_u32_e32 v22, 64, v22
	s_andn2_b64 exec, exec, s[12:13]
	s_cbranch_execz .LBB58_57
.LBB58_51:                              ; =>This Inner Loop Header: Depth=1
	v_mul_hi_u32 v1, v17, s42
	v_mul_lo_u32 v2, v1, s33
	v_sub_u32_e32 v2, v17, v2
	v_add_u32_e32 v3, 1, v1
	v_cmp_le_u32_e32 vcc, s33, v2
	s_nop 1
	v_cndmask_b32_e32 v1, v1, v3, vcc
	v_subrev_u32_e32 v3, s33, v2
	v_cndmask_b32_e32 v2, v2, v3, vcc
	v_add_u32_e32 v3, 1, v1
	v_cmp_le_u32_e32 vcc, s33, v2
	s_nop 1
	v_cndmask_b32_e32 v1, v1, v3, vcc
	v_xor_b32_e32 v1, s44, v1
	v_subrev_u32_e32 v1, s44, v1
	v_add_u32_e32 v2, s43, v1
	v_sub_u32_e32 v4, 0, v2
	v_ashrrev_i32_e32 v3, 31, v2
	v_max_i32_e32 v2, v2, v4
	v_mul_hi_u32 v4, v2, v21
	v_mul_lo_u32 v4, v4, s30
	v_sub_u32_e32 v2, v2, v4
	v_subrev_u32_e32 v4, s30, v2
	v_cmp_le_u32_e32 vcc, s30, v2
	v_cmp_lt_i32_e64 s[0:1], s34, v1
	s_nop 0
	v_cndmask_b32_e32 v2, v2, v4, vcc
	v_subrev_u32_e32 v4, s30, v2
	v_cmp_le_u32_e32 vcc, s30, v2
	s_nop 1
	v_cndmask_b32_e32 v2, v2, v4, vcc
	v_xor_b32_e32 v2, v2, v3
	v_sub_u32_e32 v2, v2, v3
	v_cmp_eq_u32_e32 vcc, 0, v2
	s_or_b64 s[0:1], vcc, s[0:1]
	s_and_saveexec_b64 s[14:15], s[0:1]
	s_cbranch_execz .LBB58_50
; %bb.52:                               ;   in Loop: Header=BB58_51 Depth=1
	global_load_dword v1, v[10:11], off
	ds_read2_b64 v[2:5], v22 offset1:1
	ds_read2_b64 v[28:31], v22 offset0:2 offset1:3
	s_waitcnt lgkmcnt(1)
	;;#ASMSTART
	v_cvt_f16_f32 v13, v2;

	;;#ASMEND
	;;#ASMSTART
	v_cvt_f16_f32 v23, v3;

	;;#ASMEND
	;; [unrolled: 4-line block ×4, first 2 shown]
	s_waitcnt lgkmcnt(0)
	;;#ASMSTART
	v_cvt_f16_f32 v27, v28;

	;;#ASMEND
	;;#ASMSTART
	v_cvt_f16_f32 v28, v29;

	;;#ASMEND
	;;#ASMSTART
	v_cvt_f16_f32 v29, v30;

	;;#ASMEND
	;;#ASMSTART
	v_cvt_f16_f32 v30, v31;

	;;#ASMEND
	s_waitcnt vmcnt(0)
	v_mad_i64_i32 v[2:3], s[0:1], v1, s35, 0
	v_lshl_add_u64 v[14:15], v[2:3], 1, s[10:11]
	v_lshl_add_u64 v[2:3], v[14:15], 0, v[8:9]
	global_load_dwordx4 v[2:5], v[2:3], off
	v_cmp_eq_u32_e64 s[0:1], s31, v7
	s_waitcnt vmcnt(0)
	v_lshrrev_b32_e32 v1, 16, v3
	v_lshrrev_b32_e32 v16, 16, v2
	;; [unrolled: 1-line block ×3, first 2 shown]
	s_and_saveexec_b64 s[16:17], s[0:1]
	s_cbranch_execz .LBB58_54
; %bb.53:                               ;   in Loop: Header=BB58_51 Depth=1
	v_cmp_gt_i32_e32 vcc, s21, v17
	v_add_u32_e32 v33, 2, v17
	v_or_b32_e32 v25, 3, v17
	v_cndmask_b32_e32 v2, 0, v2, vcc
	v_cmp_gt_i32_e32 vcc, s21, v33
	v_or_b32_e32 v32, 1, v17
	s_nop 0
	v_cndmask_b32_e32 v3, 0, v3, vcc
	v_cmp_gt_i32_e32 vcc, s36, v25
	v_add_u32_e32 v25, 4, v17
	s_nop 0
	v_cndmask_b32_e32 v1, 0, v1, vcc
	v_cmp_gt_i32_e32 vcc, s21, v32
	v_add_u32_e32 v32, 7, v17
	;; [unrolled: 4-line block ×4, first 2 shown]
	s_nop 0
	v_cndmask_b32_e32 v31, 0, v31, vcc
	v_cmp_gt_i32_e32 vcc, s21, v25
	s_nop 1
	v_cndmask_b32_sdwa v25, v9, v5, vcc dst_sel:DWORD dst_unused:UNUSED_PAD src0_sel:DWORD src1_sel:WORD_0
	v_and_b32_e32 v5, 0xffff0000, v5
	v_cmp_gt_i32_e32 vcc, s21, v32
	s_nop 1
	v_cndmask_b32_e32 v5, 0, v5, vcc
	v_or_b32_e32 v5, v25, v5
.LBB58_54:                              ;   in Loop: Header=BB58_51 Depth=1
	s_or_b64 exec, exec, s[16:17]
	v_and_b32_e32 v13, 0xffff, v13
	v_lshl_or_b32 v25, v23, 16, v13
	v_and_b32_e32 v13, 0xffff, v24
	v_lshl_or_b32 v26, v26, 16, v13
	;; [unrolled: 2-line block ×4, first 2 shown]
	v_lshlrev_b32_e32 v13, 16, v16
	v_lshlrev_b32_e32 v1, 16, v1
	v_and_or_b32 v2, v2, s26, v13
	v_and_or_b32 v1, v3, s26, v1
	v_lshlrev_b32_e32 v3, 16, v31
	v_and_or_b32 v3, v4, s26, v3
	;;#ASMSTART
	v_pk_mul_f16 v2, v25, v2;

	;;#ASMEND
	;;#ASMSTART
	v_pk_mul_f16 v1, v26, v1;

	;;#ASMEND
	;;#ASMSTART
	v_pk_mul_f16 v3, v27, v3;

	;;#ASMEND
	;;#ASMSTART
	v_pk_mul_f16 v4, v24, v5;

	;;#ASMEND
	s_nop 0
	;;#ASMSTART
	v_pk_add_f16 v1, v2, v1;

	;;#ASMEND
	s_nop 0
	;;#ASMSTART
	v_pk_add_f16 v1, v1, v3;

	;;#ASMEND
	;; [unrolled: 5-line block ×3, first 2 shown]
	s_nop 0
	v_lshrrev_b32_e32 v2, 16, v1
	v_and_b32_e32 v1, 0xffff, v1
	;;#ASMSTART
	v_cvt_f32_f16 v16, v1;
	;;#ASMEND
	;;#ASMSTART
	v_cvt_f32_f16 v23, v2;
	;;#ASMEND
	s_and_saveexec_b64 s[16:17], s[2:3]
	s_cbranch_execz .LBB58_49
; %bb.55:                               ;   in Loop: Header=BB58_51 Depth=1
	v_mov_b32_e32 v13, v9
	v_lshl_add_u64 v[2:3], v[14:15], 0, v[12:13]
	global_load_dwordx4 v[2:5], v[2:3], off
	s_waitcnt vmcnt(0)
	v_lshrrev_b32_e32 v1, 16, v3
	v_lshrrev_b32_e32 v14, 16, v2
	;; [unrolled: 1-line block ×3, first 2 shown]
	s_and_saveexec_b64 s[18:19], s[0:1]
	s_cbranch_execz .LBB58_48
; %bb.56:                               ;   in Loop: Header=BB58_51 Depth=1
	v_cmp_gt_i32_e32 vcc, s21, v17
	v_add_u32_e32 v29, 2, v17
	v_or_b32_e32 v15, 3, v17
	v_cndmask_b32_e32 v2, 0, v2, vcc
	v_cmp_gt_i32_e32 vcc, s21, v29
	v_or_b32_e32 v28, 1, v17
	s_nop 0
	v_cndmask_b32_e32 v3, 0, v3, vcc
	v_cmp_gt_i32_e32 vcc, s36, v15
	v_add_u32_e32 v15, 4, v17
	s_nop 0
	v_cndmask_b32_e32 v1, 0, v1, vcc
	v_cmp_gt_i32_e32 vcc, s21, v28
	v_add_u32_e32 v28, 7, v17
	;; [unrolled: 4-line block ×4, first 2 shown]
	s_nop 0
	v_cndmask_b32_e32 v13, 0, v13, vcc
	v_cmp_gt_i32_e32 vcc, s21, v15
	s_nop 1
	v_cndmask_b32_sdwa v15, v9, v5, vcc dst_sel:DWORD dst_unused:UNUSED_PAD src0_sel:DWORD src1_sel:WORD_0
	v_and_b32_e32 v5, 0xffff0000, v5
	v_cmp_gt_i32_e32 vcc, s21, v28
	s_nop 1
	v_cndmask_b32_e32 v5, 0, v5, vcc
	v_or_b32_e32 v5, v15, v5
	s_branch .LBB58_48
.LBB58_57:
	s_or_b64 exec, exec, s[12:13]
.LBB58_58:
	s_or_b64 exec, exec, s[8:9]
	v_and_b32_e32 v1, 0x3c0, v0
	v_cmp_eq_u32_e32 vcc, 64, v1
	s_barrier
	s_and_saveexec_b64 s[0:1], vcc
	s_cbranch_execz .LBB58_61
; %bb.59:
	v_mov_b32_e32 v1, 0xf0
	v_lshl_add_u32 v2, v18, 2, v1
	ds_write_b32 v2, v20
	s_and_b64 exec, exec, s[6:7]
; %bb.60:
	v_lshl_add_u32 v1, v0, 2, v1
	ds_write_b32 v1, v19
.LBB58_61:
	s_or_b64 exec, exec, s[0:1]
	v_cmp_gt_u32_e32 vcc, 64, v0
	v_or_b32_e32 v1, 64, v0
	s_waitcnt lgkmcnt(0)
	s_barrier
	s_and_saveexec_b64 s[2:3], vcc
	s_cbranch_execz .LBB58_65
; %bb.62:
	v_mov_b32_e32 v2, 0xf0
	v_lshl_add_u32 v2, v0, 2, v2
	ds_read_b32 v0, v2
	s_movk_i32 s0, 0x70
	v_cmp_gt_u32_e64 s[0:1], s0, v1
	s_and_saveexec_b64 s[6:7], s[0:1]
	s_cbranch_execz .LBB58_64
; %bb.63:
	ds_read_b32 v2, v2 offset:256
	s_waitcnt lgkmcnt(0)
	v_add_f32_e32 v19, v19, v2
.LBB58_64:
	s_or_b64 exec, exec, s[6:7]
	s_waitcnt lgkmcnt(0)
	v_add_f32_e32 v20, v20, v0
.LBB58_65:
	s_or_b64 exec, exec, s[2:3]
	s_barrier
	s_and_saveexec_b64 s[0:1], vcc
	s_cbranch_execz .LBB58_68
; %bb.66:
	s_mul_i32 s0, s20, s23
	s_mul_i32 s0, s0, s5
	s_mulk_i32 s0, 0x70
	s_ashr_i32 s1, s0, 31
	s_lshl_b64 s[0:1], s[0:1], 1
	s_add_u32 s3, s24, s0
	s_mul_i32 s0, s23, s22
	s_addc_u32 s5, s25, s1
	s_ashr_i32 s1, s0, 31
	s_lshl_b64 s[0:1], s[0:1], 1
	s_add_u32 s3, s3, s0
	s_mul_i32 s0, s4, 0x70
	s_addc_u32 s5, s5, s1
	s_ashr_i32 s1, s0, 31
	s_lshl_b64 s[0:1], s[0:1], 1
	s_movk_i32 s2, 0x70
	s_add_u32 s0, s3, s0
	s_addc_u32 s1, s5, s1
	v_cmp_gt_u32_e32 vcc, s2, v1
	;;#ASMSTART
	v_cvt_f16_f32 v0, v20;

	;;#ASMEND
	global_store_short v6, v0, s[0:1]
	s_and_b64 exec, exec, vcc
	s_cbranch_execz .LBB58_68
; %bb.67:
	v_mov_b32_e32 v7, 0
	v_lshl_add_u64 v[0:1], s[0:1], 0, v[6:7]
	;;#ASMSTART
	v_cvt_f16_f32 v2, v19;

	;;#ASMEND
	global_store_short v[0:1], v2, off offset:128
.LBB58_68:
	s_endpgm
	.section	.rodata,"a",@progbits
	.p2align	6, 0x0
	.amdhsa_kernel _ZN4vllm25paged_attention_v1_kernelIttLi112ELi8ELi128ELNS_18Fp8KVCacheDataTypeE0ELb1EEEvPT_PKS2_PKT0_S8_ifPKiSA_iPKfiiiSC_SC_iiiii
		.amdhsa_group_segment_fixed_size 240
		.amdhsa_private_segment_fixed_size 0
		.amdhsa_kernarg_size 384
		.amdhsa_user_sgpr_count 2
		.amdhsa_user_sgpr_dispatch_ptr 0
		.amdhsa_user_sgpr_queue_ptr 0
		.amdhsa_user_sgpr_kernarg_segment_ptr 1
		.amdhsa_user_sgpr_dispatch_id 0
		.amdhsa_user_sgpr_kernarg_preload_length 0
		.amdhsa_user_sgpr_kernarg_preload_offset 0
		.amdhsa_user_sgpr_private_segment_size 0
		.amdhsa_uses_dynamic_stack 0
		.amdhsa_enable_private_segment 0
		.amdhsa_system_sgpr_workgroup_id_x 1
		.amdhsa_system_sgpr_workgroup_id_y 1
		.amdhsa_system_sgpr_workgroup_id_z 1
		.amdhsa_system_sgpr_workgroup_info 0
		.amdhsa_system_vgpr_workitem_id 0
		.amdhsa_next_free_vgpr 50
		.amdhsa_next_free_sgpr 47
		.amdhsa_accum_offset 52
		.amdhsa_reserve_vcc 1
		.amdhsa_float_round_mode_32 0
		.amdhsa_float_round_mode_16_64 0
		.amdhsa_float_denorm_mode_32 3
		.amdhsa_float_denorm_mode_16_64 3
		.amdhsa_dx10_clamp 1
		.amdhsa_ieee_mode 1
		.amdhsa_fp16_overflow 0
		.amdhsa_tg_split 0
		.amdhsa_exception_fp_ieee_invalid_op 0
		.amdhsa_exception_fp_denorm_src 0
		.amdhsa_exception_fp_ieee_div_zero 0
		.amdhsa_exception_fp_ieee_overflow 0
		.amdhsa_exception_fp_ieee_underflow 0
		.amdhsa_exception_fp_ieee_inexact 0
		.amdhsa_exception_int_div_zero 0
	.end_amdhsa_kernel
	.section	.text._ZN4vllm25paged_attention_v1_kernelIttLi112ELi8ELi128ELNS_18Fp8KVCacheDataTypeE0ELb1EEEvPT_PKS2_PKT0_S8_ifPKiSA_iPKfiiiSC_SC_iiiii,"axG",@progbits,_ZN4vllm25paged_attention_v1_kernelIttLi112ELi8ELi128ELNS_18Fp8KVCacheDataTypeE0ELb1EEEvPT_PKS2_PKT0_S8_ifPKiSA_iPKfiiiSC_SC_iiiii,comdat
.Lfunc_end58:
	.size	_ZN4vllm25paged_attention_v1_kernelIttLi112ELi8ELi128ELNS_18Fp8KVCacheDataTypeE0ELb1EEEvPT_PKS2_PKT0_S8_ifPKiSA_iPKfiiiSC_SC_iiiii, .Lfunc_end58-_ZN4vllm25paged_attention_v1_kernelIttLi112ELi8ELi128ELNS_18Fp8KVCacheDataTypeE0ELb1EEEvPT_PKS2_PKT0_S8_ifPKiSA_iPKfiiiSC_SC_iiiii
                                        ; -- End function
	.set _ZN4vllm25paged_attention_v1_kernelIttLi112ELi8ELi128ELNS_18Fp8KVCacheDataTypeE0ELb1EEEvPT_PKS2_PKT0_S8_ifPKiSA_iPKfiiiSC_SC_iiiii.num_vgpr, 50
	.set _ZN4vllm25paged_attention_v1_kernelIttLi112ELi8ELi128ELNS_18Fp8KVCacheDataTypeE0ELb1EEEvPT_PKS2_PKT0_S8_ifPKiSA_iPKfiiiSC_SC_iiiii.num_agpr, 0
	.set _ZN4vllm25paged_attention_v1_kernelIttLi112ELi8ELi128ELNS_18Fp8KVCacheDataTypeE0ELb1EEEvPT_PKS2_PKT0_S8_ifPKiSA_iPKfiiiSC_SC_iiiii.numbered_sgpr, 47
	.set _ZN4vllm25paged_attention_v1_kernelIttLi112ELi8ELi128ELNS_18Fp8KVCacheDataTypeE0ELb1EEEvPT_PKS2_PKT0_S8_ifPKiSA_iPKfiiiSC_SC_iiiii.num_named_barrier, 0
	.set _ZN4vllm25paged_attention_v1_kernelIttLi112ELi8ELi128ELNS_18Fp8KVCacheDataTypeE0ELb1EEEvPT_PKS2_PKT0_S8_ifPKiSA_iPKfiiiSC_SC_iiiii.private_seg_size, 0
	.set _ZN4vllm25paged_attention_v1_kernelIttLi112ELi8ELi128ELNS_18Fp8KVCacheDataTypeE0ELb1EEEvPT_PKS2_PKT0_S8_ifPKiSA_iPKfiiiSC_SC_iiiii.uses_vcc, 1
	.set _ZN4vllm25paged_attention_v1_kernelIttLi112ELi8ELi128ELNS_18Fp8KVCacheDataTypeE0ELb1EEEvPT_PKS2_PKT0_S8_ifPKiSA_iPKfiiiSC_SC_iiiii.uses_flat_scratch, 0
	.set _ZN4vllm25paged_attention_v1_kernelIttLi112ELi8ELi128ELNS_18Fp8KVCacheDataTypeE0ELb1EEEvPT_PKS2_PKT0_S8_ifPKiSA_iPKfiiiSC_SC_iiiii.has_dyn_sized_stack, 0
	.set _ZN4vllm25paged_attention_v1_kernelIttLi112ELi8ELi128ELNS_18Fp8KVCacheDataTypeE0ELb1EEEvPT_PKS2_PKT0_S8_ifPKiSA_iPKfiiiSC_SC_iiiii.has_recursion, 0
	.set _ZN4vllm25paged_attention_v1_kernelIttLi112ELi8ELi128ELNS_18Fp8KVCacheDataTypeE0ELb1EEEvPT_PKS2_PKT0_S8_ifPKiSA_iPKfiiiSC_SC_iiiii.has_indirect_call, 0
	.section	.AMDGPU.csdata,"",@progbits
; Kernel info:
; codeLenInByte = 5536
; TotalNumSgprs: 53
; NumVgprs: 50
; NumAgprs: 0
; TotalNumVgprs: 50
; ScratchSize: 0
; MemoryBound: 0
; FloatMode: 240
; IeeeMode: 1
; LDSByteSize: 240 bytes/workgroup (compile time only)
; SGPRBlocks: 6
; VGPRBlocks: 6
; NumSGPRsForWavesPerEU: 53
; NumVGPRsForWavesPerEU: 50
; AccumOffset: 52
; Occupancy: 8
; WaveLimiterHint : 1
; COMPUTE_PGM_RSRC2:SCRATCH_EN: 0
; COMPUTE_PGM_RSRC2:USER_SGPR: 2
; COMPUTE_PGM_RSRC2:TRAP_HANDLER: 0
; COMPUTE_PGM_RSRC2:TGID_X_EN: 1
; COMPUTE_PGM_RSRC2:TGID_Y_EN: 1
; COMPUTE_PGM_RSRC2:TGID_Z_EN: 1
; COMPUTE_PGM_RSRC2:TIDIG_COMP_CNT: 0
; COMPUTE_PGM_RSRC3_GFX90A:ACCUM_OFFSET: 12
; COMPUTE_PGM_RSRC3_GFX90A:TG_SPLIT: 0
	.section	.text._ZN4vllm25paged_attention_v1_kernelIttLi120ELi8ELi128ELNS_18Fp8KVCacheDataTypeE0ELb1EEEvPT_PKS2_PKT0_S8_ifPKiSA_iPKfiiiSC_SC_iiiii,"axG",@progbits,_ZN4vllm25paged_attention_v1_kernelIttLi120ELi8ELi128ELNS_18Fp8KVCacheDataTypeE0ELb1EEEvPT_PKS2_PKT0_S8_ifPKiSA_iPKfiiiSC_SC_iiiii,comdat
	.protected	_ZN4vllm25paged_attention_v1_kernelIttLi120ELi8ELi128ELNS_18Fp8KVCacheDataTypeE0ELb1EEEvPT_PKS2_PKT0_S8_ifPKiSA_iPKfiiiSC_SC_iiiii ; -- Begin function _ZN4vllm25paged_attention_v1_kernelIttLi120ELi8ELi128ELNS_18Fp8KVCacheDataTypeE0ELb1EEEvPT_PKS2_PKT0_S8_ifPKiSA_iPKfiiiSC_SC_iiiii
	.globl	_ZN4vllm25paged_attention_v1_kernelIttLi120ELi8ELi128ELNS_18Fp8KVCacheDataTypeE0ELb1EEEvPT_PKS2_PKT0_S8_ifPKiSA_iPKfiiiSC_SC_iiiii
	.p2align	8
	.type	_ZN4vllm25paged_attention_v1_kernelIttLi120ELi8ELi128ELNS_18Fp8KVCacheDataTypeE0ELb1EEEvPT_PKS2_PKT0_S8_ifPKiSA_iPKfiiiSC_SC_iiiii,@function
_ZN4vllm25paged_attention_v1_kernelIttLi120ELi8ELi128ELNS_18Fp8KVCacheDataTypeE0ELb1EEEvPT_PKS2_PKT0_S8_ifPKiSA_iPKfiiiSC_SC_iiiii: ; @_ZN4vllm25paged_attention_v1_kernelIttLi120ELi8ELi128ELNS_18Fp8KVCacheDataTypeE0ELb1EEEvPT_PKS2_PKT0_S8_ifPKiSA_iPKfiiiSC_SC_iiiii
; %bb.0:
	s_load_dword s5, s[0:1], 0x80
	s_load_dwordx2 s[6:7], s[0:1], 0x30
	s_load_dwordx2 s[34:35], s[0:1], 0x20
	s_mov_b32 s20, s3
	s_ashr_i32 s21, s3, 31
	s_lshl_b64 s[8:9], s[20:21], 2
	s_waitcnt lgkmcnt(0)
	s_add_u32 s6, s6, s8
	s_addc_u32 s7, s7, s9
	s_abs_i32 s3, s34
	v_cvt_f32_u32_e32 v1, s3
	s_sub_i32 s10, 0, s3
	s_abs_i32 s9, s5
	s_xor_b32 s8, s5, s34
	v_rcp_iflag_f32_e32 v1, v1
	s_ashr_i32 s8, s8, 31
	s_mov_b32 s46, 0
	v_mul_f32_e32 v1, 0x4f7ffffe, v1
	v_cvt_u32_f32_e32 v1, v1
	s_nop 0
	v_readfirstlane_b32 s11, v1
	s_mul_i32 s10, s10, s11
	s_mul_hi_u32 s10, s11, s10
	s_add_i32 s11, s11, s10
	s_mul_hi_u32 s10, s9, s11
	s_mul_i32 s11, s10, s3
	s_sub_i32 s9, s9, s11
	s_add_i32 s11, s10, 1
	s_sub_i32 s12, s9, s3
	s_cmp_ge_u32 s9, s3
	s_cselect_b32 s10, s11, s10
	s_cselect_b32 s9, s12, s9
	s_add_i32 s11, s10, 1
	s_cmp_ge_u32 s9, s3
	s_cselect_b32 s3, s11, s10
	s_xor_b32 s3, s3, s8
	s_sub_i32 s12, s3, s8
	s_abs_i32 s10, s12
	v_cvt_f32_u32_e32 v1, s10
	s_load_dwordx2 s[8:9], s[0:1], 0x40
	s_sub_i32 s3, 0, s10
	s_abs_i32 s11, s2
	v_rcp_iflag_f32_e32 v1, v1
	s_nop 0
	v_mul_f32_e32 v1, 0x4f7ffffe, v1
	v_cvt_u32_f32_e32 v1, v1
	s_nop 0
	v_readfirstlane_b32 s13, v1
	s_mul_i32 s3, s3, s13
	s_mul_hi_u32 s3, s13, s3
	s_add_i32 s13, s13, s3
	s_waitcnt lgkmcnt(0)
	s_cmp_eq_u64 s[8:9], 0
	s_mul_hi_u32 s24, s11, s13
	s_cbranch_scc1 .LBB59_2
; %bb.1:
	s_ashr_i32 s3, s2, 31
	s_lshl_b64 s[14:15], s[2:3], 2
	s_add_u32 s8, s8, s14
	s_addc_u32 s9, s9, s15
	s_load_dword s46, s[8:9], 0x0
.LBB59_2:
	s_load_dword s21, s[6:7], 0x0
	s_ashr_i32 s26, s12, 31
	s_load_dwordx4 s[12:15], s[0:1], 0x48
	s_movk_i32 s3, 0x78
	s_ashr_i32 s25, s2, 31
	v_and_b32_e32 v4, 7, v0
	s_mul_i32 s22, s2, 0x78
	v_cmp_gt_u32_e64 s[6:7], s3, v0
	v_lshlrev_b32_e32 v6, 1, v0
	s_and_saveexec_b64 s[8:9], s[6:7]
	s_cbranch_execz .LBB59_4
; %bb.3:
	s_load_dwordx2 s[16:17], s[0:1], 0x8
	s_waitcnt lgkmcnt(0)
	s_mul_i32 s18, s12, s20
	s_ashr_i32 s19, s18, 31
	s_lshl_b64 s[18:19], s[18:19], 1
	v_lshrrev_b32_e32 v2, 2, v0
	s_add_u32 s3, s16, s18
	s_addc_u32 s12, s17, s19
	s_ashr_i32 s23, s22, 31
	s_lshl_b64 s[16:17], s[22:23], 1
	s_add_u32 s16, s3, s16
	s_addc_u32 s17, s12, s17
	global_load_ushort v1, v6, s[16:17]
	v_and_b32_e32 v2, 0xfe, v2
	v_mad_u32_u24 v2, v4, 30, v2
	s_waitcnt vmcnt(0)
	ds_write_b16 v2, v1
.LBB59_4:
	s_or_b64 exec, exec, s[8:9]
	s_mul_i32 s9, s24, s10
	s_sub_i32 s9, s11, s9
	s_xor_b32 s8, s25, s26
	s_add_i32 s11, s24, 1
	s_waitcnt lgkmcnt(0)
	s_sub_i32 s12, s9, s10
	s_load_dwordx4 s[16:19], s[0:1], 0x68
	s_load_dword s3, s[0:1], 0x78
	s_cmp_ge_u32 s9, s10
	s_cselect_b32 s11, s11, s24
	s_cselect_b32 s9, s12, s9
	s_add_i32 s12, s11, 1
	s_cmp_ge_u32 s9, s10
	s_cselect_b32 s9, s12, s11
	s_waitcnt lgkmcnt(0)
	s_abs_i32 s33, s19
	v_cvt_f32_u32_e32 v1, s33
	s_xor_b32 s9, s9, s8
	s_sub_i32 s10, s9, s8
	s_sub_i32 s8, 0, s33
	v_rcp_iflag_f32_e32 v1, v1
	s_add_i32 s15, s21, -1
	s_abs_i32 s11, s15
	v_mul_f32_e32 v1, 0x4f7ffffe, v1
	v_cvt_u32_f32_e32 v1, v1
	s_barrier
	v_readfirstlane_b32 s42, v1
	s_mul_i32 s8, s8, s42
	s_mul_hi_u32 s8, s42, s8
	s_add_i32 s42, s42, s8
	s_cmp_lt_i32 s3, 0
	s_mul_hi_u32 s12, s11, s42
	s_cbranch_scc0 .LBB59_6
; %bb.5:
	s_mul_i32 s8, s16, s34
	s_add_i32 s8, s10, s8
	s_mul_i32 s8, s8, s3
	s_sub_i32 s43, 1, s8
	s_mov_b64 s[8:9], 0
	s_branch .LBB59_7
.LBB59_6:
	s_mov_b64 s[8:9], -1
                                        ; implicit-def: $sgpr43
.LBB59_7:
	s_load_dwordx2 s[26:27], s[0:1], 0x28
	s_ashr_i32 s15, s15, 31
	s_andn2_b64 vcc, exec, s[8:9]
	s_ashr_i32 s44, s19, 31
	s_cbranch_vccnz .LBB59_9
; %bb.8:
	s_mul_i32 s8, s5, s16
	s_add_i32 s2, s8, s2
	s_mul_i32 s2, s2, s3
	s_add_i32 s43, s2, 1
.LBB59_9:
	s_load_dword s2, s[0:1], 0x38
	s_load_dwordx2 s[24:25], s[0:1], 0x0
	s_load_dwordx2 s[30:31], s[0:1], 0x18
	s_load_dword s23, s[0:1], 0x88
	s_xor_b32 s3, s15, s44
	s_waitcnt lgkmcnt(0)
	s_mul_i32 s28, s2, s20
	s_mul_i32 s2, s12, s33
	s_sub_i32 s2, s11, s2
	s_ashr_i32 s29, s28, 31
	s_add_i32 s8, s12, 1
	s_sub_i32 s9, s2, s33
	s_cmp_ge_u32 s2, s33
	s_cselect_b32 s8, s8, s12
	s_cselect_b32 s2, s9, s2
	s_add_i32 s9, s8, 1
	s_cmp_ge_u32 s2, s33
	s_cselect_b32 s2, s9, s8
	s_xor_b32 s2, s2, s3
	s_sub_i32 s12, s2, s3
	s_add_i32 s2, s21, 7
	s_ashr_i32 s3, s2, 31
	s_lshr_b32 s3, s3, 29
	s_add_i32 s2, s2, s3
	s_ashr_i32 s45, s2, 3
	v_lshrrev_b32_e32 v7, 6, v0
	v_cmp_gt_i32_e64 s[2:3], s45, v7
	v_mov_b32_e32 v11, 0xff7fffff
	s_mul_i32 s14, s10, s14
	v_lshrrev_b32_e32 v1, 4, v0
	v_lshlrev_b32_e32 v17, 3, v7
	v_mbcnt_lo_u32_b32 v8, -1, 0
	s_and_saveexec_b64 s[36:37], s[2:3]
	s_cbranch_execz .LBB59_21
; %bb.10:
	s_load_dwordx2 s[0:1], s[0:1], 0x10
	s_ashr_i32 s15, s14, 31
	s_sub_i32 s16, s12, s17
	s_lshl_b64 s[8:9], s[14:15], 1
	v_bfe_u32 v9, v0, 3, 3
	s_waitcnt lgkmcnt(0)
	s_add_u32 s0, s0, s8
	s_addc_u32 s1, s1, s9
	s_abs_i32 s15, s18
	v_cvt_f32_u32_e32 v2, s15
	v_lshlrev_b32_e32 v14, 4, v9
	v_mov_b32_e32 v15, 0
	s_sub_i32 s8, 0, s15
	v_rcp_iflag_f32_e32 v5, v2
	v_cmp_eq_u32_e32 vcc, 0, v4
	v_lshl_add_u64 v[2:3], s[0:1], 0, v[14:15]
	v_lshlrev_b32_e32 v14, 1, v4
	v_mul_f32_e32 v5, 0x4f7ffffe, v5
	v_cvt_u32_f32_e32 v5, v5
	v_mul_u32_u24_e32 v10, 30, v4
	v_lshl_add_u64 v[2:3], v[2:3], 0, v[14:15]
	v_and_b32_e32 v14, 60, v1
	v_mul_lo_u32 v4, s8, v5
	s_lshl_b64 s[8:9], s[28:29], 2
	s_add_u32 s8, s26, s8
	v_mul_hi_u32 v4, v5, v4
	s_addc_u32 s9, s27, s9
	v_subrev_u32_e32 v11, s21, v9
	v_add_u32_e32 v12, v5, v4
	v_lshl_add_u64 v[4:5], s[8:9], 0, v[14:15]
	v_add_u32_e32 v14, 1, v11
	v_lshlrev_b32_e32 v11, 2, v9
	v_lshl_or_b32 v11, v7, 5, v11
	v_mbcnt_hi_u32_b32 v18, -1, v8
	v_add_u32_e32 v15, 0x100, v11
	v_and_b32_e32 v11, 64, v18
	s_mov_b32 s19, s13
	v_cmp_neq_f32_e64 s[0:1], s46, 0
	v_lshlrev_b32_e32 v13, 3, v7
	v_mov_b32_e32 v16, 0xff7fffff
	s_mov_b64 s[38:39], 0
	v_add_u32_e32 v19, 64, v11
	v_xor_b32_e32 v20, 4, v18
	v_xor_b32_e32 v21, 2, v18
	;; [unrolled: 1-line block ×3, first 2 shown]
	v_mov_b32_e32 v11, 0xff7fffff
	v_mov_b32_e32 v23, v7
	s_branch .LBB59_13
.LBB59_11:                              ;   in Loop: Header=BB59_13 Depth=1
	s_or_b64 exec, exec, s[40:41]
.LBB59_12:                              ;   in Loop: Header=BB59_13 Depth=1
	s_or_b64 exec, exec, s[10:11]
	v_add_u32_e32 v23, 2, v23
	v_cmp_le_i32_e64 s[8:9], s45, v23
	v_lshl_add_u64 v[4:5], v[4:5], 0, 8
	v_add_u32_e32 v13, 16, v13
	s_or_b64 s[38:39], s[8:9], s[38:39]
	v_add_u32_e32 v15, 64, v15
	s_andn2_b64 exec, exec, s[38:39]
	s_cbranch_execz .LBB59_20
.LBB59_13:                              ; =>This Inner Loop Header: Depth=1
	v_mul_hi_u32 v24, v13, s42
	s_waitcnt lgkmcnt(0)
	v_mul_lo_u32 v25, v24, s33
	v_sub_u32_e32 v25, v13, v25
	v_add_u32_e32 v26, 1, v24
	v_cmp_le_u32_e64 s[8:9], s33, v25
	s_nop 1
	v_cndmask_b32_e64 v24, v24, v26, s[8:9]
	v_subrev_u32_e32 v26, s33, v25
	v_cndmask_b32_e64 v25, v25, v26, s[8:9]
	v_add_u32_e32 v26, 1, v24
	v_cmp_le_u32_e64 s[8:9], s33, v25
	s_nop 1
	v_cndmask_b32_e64 v24, v24, v26, s[8:9]
	v_xor_b32_e32 v24, s44, v24
	v_subrev_u32_e32 v24, s44, v24
	v_add_u32_e32 v25, s43, v24
	v_sub_u32_e32 v27, 0, v25
	v_ashrrev_i32_e32 v26, 31, v25
	v_max_i32_e32 v25, v25, v27
	v_mul_hi_u32 v27, v25, v12
	v_mul_lo_u32 v27, v27, s15
	v_sub_u32_e32 v25, v25, v27
	v_subrev_u32_e32 v27, s15, v25
	v_cmp_le_u32_e64 s[8:9], s15, v25
	v_cmp_ge_i32_e64 s[10:11], s16, v24
	s_nop 0
	v_cndmask_b32_e64 v25, v25, v27, s[8:9]
	v_subrev_u32_e32 v27, s15, v25
	v_cmp_le_u32_e64 s[8:9], s15, v25
	s_nop 1
	v_cndmask_b32_e64 v25, v25, v27, s[8:9]
	v_xor_b32_e32 v25, v25, v26
	v_sub_u32_e32 v25, v25, v26
	v_cmp_ne_u32_e64 s[8:9], 0, v25
	s_and_b64 s[8:9], s[8:9], s[10:11]
	s_and_saveexec_b64 s[10:11], s[8:9]
	s_xor_b64 s[8:9], exec, s[10:11]
	s_cbranch_execz .LBB59_17
; %bb.14:                               ;   in Loop: Header=BB59_13 Depth=1
	s_and_saveexec_b64 s[10:11], vcc
; %bb.15:                               ;   in Loop: Header=BB59_13 Depth=1
	ds_write_b32 v15, v16
; %bb.16:                               ;   in Loop: Header=BB59_13 Depth=1
	s_or_b64 exec, exec, s[10:11]
.LBB59_17:                              ;   in Loop: Header=BB59_13 Depth=1
	s_andn2_saveexec_b64 s[10:11], s[8:9]
	s_cbranch_execz .LBB59_12
; %bb.18:                               ;   in Loop: Header=BB59_13 Depth=1
	global_load_dword v24, v[4:5], off
	s_waitcnt vmcnt(0)
	v_mad_i64_i32 v[24:25], s[8:9], v24, s19, 0
	v_lshl_add_u64 v[24:25], v[24:25], 1, v[2:3]
	global_load_ushort v26, v[24:25], off
	global_load_ushort v27, v[24:25], off offset:128
	global_load_ushort v29, v[24:25], off offset:256
	global_load_ushort v31, v[24:25], off offset:384
	global_load_ushort v33, v[24:25], off offset:512
	global_load_ushort v35, v[24:25], off offset:640
	global_load_ushort v37, v[24:25], off offset:768
	global_load_ushort v39, v[24:25], off offset:896
	global_load_ushort v41, v[24:25], off offset:1024
	global_load_ushort v43, v[24:25], off offset:1152
	global_load_ushort v45, v[24:25], off offset:1280
	ds_read_u16 v28, v10
	global_load_ushort v47, v[24:25], off offset:1408
	global_load_ushort v48, v[24:25], off offset:1536
	;; [unrolled: 1-line block ×4, first 2 shown]
	s_waitcnt lgkmcnt(0)
	;;#ASMSTART
	v_cvt_f32_f16 v24, v28;
	;;#ASMEND
	v_cmp_lt_i32_e64 s[8:9], v20, v19
	s_waitcnt vmcnt(14)
	;;#ASMSTART
	v_cvt_f32_f16 v25, v26;
	;;#ASMEND
	ds_read_u16 v26, v10 offset:2
	s_waitcnt lgkmcnt(0)
	;;#ASMSTART
	v_cvt_f32_f16 v26, v26;
	;;#ASMEND
	s_waitcnt vmcnt(13)
	;;#ASMSTART
	v_cvt_f32_f16 v27, v27;
	;;#ASMEND
	ds_read_u16 v28, v10 offset:4
	v_mul_f32_e32 v26, v26, v27
	v_fmac_f32_e32 v26, v24, v25
	s_waitcnt lgkmcnt(0)
	;;#ASMSTART
	v_cvt_f32_f16 v28, v28;
	;;#ASMEND
	s_waitcnt vmcnt(12)
	;;#ASMSTART
	v_cvt_f32_f16 v29, v29;
	;;#ASMEND
	ds_read_u16 v30, v10 offset:6
	v_fmac_f32_e32 v26, v28, v29
	s_waitcnt lgkmcnt(0)
	;;#ASMSTART
	v_cvt_f32_f16 v30, v30;
	;;#ASMEND
	s_waitcnt vmcnt(11)
	;;#ASMSTART
	v_cvt_f32_f16 v31, v31;
	;;#ASMEND
	ds_read_u16 v32, v10 offset:8
	v_fmac_f32_e32 v26, v30, v31
	s_waitcnt lgkmcnt(0)
	;;#ASMSTART
	v_cvt_f32_f16 v32, v32;
	;;#ASMEND
	s_waitcnt vmcnt(10)
	;;#ASMSTART
	v_cvt_f32_f16 v33, v33;
	;;#ASMEND
	ds_read_u16 v34, v10 offset:10
	v_fmac_f32_e32 v26, v32, v33
	s_waitcnt lgkmcnt(0)
	;;#ASMSTART
	v_cvt_f32_f16 v34, v34;
	;;#ASMEND
	s_waitcnt vmcnt(9)
	;;#ASMSTART
	v_cvt_f32_f16 v35, v35;
	;;#ASMEND
	ds_read_u16 v36, v10 offset:12
	v_fmac_f32_e32 v26, v34, v35
	s_waitcnt lgkmcnt(0)
	;;#ASMSTART
	v_cvt_f32_f16 v36, v36;
	;;#ASMEND
	s_waitcnt vmcnt(8)
	;;#ASMSTART
	v_cvt_f32_f16 v37, v37;
	;;#ASMEND
	ds_read_u16 v38, v10 offset:14
	v_fmac_f32_e32 v26, v36, v37
	s_waitcnt lgkmcnt(0)
	;;#ASMSTART
	v_cvt_f32_f16 v38, v38;
	;;#ASMEND
	s_waitcnt vmcnt(7)
	;;#ASMSTART
	v_cvt_f32_f16 v39, v39;
	;;#ASMEND
	ds_read_u16 v40, v10 offset:16
	v_fmac_f32_e32 v26, v38, v39
	s_waitcnt lgkmcnt(0)
	;;#ASMSTART
	v_cvt_f32_f16 v40, v40;
	;;#ASMEND
	s_waitcnt vmcnt(6)
	;;#ASMSTART
	v_cvt_f32_f16 v41, v41;
	;;#ASMEND
	ds_read_u16 v42, v10 offset:18
	v_fmac_f32_e32 v26, v40, v41
	s_waitcnt lgkmcnt(0)
	;;#ASMSTART
	v_cvt_f32_f16 v42, v42;
	;;#ASMEND
	s_waitcnt vmcnt(5)
	;;#ASMSTART
	v_cvt_f32_f16 v43, v43;
	;;#ASMEND
	ds_read_u16 v44, v10 offset:20
	v_fmac_f32_e32 v26, v42, v43
	s_waitcnt lgkmcnt(0)
	;;#ASMSTART
	v_cvt_f32_f16 v44, v44;
	;;#ASMEND
	s_waitcnt vmcnt(4)
	;;#ASMSTART
	v_cvt_f32_f16 v45, v45;
	;;#ASMEND
	ds_read_u16 v51, v10 offset:22
	v_fmac_f32_e32 v26, v44, v45
	s_waitcnt lgkmcnt(0)
	;;#ASMSTART
	v_cvt_f32_f16 v24, v51;
	;;#ASMEND
	s_waitcnt vmcnt(3)
	;;#ASMSTART
	v_cvt_f32_f16 v25, v47;
	;;#ASMEND
	ds_read_u16 v27, v10 offset:24
	v_fmac_f32_e32 v26, v24, v25
	s_waitcnt lgkmcnt(0)
	;;#ASMSTART
	v_cvt_f32_f16 v27, v27;
	;;#ASMEND
	s_waitcnt vmcnt(2)
	;;#ASMSTART
	v_cvt_f32_f16 v28, v48;
	;;#ASMEND
	ds_read_u16 v29, v10 offset:26
	v_fmac_f32_e32 v26, v27, v28
	v_cndmask_b32_e64 v46, v18, v20, s[8:9]
	s_waitcnt lgkmcnt(0)
	;;#ASMSTART
	v_cvt_f32_f16 v29, v29;
	;;#ASMEND
	s_waitcnt vmcnt(1)
	;;#ASMSTART
	v_cvt_f32_f16 v30, v49;
	;;#ASMEND
	v_lshlrev_b32_e32 v46, 2, v46
	v_fmac_f32_e32 v26, v29, v30
	ds_read_u16 v31, v10 offset:28
	s_waitcnt lgkmcnt(0)
	;;#ASMSTART
	v_cvt_f32_f16 v24, v31;
	;;#ASMEND
	s_waitcnt vmcnt(0)
	;;#ASMSTART
	v_cvt_f32_f16 v25, v50;
	;;#ASMEND
	v_cmp_lt_i32_e64 s[8:9], v21, v19
	v_fmac_f32_e32 v26, v24, v25
	ds_bpermute_b32 v24, v46, v26
	v_cndmask_b32_e64 v25, v18, v21, s[8:9]
	v_lshlrev_b32_e32 v25, 2, v25
	v_cmp_lt_i32_e64 s[8:9], v22, v19
	s_waitcnt lgkmcnt(0)
	v_add_f32_e32 v24, v26, v24
	ds_bpermute_b32 v25, v25, v24
	v_cndmask_b32_e64 v26, v18, v22, s[8:9]
	s_waitcnt lgkmcnt(0)
	v_add_f32_e32 v24, v24, v25
	v_lshlrev_b32_e32 v25, 2, v26
	ds_bpermute_b32 v25, v25, v24
	s_and_saveexec_b64 s[40:41], vcc
	s_cbranch_execz .LBB59_11
; %bb.19:                               ;   in Loop: Header=BB59_13 Depth=1
	v_add_u32_e32 v26, v14, v13
	v_cvt_f32_i32_e32 v26, v26
	s_waitcnt lgkmcnt(0)
	v_add_f32_e32 v24, v24, v25
	v_add_u32_e32 v27, v9, v13
	v_cmp_gt_i32_e64 s[8:9], s21, v27
	v_mul_f32_e32 v25, s46, v26
	v_cndmask_b32_e64 v25, 0, v25, s[0:1]
	v_fmac_f32_e32 v25, s35, v24
	v_cndmask_b32_e64 v24, 0, v25, s[8:9]
	ds_write_b32 v15, v24
	v_max_f32_e32 v24, v11, v11
	v_max_f32_e32 v24, v24, v25
	v_cndmask_b32_e64 v11, v11, v24, s[8:9]
	s_branch .LBB59_11
.LBB59_20:
	s_or_b64 exec, exec, s[38:39]
.LBB59_21:
	s_or_b64 exec, exec, s[36:37]
	v_mbcnt_hi_u32_b32 v2, -1, v8
	v_and_b32_e32 v12, 64, v2
	v_add_u32_e32 v3, 64, v12
	v_xor_b32_e32 v4, 32, v2
	v_cmp_lt_i32_e32 vcc, v4, v3
	v_xor_b32_e32 v9, 16, v2
	v_max_f32_e32 v8, v11, v11
	v_cndmask_b32_e32 v4, v2, v4, vcc
	v_lshlrev_b32_e32 v5, 2, v4
	ds_bpermute_b32 v4, v5, v11
	v_cmp_lt_i32_e32 vcc, v9, v3
	v_xor_b32_e32 v10, 8, v2
	v_and_b32_e32 v18, 63, v0
	s_waitcnt lgkmcnt(0)
	v_max_f32_e32 v4, v4, v4
	v_max_f32_e32 v4, v8, v4
	v_cndmask_b32_e32 v8, v2, v9, vcc
	v_lshlrev_b32_e32 v9, 2, v8
	ds_bpermute_b32 v8, v9, v4
	v_cmp_lt_i32_e32 vcc, v10, v3
	s_waitcnt lgkmcnt(0)
	v_max_f32_e32 v8, v8, v8
	v_max_f32_e32 v8, v4, v8
	v_cndmask_b32_e32 v4, v2, v10, vcc
	v_lshlrev_b32_e32 v11, 2, v4
	ds_bpermute_b32 v10, v11, v8
	v_cmp_eq_u32_e32 vcc, 0, v18
	v_lshlrev_b32_e32 v4, 2, v7
	s_and_saveexec_b64 s[0:1], vcc
	s_cbranch_execz .LBB59_23
; %bb.22:
	s_waitcnt lgkmcnt(0)
	v_max_f32_e32 v10, v10, v10
	v_max_f32_e32 v8, v8, v8
	;; [unrolled: 1-line block ×3, first 2 shown]
	ds_write_b32 v4, v8 offset:240
.LBB59_23:
	s_or_b64 exec, exec, s[0:1]
	v_cmp_gt_u32_e64 s[0:1], 2, v18
	v_mov_b32_e32 v13, 0xff7fffff
	v_lshlrev_b32_e32 v8, 2, v18
	s_waitcnt lgkmcnt(0)
	s_barrier
	s_and_saveexec_b64 s[8:9], s[0:1]
; %bb.24:
	ds_read_b32 v13, v8 offset:240
; %bb.25:
	s_or_b64 exec, exec, s[8:9]
	v_xor_b32_e32 v10, 1, v2
	v_cmp_lt_i32_e64 s[8:9], v10, v3
	v_lshlrev_b32_e32 v12, 2, v12
	s_nop 0
	v_cndmask_b32_e64 v10, v2, v10, s[8:9]
	v_lshlrev_b32_e32 v10, 2, v10
	s_waitcnt lgkmcnt(0)
	ds_bpermute_b32 v14, v10, v13
	v_max_f32_e32 v13, v13, v13
	s_lshl_b32 s8, s45, 3
	s_min_i32 s15, s8, s21
	v_cmp_gt_i32_e64 s[8:9], s15, v0
	s_waitcnt lgkmcnt(0)
	v_max_f32_e32 v14, v14, v14
	v_max_f32_e32 v13, v13, v14
	ds_bpermute_b32 v13, v12, v13
	v_mov_b32_e32 v12, 0
	s_and_saveexec_b64 s[34:35], s[8:9]
	s_cbranch_execz .LBB59_29
; %bb.26:
	v_mov_b32_e32 v12, 0x100
	v_lshl_add_u32 v14, v0, 2, v12
	v_mov_b32_e32 v12, 0
	s_mov_b64 s[36:37], 0
	v_mov_b32_e32 v15, v0
.LBB59_27:                              ; =>This Inner Loop Header: Depth=1
	ds_read_b32 v16, v14
	v_add_u32_e32 v15, 0x80, v15
	v_cmp_le_i32_e64 s[10:11], s15, v15
	s_or_b64 s[36:37], s[10:11], s[36:37]
	s_waitcnt lgkmcnt(0)
	v_sub_f32_e32 v16, v16, v13
	v_mul_f32_e32 v16, 0x3fb8aa3b, v16
	v_exp_f32_e32 v16, v16
	ds_write_b32 v14, v16
	v_add_f32_e32 v12, v12, v16
	v_add_u32_e32 v14, 0x200, v14
	s_andn2_b64 exec, exec, s[36:37]
	s_cbranch_execnz .LBB59_27
; %bb.28:
	s_or_b64 exec, exec, s[36:37]
.LBB59_29:
	s_or_b64 exec, exec, s[34:35]
	ds_bpermute_b32 v5, v5, v12
	s_waitcnt lgkmcnt(0)
	v_add_f32_e32 v5, v12, v5
	ds_bpermute_b32 v9, v9, v5
	s_waitcnt lgkmcnt(0)
	v_add_f32_e32 v5, v5, v9
	ds_bpermute_b32 v9, v11, v5
	v_xor_b32_e32 v11, 4, v2
	v_cmp_lt_i32_e64 s[10:11], v11, v3
	s_waitcnt lgkmcnt(0)
	v_add_f32_e32 v5, v5, v9
	v_cndmask_b32_e64 v11, v2, v11, s[10:11]
	v_lshlrev_b32_e32 v11, 2, v11
	ds_bpermute_b32 v9, v11, v5
	v_xor_b32_e32 v11, 2, v2
	v_cmp_lt_i32_e64 s[10:11], v11, v3
	s_waitcnt lgkmcnt(0)
	v_add_f32_e32 v5, v5, v9
	v_cndmask_b32_e64 v3, v2, v11, s[10:11]
	v_lshlrev_b32_e32 v3, 2, v3
	ds_bpermute_b32 v3, v3, v5
	s_waitcnt lgkmcnt(0)
	v_add_f32_e32 v3, v5, v3
	ds_bpermute_b32 v5, v10, v3
	s_waitcnt lgkmcnt(0)
	v_add_f32_e32 v3, v3, v5
	s_and_saveexec_b64 s[10:11], vcc
; %bb.30:
	ds_write_b32 v4, v3 offset:248
; %bb.31:
	s_or_b64 exec, exec, s[10:11]
	s_waitcnt lgkmcnt(0)
	s_barrier
	s_and_saveexec_b64 s[10:11], s[0:1]
; %bb.32:
	ds_read_b32 v3, v8 offset:248
; %bb.33:
	s_or_b64 exec, exec, s[10:11]
	s_waitcnt lgkmcnt(0)
	ds_bpermute_b32 v4, v10, v3
	v_lshlrev_b32_e32 v2, 2, v2
	v_and_b32_e32 v2, 0x100, v2
	s_waitcnt lgkmcnt(0)
	v_add_f32_e32 v3, v3, v4
	ds_bpermute_b32 v2, v2, v3
	s_and_saveexec_b64 s[0:1], s[8:9]
	s_cbranch_execz .LBB59_46
; %bb.34:
	s_waitcnt lgkmcnt(0)
	v_add_f32_e32 v2, 0x358637bd, v2
	v_div_scale_f32 v3, s[8:9], v2, v2, 1.0
	v_rcp_f32_e32 v4, v3
	v_div_scale_f32 v5, vcc, 1.0, v2, 1.0
	s_movk_i32 s8, 0x7f
	v_fma_f32 v8, -v3, v4, 1.0
	v_fmac_f32_e32 v4, v8, v4
	v_mul_f32_e32 v8, v5, v4
	v_fma_f32 v9, -v3, v8, v5
	v_fmac_f32_e32 v8, v9, v4
	v_fma_f32 v3, -v3, v8, v5
	v_div_fmas_f32 v3, v3, v4, v8
	v_xad_u32 v4, v0, -1, s15
	v_div_fixup_f32 v2, v3, v2, 1.0
	v_cmp_lt_u32_e32 vcc, s8, v4
	s_mov_b64 s[10:11], -1
	v_mov_b32_e32 v3, v0
	s_and_saveexec_b64 s[8:9], vcc
	s_cbranch_execz .LBB59_43
; %bb.35:
	v_lshrrev_b32_e32 v4, 7, v4
	v_add_u32_e32 v8, -1, v4
	v_lshrrev_b32_e32 v5, 1, v8
	v_mov_b32_e32 v3, v2
	v_add_u32_e32 v5, 1, v5
	v_cmp_lt_u32_e32 vcc, 13, v8
	v_mov_b32_e32 v10, 0
	s_and_saveexec_b64 s[10:11], vcc
	s_cbranch_execz .LBB59_39
; %bb.36:
	v_mov_b32_e32 v9, 0x100
	v_and_b32_e32 v8, -8, v5
	v_lshl_add_u32 v9, v0, 2, v9
	s_mov_b32 s16, 0
	s_mov_b64 s[34:35], 0
.LBB59_37:                              ; =>This Inner Loop Header: Depth=1
	ds_read2st64_b32 v[10:11], v9 offset1:2
	ds_read2st64_b32 v[12:13], v9 offset0:4 offset1:6
	ds_read2st64_b32 v[14:15], v9 offset0:8 offset1:10
	;; [unrolled: 1-line block ×3, first 2 shown]
	v_add_u32_e32 v8, -8, v8
	s_waitcnt lgkmcnt(3)
	v_pk_mul_f32 v[10:11], v[2:3], v[10:11]
	s_waitcnt lgkmcnt(2)
	v_pk_mul_f32 v[12:13], v[2:3], v[12:13]
	ds_write2st64_b32 v9, v10, v11 offset1:2
	ds_write2st64_b32 v9, v12, v13 offset0:4 offset1:6
	ds_read2st64_b32 v[12:13], v9 offset0:16 offset1:18
	s_waitcnt lgkmcnt(4)
	v_pk_mul_f32 v[10:11], v[2:3], v[14:15]
	ds_write2st64_b32 v9, v10, v11 offset0:8 offset1:10
	s_waitcnt lgkmcnt(4)
	v_pk_mul_f32 v[10:11], v[2:3], v[20:21]
	ds_write2st64_b32 v9, v10, v11 offset0:12 offset1:14
	ds_read2st64_b32 v[10:11], v9 offset0:20 offset1:22
	s_waitcnt lgkmcnt(3)
	v_pk_mul_f32 v[12:13], v[2:3], v[12:13]
	ds_read2st64_b32 v[14:15], v9 offset0:24 offset1:26
	ds_write2st64_b32 v9, v12, v13 offset0:16 offset1:18
	ds_read2st64_b32 v[12:13], v9 offset0:28 offset1:30
	s_waitcnt lgkmcnt(3)
	v_pk_mul_f32 v[10:11], v[2:3], v[10:11]
	ds_write2st64_b32 v9, v10, v11 offset0:20 offset1:22
	s_waitcnt lgkmcnt(3)
	v_pk_mul_f32 v[10:11], v[2:3], v[14:15]
	ds_write2st64_b32 v9, v10, v11 offset0:24 offset1:26
	s_waitcnt lgkmcnt(2)
	v_pk_mul_f32 v[10:11], v[2:3], v[12:13]
	s_add_i32 s16, s16, 16
	v_cmp_eq_u32_e32 vcc, 0, v8
	ds_write2st64_b32 v9, v10, v11 offset0:28 offset1:30
	v_add_u32_e32 v9, 0x2000, v9
	s_or_b64 s[34:35], vcc, s[34:35]
	v_mov_b32_e32 v10, s16
	s_andn2_b64 exec, exec, s[34:35]
	s_cbranch_execnz .LBB59_37
; %bb.38:
	s_or_b64 exec, exec, s[34:35]
.LBB59_39:
	s_or_b64 exec, exec, s[10:11]
	v_and_b32_e32 v5, 7, v5
	v_cmp_ne_u32_e32 vcc, 0, v5
	s_and_saveexec_b64 s[10:11], vcc
	s_cbranch_execz .LBB59_42
; %bb.40:
	v_lshlrev_b32_e32 v8, 9, v10
	v_lshlrev_b32_e32 v9, 2, v0
	s_movk_i32 s16, 0x100
	v_add3_u32 v8, v8, v9, s16
	s_mov_b64 s[34:35], 0
.LBB59_41:                              ; =>This Inner Loop Header: Depth=1
	ds_read2st64_b32 v[10:11], v8 offset1:2
	v_add_u32_e32 v5, -1, v5
	v_cmp_eq_u32_e32 vcc, 0, v5
	s_or_b64 s[34:35], vcc, s[34:35]
	s_waitcnt lgkmcnt(0)
	v_pk_mul_f32 v[10:11], v[2:3], v[10:11]
	ds_write2st64_b32 v8, v10, v11 offset1:2
	v_add_u32_e32 v8, 0x400, v8
	s_andn2_b64 exec, exec, s[34:35]
	s_cbranch_execnz .LBB59_41
.LBB59_42:
	s_or_b64 exec, exec, s[10:11]
	v_add_u32_e32 v4, 1, v4
	v_and_b32_e32 v5, 0x3fffffe, v4
	v_cmp_ne_u32_e32 vcc, v4, v5
	v_lshl_add_u32 v3, v5, 7, v0
	s_orn2_b64 s[10:11], vcc, exec
.LBB59_43:
	s_or_b64 exec, exec, s[8:9]
	s_and_b64 exec, exec, s[10:11]
	s_cbranch_execz .LBB59_46
; %bb.44:
	v_mov_b32_e32 v4, 0x100
	v_lshl_add_u32 v4, v3, 2, v4
	s_mov_b64 s[8:9], 0
.LBB59_45:                              ; =>This Inner Loop Header: Depth=1
	ds_read_b32 v5, v4
	v_add_u32_e32 v3, 0x80, v3
	v_cmp_le_i32_e32 vcc, s15, v3
	s_or_b64 s[8:9], vcc, s[8:9]
	s_waitcnt lgkmcnt(0)
	v_mul_f32_e32 v5, v2, v5
	ds_write_b32 v4, v5
	v_add_u32_e32 v4, 0x200, v4
	s_andn2_b64 exec, exec, s[8:9]
	s_cbranch_execnz .LBB59_45
.LBB59_46:
	s_or_b64 exec, exec, s[0:1]
	v_mov_b32_e32 v20, 0
	v_mov_b32_e32 v19, 0
	s_waitcnt lgkmcnt(0)
	s_barrier
	s_and_saveexec_b64 s[8:9], s[2:3]
	s_cbranch_execz .LBB59_58
; %bb.47:
	s_ashr_i32 s15, s14, 31
	s_sub_i32 s34, s12, s17
	s_lshl_b64 s[0:1], s[14:15], 1
	s_add_u32 s10, s30, s0
	s_addc_u32 s11, s31, s1
	s_abs_i32 s30, s18
	v_cvt_f32_u32_e32 v3, s30
	v_or_b32_e32 v4, 64, v18
	s_movk_i32 s0, 0x78
	v_cmp_gt_u32_e64 s[2:3], s0, v4
	v_rcp_iflag_f32_e32 v3, v3
	s_sub_i32 s0, 0, s30
	s_add_i32 s31, s45, -1
	v_lshlrev_b32_e32 v2, 3, v18
	v_mul_f32_e32 v3, 0x4f7ffffe, v3
	v_cvt_u32_f32_e32 v3, v3
	v_mov_b32_e32 v9, 0
	v_lshlrev_b32_e32 v4, 3, v4
	v_and_b32_e32 v8, 60, v1
	v_mul_lo_u32 v5, s0, v3
	s_lshl_b64 s[0:1], s[28:29], 2
	s_add_u32 s0, s26, s0
	v_mul_hi_u32 v5, v3, v5
	s_addc_u32 s1, s27, s1
	v_mov_b32_e32 v1, 0x100
	s_mov_b32 s35, s13
	s_mov_b32 s36, s21
	v_add_u32_e32 v21, v3, v5
	v_lshl_add_u64 v[10:11], s[0:1], 0, v[8:9]
	v_lshl_add_u32 v22, v7, 5, v1
	s_mov_b64 s[12:13], 0
	v_lshlrev_b32_e32 v8, 1, v2
	s_mov_b32 s26, 0xffff
	v_lshlrev_b32_e32 v12, 1, v4
	v_mov_b32_e32 v19, v9
	v_mov_b32_e32 v20, v9
	s_branch .LBB59_51
.LBB59_48:                              ;   in Loop: Header=BB59_51 Depth=1
	s_or_b64 exec, exec, s[18:19]
	v_lshlrev_b32_e32 v14, 16, v14
	v_lshlrev_b32_e32 v1, 16, v1
	v_and_or_b32 v2, v2, s26, v14
	v_and_or_b32 v1, v3, s26, v1
	v_lshlrev_b32_e32 v3, 16, v13
	v_and_or_b32 v3, v4, s26, v3
	;;#ASMSTART
	v_pk_mul_f16 v2, v25, v2;

	;;#ASMEND
	;;#ASMSTART
	v_pk_mul_f16 v1, v26, v1;

	;;#ASMEND
	;; [unrolled: 4-line block ×4, first 2 shown]
	s_nop 0
	;;#ASMSTART
	v_pk_add_f16 v1, v2, v1;

	;;#ASMEND
	s_nop 0
	;;#ASMSTART
	v_pk_add_f16 v1, v1, v3;

	;;#ASMEND
	;; [unrolled: 5-line block ×3, first 2 shown]
	s_nop 0
	v_lshrrev_b32_e32 v2, 16, v1
	v_and_b32_e32 v1, 0xffff, v1
	;;#ASMSTART
	v_cvt_f32_f16 v1, v1;
	;;#ASMEND
	;;#ASMSTART
	v_cvt_f32_f16 v2, v2;
	;;#ASMEND
	s_nop 0
	v_add_f32_e32 v1, v1, v2
	v_add_f32_e32 v19, v19, v1
.LBB59_49:                              ;   in Loop: Header=BB59_51 Depth=1
	s_or_b64 exec, exec, s[16:17]
	v_add_f32_e32 v1, v16, v23
	v_add_f32_e32 v20, v20, v1
.LBB59_50:                              ;   in Loop: Header=BB59_51 Depth=1
	s_or_b64 exec, exec, s[14:15]
	v_add_u32_e32 v7, 2, v7
	v_cmp_le_i32_e32 vcc, s45, v7
	v_lshl_add_u64 v[10:11], v[10:11], 0, 8
	v_add_u32_e32 v17, 16, v17
	s_or_b64 s[12:13], vcc, s[12:13]
	v_add_u32_e32 v22, 64, v22
	s_andn2_b64 exec, exec, s[12:13]
	s_cbranch_execz .LBB59_57
.LBB59_51:                              ; =>This Inner Loop Header: Depth=1
	v_mul_hi_u32 v1, v17, s42
	v_mul_lo_u32 v2, v1, s33
	v_sub_u32_e32 v2, v17, v2
	v_add_u32_e32 v3, 1, v1
	v_cmp_le_u32_e32 vcc, s33, v2
	s_nop 1
	v_cndmask_b32_e32 v1, v1, v3, vcc
	v_subrev_u32_e32 v3, s33, v2
	v_cndmask_b32_e32 v2, v2, v3, vcc
	v_add_u32_e32 v3, 1, v1
	v_cmp_le_u32_e32 vcc, s33, v2
	s_nop 1
	v_cndmask_b32_e32 v1, v1, v3, vcc
	v_xor_b32_e32 v1, s44, v1
	v_subrev_u32_e32 v1, s44, v1
	v_add_u32_e32 v2, s43, v1
	v_sub_u32_e32 v4, 0, v2
	v_ashrrev_i32_e32 v3, 31, v2
	v_max_i32_e32 v2, v2, v4
	v_mul_hi_u32 v4, v2, v21
	v_mul_lo_u32 v4, v4, s30
	v_sub_u32_e32 v2, v2, v4
	v_subrev_u32_e32 v4, s30, v2
	v_cmp_le_u32_e32 vcc, s30, v2
	v_cmp_lt_i32_e64 s[0:1], s34, v1
	s_nop 0
	v_cndmask_b32_e32 v2, v2, v4, vcc
	v_subrev_u32_e32 v4, s30, v2
	v_cmp_le_u32_e32 vcc, s30, v2
	s_nop 1
	v_cndmask_b32_e32 v2, v2, v4, vcc
	v_xor_b32_e32 v2, v2, v3
	v_sub_u32_e32 v2, v2, v3
	v_cmp_eq_u32_e32 vcc, 0, v2
	s_or_b64 s[0:1], vcc, s[0:1]
	s_and_saveexec_b64 s[14:15], s[0:1]
	s_cbranch_execz .LBB59_50
; %bb.52:                               ;   in Loop: Header=BB59_51 Depth=1
	global_load_dword v1, v[10:11], off
	ds_read2_b64 v[2:5], v22 offset1:1
	ds_read2_b64 v[28:31], v22 offset0:2 offset1:3
	s_waitcnt lgkmcnt(1)
	;;#ASMSTART
	v_cvt_f16_f32 v13, v2;

	;;#ASMEND
	;;#ASMSTART
	v_cvt_f16_f32 v23, v3;

	;;#ASMEND
	;; [unrolled: 4-line block ×4, first 2 shown]
	s_waitcnt lgkmcnt(0)
	;;#ASMSTART
	v_cvt_f16_f32 v27, v28;

	;;#ASMEND
	;;#ASMSTART
	v_cvt_f16_f32 v28, v29;

	;;#ASMEND
	;; [unrolled: 4-line block ×4, first 2 shown]
	s_waitcnt vmcnt(0)
	v_mad_i64_i32 v[2:3], s[0:1], v1, s35, 0
	v_lshl_add_u64 v[14:15], v[2:3], 1, s[10:11]
	v_lshl_add_u64 v[2:3], v[14:15], 0, v[8:9]
	global_load_dwordx4 v[2:5], v[2:3], off
	v_cmp_eq_u32_e64 s[0:1], s31, v7
	s_waitcnt vmcnt(0)
	v_lshrrev_b32_e32 v1, 16, v3
	v_lshrrev_b32_e32 v16, 16, v2
	;; [unrolled: 1-line block ×3, first 2 shown]
	s_and_saveexec_b64 s[16:17], s[0:1]
	s_cbranch_execz .LBB59_54
; %bb.53:                               ;   in Loop: Header=BB59_51 Depth=1
	v_cmp_gt_i32_e32 vcc, s21, v17
	v_add_u32_e32 v33, 2, v17
	v_or_b32_e32 v25, 3, v17
	v_cndmask_b32_e32 v2, 0, v2, vcc
	v_cmp_gt_i32_e32 vcc, s21, v33
	v_or_b32_e32 v32, 1, v17
	s_nop 0
	v_cndmask_b32_e32 v3, 0, v3, vcc
	v_cmp_gt_i32_e32 vcc, s36, v25
	v_add_u32_e32 v25, 4, v17
	s_nop 0
	v_cndmask_b32_e32 v1, 0, v1, vcc
	v_cmp_gt_i32_e32 vcc, s21, v32
	v_add_u32_e32 v32, 7, v17
	;; [unrolled: 4-line block ×4, first 2 shown]
	s_nop 0
	v_cndmask_b32_e32 v31, 0, v31, vcc
	v_cmp_gt_i32_e32 vcc, s21, v25
	s_nop 1
	v_cndmask_b32_sdwa v25, v9, v5, vcc dst_sel:DWORD dst_unused:UNUSED_PAD src0_sel:DWORD src1_sel:WORD_0
	v_and_b32_e32 v5, 0xffff0000, v5
	v_cmp_gt_i32_e32 vcc, s21, v32
	s_nop 1
	v_cndmask_b32_e32 v5, 0, v5, vcc
	v_or_b32_e32 v5, v25, v5
.LBB59_54:                              ;   in Loop: Header=BB59_51 Depth=1
	s_or_b64 exec, exec, s[16:17]
	v_and_b32_e32 v13, 0xffff, v13
	v_lshl_or_b32 v25, v23, 16, v13
	v_and_b32_e32 v13, 0xffff, v24
	v_lshl_or_b32 v26, v26, 16, v13
	;; [unrolled: 2-line block ×4, first 2 shown]
	v_lshlrev_b32_e32 v13, 16, v16
	v_lshlrev_b32_e32 v1, 16, v1
	v_and_or_b32 v2, v2, s26, v13
	v_and_or_b32 v1, v3, s26, v1
	v_lshlrev_b32_e32 v3, 16, v31
	v_and_or_b32 v3, v4, s26, v3
	;;#ASMSTART
	v_pk_mul_f16 v2, v25, v2;

	;;#ASMEND
	;;#ASMSTART
	v_pk_mul_f16 v1, v26, v1;

	;;#ASMEND
	;; [unrolled: 4-line block ×4, first 2 shown]
	s_nop 0
	;;#ASMSTART
	v_pk_add_f16 v1, v2, v1;

	;;#ASMEND
	s_nop 0
	;;#ASMSTART
	v_pk_add_f16 v1, v1, v3;

	;;#ASMEND
	;; [unrolled: 5-line block ×3, first 2 shown]
	s_nop 0
	v_lshrrev_b32_e32 v2, 16, v1
	v_and_b32_e32 v1, 0xffff, v1
	;;#ASMSTART
	v_cvt_f32_f16 v16, v1;
	;;#ASMEND
	;;#ASMSTART
	v_cvt_f32_f16 v23, v2;
	;;#ASMEND
	s_and_saveexec_b64 s[16:17], s[2:3]
	s_cbranch_execz .LBB59_49
; %bb.55:                               ;   in Loop: Header=BB59_51 Depth=1
	v_mov_b32_e32 v13, v9
	v_lshl_add_u64 v[2:3], v[14:15], 0, v[12:13]
	global_load_dwordx4 v[2:5], v[2:3], off
	s_waitcnt vmcnt(0)
	v_lshrrev_b32_e32 v1, 16, v3
	v_lshrrev_b32_e32 v14, 16, v2
	;; [unrolled: 1-line block ×3, first 2 shown]
	s_and_saveexec_b64 s[18:19], s[0:1]
	s_cbranch_execz .LBB59_48
; %bb.56:                               ;   in Loop: Header=BB59_51 Depth=1
	v_cmp_gt_i32_e32 vcc, s21, v17
	v_add_u32_e32 v29, 2, v17
	v_or_b32_e32 v15, 3, v17
	v_cndmask_b32_e32 v2, 0, v2, vcc
	v_cmp_gt_i32_e32 vcc, s21, v29
	v_or_b32_e32 v28, 1, v17
	s_nop 0
	v_cndmask_b32_e32 v3, 0, v3, vcc
	v_cmp_gt_i32_e32 vcc, s36, v15
	v_add_u32_e32 v15, 4, v17
	s_nop 0
	v_cndmask_b32_e32 v1, 0, v1, vcc
	v_cmp_gt_i32_e32 vcc, s21, v28
	v_add_u32_e32 v28, 7, v17
	;; [unrolled: 4-line block ×4, first 2 shown]
	s_nop 0
	v_cndmask_b32_e32 v13, 0, v13, vcc
	v_cmp_gt_i32_e32 vcc, s21, v15
	s_nop 1
	v_cndmask_b32_sdwa v15, v9, v5, vcc dst_sel:DWORD dst_unused:UNUSED_PAD src0_sel:DWORD src1_sel:WORD_0
	v_and_b32_e32 v5, 0xffff0000, v5
	v_cmp_gt_i32_e32 vcc, s21, v28
	s_nop 1
	v_cndmask_b32_e32 v5, 0, v5, vcc
	v_or_b32_e32 v5, v15, v5
	s_branch .LBB59_48
.LBB59_57:
	s_or_b64 exec, exec, s[12:13]
.LBB59_58:
	s_or_b64 exec, exec, s[8:9]
	v_and_b32_e32 v1, 0x3c0, v0
	v_cmp_eq_u32_e32 vcc, 64, v1
	s_barrier
	s_and_saveexec_b64 s[0:1], vcc
	s_cbranch_execz .LBB59_61
; %bb.59:
	v_mov_b32_e32 v1, 0x100
	v_lshl_add_u32 v2, v18, 2, v1
	ds_write_b32 v2, v20
	s_and_b64 exec, exec, s[6:7]
; %bb.60:
	v_lshl_add_u32 v1, v0, 2, v1
	ds_write_b32 v1, v19
.LBB59_61:
	s_or_b64 exec, exec, s[0:1]
	v_cmp_gt_u32_e32 vcc, 64, v0
	v_or_b32_e32 v1, 64, v0
	s_waitcnt lgkmcnt(0)
	s_barrier
	s_and_saveexec_b64 s[2:3], vcc
	s_cbranch_execz .LBB59_65
; %bb.62:
	v_mov_b32_e32 v2, 0x100
	v_lshl_add_u32 v2, v0, 2, v2
	ds_read_b32 v0, v2
	s_movk_i32 s0, 0x78
	v_cmp_gt_u32_e64 s[0:1], s0, v1
	s_and_saveexec_b64 s[6:7], s[0:1]
	s_cbranch_execz .LBB59_64
; %bb.63:
	ds_read_b32 v2, v2 offset:256
	s_waitcnt lgkmcnt(0)
	v_add_f32_e32 v19, v19, v2
.LBB59_64:
	s_or_b64 exec, exec, s[6:7]
	s_waitcnt lgkmcnt(0)
	v_add_f32_e32 v20, v20, v0
.LBB59_65:
	s_or_b64 exec, exec, s[2:3]
	s_barrier
	s_and_saveexec_b64 s[0:1], vcc
	s_cbranch_execz .LBB59_68
; %bb.66:
	s_mul_i32 s0, s20, s23
	s_mul_i32 s0, s0, s5
	s_mulk_i32 s0, 0x78
	s_ashr_i32 s1, s0, 31
	s_lshl_b64 s[0:1], s[0:1], 1
	s_add_u32 s3, s24, s0
	s_mul_i32 s0, s23, s22
	s_addc_u32 s5, s25, s1
	s_ashr_i32 s1, s0, 31
	s_lshl_b64 s[0:1], s[0:1], 1
	s_add_u32 s3, s3, s0
	s_mul_i32 s0, s4, 0x78
	s_addc_u32 s5, s5, s1
	s_ashr_i32 s1, s0, 31
	s_lshl_b64 s[0:1], s[0:1], 1
	s_movk_i32 s2, 0x78
	s_add_u32 s0, s3, s0
	s_addc_u32 s1, s5, s1
	v_cmp_gt_u32_e32 vcc, s2, v1
	;;#ASMSTART
	v_cvt_f16_f32 v0, v20;

	;;#ASMEND
	global_store_short v6, v0, s[0:1]
	s_and_b64 exec, exec, vcc
	s_cbranch_execz .LBB59_68
; %bb.67:
	v_mov_b32_e32 v7, 0
	v_lshl_add_u64 v[0:1], s[0:1], 0, v[6:7]
	;;#ASMSTART
	v_cvt_f16_f32 v2, v19;

	;;#ASMEND
	global_store_short v[0:1], v2, off offset:128
.LBB59_68:
	s_endpgm
	.section	.rodata,"a",@progbits
	.p2align	6, 0x0
	.amdhsa_kernel _ZN4vllm25paged_attention_v1_kernelIttLi120ELi8ELi128ELNS_18Fp8KVCacheDataTypeE0ELb1EEEvPT_PKS2_PKT0_S8_ifPKiSA_iPKfiiiSC_SC_iiiii
		.amdhsa_group_segment_fixed_size 256
		.amdhsa_private_segment_fixed_size 0
		.amdhsa_kernarg_size 384
		.amdhsa_user_sgpr_count 2
		.amdhsa_user_sgpr_dispatch_ptr 0
		.amdhsa_user_sgpr_queue_ptr 0
		.amdhsa_user_sgpr_kernarg_segment_ptr 1
		.amdhsa_user_sgpr_dispatch_id 0
		.amdhsa_user_sgpr_kernarg_preload_length 0
		.amdhsa_user_sgpr_kernarg_preload_offset 0
		.amdhsa_user_sgpr_private_segment_size 0
		.amdhsa_uses_dynamic_stack 0
		.amdhsa_enable_private_segment 0
		.amdhsa_system_sgpr_workgroup_id_x 1
		.amdhsa_system_sgpr_workgroup_id_y 1
		.amdhsa_system_sgpr_workgroup_id_z 1
		.amdhsa_system_sgpr_workgroup_info 0
		.amdhsa_system_vgpr_workitem_id 0
		.amdhsa_next_free_vgpr 52
		.amdhsa_next_free_sgpr 47
		.amdhsa_accum_offset 52
		.amdhsa_reserve_vcc 1
		.amdhsa_float_round_mode_32 0
		.amdhsa_float_round_mode_16_64 0
		.amdhsa_float_denorm_mode_32 3
		.amdhsa_float_denorm_mode_16_64 3
		.amdhsa_dx10_clamp 1
		.amdhsa_ieee_mode 1
		.amdhsa_fp16_overflow 0
		.amdhsa_tg_split 0
		.amdhsa_exception_fp_ieee_invalid_op 0
		.amdhsa_exception_fp_denorm_src 0
		.amdhsa_exception_fp_ieee_div_zero 0
		.amdhsa_exception_fp_ieee_overflow 0
		.amdhsa_exception_fp_ieee_underflow 0
		.amdhsa_exception_fp_ieee_inexact 0
		.amdhsa_exception_int_div_zero 0
	.end_amdhsa_kernel
	.section	.text._ZN4vllm25paged_attention_v1_kernelIttLi120ELi8ELi128ELNS_18Fp8KVCacheDataTypeE0ELb1EEEvPT_PKS2_PKT0_S8_ifPKiSA_iPKfiiiSC_SC_iiiii,"axG",@progbits,_ZN4vllm25paged_attention_v1_kernelIttLi120ELi8ELi128ELNS_18Fp8KVCacheDataTypeE0ELb1EEEvPT_PKS2_PKT0_S8_ifPKiSA_iPKfiiiSC_SC_iiiii,comdat
.Lfunc_end59:
	.size	_ZN4vllm25paged_attention_v1_kernelIttLi120ELi8ELi128ELNS_18Fp8KVCacheDataTypeE0ELb1EEEvPT_PKS2_PKT0_S8_ifPKiSA_iPKfiiiSC_SC_iiiii, .Lfunc_end59-_ZN4vllm25paged_attention_v1_kernelIttLi120ELi8ELi128ELNS_18Fp8KVCacheDataTypeE0ELb1EEEvPT_PKS2_PKT0_S8_ifPKiSA_iPKfiiiSC_SC_iiiii
                                        ; -- End function
	.set _ZN4vllm25paged_attention_v1_kernelIttLi120ELi8ELi128ELNS_18Fp8KVCacheDataTypeE0ELb1EEEvPT_PKS2_PKT0_S8_ifPKiSA_iPKfiiiSC_SC_iiiii.num_vgpr, 52
	.set _ZN4vllm25paged_attention_v1_kernelIttLi120ELi8ELi128ELNS_18Fp8KVCacheDataTypeE0ELb1EEEvPT_PKS2_PKT0_S8_ifPKiSA_iPKfiiiSC_SC_iiiii.num_agpr, 0
	.set _ZN4vllm25paged_attention_v1_kernelIttLi120ELi8ELi128ELNS_18Fp8KVCacheDataTypeE0ELb1EEEvPT_PKS2_PKT0_S8_ifPKiSA_iPKfiiiSC_SC_iiiii.numbered_sgpr, 47
	.set _ZN4vllm25paged_attention_v1_kernelIttLi120ELi8ELi128ELNS_18Fp8KVCacheDataTypeE0ELb1EEEvPT_PKS2_PKT0_S8_ifPKiSA_iPKfiiiSC_SC_iiiii.num_named_barrier, 0
	.set _ZN4vllm25paged_attention_v1_kernelIttLi120ELi8ELi128ELNS_18Fp8KVCacheDataTypeE0ELb1EEEvPT_PKS2_PKT0_S8_ifPKiSA_iPKfiiiSC_SC_iiiii.private_seg_size, 0
	.set _ZN4vllm25paged_attention_v1_kernelIttLi120ELi8ELi128ELNS_18Fp8KVCacheDataTypeE0ELb1EEEvPT_PKS2_PKT0_S8_ifPKiSA_iPKfiiiSC_SC_iiiii.uses_vcc, 1
	.set _ZN4vllm25paged_attention_v1_kernelIttLi120ELi8ELi128ELNS_18Fp8KVCacheDataTypeE0ELb1EEEvPT_PKS2_PKT0_S8_ifPKiSA_iPKfiiiSC_SC_iiiii.uses_flat_scratch, 0
	.set _ZN4vllm25paged_attention_v1_kernelIttLi120ELi8ELi128ELNS_18Fp8KVCacheDataTypeE0ELb1EEEvPT_PKS2_PKT0_S8_ifPKiSA_iPKfiiiSC_SC_iiiii.has_dyn_sized_stack, 0
	.set _ZN4vllm25paged_attention_v1_kernelIttLi120ELi8ELi128ELNS_18Fp8KVCacheDataTypeE0ELb1EEEvPT_PKS2_PKT0_S8_ifPKiSA_iPKfiiiSC_SC_iiiii.has_recursion, 0
	.set _ZN4vllm25paged_attention_v1_kernelIttLi120ELi8ELi128ELNS_18Fp8KVCacheDataTypeE0ELb1EEEvPT_PKS2_PKT0_S8_ifPKiSA_iPKfiiiSC_SC_iiiii.has_indirect_call, 0
	.section	.AMDGPU.csdata,"",@progbits
; Kernel info:
; codeLenInByte = 5596
; TotalNumSgprs: 53
; NumVgprs: 52
; NumAgprs: 0
; TotalNumVgprs: 52
; ScratchSize: 0
; MemoryBound: 0
; FloatMode: 240
; IeeeMode: 1
; LDSByteSize: 256 bytes/workgroup (compile time only)
; SGPRBlocks: 6
; VGPRBlocks: 6
; NumSGPRsForWavesPerEU: 53
; NumVGPRsForWavesPerEU: 52
; AccumOffset: 52
; Occupancy: 8
; WaveLimiterHint : 1
; COMPUTE_PGM_RSRC2:SCRATCH_EN: 0
; COMPUTE_PGM_RSRC2:USER_SGPR: 2
; COMPUTE_PGM_RSRC2:TRAP_HANDLER: 0
; COMPUTE_PGM_RSRC2:TGID_X_EN: 1
; COMPUTE_PGM_RSRC2:TGID_Y_EN: 1
; COMPUTE_PGM_RSRC2:TGID_Z_EN: 1
; COMPUTE_PGM_RSRC2:TIDIG_COMP_CNT: 0
; COMPUTE_PGM_RSRC3_GFX90A:ACCUM_OFFSET: 12
; COMPUTE_PGM_RSRC3_GFX90A:TG_SPLIT: 0
	.section	.text._ZN4vllm25paged_attention_v1_kernelIttLi128ELi8ELi128ELNS_18Fp8KVCacheDataTypeE0ELb1EEEvPT_PKS2_PKT0_S8_ifPKiSA_iPKfiiiSC_SC_iiiii,"axG",@progbits,_ZN4vllm25paged_attention_v1_kernelIttLi128ELi8ELi128ELNS_18Fp8KVCacheDataTypeE0ELb1EEEvPT_PKS2_PKT0_S8_ifPKiSA_iPKfiiiSC_SC_iiiii,comdat
	.protected	_ZN4vllm25paged_attention_v1_kernelIttLi128ELi8ELi128ELNS_18Fp8KVCacheDataTypeE0ELb1EEEvPT_PKS2_PKT0_S8_ifPKiSA_iPKfiiiSC_SC_iiiii ; -- Begin function _ZN4vllm25paged_attention_v1_kernelIttLi128ELi8ELi128ELNS_18Fp8KVCacheDataTypeE0ELb1EEEvPT_PKS2_PKT0_S8_ifPKiSA_iPKfiiiSC_SC_iiiii
	.globl	_ZN4vllm25paged_attention_v1_kernelIttLi128ELi8ELi128ELNS_18Fp8KVCacheDataTypeE0ELb1EEEvPT_PKS2_PKT0_S8_ifPKiSA_iPKfiiiSC_SC_iiiii
	.p2align	8
	.type	_ZN4vllm25paged_attention_v1_kernelIttLi128ELi8ELi128ELNS_18Fp8KVCacheDataTypeE0ELb1EEEvPT_PKS2_PKT0_S8_ifPKiSA_iPKfiiiSC_SC_iiiii,@function
_ZN4vllm25paged_attention_v1_kernelIttLi128ELi8ELi128ELNS_18Fp8KVCacheDataTypeE0ELb1EEEvPT_PKS2_PKT0_S8_ifPKiSA_iPKfiiiSC_SC_iiiii: ; @_ZN4vllm25paged_attention_v1_kernelIttLi128ELi8ELi128ELNS_18Fp8KVCacheDataTypeE0ELb1EEEvPT_PKS2_PKT0_S8_ifPKiSA_iPKfiiiSC_SC_iiiii
; %bb.0:
	s_load_dword s5, s[0:1], 0x80
	s_load_dwordx2 s[6:7], s[0:1], 0x30
	s_load_dwordx2 s[30:31], s[0:1], 0x20
	s_mov_b32 s10, s3
	s_ashr_i32 s11, s3, 31
	s_lshl_b64 s[8:9], s[10:11], 2
	s_waitcnt lgkmcnt(0)
	s_add_u32 s6, s6, s8
	s_addc_u32 s7, s7, s9
	s_abs_i32 s3, s30
	v_cvt_f32_u32_e32 v1, s3
	s_sub_i32 s11, 0, s3
	s_abs_i32 s9, s5
	s_xor_b32 s8, s5, s30
	v_rcp_iflag_f32_e32 v1, v1
	s_ashr_i32 s8, s8, 31
	s_mov_b32 s42, 0
	v_mul_f32_e32 v1, 0x4f7ffffe, v1
	v_cvt_u32_f32_e32 v1, v1
	s_nop 0
	v_readfirstlane_b32 s12, v1
	s_mul_i32 s11, s11, s12
	s_mul_hi_u32 s11, s12, s11
	s_add_i32 s12, s12, s11
	s_mul_hi_u32 s11, s9, s12
	s_mul_i32 s12, s11, s3
	s_sub_i32 s9, s9, s12
	s_add_i32 s12, s11, 1
	s_sub_i32 s13, s9, s3
	s_cmp_ge_u32 s9, s3
	s_cselect_b32 s11, s12, s11
	s_cselect_b32 s9, s13, s9
	s_add_i32 s12, s11, 1
	s_cmp_ge_u32 s9, s3
	s_cselect_b32 s3, s12, s11
	s_xor_b32 s3, s3, s8
	s_sub_i32 s12, s3, s8
	s_abs_i32 s22, s12
	v_cvt_f32_u32_e32 v1, s22
	s_load_dwordx2 s[8:9], s[0:1], 0x40
	s_sub_i32 s3, 0, s22
	s_abs_i32 s23, s2
	v_rcp_iflag_f32_e32 v1, v1
	s_nop 0
	v_mul_f32_e32 v1, 0x4f7ffffe, v1
	v_cvt_u32_f32_e32 v1, v1
	s_nop 0
	v_readfirstlane_b32 s11, v1
	s_mul_i32 s3, s3, s11
	s_mul_hi_u32 s3, s11, s3
	s_add_i32 s11, s11, s3
	s_waitcnt lgkmcnt(0)
	s_cmp_eq_u64 s[8:9], 0
	s_mul_hi_u32 s24, s23, s11
	s_cbranch_scc1 .LBB60_2
; %bb.1:
	s_ashr_i32 s3, s2, 31
	s_lshl_b64 s[14:15], s[2:3], 2
	s_add_u32 s8, s8, s14
	s_addc_u32 s9, s9, s15
	s_load_dword s42, s[8:9], 0x0
.LBB60_2:
	s_load_dword s11, s[6:7], 0x0
	s_ashr_i32 s9, s12, 31
	s_load_dwordx4 s[12:15], s[0:1], 0x48
	s_movk_i32 s6, 0x80
	s_ashr_i32 s3, s2, 31
	v_and_b32_e32 v4, 7, v0
	s_lshl_b32 s20, s2, 7
	v_cmp_gt_u32_e32 vcc, s6, v0
	v_lshlrev_b32_e32 v16, 1, v0
	s_and_saveexec_b64 s[6:7], vcc
	s_cbranch_execz .LBB60_4
; %bb.3:
	s_load_dwordx2 s[16:17], s[0:1], 0x8
	s_waitcnt lgkmcnt(0)
	s_mul_i32 s18, s12, s10
	s_ashr_i32 s19, s18, 31
	s_lshl_b64 s[18:19], s[18:19], 1
	v_lshrrev_b32_e32 v2, 2, v0
	s_add_u32 s8, s16, s18
	s_addc_u32 s12, s17, s19
	s_ashr_i32 s21, s20, 31
	s_lshl_b64 s[16:17], s[20:21], 1
	s_add_u32 s16, s8, s16
	s_addc_u32 s17, s12, s17
	global_load_ushort v1, v16, s[16:17]
	v_and_b32_e32 v2, 0xfe, v2
	v_lshl_add_u32 v2, v4, 5, v2
	s_waitcnt vmcnt(0)
	ds_write_b16 v2, v1
.LBB60_4:
	s_or_b64 exec, exec, s[6:7]
	s_mul_i32 s6, s24, s22
	s_sub_i32 s6, s23, s6
	s_xor_b32 s3, s3, s9
	s_add_i32 s7, s24, 1
	s_sub_i32 s9, s6, s22
	s_load_dwordx4 s[16:19], s[0:1], 0x68
	s_load_dword s8, s[0:1], 0x78
	s_cmp_ge_u32 s6, s22
	s_cselect_b32 s7, s7, s24
	s_cselect_b32 s6, s9, s6
	s_add_i32 s9, s7, 1
	s_cmp_ge_u32 s6, s22
	s_cselect_b32 s6, s9, s7
	s_waitcnt lgkmcnt(0)
	s_abs_i32 s21, s19
	v_cvt_f32_u32_e32 v1, s21
	s_xor_b32 s6, s6, s3
	s_sub_i32 s3, s6, s3
	s_sub_i32 s6, 0, s21
	v_rcp_iflag_f32_e32 v1, v1
	s_add_i32 s15, s11, -1
	s_abs_i32 s9, s15
	v_mul_f32_e32 v1, 0x4f7ffffe, v1
	v_cvt_u32_f32_e32 v1, v1
	s_barrier
	v_readfirstlane_b32 s33, v1
	s_mul_i32 s6, s6, s33
	s_mul_hi_u32 s6, s33, s6
	s_add_i32 s33, s33, s6
	s_cmp_lt_i32 s8, 0
	s_mul_hi_u32 s12, s9, s33
	s_cbranch_scc0 .LBB60_6
; %bb.5:
	s_mul_i32 s6, s16, s30
	s_add_i32 s6, s3, s6
	s_mul_i32 s6, s6, s8
	s_sub_i32 s40, 1, s6
	s_mov_b64 s[6:7], 0
	s_branch .LBB60_7
.LBB60_6:
	s_mov_b64 s[6:7], -1
                                        ; implicit-def: $sgpr40
.LBB60_7:
	s_load_dwordx2 s[24:25], s[0:1], 0x28
	s_ashr_i32 s15, s15, 31
	s_andn2_b64 vcc, exec, s[6:7]
	s_ashr_i32 s19, s19, 31
	s_cbranch_vccnz .LBB60_9
; %bb.8:
	s_mul_i32 s6, s5, s16
	s_add_i32 s2, s6, s2
	s_mul_i32 s2, s2, s8
	s_add_i32 s40, s2, 1
.LBB60_9:
	s_load_dword s2, s[0:1], 0x38
	s_load_dwordx2 s[22:23], s[0:1], 0x0
	s_load_dwordx2 s[28:29], s[0:1], 0x18
	s_load_dword s16, s[0:1], 0x88
	s_xor_b32 s6, s15, s19
	s_waitcnt lgkmcnt(0)
	s_mul_i32 s26, s2, s10
	s_mul_i32 s2, s12, s21
	s_sub_i32 s2, s9, s2
	s_ashr_i32 s27, s26, 31
	s_add_i32 s7, s12, 1
	s_sub_i32 s8, s2, s21
	s_cmp_ge_u32 s2, s21
	s_cselect_b32 s7, s7, s12
	s_cselect_b32 s2, s8, s2
	s_add_i32 s8, s7, 1
	s_cmp_ge_u32 s2, s21
	s_cselect_b32 s2, s8, s7
	s_xor_b32 s2, s2, s6
	s_sub_i32 s12, s2, s6
	s_add_i32 s2, s11, 7
	s_ashr_i32 s6, s2, 31
	s_lshr_b32 s6, s6, 29
	s_add_i32 s2, s2, s6
	s_ashr_i32 s41, s2, 3
	v_lshrrev_b32_e32 v17, 6, v0
	v_cmp_gt_i32_e64 s[6:7], s41, v17
	v_mov_b32_e32 v9, 0xff7fffff
	s_mul_i32 s14, s3, s14
	v_lshrrev_b32_e32 v1, 4, v0
	v_lshlrev_b32_e32 v18, 3, v17
	v_mbcnt_lo_u32_b32 v6, -1, 0
	s_and_saveexec_b64 s[34:35], s[6:7]
	s_cbranch_execz .LBB60_21
; %bb.10:
	s_load_dwordx2 s[0:1], s[0:1], 0x10
	s_ashr_i32 s15, s14, 31
	s_sub_i32 s30, s12, s17
	s_lshl_b64 s[2:3], s[14:15], 1
	v_bfe_u32 v7, v0, 3, 3
	s_waitcnt lgkmcnt(0)
	s_add_u32 s0, s0, s2
	s_addc_u32 s1, s1, s3
	s_abs_i32 s15, s18
	v_cvt_f32_u32_e32 v2, s15
	v_lshlrev_b32_e32 v12, 4, v7
	v_mov_b32_e32 v13, 0
	v_cmp_eq_u32_e32 vcc, 0, v4
	v_rcp_iflag_f32_e32 v5, v2
	v_lshl_add_u64 v[2:3], s[0:1], 0, v[12:13]
	s_sub_i32 s0, 0, s15
	v_lshlrev_b32_e32 v12, 1, v4
	v_mul_f32_e32 v5, 0x4f7ffffe, v5
	v_cvt_u32_f32_e32 v5, v5
	v_lshlrev_b32_e32 v8, 5, v4
	v_lshl_add_u64 v[2:3], v[2:3], 0, v[12:13]
	v_and_b32_e32 v12, 60, v1
	v_mul_lo_u32 v4, s0, v5
	s_lshl_b64 s[0:1], s[26:27], 2
	s_add_u32 s0, s24, s0
	v_mul_hi_u32 v4, v5, v4
	s_addc_u32 s1, s25, s1
	v_subrev_u32_e32 v9, s11, v7
	v_add_u32_e32 v10, v5, v4
	v_lshl_add_u64 v[4:5], s[0:1], 0, v[12:13]
	v_add_u32_e32 v12, 1, v9
	v_lshlrev_b32_e32 v9, 2, v7
	v_lshl_or_b32 v9, v17, 5, v9
	v_mbcnt_hi_u32_b32 v15, -1, v6
	v_add_u32_e32 v13, 0x110, v9
	v_and_b32_e32 v9, 64, v15
	s_mov_b32 s43, s13
	v_cmp_neq_f32_e64 s[2:3], s42, 0
	v_lshlrev_b32_e32 v11, 3, v17
	v_mov_b32_e32 v14, 0xff7fffff
	s_mov_b64 s[36:37], 0
	v_add_u32_e32 v19, 64, v9
	v_xor_b32_e32 v20, 4, v15
	v_xor_b32_e32 v21, 2, v15
	;; [unrolled: 1-line block ×3, first 2 shown]
	v_mov_b32_e32 v9, 0xff7fffff
	v_mov_b32_e32 v23, v17
	s_branch .LBB60_13
.LBB60_11:                              ;   in Loop: Header=BB60_13 Depth=1
	s_or_b64 exec, exec, s[38:39]
.LBB60_12:                              ;   in Loop: Header=BB60_13 Depth=1
	s_or_b64 exec, exec, s[8:9]
	v_add_u32_e32 v23, 2, v23
	v_cmp_le_i32_e64 s[0:1], s41, v23
	v_lshl_add_u64 v[4:5], v[4:5], 0, 8
	v_add_u32_e32 v11, 16, v11
	s_or_b64 s[36:37], s[0:1], s[36:37]
	v_add_u32_e32 v13, 64, v13
	s_andn2_b64 exec, exec, s[36:37]
	s_cbranch_execz .LBB60_20
.LBB60_13:                              ; =>This Inner Loop Header: Depth=1
	v_mul_hi_u32 v24, v11, s33
	s_waitcnt lgkmcnt(0)
	v_mul_lo_u32 v25, v24, s21
	v_sub_u32_e32 v25, v11, v25
	v_add_u32_e32 v26, 1, v24
	v_cmp_le_u32_e64 s[0:1], s21, v25
	s_nop 1
	v_cndmask_b32_e64 v24, v24, v26, s[0:1]
	v_subrev_u32_e32 v26, s21, v25
	v_cndmask_b32_e64 v25, v25, v26, s[0:1]
	v_add_u32_e32 v26, 1, v24
	v_cmp_le_u32_e64 s[0:1], s21, v25
	s_nop 1
	v_cndmask_b32_e64 v24, v24, v26, s[0:1]
	v_xor_b32_e32 v24, s19, v24
	v_subrev_u32_e32 v24, s19, v24
	v_add_u32_e32 v25, s40, v24
	v_sub_u32_e32 v27, 0, v25
	v_ashrrev_i32_e32 v26, 31, v25
	v_max_i32_e32 v25, v25, v27
	v_mul_hi_u32 v27, v25, v10
	v_mul_lo_u32 v27, v27, s15
	v_sub_u32_e32 v25, v25, v27
	v_subrev_u32_e32 v27, s15, v25
	v_cmp_le_u32_e64 s[0:1], s15, v25
	v_cmp_ge_i32_e64 s[8:9], s30, v24
	s_nop 0
	v_cndmask_b32_e64 v25, v25, v27, s[0:1]
	v_subrev_u32_e32 v27, s15, v25
	v_cmp_le_u32_e64 s[0:1], s15, v25
	s_nop 1
	v_cndmask_b32_e64 v25, v25, v27, s[0:1]
	v_xor_b32_e32 v25, v25, v26
	v_sub_u32_e32 v25, v25, v26
	v_cmp_ne_u32_e64 s[0:1], 0, v25
	s_and_b64 s[0:1], s[0:1], s[8:9]
	s_and_saveexec_b64 s[8:9], s[0:1]
	s_xor_b64 s[0:1], exec, s[8:9]
	s_cbranch_execz .LBB60_17
; %bb.14:                               ;   in Loop: Header=BB60_13 Depth=1
	s_and_saveexec_b64 s[8:9], vcc
; %bb.15:                               ;   in Loop: Header=BB60_13 Depth=1
	ds_write_b32 v13, v14
; %bb.16:                               ;   in Loop: Header=BB60_13 Depth=1
	s_or_b64 exec, exec, s[8:9]
.LBB60_17:                              ;   in Loop: Header=BB60_13 Depth=1
	s_andn2_saveexec_b64 s[8:9], s[0:1]
	s_cbranch_execz .LBB60_12
; %bb.18:                               ;   in Loop: Header=BB60_13 Depth=1
	global_load_dword v24, v[4:5], off
	s_waitcnt vmcnt(0)
	v_mad_i64_i32 v[24:25], s[0:1], v24, s43, 0
	v_lshl_add_u64 v[24:25], v[24:25], 1, v[2:3]
	global_load_ushort v26, v[24:25], off
	global_load_ushort v27, v[24:25], off offset:128
	global_load_ushort v29, v[24:25], off offset:256
	;; [unrolled: 1-line block ×10, first 2 shown]
	ds_read_u16 v28, v8
	global_load_ushort v48, v[24:25], off offset:1408
	global_load_ushort v49, v[24:25], off offset:1536
	;; [unrolled: 1-line block ×5, first 2 shown]
	s_waitcnt lgkmcnt(0)
	;;#ASMSTART
	v_cvt_f32_f16 v24, v28;
	;;#ASMEND
	v_cmp_lt_i32_e64 s[0:1], v20, v19
	s_waitcnt vmcnt(15)
	;;#ASMSTART
	v_cvt_f32_f16 v25, v26;
	;;#ASMEND
	ds_read_u16 v26, v8 offset:2
	s_waitcnt lgkmcnt(0)
	;;#ASMSTART
	v_cvt_f32_f16 v26, v26;
	;;#ASMEND
	s_waitcnt vmcnt(14)
	;;#ASMSTART
	v_cvt_f32_f16 v27, v27;
	;;#ASMEND
	ds_read_u16 v28, v8 offset:4
	v_mul_f32_e32 v26, v26, v27
	v_fmac_f32_e32 v26, v24, v25
	s_waitcnt lgkmcnt(0)
	;;#ASMSTART
	v_cvt_f32_f16 v28, v28;
	;;#ASMEND
	s_waitcnt vmcnt(13)
	;;#ASMSTART
	v_cvt_f32_f16 v29, v29;
	;;#ASMEND
	ds_read_u16 v30, v8 offset:6
	v_fmac_f32_e32 v26, v28, v29
	s_waitcnt lgkmcnt(0)
	;;#ASMSTART
	v_cvt_f32_f16 v30, v30;
	;;#ASMEND
	s_waitcnt vmcnt(12)
	;;#ASMSTART
	v_cvt_f32_f16 v31, v31;
	;;#ASMEND
	ds_read_u16 v32, v8 offset:8
	;; [unrolled: 10-line block ×12, first 2 shown]
	v_fmac_f32_e32 v26, v27, v28
	v_cndmask_b32_e64 v46, v15, v20, s[0:1]
	s_waitcnt lgkmcnt(0)
	;;#ASMSTART
	v_cvt_f32_f16 v29, v29;
	;;#ASMEND
	s_waitcnt vmcnt(1)
	;;#ASMSTART
	v_cvt_f32_f16 v30, v51;
	;;#ASMEND
	v_lshlrev_b32_e32 v46, 2, v46
	v_fmac_f32_e32 v26, v29, v30
	ds_read_u16 v31, v8 offset:30
	s_waitcnt lgkmcnt(0)
	;;#ASMSTART
	v_cvt_f32_f16 v24, v31;
	;;#ASMEND
	s_waitcnt vmcnt(0)
	;;#ASMSTART
	v_cvt_f32_f16 v25, v52;
	;;#ASMEND
	v_cmp_lt_i32_e64 s[0:1], v21, v19
	v_fmac_f32_e32 v26, v24, v25
	ds_bpermute_b32 v24, v46, v26
	v_cndmask_b32_e64 v25, v15, v21, s[0:1]
	v_lshlrev_b32_e32 v25, 2, v25
	v_cmp_lt_i32_e64 s[0:1], v22, v19
	s_waitcnt lgkmcnt(0)
	v_add_f32_e32 v24, v26, v24
	ds_bpermute_b32 v25, v25, v24
	v_cndmask_b32_e64 v26, v15, v22, s[0:1]
	s_waitcnt lgkmcnt(0)
	v_add_f32_e32 v24, v24, v25
	v_lshlrev_b32_e32 v25, 2, v26
	ds_bpermute_b32 v25, v25, v24
	s_and_saveexec_b64 s[38:39], vcc
	s_cbranch_execz .LBB60_11
; %bb.19:                               ;   in Loop: Header=BB60_13 Depth=1
	v_add_u32_e32 v26, v12, v11
	v_cvt_f32_i32_e32 v26, v26
	s_waitcnt lgkmcnt(0)
	v_add_f32_e32 v24, v24, v25
	v_add_u32_e32 v27, v7, v11
	v_cmp_gt_i32_e64 s[0:1], s11, v27
	v_mul_f32_e32 v25, s42, v26
	v_cndmask_b32_e64 v25, 0, v25, s[2:3]
	v_fmac_f32_e32 v25, s31, v24
	v_cndmask_b32_e64 v24, 0, v25, s[0:1]
	ds_write_b32 v13, v24
	v_max_f32_e32 v24, v9, v9
	v_max_f32_e32 v24, v24, v25
	v_cndmask_b32_e64 v9, v9, v24, s[0:1]
	s_branch .LBB60_11
.LBB60_20:
	s_or_b64 exec, exec, s[36:37]
.LBB60_21:
	s_or_b64 exec, exec, s[34:35]
	v_mbcnt_hi_u32_b32 v2, -1, v6
	v_and_b32_e32 v10, 64, v2
	v_add_u32_e32 v3, 64, v10
	v_xor_b32_e32 v4, 32, v2
	v_cmp_lt_i32_e32 vcc, v4, v3
	v_xor_b32_e32 v7, 16, v2
	v_max_f32_e32 v6, v9, v9
	v_cndmask_b32_e32 v4, v2, v4, vcc
	v_lshlrev_b32_e32 v5, 2, v4
	ds_bpermute_b32 v4, v5, v9
	v_cmp_lt_i32_e32 vcc, v7, v3
	v_xor_b32_e32 v8, 8, v2
	v_and_b32_e32 v19, 63, v0
	s_waitcnt lgkmcnt(0)
	v_max_f32_e32 v4, v4, v4
	v_max_f32_e32 v4, v6, v4
	v_cndmask_b32_e32 v6, v2, v7, vcc
	v_lshlrev_b32_e32 v7, 2, v6
	ds_bpermute_b32 v6, v7, v4
	v_cmp_lt_i32_e32 vcc, v8, v3
	s_waitcnt lgkmcnt(0)
	v_max_f32_e32 v6, v6, v6
	v_max_f32_e32 v6, v4, v6
	v_cndmask_b32_e32 v4, v2, v8, vcc
	v_lshlrev_b32_e32 v9, 2, v4
	ds_bpermute_b32 v8, v9, v6
	v_cmp_eq_u32_e32 vcc, 0, v19
	v_lshlrev_b32_e32 v4, 2, v17
	s_and_saveexec_b64 s[0:1], vcc
	s_cbranch_execz .LBB60_23
; %bb.22:
	s_waitcnt lgkmcnt(0)
	v_max_f32_e32 v8, v8, v8
	v_max_f32_e32 v6, v6, v6
	;; [unrolled: 1-line block ×3, first 2 shown]
	ds_write_b32 v4, v6 offset:256
.LBB60_23:
	s_or_b64 exec, exec, s[0:1]
	v_cmp_gt_u32_e64 s[0:1], 2, v19
	v_mov_b32_e32 v11, 0xff7fffff
	v_lshlrev_b32_e32 v6, 2, v19
	s_waitcnt lgkmcnt(0)
	s_barrier
	s_and_saveexec_b64 s[2:3], s[0:1]
; %bb.24:
	ds_read_b32 v11, v6 offset:256
; %bb.25:
	s_or_b64 exec, exec, s[2:3]
	v_xor_b32_e32 v8, 1, v2
	v_cmp_lt_i32_e64 s[2:3], v8, v3
	v_lshlrev_b32_e32 v10, 2, v10
	s_nop 0
	v_cndmask_b32_e64 v8, v2, v8, s[2:3]
	v_lshlrev_b32_e32 v8, 2, v8
	s_waitcnt lgkmcnt(0)
	ds_bpermute_b32 v12, v8, v11
	v_max_f32_e32 v11, v11, v11
	s_lshl_b32 s2, s41, 3
	s_min_i32 s15, s2, s11
	v_cmp_gt_i32_e64 s[2:3], s15, v0
	s_waitcnt lgkmcnt(0)
	v_max_f32_e32 v12, v12, v12
	v_max_f32_e32 v11, v11, v12
	ds_bpermute_b32 v11, v10, v11
	v_mov_b32_e32 v10, 0
	s_and_saveexec_b64 s[30:31], s[2:3]
	s_cbranch_execz .LBB60_29
; %bb.26:
	v_mov_b32_e32 v10, 0x110
	v_lshl_add_u32 v12, v0, 2, v10
	v_mov_b32_e32 v10, 0
	s_mov_b64 s[34:35], 0
	v_mov_b32_e32 v13, v0
.LBB60_27:                              ; =>This Inner Loop Header: Depth=1
	ds_read_b32 v14, v12
	v_add_u32_e32 v13, 0x80, v13
	v_cmp_le_i32_e64 s[8:9], s15, v13
	s_or_b64 s[34:35], s[8:9], s[34:35]
	s_waitcnt lgkmcnt(0)
	v_sub_f32_e32 v14, v14, v11
	v_mul_f32_e32 v14, 0x3fb8aa3b, v14
	v_exp_f32_e32 v14, v14
	ds_write_b32 v12, v14
	v_add_f32_e32 v10, v10, v14
	v_add_u32_e32 v12, 0x200, v12
	s_andn2_b64 exec, exec, s[34:35]
	s_cbranch_execnz .LBB60_27
; %bb.28:
	s_or_b64 exec, exec, s[34:35]
.LBB60_29:
	s_or_b64 exec, exec, s[30:31]
	ds_bpermute_b32 v5, v5, v10
	s_waitcnt lgkmcnt(0)
	v_add_f32_e32 v5, v10, v5
	ds_bpermute_b32 v7, v7, v5
	s_waitcnt lgkmcnt(0)
	v_add_f32_e32 v5, v5, v7
	ds_bpermute_b32 v7, v9, v5
	v_xor_b32_e32 v9, 4, v2
	v_cmp_lt_i32_e64 s[8:9], v9, v3
	s_waitcnt lgkmcnt(0)
	v_add_f32_e32 v5, v5, v7
	v_cndmask_b32_e64 v9, v2, v9, s[8:9]
	v_lshlrev_b32_e32 v9, 2, v9
	ds_bpermute_b32 v7, v9, v5
	v_xor_b32_e32 v9, 2, v2
	v_cmp_lt_i32_e64 s[8:9], v9, v3
	s_waitcnt lgkmcnt(0)
	v_add_f32_e32 v5, v5, v7
	v_cndmask_b32_e64 v3, v2, v9, s[8:9]
	v_lshlrev_b32_e32 v3, 2, v3
	ds_bpermute_b32 v3, v3, v5
	s_waitcnt lgkmcnt(0)
	v_add_f32_e32 v3, v5, v3
	ds_bpermute_b32 v5, v8, v3
	s_waitcnt lgkmcnt(0)
	v_add_f32_e32 v3, v3, v5
	s_and_saveexec_b64 s[8:9], vcc
; %bb.30:
	ds_write_b32 v4, v3 offset:264
; %bb.31:
	s_or_b64 exec, exec, s[8:9]
	s_waitcnt lgkmcnt(0)
	s_barrier
	s_and_saveexec_b64 s[8:9], s[0:1]
; %bb.32:
	ds_read_b32 v3, v6 offset:264
; %bb.33:
	s_or_b64 exec, exec, s[8:9]
	s_waitcnt lgkmcnt(0)
	ds_bpermute_b32 v4, v8, v3
	v_lshlrev_b32_e32 v2, 2, v2
	v_and_b32_e32 v2, 0x100, v2
	s_waitcnt lgkmcnt(0)
	v_add_f32_e32 v3, v3, v4
	ds_bpermute_b32 v2, v2, v3
	s_and_saveexec_b64 s[0:1], s[2:3]
	s_cbranch_execz .LBB60_46
; %bb.34:
	s_waitcnt lgkmcnt(0)
	v_add_f32_e32 v2, 0x358637bd, v2
	v_div_scale_f32 v3, s[2:3], v2, v2, 1.0
	v_rcp_f32_e32 v4, v3
	v_div_scale_f32 v5, vcc, 1.0, v2, 1.0
	s_movk_i32 s2, 0x7f
	v_fma_f32 v6, -v3, v4, 1.0
	v_fmac_f32_e32 v4, v6, v4
	v_mul_f32_e32 v6, v5, v4
	v_fma_f32 v7, -v3, v6, v5
	v_fmac_f32_e32 v6, v7, v4
	v_fma_f32 v3, -v3, v6, v5
	v_div_fmas_f32 v3, v3, v4, v6
	v_xad_u32 v4, v0, -1, s15
	v_div_fixup_f32 v2, v3, v2, 1.0
	v_cmp_lt_u32_e32 vcc, s2, v4
	s_mov_b64 s[8:9], -1
	v_mov_b32_e32 v3, v0
	s_and_saveexec_b64 s[2:3], vcc
	s_cbranch_execz .LBB60_43
; %bb.35:
	v_lshrrev_b32_e32 v4, 7, v4
	v_add_u32_e32 v6, -1, v4
	v_lshrrev_b32_e32 v5, 1, v6
	v_mov_b32_e32 v3, v2
	v_add_u32_e32 v5, 1, v5
	v_cmp_lt_u32_e32 vcc, 13, v6
	v_mov_b32_e32 v8, 0
	s_and_saveexec_b64 s[8:9], vcc
	s_cbranch_execz .LBB60_39
; %bb.36:
	v_mov_b32_e32 v7, 0x110
	v_and_b32_e32 v6, -8, v5
	v_lshl_add_u32 v7, v0, 2, v7
	s_mov_b32 s34, 0
	s_mov_b64 s[30:31], 0
.LBB60_37:                              ; =>This Inner Loop Header: Depth=1
	ds_read2st64_b32 v[8:9], v7 offset1:2
	ds_read2st64_b32 v[10:11], v7 offset0:4 offset1:6
	ds_read2st64_b32 v[12:13], v7 offset0:8 offset1:10
	;; [unrolled: 1-line block ×3, first 2 shown]
	v_add_u32_e32 v6, -8, v6
	s_waitcnt lgkmcnt(3)
	v_pk_mul_f32 v[8:9], v[2:3], v[8:9]
	s_waitcnt lgkmcnt(2)
	v_pk_mul_f32 v[10:11], v[2:3], v[10:11]
	ds_write2st64_b32 v7, v8, v9 offset1:2
	ds_write2st64_b32 v7, v10, v11 offset0:4 offset1:6
	ds_read2st64_b32 v[10:11], v7 offset0:16 offset1:18
	s_waitcnt lgkmcnt(4)
	v_pk_mul_f32 v[8:9], v[2:3], v[12:13]
	ds_write2st64_b32 v7, v8, v9 offset0:8 offset1:10
	s_waitcnt lgkmcnt(4)
	v_pk_mul_f32 v[8:9], v[2:3], v[14:15]
	ds_write2st64_b32 v7, v8, v9 offset0:12 offset1:14
	ds_read2st64_b32 v[8:9], v7 offset0:20 offset1:22
	s_waitcnt lgkmcnt(3)
	v_pk_mul_f32 v[10:11], v[2:3], v[10:11]
	ds_read2st64_b32 v[12:13], v7 offset0:24 offset1:26
	ds_write2st64_b32 v7, v10, v11 offset0:16 offset1:18
	ds_read2st64_b32 v[10:11], v7 offset0:28 offset1:30
	s_waitcnt lgkmcnt(3)
	v_pk_mul_f32 v[8:9], v[2:3], v[8:9]
	ds_write2st64_b32 v7, v8, v9 offset0:20 offset1:22
	s_waitcnt lgkmcnt(3)
	v_pk_mul_f32 v[8:9], v[2:3], v[12:13]
	ds_write2st64_b32 v7, v8, v9 offset0:24 offset1:26
	s_waitcnt lgkmcnt(2)
	v_pk_mul_f32 v[8:9], v[2:3], v[10:11]
	s_add_i32 s34, s34, 16
	v_cmp_eq_u32_e32 vcc, 0, v6
	ds_write2st64_b32 v7, v8, v9 offset0:28 offset1:30
	v_add_u32_e32 v7, 0x2000, v7
	s_or_b64 s[30:31], vcc, s[30:31]
	v_mov_b32_e32 v8, s34
	s_andn2_b64 exec, exec, s[30:31]
	s_cbranch_execnz .LBB60_37
; %bb.38:
	s_or_b64 exec, exec, s[30:31]
.LBB60_39:
	s_or_b64 exec, exec, s[8:9]
	v_and_b32_e32 v5, 7, v5
	v_cmp_ne_u32_e32 vcc, 0, v5
	s_and_saveexec_b64 s[8:9], vcc
	s_cbranch_execz .LBB60_42
; %bb.40:
	v_lshlrev_b32_e32 v6, 9, v8
	v_lshlrev_b32_e32 v7, 2, v0
	s_movk_i32 s30, 0x110
	v_add3_u32 v6, v6, v7, s30
	s_mov_b64 s[30:31], 0
.LBB60_41:                              ; =>This Inner Loop Header: Depth=1
	ds_read2st64_b32 v[8:9], v6 offset1:2
	v_add_u32_e32 v5, -1, v5
	v_cmp_eq_u32_e32 vcc, 0, v5
	s_or_b64 s[30:31], vcc, s[30:31]
	s_waitcnt lgkmcnt(0)
	v_pk_mul_f32 v[8:9], v[2:3], v[8:9]
	ds_write2st64_b32 v6, v8, v9 offset1:2
	v_add_u32_e32 v6, 0x400, v6
	s_andn2_b64 exec, exec, s[30:31]
	s_cbranch_execnz .LBB60_41
.LBB60_42:
	s_or_b64 exec, exec, s[8:9]
	v_add_u32_e32 v4, 1, v4
	v_and_b32_e32 v5, 0x3fffffe, v4
	v_cmp_ne_u32_e32 vcc, v4, v5
	v_lshl_add_u32 v3, v5, 7, v0
	s_orn2_b64 s[8:9], vcc, exec
.LBB60_43:
	s_or_b64 exec, exec, s[2:3]
	s_and_b64 exec, exec, s[8:9]
	s_cbranch_execz .LBB60_46
; %bb.44:
	v_mov_b32_e32 v4, 0x110
	v_lshl_add_u32 v4, v3, 2, v4
	s_mov_b64 s[2:3], 0
.LBB60_45:                              ; =>This Inner Loop Header: Depth=1
	ds_read_b32 v5, v4
	v_add_u32_e32 v3, 0x80, v3
	v_cmp_le_i32_e32 vcc, s15, v3
	s_or_b64 s[2:3], vcc, s[2:3]
	s_waitcnt lgkmcnt(0)
	v_mul_f32_e32 v5, v2, v5
	ds_write_b32 v4, v5
	v_add_u32_e32 v4, 0x200, v4
	s_andn2_b64 exec, exec, s[2:3]
	s_cbranch_execnz .LBB60_45
.LBB60_46:
	s_or_b64 exec, exec, s[0:1]
	v_mov_b32_e32 v7, 0
	v_mov_b32_e32 v6, 0
	s_waitcnt lgkmcnt(0)
	s_barrier
	s_and_saveexec_b64 s[2:3], s[6:7]
	s_cbranch_execz .LBB60_56
; %bb.47:
	s_ashr_i32 s15, s14, 31
	s_sub_i32 s17, s12, s17
	s_lshl_b64 s[0:1], s[14:15], 1
	s_add_u32 s0, s28, s0
	s_addc_u32 s1, s29, s1
	s_abs_i32 s14, s18
	v_cvt_f32_u32_e32 v2, s14
	v_lshlrev_b32_e32 v8, 4, v19
	v_mov_b32_e32 v9, 0
	v_lshl_add_u64 v[10:11], s[0:1], 0, v[8:9]
	v_rcp_iflag_f32_e32 v2, v2
	s_sub_i32 s0, 0, s14
	s_add_i32 s28, s41, -1
	v_and_b32_e32 v8, 60, v1
	v_mul_f32_e32 v2, 0x4f7ffffe, v2
	v_cvt_u32_f32_e32 v2, v2
	v_mov_b32_e32 v1, 0x110
	s_mov_b32 s15, s13
	s_mov_b32 s18, s11
	v_mul_lo_u32 v3, s0, v2
	s_lshl_b64 s[0:1], s[26:27], 2
	s_add_u32 s0, s24, s0
	v_mul_hi_u32 v3, v2, v3
	s_addc_u32 s1, s25, s1
	v_add_u32_e32 v20, v2, v3
	v_lshl_add_u64 v[12:13], s[0:1], 0, v[8:9]
	v_lshl_add_u32 v21, v17, 5, v1
	s_mov_b64 s[6:7], 0
	s_mov_b32 s24, 0xffff
	v_mov_b32_e32 v6, 0
	v_mov_b32_e32 v7, 0
	s_branch .LBB60_50
.LBB60_48:                              ;   in Loop: Header=BB60_50 Depth=1
	s_or_b64 exec, exec, s[12:13]
	v_lshlrev_b32_e32 v8, 16, v8
	v_lshlrev_b32_e32 v1, 16, v1
	v_and_or_b32 v2, v2, s24, v8
	v_and_or_b32 v1, v3, s24, v1
	v_lshlrev_b32_e32 v3, 16, v14
	v_and_or_b32 v3, v4, s24, v3
	;;#ASMSTART
	v_pk_mul_f16 v2, v30, v2;

	;;#ASMEND
	;;#ASMSTART
	v_pk_mul_f16 v1, v31, v1;

	;;#ASMEND
	;; [unrolled: 4-line block ×4, first 2 shown]
	v_add_f32_e32 v15, v33, v34
	;;#ASMSTART
	v_pk_add_f16 v1, v2, v1;

	;;#ASMEND
	v_add_f32_e32 v6, v6, v15
	;;#ASMSTART
	v_pk_add_f16 v1, v1, v3;

	;;#ASMEND
	s_nop 0
	;;#ASMSTART
	v_pk_add_f16 v1, v1, v4;

	;;#ASMEND
	s_nop 0
	v_lshrrev_b32_e32 v2, 16, v1
	v_and_b32_e32 v1, 0xffff, v1
	;;#ASMSTART
	v_cvt_f32_f16 v1, v1;
	;;#ASMEND
	;;#ASMSTART
	v_cvt_f32_f16 v2, v2;
	;;#ASMEND
	s_nop 0
	v_add_f32_e32 v1, v1, v2
	v_add_f32_e32 v7, v7, v1
.LBB60_49:                              ;   in Loop: Header=BB60_50 Depth=1
	s_or_b64 exec, exec, s[8:9]
	v_add_u32_e32 v17, 2, v17
	v_cmp_le_i32_e32 vcc, s41, v17
	v_lshl_add_u64 v[12:13], v[12:13], 0, 8
	v_add_u32_e32 v18, 16, v18
	s_or_b64 s[6:7], vcc, s[6:7]
	v_add_u32_e32 v21, 64, v21
	s_andn2_b64 exec, exec, s[6:7]
	s_cbranch_execz .LBB60_55
.LBB60_50:                              ; =>This Inner Loop Header: Depth=1
	v_mul_hi_u32 v1, v18, s33
	v_mul_lo_u32 v2, v1, s21
	v_sub_u32_e32 v2, v18, v2
	v_add_u32_e32 v3, 1, v1
	v_cmp_le_u32_e32 vcc, s21, v2
	s_nop 1
	v_cndmask_b32_e32 v1, v1, v3, vcc
	v_subrev_u32_e32 v3, s21, v2
	v_cndmask_b32_e32 v2, v2, v3, vcc
	v_add_u32_e32 v3, 1, v1
	v_cmp_le_u32_e32 vcc, s21, v2
	s_nop 1
	v_cndmask_b32_e32 v1, v1, v3, vcc
	v_xor_b32_e32 v1, s19, v1
	v_subrev_u32_e32 v1, s19, v1
	v_add_u32_e32 v2, s40, v1
	v_sub_u32_e32 v4, 0, v2
	v_ashrrev_i32_e32 v3, 31, v2
	v_max_i32_e32 v2, v2, v4
	v_mul_hi_u32 v4, v2, v20
	v_mul_lo_u32 v4, v4, s14
	v_sub_u32_e32 v2, v2, v4
	v_subrev_u32_e32 v4, s14, v2
	v_cmp_le_u32_e32 vcc, s14, v2
	v_cmp_lt_i32_e64 s[0:1], s17, v1
	s_nop 0
	v_cndmask_b32_e32 v2, v2, v4, vcc
	v_subrev_u32_e32 v4, s14, v2
	v_cmp_le_u32_e32 vcc, s14, v2
	s_nop 1
	v_cndmask_b32_e32 v2, v2, v4, vcc
	v_xor_b32_e32 v2, v2, v3
	v_sub_u32_e32 v2, v2, v3
	v_cmp_eq_u32_e32 vcc, 0, v2
	s_or_b64 s[0:1], vcc, s[0:1]
	s_and_saveexec_b64 s[8:9], s[0:1]
	s_cbranch_execz .LBB60_49
; %bb.51:                               ;   in Loop: Header=BB60_50 Depth=1
	global_load_dword v1, v[12:13], off
	ds_read2_b64 v[2:5], v21 offset1:1
	ds_read2_b64 v[22:25], v21 offset0:2 offset1:3
	v_add_u32_e32 v26, 2, v18
	v_or_b32_e32 v27, 3, v18
	s_waitcnt lgkmcnt(1)
	;;#ASMSTART
	v_cvt_f16_f32 v29, v2;

	;;#ASMEND
	;;#ASMSTART
	v_cvt_f16_f32 v30, v3;

	;;#ASMEND
	;; [unrolled: 4-line block ×4, first 2 shown]
	s_waitcnt lgkmcnt(0)
	;;#ASMSTART
	v_cvt_f16_f32 v33, v22;

	;;#ASMEND
	;;#ASMSTART
	v_cvt_f16_f32 v34, v23;

	;;#ASMEND
	;; [unrolled: 4-line block ×4, first 2 shown]
	v_add_u32_e32 v25, 4, v18
	v_add_u32_e32 v24, 5, v18
	;; [unrolled: 1-line block ×4, first 2 shown]
	v_or_b32_e32 v28, 1, v18
	s_waitcnt vmcnt(0)
	v_mad_i64_i32 v[2:3], s[0:1], v1, s15, 0
	v_lshl_add_u64 v[14:15], v[2:3], 1, v[10:11]
	global_load_dwordx4 v[2:5], v[14:15], off
	v_cmp_eq_u32_e64 s[0:1], s28, v17
	s_waitcnt vmcnt(0)
	v_lshrrev_b32_e32 v1, 16, v3
	v_lshrrev_b32_e32 v8, 16, v2
	;; [unrolled: 1-line block ×3, first 2 shown]
	s_and_saveexec_b64 s[12:13], s[0:1]
	s_cbranch_execz .LBB60_53
; %bb.52:                               ;   in Loop: Header=BB60_50 Depth=1
	v_cmp_gt_i32_e32 vcc, s11, v18
	s_nop 1
	v_cndmask_b32_e32 v2, 0, v2, vcc
	v_cmp_gt_i32_e32 vcc, s11, v26
	s_nop 1
	v_cndmask_b32_e32 v3, 0, v3, vcc
	;; [unrolled: 3-line block ×6, first 2 shown]
	v_cmp_gt_i32_e32 vcc, s11, v23
	s_nop 1
	v_cndmask_b32_sdwa v38, v9, v5, vcc dst_sel:DWORD dst_unused:UNUSED_PAD src0_sel:DWORD src1_sel:WORD_0
	v_and_b32_e32 v5, 0xffff0000, v5
	v_cmp_gt_i32_e32 vcc, s11, v22
	s_nop 1
	v_cndmask_b32_e32 v5, 0, v5, vcc
	v_or_b32_e32 v5, v38, v5
.LBB60_53:                              ;   in Loop: Header=BB60_50 Depth=1
	s_or_b64 exec, exec, s[12:13]
	v_and_b32_e32 v29, 0xffff, v29
	v_lshl_or_b32 v30, v30, 16, v29
	v_and_b32_e32 v29, 0xffff, v31
	v_lshlrev_b32_e32 v8, 16, v8
	v_lshlrev_b32_e32 v1, 16, v1
	v_lshl_or_b32 v31, v32, 16, v29
	v_and_b32_e32 v29, 0xffff, v33
	v_and_or_b32 v2, v2, s24, v8
	v_and_or_b32 v1, v3, s24, v1
	v_lshlrev_b32_e32 v3, 16, v37
	v_lshl_or_b32 v32, v34, 16, v29
	v_and_b32_e32 v29, 0xffff, v35
	v_and_or_b32 v3, v4, s24, v3
	;;#ASMSTART
	v_pk_mul_f16 v2, v30, v2;

	;;#ASMEND
	;;#ASMSTART
	v_pk_mul_f16 v1, v31, v1;

	;;#ASMEND
	v_lshl_or_b32 v29, v36, 16, v29
	;;#ASMSTART
	v_pk_mul_f16 v3, v32, v3;

	;;#ASMEND
	;;#ASMSTART
	v_pk_mul_f16 v4, v29, v5;

	;;#ASMEND
	;;#ASMSTART
	v_pk_add_f16 v1, v2, v1;

	;;#ASMEND
	s_nop 0
	;;#ASMSTART
	v_pk_add_f16 v1, v1, v3;

	;;#ASMEND
	s_nop 0
	;; [unrolled: 5-line block ×3, first 2 shown]
	v_lshrrev_b32_e32 v2, 16, v1
	v_and_b32_e32 v1, 0xffff, v1
	;;#ASMSTART
	v_cvt_f32_f16 v33, v1;
	;;#ASMEND
	;;#ASMSTART
	v_cvt_f32_f16 v34, v2;
	;;#ASMEND
	global_load_dwordx4 v[2:5], v[14:15], off offset:1024
	s_waitcnt vmcnt(0)
	v_lshrrev_b32_e32 v1, 16, v3
	v_lshrrev_b32_e32 v8, 16, v2
	;; [unrolled: 1-line block ×3, first 2 shown]
	s_and_saveexec_b64 s[12:13], s[0:1]
	s_cbranch_execz .LBB60_48
; %bb.54:                               ;   in Loop: Header=BB60_50 Depth=1
	v_cmp_gt_i32_e32 vcc, s11, v18
	s_nop 1
	v_cndmask_b32_e32 v2, 0, v2, vcc
	v_cmp_gt_i32_e32 vcc, s11, v26
	s_nop 1
	v_cndmask_b32_e32 v3, 0, v3, vcc
	;; [unrolled: 3-line block ×6, first 2 shown]
	v_cmp_gt_i32_e32 vcc, s11, v23
	s_nop 1
	v_cndmask_b32_sdwa v15, v9, v5, vcc dst_sel:DWORD dst_unused:UNUSED_PAD src0_sel:DWORD src1_sel:WORD_0
	v_and_b32_e32 v5, 0xffff0000, v5
	v_cmp_gt_i32_e32 vcc, s11, v22
	s_nop 1
	v_cndmask_b32_e32 v5, 0, v5, vcc
	v_or_b32_e32 v5, v15, v5
	s_branch .LBB60_48
.LBB60_55:
	s_or_b64 exec, exec, s[6:7]
.LBB60_56:
	s_or_b64 exec, exec, s[2:3]
	v_and_b32_e32 v1, 0x3c0, v0
	v_cmp_eq_u32_e32 vcc, 64, v1
	s_barrier
	s_and_saveexec_b64 s[0:1], vcc
; %bb.57:
	v_mov_b32_e32 v1, 0x110
	v_lshl_add_u32 v1, v19, 2, v1
	ds_write2st64_b32 v1, v6, v7 offset1:1
; %bb.58:
	s_or_b64 exec, exec, s[0:1]
	v_cmp_gt_u32_e32 vcc, 64, v0
	s_waitcnt lgkmcnt(0)
	s_barrier
	s_and_saveexec_b64 s[0:1], vcc
	s_cbranch_execz .LBB60_60
; %bb.59:
	v_mov_b32_e32 v1, 0x110
	v_lshl_add_u32 v0, v0, 2, v1
	ds_read2st64_b32 v[0:1], v0 offset1:1
	s_waitcnt lgkmcnt(0)
	v_pk_add_f32 v[6:7], v[6:7], v[0:1]
.LBB60_60:
	s_or_b64 exec, exec, s[0:1]
	s_barrier
	s_and_saveexec_b64 s[0:1], vcc
	s_cbranch_execz .LBB60_62
; %bb.61:
	s_mul_i32 s0, s10, s16
	s_mul_i32 s0, s0, s5
	s_lshl_b32 s0, s0, 7
	s_ashr_i32 s1, s0, 31
	s_lshl_b64 s[0:1], s[0:1], 1
	s_add_u32 s2, s22, s0
	s_mul_i32 s0, s16, s20
	s_addc_u32 s3, s23, s1
	s_ashr_i32 s1, s0, 31
	s_lshl_b64 s[0:1], s[0:1], 1
	s_add_u32 s2, s2, s0
	s_addc_u32 s3, s3, s1
	s_lshl_b32 s0, s4, 7
	s_ashr_i32 s1, s0, 31
	s_lshl_b64 s[0:1], s[0:1], 1
	s_add_u32 s0, s2, s0
	s_addc_u32 s1, s3, s1
	;;#ASMSTART
	v_cvt_f16_f32 v0, v6;

	;;#ASMEND
	global_store_short v16, v0, s[0:1]
	;;#ASMSTART
	v_cvt_f16_f32 v0, v7;

	;;#ASMEND
	global_store_short v16, v0, s[0:1] offset:128
.LBB60_62:
	s_endpgm
	.section	.rodata,"a",@progbits
	.p2align	6, 0x0
	.amdhsa_kernel _ZN4vllm25paged_attention_v1_kernelIttLi128ELi8ELi128ELNS_18Fp8KVCacheDataTypeE0ELb1EEEvPT_PKS2_PKT0_S8_ifPKiSA_iPKfiiiSC_SC_iiiii
		.amdhsa_group_segment_fixed_size 272
		.amdhsa_private_segment_fixed_size 0
		.amdhsa_kernarg_size 384
		.amdhsa_user_sgpr_count 2
		.amdhsa_user_sgpr_dispatch_ptr 0
		.amdhsa_user_sgpr_queue_ptr 0
		.amdhsa_user_sgpr_kernarg_segment_ptr 1
		.amdhsa_user_sgpr_dispatch_id 0
		.amdhsa_user_sgpr_kernarg_preload_length 0
		.amdhsa_user_sgpr_kernarg_preload_offset 0
		.amdhsa_user_sgpr_private_segment_size 0
		.amdhsa_uses_dynamic_stack 0
		.amdhsa_enable_private_segment 0
		.amdhsa_system_sgpr_workgroup_id_x 1
		.amdhsa_system_sgpr_workgroup_id_y 1
		.amdhsa_system_sgpr_workgroup_id_z 1
		.amdhsa_system_sgpr_workgroup_info 0
		.amdhsa_system_vgpr_workitem_id 0
		.amdhsa_next_free_vgpr 54
		.amdhsa_next_free_sgpr 44
		.amdhsa_accum_offset 56
		.amdhsa_reserve_vcc 1
		.amdhsa_float_round_mode_32 0
		.amdhsa_float_round_mode_16_64 0
		.amdhsa_float_denorm_mode_32 3
		.amdhsa_float_denorm_mode_16_64 3
		.amdhsa_dx10_clamp 1
		.amdhsa_ieee_mode 1
		.amdhsa_fp16_overflow 0
		.amdhsa_tg_split 0
		.amdhsa_exception_fp_ieee_invalid_op 0
		.amdhsa_exception_fp_denorm_src 0
		.amdhsa_exception_fp_ieee_div_zero 0
		.amdhsa_exception_fp_ieee_overflow 0
		.amdhsa_exception_fp_ieee_underflow 0
		.amdhsa_exception_fp_ieee_inexact 0
		.amdhsa_exception_int_div_zero 0
	.end_amdhsa_kernel
	.section	.text._ZN4vllm25paged_attention_v1_kernelIttLi128ELi8ELi128ELNS_18Fp8KVCacheDataTypeE0ELb1EEEvPT_PKS2_PKT0_S8_ifPKiSA_iPKfiiiSC_SC_iiiii,"axG",@progbits,_ZN4vllm25paged_attention_v1_kernelIttLi128ELi8ELi128ELNS_18Fp8KVCacheDataTypeE0ELb1EEEvPT_PKS2_PKT0_S8_ifPKiSA_iPKfiiiSC_SC_iiiii,comdat
.Lfunc_end60:
	.size	_ZN4vllm25paged_attention_v1_kernelIttLi128ELi8ELi128ELNS_18Fp8KVCacheDataTypeE0ELb1EEEvPT_PKS2_PKT0_S8_ifPKiSA_iPKfiiiSC_SC_iiiii, .Lfunc_end60-_ZN4vllm25paged_attention_v1_kernelIttLi128ELi8ELi128ELNS_18Fp8KVCacheDataTypeE0ELb1EEEvPT_PKS2_PKT0_S8_ifPKiSA_iPKfiiiSC_SC_iiiii
                                        ; -- End function
	.set _ZN4vllm25paged_attention_v1_kernelIttLi128ELi8ELi128ELNS_18Fp8KVCacheDataTypeE0ELb1EEEvPT_PKS2_PKT0_S8_ifPKiSA_iPKfiiiSC_SC_iiiii.num_vgpr, 54
	.set _ZN4vllm25paged_attention_v1_kernelIttLi128ELi8ELi128ELNS_18Fp8KVCacheDataTypeE0ELb1EEEvPT_PKS2_PKT0_S8_ifPKiSA_iPKfiiiSC_SC_iiiii.num_agpr, 0
	.set _ZN4vllm25paged_attention_v1_kernelIttLi128ELi8ELi128ELNS_18Fp8KVCacheDataTypeE0ELb1EEEvPT_PKS2_PKT0_S8_ifPKiSA_iPKfiiiSC_SC_iiiii.numbered_sgpr, 44
	.set _ZN4vllm25paged_attention_v1_kernelIttLi128ELi8ELi128ELNS_18Fp8KVCacheDataTypeE0ELb1EEEvPT_PKS2_PKT0_S8_ifPKiSA_iPKfiiiSC_SC_iiiii.num_named_barrier, 0
	.set _ZN4vllm25paged_attention_v1_kernelIttLi128ELi8ELi128ELNS_18Fp8KVCacheDataTypeE0ELb1EEEvPT_PKS2_PKT0_S8_ifPKiSA_iPKfiiiSC_SC_iiiii.private_seg_size, 0
	.set _ZN4vllm25paged_attention_v1_kernelIttLi128ELi8ELi128ELNS_18Fp8KVCacheDataTypeE0ELb1EEEvPT_PKS2_PKT0_S8_ifPKiSA_iPKfiiiSC_SC_iiiii.uses_vcc, 1
	.set _ZN4vllm25paged_attention_v1_kernelIttLi128ELi8ELi128ELNS_18Fp8KVCacheDataTypeE0ELb1EEEvPT_PKS2_PKT0_S8_ifPKiSA_iPKfiiiSC_SC_iiiii.uses_flat_scratch, 0
	.set _ZN4vllm25paged_attention_v1_kernelIttLi128ELi8ELi128ELNS_18Fp8KVCacheDataTypeE0ELb1EEEvPT_PKS2_PKT0_S8_ifPKiSA_iPKfiiiSC_SC_iiiii.has_dyn_sized_stack, 0
	.set _ZN4vllm25paged_attention_v1_kernelIttLi128ELi8ELi128ELNS_18Fp8KVCacheDataTypeE0ELb1EEEvPT_PKS2_PKT0_S8_ifPKiSA_iPKfiiiSC_SC_iiiii.has_recursion, 0
	.set _ZN4vllm25paged_attention_v1_kernelIttLi128ELi8ELi128ELNS_18Fp8KVCacheDataTypeE0ELb1EEEvPT_PKS2_PKT0_S8_ifPKiSA_iPKfiiiSC_SC_iiiii.has_indirect_call, 0
	.section	.AMDGPU.csdata,"",@progbits
; Kernel info:
; codeLenInByte = 5464
; TotalNumSgprs: 50
; NumVgprs: 54
; NumAgprs: 0
; TotalNumVgprs: 54
; ScratchSize: 0
; MemoryBound: 0
; FloatMode: 240
; IeeeMode: 1
; LDSByteSize: 272 bytes/workgroup (compile time only)
; SGPRBlocks: 6
; VGPRBlocks: 6
; NumSGPRsForWavesPerEU: 50
; NumVGPRsForWavesPerEU: 54
; AccumOffset: 56
; Occupancy: 8
; WaveLimiterHint : 1
; COMPUTE_PGM_RSRC2:SCRATCH_EN: 0
; COMPUTE_PGM_RSRC2:USER_SGPR: 2
; COMPUTE_PGM_RSRC2:TRAP_HANDLER: 0
; COMPUTE_PGM_RSRC2:TGID_X_EN: 1
; COMPUTE_PGM_RSRC2:TGID_Y_EN: 1
; COMPUTE_PGM_RSRC2:TGID_Z_EN: 1
; COMPUTE_PGM_RSRC2:TIDIG_COMP_CNT: 0
; COMPUTE_PGM_RSRC3_GFX90A:ACCUM_OFFSET: 13
; COMPUTE_PGM_RSRC3_GFX90A:TG_SPLIT: 0
	.section	.text._ZN4vllm25paged_attention_v1_kernelIttLi192ELi8ELi128ELNS_18Fp8KVCacheDataTypeE0ELb1EEEvPT_PKS2_PKT0_S8_ifPKiSA_iPKfiiiSC_SC_iiiii,"axG",@progbits,_ZN4vllm25paged_attention_v1_kernelIttLi192ELi8ELi128ELNS_18Fp8KVCacheDataTypeE0ELb1EEEvPT_PKS2_PKT0_S8_ifPKiSA_iPKfiiiSC_SC_iiiii,comdat
	.protected	_ZN4vllm25paged_attention_v1_kernelIttLi192ELi8ELi128ELNS_18Fp8KVCacheDataTypeE0ELb1EEEvPT_PKS2_PKT0_S8_ifPKiSA_iPKfiiiSC_SC_iiiii ; -- Begin function _ZN4vllm25paged_attention_v1_kernelIttLi192ELi8ELi128ELNS_18Fp8KVCacheDataTypeE0ELb1EEEvPT_PKS2_PKT0_S8_ifPKiSA_iPKfiiiSC_SC_iiiii
	.globl	_ZN4vllm25paged_attention_v1_kernelIttLi192ELi8ELi128ELNS_18Fp8KVCacheDataTypeE0ELb1EEEvPT_PKS2_PKT0_S8_ifPKiSA_iPKfiiiSC_SC_iiiii
	.p2align	8
	.type	_ZN4vllm25paged_attention_v1_kernelIttLi192ELi8ELi128ELNS_18Fp8KVCacheDataTypeE0ELb1EEEvPT_PKS2_PKT0_S8_ifPKiSA_iPKfiiiSC_SC_iiiii,@function
_ZN4vllm25paged_attention_v1_kernelIttLi192ELi8ELi128ELNS_18Fp8KVCacheDataTypeE0ELb1EEEvPT_PKS2_PKT0_S8_ifPKiSA_iPKfiiiSC_SC_iiiii: ; @_ZN4vllm25paged_attention_v1_kernelIttLi192ELi8ELi128ELNS_18Fp8KVCacheDataTypeE0ELb1EEEvPT_PKS2_PKT0_S8_ifPKiSA_iPKfiiiSC_SC_iiiii
; %bb.0:
	s_load_dword s5, s[0:1], 0x80
	s_load_dwordx2 s[6:7], s[0:1], 0x30
	s_load_dwordx2 s[30:31], s[0:1], 0x20
	s_mov_b32 s10, s3
	s_ashr_i32 s11, s3, 31
	s_lshl_b64 s[8:9], s[10:11], 2
	s_waitcnt lgkmcnt(0)
	s_add_u32 s6, s6, s8
	s_addc_u32 s7, s7, s9
	s_abs_i32 s3, s30
	v_cvt_f32_u32_e32 v1, s3
	s_sub_i32 s11, 0, s3
	s_abs_i32 s9, s5
	s_xor_b32 s8, s5, s30
	v_rcp_iflag_f32_e32 v1, v1
	s_ashr_i32 s8, s8, 31
	s_mov_b32 s42, 0
	v_mul_f32_e32 v1, 0x4f7ffffe, v1
	v_cvt_u32_f32_e32 v1, v1
	s_nop 0
	v_readfirstlane_b32 s12, v1
	s_mul_i32 s11, s11, s12
	s_mul_hi_u32 s11, s12, s11
	s_add_i32 s12, s12, s11
	s_mul_hi_u32 s11, s9, s12
	s_mul_i32 s12, s11, s3
	s_sub_i32 s9, s9, s12
	s_add_i32 s12, s11, 1
	s_sub_i32 s13, s9, s3
	s_cmp_ge_u32 s9, s3
	s_cselect_b32 s11, s12, s11
	s_cselect_b32 s9, s13, s9
	s_add_i32 s12, s11, 1
	s_cmp_ge_u32 s9, s3
	s_cselect_b32 s3, s12, s11
	s_xor_b32 s3, s3, s8
	s_sub_i32 s11, s3, s8
	s_abs_i32 s22, s11
	v_cvt_f32_u32_e32 v1, s22
	s_load_dwordx2 s[8:9], s[0:1], 0x40
	s_sub_i32 s3, 0, s22
	s_abs_i32 s23, s2
	v_rcp_iflag_f32_e32 v1, v1
	s_nop 0
	v_mul_f32_e32 v1, 0x4f7ffffe, v1
	v_cvt_u32_f32_e32 v1, v1
	s_nop 0
	v_readfirstlane_b32 s12, v1
	s_mul_i32 s3, s3, s12
	s_mul_hi_u32 s3, s12, s3
	s_add_i32 s12, s12, s3
	s_waitcnt lgkmcnt(0)
	s_cmp_eq_u64 s[8:9], 0
	s_mul_hi_u32 s24, s23, s12
	s_cbranch_scc1 .LBB61_2
; %bb.1:
	s_ashr_i32 s3, s2, 31
	s_lshl_b64 s[12:13], s[2:3], 2
	s_add_u32 s8, s8, s12
	s_addc_u32 s9, s9, s13
	s_load_dword s42, s[8:9], 0x0
.LBB61_2:
	s_load_dword s33, s[6:7], 0x0
	s_ashr_i32 s25, s11, 31
	s_load_dword s11, s[0:1], 0x88
	s_load_dwordx4 s[12:15], s[0:1], 0x48
	s_movk_i32 s6, 0xc0
	s_ashr_i32 s3, s2, 31
	v_and_b32_e32 v4, 7, v0
	s_mul_i32 s20, s2, 0xc0
	v_cmp_gt_u32_e32 vcc, s6, v0
	v_lshlrev_b32_e32 v16, 1, v0
	s_and_saveexec_b64 s[6:7], vcc
	s_cbranch_execz .LBB61_5
; %bb.3:
	s_load_dwordx2 s[8:9], s[0:1], 0x8
	s_waitcnt lgkmcnt(0)
	s_mul_i32 s16, s12, s10
	s_ashr_i32 s17, s16, 31
	s_lshl_b64 s[16:17], s[16:17], 1
	v_lshrrev_b32_e32 v2, 3, v0
	s_add_u32 s12, s8, s16
	s_addc_u32 s15, s9, s17
	s_ashr_i32 s21, s20, 31
	s_lshl_b64 s[8:9], s[20:21], 1
	s_add_u32 s8, s12, s8
	s_addc_u32 s9, s15, s9
	global_load_ushort v3, v16, s[8:9]
	v_lshlrev_b32_e32 v1, 1, v2
	v_mad_u32_u24 v1, v4, 48, v1
	v_cmp_gt_u32_e32 vcc, 64, v0
	s_waitcnt vmcnt(0)
	ds_write_b16 v1, v3
	s_and_b64 exec, exec, vcc
	s_cbranch_execz .LBB61_5
; %bb.4:
	v_lshlrev_b32_e32 v2, 4, v2
	v_lshlrev_b32_e32 v3, 1, v4
	s_movk_i32 s12, 0x100
	v_or3_b32 v2, v2, v3, s12
	global_load_ushort v2, v2, s[8:9]
	s_waitcnt vmcnt(0)
	ds_write_b16 v1, v2 offset:32
.LBB61_5:
	s_or_b64 exec, exec, s[6:7]
	s_mul_i32 s6, s24, s22
	s_sub_i32 s6, s23, s6
	s_xor_b32 s3, s3, s25
	s_add_i32 s7, s24, 1
	s_sub_i32 s9, s6, s22
	s_load_dwordx4 s[16:19], s[0:1], 0x68
	s_load_dword s8, s[0:1], 0x78
	s_cmp_ge_u32 s6, s22
	s_cselect_b32 s7, s7, s24
	s_cselect_b32 s6, s9, s6
	s_add_i32 s9, s7, 1
	s_cmp_ge_u32 s6, s22
	s_cselect_b32 s6, s9, s7
	s_waitcnt lgkmcnt(0)
	s_abs_i32 s21, s19
	v_cvt_f32_u32_e32 v1, s21
	s_xor_b32 s6, s6, s3
	s_sub_i32 s3, s6, s3
	s_sub_i32 s6, 0, s21
	v_rcp_iflag_f32_e32 v1, v1
	s_add_i32 s15, s33, -1
	s_abs_i32 s9, s15
	v_mul_f32_e32 v1, 0x4f7ffffe, v1
	v_cvt_u32_f32_e32 v1, v1
	s_barrier
	v_readfirstlane_b32 s40, v1
	s_mul_i32 s6, s6, s40
	s_mul_hi_u32 s6, s40, s6
	s_add_i32 s40, s40, s6
	s_cmp_lt_i32 s8, 0
	s_mul_hi_u32 s12, s9, s40
	s_cbranch_scc0 .LBB61_7
; %bb.6:
	s_mul_i32 s6, s16, s30
	s_add_i32 s6, s3, s6
	s_mul_i32 s6, s6, s8
	s_sub_i32 s41, 1, s6
	s_mov_b64 s[6:7], 0
	s_branch .LBB61_8
.LBB61_7:
	s_mov_b64 s[6:7], -1
                                        ; implicit-def: $sgpr41
.LBB61_8:
	s_load_dwordx2 s[24:25], s[0:1], 0x28
	s_ashr_i32 s15, s15, 31
	s_andn2_b64 vcc, exec, s[6:7]
	s_ashr_i32 s19, s19, 31
	s_cbranch_vccnz .LBB61_10
; %bb.9:
	s_mul_i32 s6, s5, s16
	s_add_i32 s2, s6, s2
	s_mul_i32 s2, s2, s8
	s_add_i32 s41, s2, 1
.LBB61_10:
	s_load_dword s2, s[0:1], 0x38
	s_load_dwordx2 s[22:23], s[0:1], 0x0
	s_load_dwordx2 s[28:29], s[0:1], 0x18
	s_mul_i32 s7, s12, s21
	s_xor_b32 s6, s15, s19
	s_waitcnt lgkmcnt(0)
	s_mul_i32 s26, s2, s10
	s_sub_i32 s2, s9, s7
	s_ashr_i32 s27, s26, 31
	s_add_i32 s7, s12, 1
	s_sub_i32 s8, s2, s21
	s_cmp_ge_u32 s2, s21
	s_cselect_b32 s7, s7, s12
	s_cselect_b32 s2, s8, s2
	s_add_i32 s8, s7, 1
	s_cmp_ge_u32 s2, s21
	s_cselect_b32 s2, s8, s7
	s_xor_b32 s2, s2, s6
	s_sub_i32 s12, s2, s6
	s_add_i32 s2, s33, 7
	s_ashr_i32 s6, s2, 31
	s_lshr_b32 s6, s6, 29
	s_add_i32 s2, s2, s6
	s_ashr_i32 s16, s2, 3
	v_lshrrev_b32_e32 v17, 6, v0
	v_cmp_gt_i32_e64 s[6:7], s16, v17
	v_mov_b32_e32 v9, 0xff7fffff
	s_mul_i32 s14, s3, s14
	v_lshrrev_b32_e32 v1, 4, v0
	v_lshlrev_b32_e32 v18, 3, v17
	v_mbcnt_lo_u32_b32 v6, -1, 0
	s_and_saveexec_b64 s[34:35], s[6:7]
	s_cbranch_execz .LBB61_22
; %bb.11:
	s_load_dwordx2 s[0:1], s[0:1], 0x10
	s_ashr_i32 s15, s14, 31
	s_sub_i32 s30, s12, s17
	s_lshl_b64 s[2:3], s[14:15], 1
	v_bfe_u32 v7, v0, 3, 3
	s_waitcnt lgkmcnt(0)
	s_add_u32 s0, s0, s2
	s_addc_u32 s1, s1, s3
	s_abs_i32 s15, s18
	v_cvt_f32_u32_e32 v2, s15
	v_lshlrev_b32_e32 v12, 4, v7
	v_mov_b32_e32 v13, 0
	v_cmp_eq_u32_e32 vcc, 0, v4
	v_rcp_iflag_f32_e32 v5, v2
	v_lshl_add_u64 v[2:3], s[0:1], 0, v[12:13]
	s_sub_i32 s0, 0, s15
	v_lshlrev_b32_e32 v12, 1, v4
	v_mul_f32_e32 v5, 0x4f7ffffe, v5
	v_cvt_u32_f32_e32 v5, v5
	v_mul_u32_u24_e32 v8, 48, v4
	v_lshl_add_u64 v[2:3], v[2:3], 0, v[12:13]
	v_and_b32_e32 v12, 60, v1
	v_mul_lo_u32 v4, s0, v5
	s_lshl_b64 s[0:1], s[26:27], 2
	s_add_u32 s0, s24, s0
	v_mul_hi_u32 v4, v5, v4
	s_addc_u32 s1, s25, s1
	v_subrev_u32_e32 v9, s33, v7
	v_add_u32_e32 v10, v5, v4
	v_lshl_add_u64 v[4:5], s[0:1], 0, v[12:13]
	v_add_u32_e32 v12, 1, v9
	v_lshlrev_b32_e32 v9, 2, v7
	v_lshl_or_b32 v9, v17, 5, v9
	v_mbcnt_hi_u32_b32 v15, -1, v6
	v_add_u32_e32 v13, 0x190, v9
	v_and_b32_e32 v9, 64, v15
	s_mov_b32 s43, s13
	v_cmp_neq_f32_e64 s[2:3], s42, 0
	v_lshlrev_b32_e32 v11, 3, v17
	v_mov_b32_e32 v14, 0xff7fffff
	s_mov_b64 s[36:37], 0
	v_add_u32_e32 v19, 64, v9
	v_xor_b32_e32 v20, 4, v15
	v_xor_b32_e32 v21, 2, v15
	;; [unrolled: 1-line block ×3, first 2 shown]
	v_mov_b32_e32 v9, 0xff7fffff
	v_mov_b32_e32 v23, v17
	s_branch .LBB61_14
.LBB61_12:                              ;   in Loop: Header=BB61_14 Depth=1
	s_or_b64 exec, exec, s[38:39]
.LBB61_13:                              ;   in Loop: Header=BB61_14 Depth=1
	s_or_b64 exec, exec, s[8:9]
	v_add_u32_e32 v23, 2, v23
	v_cmp_le_i32_e64 s[0:1], s16, v23
	v_lshl_add_u64 v[4:5], v[4:5], 0, 8
	v_add_u32_e32 v11, 16, v11
	s_or_b64 s[36:37], s[0:1], s[36:37]
	v_add_u32_e32 v13, 64, v13
	s_andn2_b64 exec, exec, s[36:37]
	s_cbranch_execz .LBB61_21
.LBB61_14:                              ; =>This Inner Loop Header: Depth=1
	v_mul_hi_u32 v24, v11, s40
	s_waitcnt lgkmcnt(0)
	v_mul_lo_u32 v25, v24, s21
	v_sub_u32_e32 v25, v11, v25
	v_add_u32_e32 v26, 1, v24
	v_cmp_le_u32_e64 s[0:1], s21, v25
	s_nop 1
	v_cndmask_b32_e64 v24, v24, v26, s[0:1]
	v_subrev_u32_e32 v26, s21, v25
	v_cndmask_b32_e64 v25, v25, v26, s[0:1]
	v_add_u32_e32 v26, 1, v24
	v_cmp_le_u32_e64 s[0:1], s21, v25
	s_nop 1
	v_cndmask_b32_e64 v24, v24, v26, s[0:1]
	v_xor_b32_e32 v24, s19, v24
	v_subrev_u32_e32 v24, s19, v24
	v_add_u32_e32 v25, s41, v24
	v_sub_u32_e32 v27, 0, v25
	v_ashrrev_i32_e32 v26, 31, v25
	v_max_i32_e32 v25, v25, v27
	v_mul_hi_u32 v27, v25, v10
	v_mul_lo_u32 v27, v27, s15
	v_sub_u32_e32 v25, v25, v27
	v_subrev_u32_e32 v27, s15, v25
	v_cmp_le_u32_e64 s[0:1], s15, v25
	v_cmp_ge_i32_e64 s[8:9], s30, v24
	s_nop 0
	v_cndmask_b32_e64 v25, v25, v27, s[0:1]
	v_subrev_u32_e32 v27, s15, v25
	v_cmp_le_u32_e64 s[0:1], s15, v25
	s_nop 1
	v_cndmask_b32_e64 v25, v25, v27, s[0:1]
	v_xor_b32_e32 v25, v25, v26
	v_sub_u32_e32 v25, v25, v26
	v_cmp_ne_u32_e64 s[0:1], 0, v25
	s_and_b64 s[0:1], s[0:1], s[8:9]
	s_and_saveexec_b64 s[8:9], s[0:1]
	s_xor_b64 s[0:1], exec, s[8:9]
	s_cbranch_execz .LBB61_18
; %bb.15:                               ;   in Loop: Header=BB61_14 Depth=1
	s_and_saveexec_b64 s[8:9], vcc
; %bb.16:                               ;   in Loop: Header=BB61_14 Depth=1
	ds_write_b32 v13, v14
; %bb.17:                               ;   in Loop: Header=BB61_14 Depth=1
	s_or_b64 exec, exec, s[8:9]
.LBB61_18:                              ;   in Loop: Header=BB61_14 Depth=1
	s_andn2_saveexec_b64 s[8:9], s[0:1]
	s_cbranch_execz .LBB61_13
; %bb.19:                               ;   in Loop: Header=BB61_14 Depth=1
	global_load_dword v24, v[4:5], off
	s_waitcnt vmcnt(0)
	v_mad_i64_i32 v[24:25], s[0:1], v24, s43, 0
	v_lshl_add_u64 v[24:25], v[24:25], 1, v[2:3]
	global_load_ushort v26, v[24:25], off
	global_load_ushort v27, v[24:25], off offset:128
	global_load_ushort v29, v[24:25], off offset:256
	;; [unrolled: 1-line block ×9, first 2 shown]
	ds_read_u16 v28, v8
	global_load_ushort v45, v[24:25], off offset:1280
	global_load_ushort v47, v[24:25], off offset:1408
	;; [unrolled: 1-line block ×14, first 2 shown]
	s_waitcnt lgkmcnt(0)
	;;#ASMSTART
	v_cvt_f32_f16 v24, v28;
	;;#ASMEND
	v_cmp_lt_i32_e64 s[0:1], v20, v19
	s_waitcnt vmcnt(23)
	;;#ASMSTART
	v_cvt_f32_f16 v25, v26;
	;;#ASMEND
	ds_read_u16 v26, v8 offset:2
	s_waitcnt lgkmcnt(0)
	;;#ASMSTART
	v_cvt_f32_f16 v26, v26;
	;;#ASMEND
	s_waitcnt vmcnt(22)
	;;#ASMSTART
	v_cvt_f32_f16 v27, v27;
	;;#ASMEND
	ds_read_u16 v28, v8 offset:4
	v_mul_f32_e32 v26, v26, v27
	v_fmac_f32_e32 v26, v24, v25
	s_waitcnt lgkmcnt(0)
	;;#ASMSTART
	v_cvt_f32_f16 v28, v28;
	;;#ASMEND
	s_waitcnt vmcnt(21)
	;;#ASMSTART
	v_cvt_f32_f16 v29, v29;
	;;#ASMEND
	ds_read_u16 v30, v8 offset:6
	v_fmac_f32_e32 v26, v28, v29
	s_waitcnt lgkmcnt(0)
	;;#ASMSTART
	v_cvt_f32_f16 v30, v30;
	;;#ASMEND
	s_waitcnt vmcnt(20)
	;;#ASMSTART
	v_cvt_f32_f16 v31, v31;
	;;#ASMEND
	ds_read_u16 v32, v8 offset:8
	;; [unrolled: 10-line block ×19, first 2 shown]
	v_fmac_f32_e32 v26, v29, v30
	s_waitcnt lgkmcnt(0)
	;;#ASMSTART
	v_cvt_f32_f16 v31, v31;
	;;#ASMEND
	s_waitcnt vmcnt(2)
	;;#ASMSTART
	v_cvt_f32_f16 v32, v64;
	;;#ASMEND
	v_cndmask_b32_e64 v58, v15, v20, s[0:1]
	v_fmac_f32_e32 v26, v31, v32
	ds_read_u16 v33, v8 offset:44
	s_waitcnt lgkmcnt(0)
	;;#ASMSTART
	v_cvt_f32_f16 v24, v33;
	;;#ASMEND
	s_waitcnt vmcnt(1)
	;;#ASMSTART
	v_cvt_f32_f16 v25, v65;
	;;#ASMEND
	v_lshlrev_b32_e32 v58, 2, v58
	v_fmac_f32_e32 v26, v24, v25
	ds_read_u16 v33, v8 offset:46
	s_waitcnt lgkmcnt(0)
	;;#ASMSTART
	v_cvt_f32_f16 v24, v33;
	;;#ASMEND
	s_waitcnt vmcnt(0)
	;;#ASMSTART
	v_cvt_f32_f16 v25, v66;
	;;#ASMEND
	v_cmp_lt_i32_e64 s[0:1], v21, v19
	v_fmac_f32_e32 v26, v24, v25
	ds_bpermute_b32 v24, v58, v26
	v_cndmask_b32_e64 v25, v15, v21, s[0:1]
	v_lshlrev_b32_e32 v25, 2, v25
	v_cmp_lt_i32_e64 s[0:1], v22, v19
	s_waitcnt lgkmcnt(0)
	v_add_f32_e32 v24, v26, v24
	ds_bpermute_b32 v25, v25, v24
	v_cndmask_b32_e64 v26, v15, v22, s[0:1]
	s_waitcnt lgkmcnt(0)
	v_add_f32_e32 v24, v24, v25
	v_lshlrev_b32_e32 v25, 2, v26
	ds_bpermute_b32 v25, v25, v24
	s_and_saveexec_b64 s[38:39], vcc
	s_cbranch_execz .LBB61_12
; %bb.20:                               ;   in Loop: Header=BB61_14 Depth=1
	v_add_u32_e32 v26, v12, v11
	v_cvt_f32_i32_e32 v26, v26
	s_waitcnt lgkmcnt(0)
	v_add_f32_e32 v24, v24, v25
	v_add_u32_e32 v27, v7, v11
	v_cmp_gt_i32_e64 s[0:1], s33, v27
	v_mul_f32_e32 v25, s42, v26
	v_cndmask_b32_e64 v25, 0, v25, s[2:3]
	v_fmac_f32_e32 v25, s31, v24
	v_cndmask_b32_e64 v24, 0, v25, s[0:1]
	ds_write_b32 v13, v24
	v_max_f32_e32 v24, v9, v9
	v_max_f32_e32 v24, v24, v25
	v_cndmask_b32_e64 v9, v9, v24, s[0:1]
	s_branch .LBB61_12
.LBB61_21:
	s_or_b64 exec, exec, s[36:37]
.LBB61_22:
	s_or_b64 exec, exec, s[34:35]
	v_mbcnt_hi_u32_b32 v2, -1, v6
	v_and_b32_e32 v10, 64, v2
	v_add_u32_e32 v3, 64, v10
	v_xor_b32_e32 v4, 32, v2
	v_cmp_lt_i32_e32 vcc, v4, v3
	v_xor_b32_e32 v7, 16, v2
	v_max_f32_e32 v6, v9, v9
	v_cndmask_b32_e32 v4, v2, v4, vcc
	v_lshlrev_b32_e32 v5, 2, v4
	ds_bpermute_b32 v4, v5, v9
	v_cmp_lt_i32_e32 vcc, v7, v3
	v_xor_b32_e32 v8, 8, v2
	v_and_b32_e32 v19, 63, v0
	s_waitcnt lgkmcnt(0)
	v_max_f32_e32 v4, v4, v4
	v_max_f32_e32 v4, v6, v4
	v_cndmask_b32_e32 v6, v2, v7, vcc
	v_lshlrev_b32_e32 v7, 2, v6
	ds_bpermute_b32 v6, v7, v4
	v_cmp_lt_i32_e32 vcc, v8, v3
	s_waitcnt lgkmcnt(0)
	v_max_f32_e32 v6, v6, v6
	v_max_f32_e32 v6, v4, v6
	v_cndmask_b32_e32 v4, v2, v8, vcc
	v_lshlrev_b32_e32 v9, 2, v4
	ds_bpermute_b32 v8, v9, v6
	v_cmp_eq_u32_e32 vcc, 0, v19
	v_lshlrev_b32_e32 v4, 2, v17
	s_and_saveexec_b64 s[0:1], vcc
	s_cbranch_execz .LBB61_24
; %bb.23:
	s_waitcnt lgkmcnt(0)
	v_max_f32_e32 v8, v8, v8
	v_max_f32_e32 v6, v6, v6
	v_max_f32_e32 v6, v6, v8
	ds_write_b32 v4, v6 offset:384
.LBB61_24:
	s_or_b64 exec, exec, s[0:1]
	v_cmp_gt_u32_e64 s[0:1], 2, v19
	v_mov_b32_e32 v11, 0xff7fffff
	v_lshlrev_b32_e32 v6, 2, v19
	s_waitcnt lgkmcnt(0)
	s_barrier
	s_and_saveexec_b64 s[2:3], s[0:1]
; %bb.25:
	ds_read_b32 v11, v6 offset:384
; %bb.26:
	s_or_b64 exec, exec, s[2:3]
	v_xor_b32_e32 v8, 1, v2
	v_cmp_lt_i32_e64 s[2:3], v8, v3
	v_lshlrev_b32_e32 v10, 2, v10
	s_nop 0
	v_cndmask_b32_e64 v8, v2, v8, s[2:3]
	v_lshlrev_b32_e32 v8, 2, v8
	s_waitcnt lgkmcnt(0)
	ds_bpermute_b32 v12, v8, v11
	v_max_f32_e32 v11, v11, v11
	s_lshl_b32 s2, s16, 3
	s_min_i32 s15, s2, s33
	v_cmp_gt_i32_e64 s[2:3], s15, v0
	s_waitcnt lgkmcnt(0)
	v_max_f32_e32 v12, v12, v12
	v_max_f32_e32 v11, v11, v12
	ds_bpermute_b32 v11, v10, v11
	v_mov_b32_e32 v10, 0
	s_and_saveexec_b64 s[30:31], s[2:3]
	s_cbranch_execz .LBB61_30
; %bb.27:
	v_mov_b32_e32 v10, 0x190
	v_lshl_add_u32 v12, v0, 2, v10
	v_mov_b32_e32 v10, 0
	s_mov_b64 s[34:35], 0
	v_mov_b32_e32 v13, v0
.LBB61_28:                              ; =>This Inner Loop Header: Depth=1
	ds_read_b32 v14, v12
	v_add_u32_e32 v13, 0x80, v13
	v_cmp_le_i32_e64 s[8:9], s15, v13
	s_or_b64 s[34:35], s[8:9], s[34:35]
	s_waitcnt lgkmcnt(0)
	v_sub_f32_e32 v14, v14, v11
	v_mul_f32_e32 v14, 0x3fb8aa3b, v14
	v_exp_f32_e32 v14, v14
	ds_write_b32 v12, v14
	v_add_f32_e32 v10, v10, v14
	v_add_u32_e32 v12, 0x200, v12
	s_andn2_b64 exec, exec, s[34:35]
	s_cbranch_execnz .LBB61_28
; %bb.29:
	s_or_b64 exec, exec, s[34:35]
.LBB61_30:
	s_or_b64 exec, exec, s[30:31]
	ds_bpermute_b32 v5, v5, v10
	s_waitcnt lgkmcnt(0)
	v_add_f32_e32 v5, v10, v5
	ds_bpermute_b32 v7, v7, v5
	s_waitcnt lgkmcnt(0)
	v_add_f32_e32 v5, v5, v7
	ds_bpermute_b32 v7, v9, v5
	v_xor_b32_e32 v9, 4, v2
	v_cmp_lt_i32_e64 s[8:9], v9, v3
	s_waitcnt lgkmcnt(0)
	v_add_f32_e32 v5, v5, v7
	v_cndmask_b32_e64 v9, v2, v9, s[8:9]
	v_lshlrev_b32_e32 v9, 2, v9
	ds_bpermute_b32 v7, v9, v5
	v_xor_b32_e32 v9, 2, v2
	v_cmp_lt_i32_e64 s[8:9], v9, v3
	s_waitcnt lgkmcnt(0)
	v_add_f32_e32 v5, v5, v7
	v_cndmask_b32_e64 v3, v2, v9, s[8:9]
	v_lshlrev_b32_e32 v3, 2, v3
	ds_bpermute_b32 v3, v3, v5
	s_waitcnt lgkmcnt(0)
	v_add_f32_e32 v3, v5, v3
	ds_bpermute_b32 v5, v8, v3
	s_waitcnt lgkmcnt(0)
	v_add_f32_e32 v3, v3, v5
	s_and_saveexec_b64 s[8:9], vcc
; %bb.31:
	ds_write_b32 v4, v3 offset:392
; %bb.32:
	s_or_b64 exec, exec, s[8:9]
	s_waitcnt lgkmcnt(0)
	s_barrier
	s_and_saveexec_b64 s[8:9], s[0:1]
; %bb.33:
	ds_read_b32 v3, v6 offset:392
; %bb.34:
	s_or_b64 exec, exec, s[8:9]
	s_waitcnt lgkmcnt(0)
	ds_bpermute_b32 v4, v8, v3
	v_lshlrev_b32_e32 v2, 2, v2
	v_and_b32_e32 v2, 0x100, v2
	s_waitcnt lgkmcnt(0)
	v_add_f32_e32 v3, v3, v4
	ds_bpermute_b32 v2, v2, v3
	s_and_saveexec_b64 s[0:1], s[2:3]
	s_cbranch_execz .LBB61_47
; %bb.35:
	s_waitcnt lgkmcnt(0)
	v_add_f32_e32 v2, 0x358637bd, v2
	v_div_scale_f32 v3, s[2:3], v2, v2, 1.0
	v_rcp_f32_e32 v4, v3
	v_div_scale_f32 v5, vcc, 1.0, v2, 1.0
	s_movk_i32 s2, 0x7f
	v_fma_f32 v6, -v3, v4, 1.0
	v_fmac_f32_e32 v4, v6, v4
	v_mul_f32_e32 v6, v5, v4
	v_fma_f32 v7, -v3, v6, v5
	v_fmac_f32_e32 v6, v7, v4
	v_fma_f32 v3, -v3, v6, v5
	v_div_fmas_f32 v3, v3, v4, v6
	v_xad_u32 v4, v0, -1, s15
	v_div_fixup_f32 v2, v3, v2, 1.0
	v_cmp_lt_u32_e32 vcc, s2, v4
	s_mov_b64 s[8:9], -1
	v_mov_b32_e32 v3, v0
	s_and_saveexec_b64 s[2:3], vcc
	s_cbranch_execz .LBB61_44
; %bb.36:
	v_lshrrev_b32_e32 v4, 7, v4
	v_add_u32_e32 v6, -1, v4
	v_lshrrev_b32_e32 v5, 1, v6
	v_mov_b32_e32 v3, v2
	v_add_u32_e32 v5, 1, v5
	v_cmp_lt_u32_e32 vcc, 13, v6
	v_mov_b32_e32 v8, 0
	s_and_saveexec_b64 s[8:9], vcc
	s_cbranch_execz .LBB61_40
; %bb.37:
	v_mov_b32_e32 v7, 0x190
	v_and_b32_e32 v6, -8, v5
	v_lshl_add_u32 v7, v0, 2, v7
	s_mov_b32 s34, 0
	s_mov_b64 s[30:31], 0
.LBB61_38:                              ; =>This Inner Loop Header: Depth=1
	ds_read2st64_b32 v[8:9], v7 offset1:2
	ds_read2st64_b32 v[10:11], v7 offset0:4 offset1:6
	ds_read2st64_b32 v[12:13], v7 offset0:8 offset1:10
	;; [unrolled: 1-line block ×3, first 2 shown]
	v_add_u32_e32 v6, -8, v6
	s_waitcnt lgkmcnt(3)
	v_pk_mul_f32 v[8:9], v[2:3], v[8:9]
	s_waitcnt lgkmcnt(2)
	v_pk_mul_f32 v[10:11], v[2:3], v[10:11]
	ds_write2st64_b32 v7, v8, v9 offset1:2
	ds_write2st64_b32 v7, v10, v11 offset0:4 offset1:6
	ds_read2st64_b32 v[10:11], v7 offset0:16 offset1:18
	s_waitcnt lgkmcnt(4)
	v_pk_mul_f32 v[8:9], v[2:3], v[12:13]
	ds_write2st64_b32 v7, v8, v9 offset0:8 offset1:10
	s_waitcnt lgkmcnt(4)
	v_pk_mul_f32 v[8:9], v[2:3], v[14:15]
	ds_write2st64_b32 v7, v8, v9 offset0:12 offset1:14
	ds_read2st64_b32 v[8:9], v7 offset0:20 offset1:22
	s_waitcnt lgkmcnt(3)
	v_pk_mul_f32 v[10:11], v[2:3], v[10:11]
	ds_read2st64_b32 v[12:13], v7 offset0:24 offset1:26
	ds_write2st64_b32 v7, v10, v11 offset0:16 offset1:18
	ds_read2st64_b32 v[10:11], v7 offset0:28 offset1:30
	s_waitcnt lgkmcnt(3)
	v_pk_mul_f32 v[8:9], v[2:3], v[8:9]
	ds_write2st64_b32 v7, v8, v9 offset0:20 offset1:22
	s_waitcnt lgkmcnt(3)
	v_pk_mul_f32 v[8:9], v[2:3], v[12:13]
	ds_write2st64_b32 v7, v8, v9 offset0:24 offset1:26
	s_waitcnt lgkmcnt(2)
	v_pk_mul_f32 v[8:9], v[2:3], v[10:11]
	s_add_i32 s34, s34, 16
	v_cmp_eq_u32_e32 vcc, 0, v6
	ds_write2st64_b32 v7, v8, v9 offset0:28 offset1:30
	v_add_u32_e32 v7, 0x2000, v7
	s_or_b64 s[30:31], vcc, s[30:31]
	v_mov_b32_e32 v8, s34
	s_andn2_b64 exec, exec, s[30:31]
	s_cbranch_execnz .LBB61_38
; %bb.39:
	s_or_b64 exec, exec, s[30:31]
.LBB61_40:
	s_or_b64 exec, exec, s[8:9]
	v_and_b32_e32 v5, 7, v5
	v_cmp_ne_u32_e32 vcc, 0, v5
	s_and_saveexec_b64 s[8:9], vcc
	s_cbranch_execz .LBB61_43
; %bb.41:
	v_lshlrev_b32_e32 v6, 9, v8
	v_lshlrev_b32_e32 v7, 2, v0
	s_movk_i32 s30, 0x190
	v_add3_u32 v6, v6, v7, s30
	s_mov_b64 s[30:31], 0
.LBB61_42:                              ; =>This Inner Loop Header: Depth=1
	ds_read2st64_b32 v[8:9], v6 offset1:2
	v_add_u32_e32 v5, -1, v5
	v_cmp_eq_u32_e32 vcc, 0, v5
	s_or_b64 s[30:31], vcc, s[30:31]
	s_waitcnt lgkmcnt(0)
	v_pk_mul_f32 v[8:9], v[2:3], v[8:9]
	ds_write2st64_b32 v6, v8, v9 offset1:2
	v_add_u32_e32 v6, 0x400, v6
	s_andn2_b64 exec, exec, s[30:31]
	s_cbranch_execnz .LBB61_42
.LBB61_43:
	s_or_b64 exec, exec, s[8:9]
	v_add_u32_e32 v4, 1, v4
	v_and_b32_e32 v5, 0x3fffffe, v4
	v_cmp_ne_u32_e32 vcc, v4, v5
	v_lshl_add_u32 v3, v5, 7, v0
	s_orn2_b64 s[8:9], vcc, exec
.LBB61_44:
	s_or_b64 exec, exec, s[2:3]
	s_and_b64 exec, exec, s[8:9]
	s_cbranch_execz .LBB61_47
; %bb.45:
	v_mov_b32_e32 v4, 0x190
	v_lshl_add_u32 v4, v3, 2, v4
	s_mov_b64 s[2:3], 0
.LBB61_46:                              ; =>This Inner Loop Header: Depth=1
	ds_read_b32 v5, v4
	v_add_u32_e32 v3, 0x80, v3
	v_cmp_le_i32_e32 vcc, s15, v3
	s_or_b64 s[2:3], vcc, s[2:3]
	s_waitcnt lgkmcnt(0)
	v_mul_f32_e32 v5, v2, v5
	ds_write_b32 v4, v5
	v_add_u32_e32 v4, 0x200, v4
	s_andn2_b64 exec, exec, s[2:3]
	s_cbranch_execnz .LBB61_46
.LBB61_47:
	s_or_b64 exec, exec, s[0:1]
	v_mov_b32_e32 v7, 0
	v_mov_b32_e32 v6, 0
	v_mov_b32_e32 v20, 0
	s_waitcnt lgkmcnt(0)
	s_barrier
	s_and_saveexec_b64 s[2:3], s[6:7]
	s_cbranch_execz .LBB61_59
; %bb.48:
	s_ashr_i32 s15, s14, 31
	s_sub_i32 s17, s12, s17
	s_lshl_b64 s[0:1], s[14:15], 1
	s_add_u32 s0, s28, s0
	s_addc_u32 s1, s29, s1
	s_abs_i32 s14, s18
	v_cvt_f32_u32_e32 v2, s14
	v_lshlrev_b32_e32 v8, 4, v19
	v_mov_b32_e32 v9, 0
	v_lshl_add_u64 v[10:11], s[0:1], 0, v[8:9]
	v_rcp_iflag_f32_e32 v2, v2
	s_sub_i32 s0, 0, s14
	s_add_i32 s28, s16, -1
	v_and_b32_e32 v8, 60, v1
	v_mul_f32_e32 v2, 0x4f7ffffe, v2
	v_cvt_u32_f32_e32 v2, v2
	v_mov_b32_e32 v1, 0x190
	s_mov_b32 s15, s13
	s_mov_b32 s18, s33
	v_mul_lo_u32 v3, s0, v2
	s_lshl_b64 s[0:1], s[26:27], 2
	s_add_u32 s0, s24, s0
	v_mul_hi_u32 v3, v2, v3
	s_addc_u32 s1, s25, s1
	v_add_u32_e32 v21, v2, v3
	v_lshl_add_u64 v[12:13], s[0:1], 0, v[8:9]
	v_lshl_add_u32 v22, v17, 5, v1
	s_mov_b64 s[6:7], 0
	s_mov_b32 s24, 0xffff
	v_mov_b32_e32 v20, 0
	v_mov_b32_e32 v6, 0
	;; [unrolled: 1-line block ×3, first 2 shown]
	s_branch .LBB61_51
.LBB61_49:                              ;   in Loop: Header=BB61_51 Depth=1
	s_or_b64 exec, exec, s[12:13]
	v_lshlrev_b32_e32 v8, 16, v8
	v_lshlrev_b32_e32 v1, 16, v1
	v_and_or_b32 v2, v2, s24, v8
	v_and_or_b32 v1, v3, s24, v1
	v_lshlrev_b32_e32 v3, 16, v14
	v_and_or_b32 v3, v4, s24, v3
	;;#ASMSTART
	v_pk_mul_f16 v2, v31, v2;

	;;#ASMEND
	;;#ASMSTART
	v_pk_mul_f16 v1, v32, v1;

	;;#ASMEND
	;; [unrolled: 4-line block ×4, first 2 shown]
	v_add_f32_e32 v15, v36, v37
	;;#ASMSTART
	v_pk_add_f16 v1, v2, v1;

	;;#ASMEND
	v_add_f32_e32 v7, v7, v15
	;;#ASMSTART
	v_pk_add_f16 v1, v1, v3;

	;;#ASMEND
	;; [unrolled: 5-line block ×3, first 2 shown]
	v_add_f32_e32 v6, v6, v15
	v_lshrrev_b32_e32 v2, 16, v1
	v_and_b32_e32 v1, 0xffff, v1
	;;#ASMSTART
	v_cvt_f32_f16 v1, v1;
	;;#ASMEND
	;;#ASMSTART
	v_cvt_f32_f16 v2, v2;
	;;#ASMEND
	s_nop 0
	v_add_f32_e32 v1, v1, v2
	v_add_f32_e32 v20, v20, v1
.LBB61_50:                              ;   in Loop: Header=BB61_51 Depth=1
	s_or_b64 exec, exec, s[8:9]
	v_add_u32_e32 v17, 2, v17
	v_cmp_le_i32_e32 vcc, s16, v17
	v_lshl_add_u64 v[12:13], v[12:13], 0, 8
	v_add_u32_e32 v18, 16, v18
	s_or_b64 s[6:7], vcc, s[6:7]
	v_add_u32_e32 v22, 64, v22
	s_andn2_b64 exec, exec, s[6:7]
	s_cbranch_execz .LBB61_58
.LBB61_51:                              ; =>This Inner Loop Header: Depth=1
	v_mul_hi_u32 v1, v18, s40
	v_mul_lo_u32 v2, v1, s21
	v_sub_u32_e32 v2, v18, v2
	v_add_u32_e32 v3, 1, v1
	v_cmp_le_u32_e32 vcc, s21, v2
	s_nop 1
	v_cndmask_b32_e32 v1, v1, v3, vcc
	v_subrev_u32_e32 v3, s21, v2
	v_cndmask_b32_e32 v2, v2, v3, vcc
	v_add_u32_e32 v3, 1, v1
	v_cmp_le_u32_e32 vcc, s21, v2
	s_nop 1
	v_cndmask_b32_e32 v1, v1, v3, vcc
	v_xor_b32_e32 v1, s19, v1
	v_subrev_u32_e32 v1, s19, v1
	v_add_u32_e32 v2, s41, v1
	v_sub_u32_e32 v4, 0, v2
	v_ashrrev_i32_e32 v3, 31, v2
	v_max_i32_e32 v2, v2, v4
	v_mul_hi_u32 v4, v2, v21
	v_mul_lo_u32 v4, v4, s14
	v_sub_u32_e32 v2, v2, v4
	v_subrev_u32_e32 v4, s14, v2
	v_cmp_le_u32_e32 vcc, s14, v2
	v_cmp_lt_i32_e64 s[0:1], s17, v1
	s_nop 0
	v_cndmask_b32_e32 v2, v2, v4, vcc
	v_subrev_u32_e32 v4, s14, v2
	v_cmp_le_u32_e32 vcc, s14, v2
	s_nop 1
	v_cndmask_b32_e32 v2, v2, v4, vcc
	v_xor_b32_e32 v2, v2, v3
	v_sub_u32_e32 v2, v2, v3
	v_cmp_eq_u32_e32 vcc, 0, v2
	s_or_b64 s[0:1], vcc, s[0:1]
	s_and_saveexec_b64 s[8:9], s[0:1]
	s_cbranch_execz .LBB61_50
; %bb.52:                               ;   in Loop: Header=BB61_51 Depth=1
	global_load_dword v1, v[12:13], off
	ds_read2_b64 v[2:5], v22 offset1:1
	ds_read2_b64 v[24:27], v22 offset0:2 offset1:3
	v_add_u32_e32 v23, 7, v18
	v_or_b32_e32 v28, 3, v18
	s_waitcnt lgkmcnt(1)
	;;#ASMSTART
	v_cvt_f16_f32 v30, v2;

	;;#ASMEND
	;;#ASMSTART
	v_cvt_f16_f32 v31, v3;

	;;#ASMEND
	;;#ASMSTART
	v_cvt_f16_f32 v32, v4;

	;;#ASMEND
	;;#ASMSTART
	v_cvt_f16_f32 v33, v5;

	;;#ASMEND
	s_waitcnt lgkmcnt(0)
	;;#ASMSTART
	v_cvt_f16_f32 v34, v24;

	;;#ASMEND
	;;#ASMSTART
	v_cvt_f16_f32 v35, v25;

	;;#ASMEND
	;; [unrolled: 4-line block ×4, first 2 shown]
	v_add_u32_e32 v27, 2, v18
	v_add_u32_e32 v26, 4, v18
	;; [unrolled: 1-line block ×4, first 2 shown]
	v_or_b32_e32 v29, 1, v18
	s_waitcnt vmcnt(0)
	v_mad_i64_i32 v[2:3], s[0:1], v1, s15, 0
	v_lshl_add_u64 v[14:15], v[2:3], 1, v[10:11]
	global_load_dwordx4 v[2:5], v[14:15], off
	v_cmp_eq_u32_e64 s[0:1], s28, v17
	s_waitcnt vmcnt(0)
	v_lshrrev_b32_e32 v1, 16, v3
	v_lshrrev_b32_e32 v8, 16, v2
	;; [unrolled: 1-line block ×3, first 2 shown]
	s_and_saveexec_b64 s[12:13], s[0:1]
	s_cbranch_execz .LBB61_54
; %bb.53:                               ;   in Loop: Header=BB61_51 Depth=1
	v_cmp_gt_i32_e32 vcc, s33, v18
	s_nop 1
	v_cndmask_b32_e32 v2, 0, v2, vcc
	v_cmp_gt_i32_e32 vcc, s33, v27
	s_nop 1
	v_cndmask_b32_e32 v3, 0, v3, vcc
	;; [unrolled: 3-line block ×6, first 2 shown]
	v_cmp_gt_i32_e32 vcc, s33, v24
	s_nop 1
	v_cndmask_b32_sdwa v39, v9, v5, vcc dst_sel:DWORD dst_unused:UNUSED_PAD src0_sel:DWORD src1_sel:WORD_0
	v_and_b32_e32 v5, 0xffff0000, v5
	v_cmp_gt_i32_e32 vcc, s33, v23
	s_nop 1
	v_cndmask_b32_e32 v5, 0, v5, vcc
	v_or_b32_e32 v5, v39, v5
.LBB61_54:                              ;   in Loop: Header=BB61_51 Depth=1
	s_or_b64 exec, exec, s[12:13]
	v_and_b32_e32 v30, 0xffff, v30
	v_lshl_or_b32 v31, v31, 16, v30
	v_and_b32_e32 v30, 0xffff, v32
	v_lshlrev_b32_e32 v8, 16, v8
	v_lshlrev_b32_e32 v1, 16, v1
	v_lshl_or_b32 v32, v33, 16, v30
	v_and_b32_e32 v30, 0xffff, v34
	v_and_or_b32 v2, v2, s24, v8
	v_and_or_b32 v1, v3, s24, v1
	v_lshlrev_b32_e32 v3, 16, v38
	v_lshl_or_b32 v33, v35, 16, v30
	v_and_b32_e32 v30, 0xffff, v36
	v_and_or_b32 v3, v4, s24, v3
	;;#ASMSTART
	v_pk_mul_f16 v2, v31, v2;

	;;#ASMEND
	;;#ASMSTART
	v_pk_mul_f16 v1, v32, v1;

	;;#ASMEND
	v_lshl_or_b32 v30, v37, 16, v30
	;;#ASMSTART
	v_pk_mul_f16 v3, v33, v3;

	;;#ASMEND
	;;#ASMSTART
	v_pk_mul_f16 v4, v30, v5;

	;;#ASMEND
	;;#ASMSTART
	v_pk_add_f16 v1, v2, v1;

	;;#ASMEND
	s_nop 0
	;;#ASMSTART
	v_pk_add_f16 v1, v1, v3;

	;;#ASMEND
	s_nop 0
	;; [unrolled: 5-line block ×3, first 2 shown]
	v_lshrrev_b32_e32 v2, 16, v1
	v_and_b32_e32 v1, 0xffff, v1
	;;#ASMSTART
	v_cvt_f32_f16 v34, v1;
	;;#ASMEND
	;;#ASMSTART
	v_cvt_f32_f16 v35, v2;
	;;#ASMEND
	global_load_dwordx4 v[2:5], v[14:15], off offset:1024
	s_waitcnt vmcnt(0)
	v_lshrrev_b32_e32 v1, 16, v3
	v_lshrrev_b32_e32 v8, 16, v2
	v_lshrrev_b32_e32 v36, 16, v4
	s_and_saveexec_b64 s[12:13], s[0:1]
	s_cbranch_execz .LBB61_56
; %bb.55:                               ;   in Loop: Header=BB61_51 Depth=1
	v_cmp_gt_i32_e32 vcc, s33, v18
	s_nop 1
	v_cndmask_b32_e32 v2, 0, v2, vcc
	v_cmp_gt_i32_e32 vcc, s33, v27
	s_nop 1
	v_cndmask_b32_e32 v3, 0, v3, vcc
	;; [unrolled: 3-line block ×6, first 2 shown]
	v_cmp_gt_i32_e32 vcc, s33, v24
	s_nop 1
	v_cndmask_b32_sdwa v37, v9, v5, vcc dst_sel:DWORD dst_unused:UNUSED_PAD src0_sel:DWORD src1_sel:WORD_0
	v_and_b32_e32 v5, 0xffff0000, v5
	v_cmp_gt_i32_e32 vcc, s33, v23
	s_nop 1
	v_cndmask_b32_e32 v5, 0, v5, vcc
	v_or_b32_e32 v5, v37, v5
.LBB61_56:                              ;   in Loop: Header=BB61_51 Depth=1
	s_or_b64 exec, exec, s[12:13]
	v_lshlrev_b32_e32 v8, 16, v8
	v_lshlrev_b32_e32 v1, 16, v1
	v_and_or_b32 v2, v2, s24, v8
	v_and_or_b32 v1, v3, s24, v1
	v_lshlrev_b32_e32 v3, 16, v36
	v_and_or_b32 v3, v4, s24, v3
	;;#ASMSTART
	v_pk_mul_f16 v2, v31, v2;

	;;#ASMEND
	;;#ASMSTART
	v_pk_mul_f16 v1, v32, v1;

	;;#ASMEND
	;; [unrolled: 4-line block ×4, first 2 shown]
	s_nop 0
	;;#ASMSTART
	v_pk_add_f16 v1, v2, v1;

	;;#ASMEND
	s_nop 0
	;;#ASMSTART
	v_pk_add_f16 v1, v1, v3;

	;;#ASMEND
	;; [unrolled: 5-line block ×3, first 2 shown]
	s_nop 0
	v_lshrrev_b32_e32 v2, 16, v1
	v_and_b32_e32 v1, 0xffff, v1
	;;#ASMSTART
	v_cvt_f32_f16 v36, v1;
	;;#ASMEND
	;;#ASMSTART
	v_cvt_f32_f16 v37, v2;
	;;#ASMEND
	global_load_dwordx4 v[2:5], v[14:15], off offset:2048
	s_waitcnt vmcnt(0)
	v_lshrrev_b32_e32 v1, 16, v3
	v_lshrrev_b32_e32 v8, 16, v2
	v_lshrrev_b32_e32 v14, 16, v4
	s_and_saveexec_b64 s[12:13], s[0:1]
	s_cbranch_execz .LBB61_49
; %bb.57:                               ;   in Loop: Header=BB61_51 Depth=1
	v_cmp_gt_i32_e32 vcc, s33, v18
	s_nop 1
	v_cndmask_b32_e32 v2, 0, v2, vcc
	v_cmp_gt_i32_e32 vcc, s33, v27
	s_nop 1
	v_cndmask_b32_e32 v3, 0, v3, vcc
	;; [unrolled: 3-line block ×6, first 2 shown]
	v_cmp_gt_i32_e32 vcc, s33, v24
	s_nop 1
	v_cndmask_b32_sdwa v15, v9, v5, vcc dst_sel:DWORD dst_unused:UNUSED_PAD src0_sel:DWORD src1_sel:WORD_0
	v_and_b32_e32 v5, 0xffff0000, v5
	v_cmp_gt_i32_e32 vcc, s33, v23
	s_nop 1
	v_cndmask_b32_e32 v5, 0, v5, vcc
	v_or_b32_e32 v5, v15, v5
	s_branch .LBB61_49
.LBB61_58:
	s_or_b64 exec, exec, s[6:7]
.LBB61_59:
	s_or_b64 exec, exec, s[2:3]
	v_and_b32_e32 v1, 0x3c0, v0
	v_cmp_eq_u32_e32 vcc, 64, v1
	s_barrier
	s_and_saveexec_b64 s[0:1], vcc
	s_cbranch_execz .LBB61_61
; %bb.60:
	v_mov_b32_e32 v1, 0x190
	v_lshl_add_u32 v1, v19, 2, v1
	ds_write2st64_b32 v1, v6, v7 offset1:1
	ds_write_b32 v1, v20 offset:512
.LBB61_61:
	s_or_b64 exec, exec, s[0:1]
	v_cmp_gt_u32_e32 vcc, 64, v0
	s_waitcnt lgkmcnt(0)
	s_barrier
	s_and_saveexec_b64 s[0:1], vcc
	s_cbranch_execz .LBB61_63
; %bb.62:
	v_mov_b32_e32 v1, 0x190
	v_lshl_add_u32 v2, v0, 2, v1
	ds_read2st64_b32 v[0:1], v2 offset1:1
	ds_read_b32 v2, v2 offset:512
	s_waitcnt lgkmcnt(1)
	v_pk_add_f32 v[6:7], v[6:7], v[0:1]
	s_waitcnt lgkmcnt(0)
	v_add_f32_e32 v20, v20, v2
.LBB61_63:
	s_or_b64 exec, exec, s[0:1]
	s_barrier
	s_and_saveexec_b64 s[0:1], vcc
	s_cbranch_execz .LBB61_65
; %bb.64:
	s_mul_i32 s0, s10, s11
	s_mul_i32 s0, s0, s5
	s_mulk_i32 s0, 0xc0
	s_ashr_i32 s1, s0, 31
	s_lshl_b64 s[0:1], s[0:1], 1
	s_add_u32 s2, s22, s0
	s_mul_i32 s0, s11, s20
	s_addc_u32 s3, s23, s1
	s_ashr_i32 s1, s0, 31
	s_lshl_b64 s[0:1], s[0:1], 1
	s_add_u32 s2, s2, s0
	s_mul_i32 s0, s4, 0xc0
	s_addc_u32 s3, s3, s1
	s_ashr_i32 s1, s0, 31
	s_lshl_b64 s[0:1], s[0:1], 1
	s_add_u32 s0, s2, s0
	s_addc_u32 s1, s3, s1
	;;#ASMSTART
	v_cvt_f16_f32 v0, v6;

	;;#ASMEND
	global_store_short v16, v0, s[0:1]
	;;#ASMSTART
	v_cvt_f16_f32 v0, v7;

	;;#ASMEND
	global_store_short v16, v0, s[0:1] offset:128
	;;#ASMSTART
	v_cvt_f16_f32 v0, v20;

	;;#ASMEND
	global_store_short v16, v0, s[0:1] offset:256
.LBB61_65:
	s_endpgm
	.section	.rodata,"a",@progbits
	.p2align	6, 0x0
	.amdhsa_kernel _ZN4vllm25paged_attention_v1_kernelIttLi192ELi8ELi128ELNS_18Fp8KVCacheDataTypeE0ELb1EEEvPT_PKS2_PKT0_S8_ifPKiSA_iPKfiiiSC_SC_iiiii
		.amdhsa_group_segment_fixed_size 400
		.amdhsa_private_segment_fixed_size 0
		.amdhsa_kernarg_size 384
		.amdhsa_user_sgpr_count 2
		.amdhsa_user_sgpr_dispatch_ptr 0
		.amdhsa_user_sgpr_queue_ptr 0
		.amdhsa_user_sgpr_kernarg_segment_ptr 1
		.amdhsa_user_sgpr_dispatch_id 0
		.amdhsa_user_sgpr_kernarg_preload_length 0
		.amdhsa_user_sgpr_kernarg_preload_offset 0
		.amdhsa_user_sgpr_private_segment_size 0
		.amdhsa_uses_dynamic_stack 0
		.amdhsa_enable_private_segment 0
		.amdhsa_system_sgpr_workgroup_id_x 1
		.amdhsa_system_sgpr_workgroup_id_y 1
		.amdhsa_system_sgpr_workgroup_id_z 1
		.amdhsa_system_sgpr_workgroup_info 0
		.amdhsa_system_vgpr_workitem_id 0
		.amdhsa_next_free_vgpr 68
		.amdhsa_next_free_sgpr 44
		.amdhsa_accum_offset 68
		.amdhsa_reserve_vcc 1
		.amdhsa_float_round_mode_32 0
		.amdhsa_float_round_mode_16_64 0
		.amdhsa_float_denorm_mode_32 3
		.amdhsa_float_denorm_mode_16_64 3
		.amdhsa_dx10_clamp 1
		.amdhsa_ieee_mode 1
		.amdhsa_fp16_overflow 0
		.amdhsa_tg_split 0
		.amdhsa_exception_fp_ieee_invalid_op 0
		.amdhsa_exception_fp_denorm_src 0
		.amdhsa_exception_fp_ieee_div_zero 0
		.amdhsa_exception_fp_ieee_overflow 0
		.amdhsa_exception_fp_ieee_underflow 0
		.amdhsa_exception_fp_ieee_inexact 0
		.amdhsa_exception_int_div_zero 0
	.end_amdhsa_kernel
	.section	.text._ZN4vllm25paged_attention_v1_kernelIttLi192ELi8ELi128ELNS_18Fp8KVCacheDataTypeE0ELb1EEEvPT_PKS2_PKT0_S8_ifPKiSA_iPKfiiiSC_SC_iiiii,"axG",@progbits,_ZN4vllm25paged_attention_v1_kernelIttLi192ELi8ELi128ELNS_18Fp8KVCacheDataTypeE0ELb1EEEvPT_PKS2_PKT0_S8_ifPKiSA_iPKfiiiSC_SC_iiiii,comdat
.Lfunc_end61:
	.size	_ZN4vllm25paged_attention_v1_kernelIttLi192ELi8ELi128ELNS_18Fp8KVCacheDataTypeE0ELb1EEEvPT_PKS2_PKT0_S8_ifPKiSA_iPKfiiiSC_SC_iiiii, .Lfunc_end61-_ZN4vllm25paged_attention_v1_kernelIttLi192ELi8ELi128ELNS_18Fp8KVCacheDataTypeE0ELb1EEEvPT_PKS2_PKT0_S8_ifPKiSA_iPKfiiiSC_SC_iiiii
                                        ; -- End function
	.set _ZN4vllm25paged_attention_v1_kernelIttLi192ELi8ELi128ELNS_18Fp8KVCacheDataTypeE0ELb1EEEvPT_PKS2_PKT0_S8_ifPKiSA_iPKfiiiSC_SC_iiiii.num_vgpr, 68
	.set _ZN4vllm25paged_attention_v1_kernelIttLi192ELi8ELi128ELNS_18Fp8KVCacheDataTypeE0ELb1EEEvPT_PKS2_PKT0_S8_ifPKiSA_iPKfiiiSC_SC_iiiii.num_agpr, 0
	.set _ZN4vllm25paged_attention_v1_kernelIttLi192ELi8ELi128ELNS_18Fp8KVCacheDataTypeE0ELb1EEEvPT_PKS2_PKT0_S8_ifPKiSA_iPKfiiiSC_SC_iiiii.numbered_sgpr, 44
	.set _ZN4vllm25paged_attention_v1_kernelIttLi192ELi8ELi128ELNS_18Fp8KVCacheDataTypeE0ELb1EEEvPT_PKS2_PKT0_S8_ifPKiSA_iPKfiiiSC_SC_iiiii.num_named_barrier, 0
	.set _ZN4vllm25paged_attention_v1_kernelIttLi192ELi8ELi128ELNS_18Fp8KVCacheDataTypeE0ELb1EEEvPT_PKS2_PKT0_S8_ifPKiSA_iPKfiiiSC_SC_iiiii.private_seg_size, 0
	.set _ZN4vllm25paged_attention_v1_kernelIttLi192ELi8ELi128ELNS_18Fp8KVCacheDataTypeE0ELb1EEEvPT_PKS2_PKT0_S8_ifPKiSA_iPKfiiiSC_SC_iiiii.uses_vcc, 1
	.set _ZN4vllm25paged_attention_v1_kernelIttLi192ELi8ELi128ELNS_18Fp8KVCacheDataTypeE0ELb1EEEvPT_PKS2_PKT0_S8_ifPKiSA_iPKfiiiSC_SC_iiiii.uses_flat_scratch, 0
	.set _ZN4vllm25paged_attention_v1_kernelIttLi192ELi8ELi128ELNS_18Fp8KVCacheDataTypeE0ELb1EEEvPT_PKS2_PKT0_S8_ifPKiSA_iPKfiiiSC_SC_iiiii.has_dyn_sized_stack, 0
	.set _ZN4vllm25paged_attention_v1_kernelIttLi192ELi8ELi128ELNS_18Fp8KVCacheDataTypeE0ELb1EEEvPT_PKS2_PKT0_S8_ifPKiSA_iPKfiiiSC_SC_iiiii.has_recursion, 0
	.set _ZN4vllm25paged_attention_v1_kernelIttLi192ELi8ELi128ELNS_18Fp8KVCacheDataTypeE0ELb1EEEvPT_PKS2_PKT0_S8_ifPKiSA_iPKfiiiSC_SC_iiiii.has_indirect_call, 0
	.section	.AMDGPU.csdata,"",@progbits
; Kernel info:
; codeLenInByte = 6416
; TotalNumSgprs: 50
; NumVgprs: 68
; NumAgprs: 0
; TotalNumVgprs: 68
; ScratchSize: 0
; MemoryBound: 0
; FloatMode: 240
; IeeeMode: 1
; LDSByteSize: 400 bytes/workgroup (compile time only)
; SGPRBlocks: 6
; VGPRBlocks: 8
; NumSGPRsForWavesPerEU: 50
; NumVGPRsForWavesPerEU: 68
; AccumOffset: 68
; Occupancy: 7
; WaveLimiterHint : 1
; COMPUTE_PGM_RSRC2:SCRATCH_EN: 0
; COMPUTE_PGM_RSRC2:USER_SGPR: 2
; COMPUTE_PGM_RSRC2:TRAP_HANDLER: 0
; COMPUTE_PGM_RSRC2:TGID_X_EN: 1
; COMPUTE_PGM_RSRC2:TGID_Y_EN: 1
; COMPUTE_PGM_RSRC2:TGID_Z_EN: 1
; COMPUTE_PGM_RSRC2:TIDIG_COMP_CNT: 0
; COMPUTE_PGM_RSRC3_GFX90A:ACCUM_OFFSET: 16
; COMPUTE_PGM_RSRC3_GFX90A:TG_SPLIT: 0
	.section	.text._ZN4vllm25paged_attention_v1_kernelIttLi256ELi8ELi128ELNS_18Fp8KVCacheDataTypeE0ELb1EEEvPT_PKS2_PKT0_S8_ifPKiSA_iPKfiiiSC_SC_iiiii,"axG",@progbits,_ZN4vllm25paged_attention_v1_kernelIttLi256ELi8ELi128ELNS_18Fp8KVCacheDataTypeE0ELb1EEEvPT_PKS2_PKT0_S8_ifPKiSA_iPKfiiiSC_SC_iiiii,comdat
	.protected	_ZN4vllm25paged_attention_v1_kernelIttLi256ELi8ELi128ELNS_18Fp8KVCacheDataTypeE0ELb1EEEvPT_PKS2_PKT0_S8_ifPKiSA_iPKfiiiSC_SC_iiiii ; -- Begin function _ZN4vllm25paged_attention_v1_kernelIttLi256ELi8ELi128ELNS_18Fp8KVCacheDataTypeE0ELb1EEEvPT_PKS2_PKT0_S8_ifPKiSA_iPKfiiiSC_SC_iiiii
	.globl	_ZN4vllm25paged_attention_v1_kernelIttLi256ELi8ELi128ELNS_18Fp8KVCacheDataTypeE0ELb1EEEvPT_PKS2_PKT0_S8_ifPKiSA_iPKfiiiSC_SC_iiiii
	.p2align	8
	.type	_ZN4vllm25paged_attention_v1_kernelIttLi256ELi8ELi128ELNS_18Fp8KVCacheDataTypeE0ELb1EEEvPT_PKS2_PKT0_S8_ifPKiSA_iPKfiiiSC_SC_iiiii,@function
_ZN4vllm25paged_attention_v1_kernelIttLi256ELi8ELi128ELNS_18Fp8KVCacheDataTypeE0ELb1EEEvPT_PKS2_PKT0_S8_ifPKiSA_iPKfiiiSC_SC_iiiii: ; @_ZN4vllm25paged_attention_v1_kernelIttLi256ELi8ELi128ELNS_18Fp8KVCacheDataTypeE0ELb1EEEvPT_PKS2_PKT0_S8_ifPKiSA_iPKfiiiSC_SC_iiiii
; %bb.0:
	s_load_dword s5, s[0:1], 0x80
	s_load_dwordx2 s[6:7], s[0:1], 0x30
	s_load_dwordx2 s[30:31], s[0:1], 0x20
	s_mov_b32 s10, s3
	s_ashr_i32 s11, s3, 31
	s_lshl_b64 s[8:9], s[10:11], 2
	s_waitcnt lgkmcnt(0)
	s_add_u32 s6, s6, s8
	s_addc_u32 s7, s7, s9
	s_abs_i32 s3, s30
	v_cvt_f32_u32_e32 v1, s3
	s_sub_i32 s11, 0, s3
	s_abs_i32 s9, s5
	s_xor_b32 s8, s5, s30
	v_rcp_iflag_f32_e32 v1, v1
	s_ashr_i32 s8, s8, 31
	s_mov_b32 s42, 0
	v_mul_f32_e32 v1, 0x4f7ffffe, v1
	v_cvt_u32_f32_e32 v1, v1
	s_nop 0
	v_readfirstlane_b32 s12, v1
	s_mul_i32 s11, s11, s12
	s_mul_hi_u32 s11, s12, s11
	s_add_i32 s12, s12, s11
	s_mul_hi_u32 s11, s9, s12
	s_mul_i32 s12, s11, s3
	s_sub_i32 s9, s9, s12
	s_add_i32 s12, s11, 1
	s_sub_i32 s13, s9, s3
	s_cmp_ge_u32 s9, s3
	s_cselect_b32 s11, s12, s11
	s_cselect_b32 s9, s13, s9
	s_add_i32 s12, s11, 1
	s_cmp_ge_u32 s9, s3
	s_cselect_b32 s3, s12, s11
	s_xor_b32 s3, s3, s8
	s_sub_i32 s11, s3, s8
	s_abs_i32 s22, s11
	v_cvt_f32_u32_e32 v1, s22
	s_load_dwordx2 s[8:9], s[0:1], 0x40
	s_sub_i32 s3, 0, s22
	s_abs_i32 s23, s2
	v_rcp_iflag_f32_e32 v1, v1
	s_nop 0
	v_mul_f32_e32 v1, 0x4f7ffffe, v1
	v_cvt_u32_f32_e32 v1, v1
	s_nop 0
	v_readfirstlane_b32 s12, v1
	s_mul_i32 s3, s3, s12
	s_mul_hi_u32 s3, s12, s3
	s_add_i32 s12, s12, s3
	s_waitcnt lgkmcnt(0)
	s_cmp_eq_u64 s[8:9], 0
	s_mul_hi_u32 s24, s23, s12
	s_cbranch_scc1 .LBB62_2
; %bb.1:
	s_ashr_i32 s3, s2, 31
	s_lshl_b64 s[12:13], s[2:3], 2
	s_add_u32 s8, s8, s12
	s_addc_u32 s9, s9, s13
	s_load_dword s42, s[8:9], 0x0
.LBB62_2:
	s_load_dword s33, s[6:7], 0x0
	s_ashr_i32 s25, s11, 31
	s_load_dword s11, s[0:1], 0x88
	s_load_dwordx4 s[12:15], s[0:1], 0x48
	s_movk_i32 s6, 0x100
	s_ashr_i32 s3, s2, 31
	v_and_b32_e32 v4, 7, v0
	s_lshl_b32 s20, s2, 8
	v_cmp_gt_u32_e32 vcc, s6, v0
	v_lshlrev_b32_e32 v18, 1, v0
	s_and_saveexec_b64 s[6:7], vcc
	s_cbranch_execz .LBB62_5
; %bb.3:
	s_load_dwordx2 s[8:9], s[0:1], 0x8
	s_waitcnt lgkmcnt(0)
	s_mul_i32 s16, s12, s10
	s_ashr_i32 s17, s16, 31
	s_lshl_b64 s[16:17], s[16:17], 1
	v_lshrrev_b32_e32 v1, 3, v0
	s_add_u32 s12, s8, s16
	s_addc_u32 s15, s9, s17
	s_ashr_i32 s21, s20, 31
	s_lshl_b64 s[8:9], s[20:21], 1
	s_add_u32 s8, s12, s8
	s_addc_u32 s9, s15, s9
	global_load_ushort v3, v18, s[8:9]
	s_movk_i32 s12, 0x80
	v_lshlrev_b32_e32 v2, 1, v1
	v_lshl_add_u32 v2, v4, 6, v2
	v_cmp_gt_u32_e32 vcc, s12, v0
	s_waitcnt vmcnt(0)
	ds_write_b16 v2, v3
	s_and_b64 exec, exec, vcc
	s_cbranch_execz .LBB62_5
; %bb.4:
	v_lshlrev_b32_e32 v1, 4, v1
	v_lshlrev_b32_e32 v3, 1, v4
	s_movk_i32 s12, 0x100
	v_or3_b32 v1, v1, v3, s12
	global_load_ushort v1, v1, s[8:9]
	s_waitcnt vmcnt(0)
	ds_write_b16 v2, v1 offset:32
.LBB62_5:
	s_or_b64 exec, exec, s[6:7]
	s_mul_i32 s6, s24, s22
	s_sub_i32 s6, s23, s6
	s_xor_b32 s3, s3, s25
	s_add_i32 s7, s24, 1
	s_sub_i32 s9, s6, s22
	s_load_dwordx4 s[16:19], s[0:1], 0x68
	s_load_dword s8, s[0:1], 0x78
	s_cmp_ge_u32 s6, s22
	s_cselect_b32 s7, s7, s24
	s_cselect_b32 s6, s9, s6
	s_add_i32 s9, s7, 1
	s_cmp_ge_u32 s6, s22
	s_cselect_b32 s6, s9, s7
	s_waitcnt lgkmcnt(0)
	s_abs_i32 s21, s19
	v_cvt_f32_u32_e32 v1, s21
	s_xor_b32 s6, s6, s3
	s_sub_i32 s3, s6, s3
	s_sub_i32 s6, 0, s21
	v_rcp_iflag_f32_e32 v1, v1
	s_add_i32 s15, s33, -1
	s_abs_i32 s9, s15
	v_mul_f32_e32 v1, 0x4f7ffffe, v1
	v_cvt_u32_f32_e32 v1, v1
	s_barrier
	v_readfirstlane_b32 s40, v1
	s_mul_i32 s6, s6, s40
	s_mul_hi_u32 s6, s40, s6
	s_add_i32 s40, s40, s6
	s_cmp_lt_i32 s8, 0
	s_mul_hi_u32 s12, s9, s40
	s_cbranch_scc0 .LBB62_7
; %bb.6:
	s_mul_i32 s6, s16, s30
	s_add_i32 s6, s3, s6
	s_mul_i32 s6, s6, s8
	s_sub_i32 s41, 1, s6
	s_mov_b64 s[6:7], 0
	s_branch .LBB62_8
.LBB62_7:
	s_mov_b64 s[6:7], -1
                                        ; implicit-def: $sgpr41
.LBB62_8:
	s_load_dwordx2 s[24:25], s[0:1], 0x28
	s_ashr_i32 s15, s15, 31
	s_andn2_b64 vcc, exec, s[6:7]
	s_ashr_i32 s19, s19, 31
	s_cbranch_vccnz .LBB62_10
; %bb.9:
	s_mul_i32 s6, s5, s16
	s_add_i32 s2, s6, s2
	s_mul_i32 s2, s2, s8
	s_add_i32 s41, s2, 1
.LBB62_10:
	s_load_dword s2, s[0:1], 0x38
	s_load_dwordx2 s[22:23], s[0:1], 0x0
	s_load_dwordx2 s[28:29], s[0:1], 0x18
	s_mul_i32 s7, s12, s21
	s_xor_b32 s6, s15, s19
	s_waitcnt lgkmcnt(0)
	s_mul_i32 s26, s2, s10
	s_sub_i32 s2, s9, s7
	s_ashr_i32 s27, s26, 31
	s_add_i32 s7, s12, 1
	s_sub_i32 s8, s2, s21
	s_cmp_ge_u32 s2, s21
	s_cselect_b32 s7, s7, s12
	s_cselect_b32 s2, s8, s2
	s_add_i32 s8, s7, 1
	s_cmp_ge_u32 s2, s21
	s_cselect_b32 s2, s8, s7
	s_xor_b32 s2, s2, s6
	s_sub_i32 s12, s2, s6
	s_add_i32 s2, s33, 7
	s_ashr_i32 s6, s2, 31
	s_lshr_b32 s6, s6, 29
	s_add_i32 s2, s2, s6
	s_ashr_i32 s16, s2, 3
	v_lshrrev_b32_e32 v19, 6, v0
	v_cmp_gt_i32_e64 s[6:7], s16, v19
	v_mov_b32_e32 v9, 0xff7fffff
	s_mul_i32 s14, s3, s14
	v_lshrrev_b32_e32 v1, 4, v0
	v_lshlrev_b32_e32 v20, 3, v19
	v_mbcnt_lo_u32_b32 v6, -1, 0
	s_and_saveexec_b64 s[34:35], s[6:7]
	s_cbranch_execz .LBB62_22
; %bb.11:
	s_load_dwordx2 s[0:1], s[0:1], 0x10
	s_ashr_i32 s15, s14, 31
	s_sub_i32 s30, s12, s17
	s_lshl_b64 s[2:3], s[14:15], 1
	v_bfe_u32 v7, v0, 3, 3
	s_waitcnt lgkmcnt(0)
	s_add_u32 s0, s0, s2
	s_addc_u32 s1, s1, s3
	s_abs_i32 s15, s18
	v_cvt_f32_u32_e32 v2, s15
	v_lshlrev_b32_e32 v12, 4, v7
	v_mov_b32_e32 v13, 0
	v_cmp_eq_u32_e32 vcc, 0, v4
	v_rcp_iflag_f32_e32 v5, v2
	v_lshl_add_u64 v[2:3], s[0:1], 0, v[12:13]
	s_sub_i32 s0, 0, s15
	v_lshlrev_b32_e32 v12, 1, v4
	v_mul_f32_e32 v5, 0x4f7ffffe, v5
	v_cvt_u32_f32_e32 v5, v5
	v_lshlrev_b32_e32 v8, 6, v4
	v_lshl_add_u64 v[2:3], v[2:3], 0, v[12:13]
	v_and_b32_e32 v12, 60, v1
	v_mul_lo_u32 v4, s0, v5
	s_lshl_b64 s[0:1], s[26:27], 2
	s_add_u32 s0, s24, s0
	v_mul_hi_u32 v4, v5, v4
	s_addc_u32 s1, s25, s1
	v_subrev_u32_e32 v9, s33, v7
	v_add_u32_e32 v10, v5, v4
	v_lshl_add_u64 v[4:5], s[0:1], 0, v[12:13]
	v_add_u32_e32 v12, 1, v9
	v_lshlrev_b32_e32 v9, 2, v7
	v_lshl_or_b32 v9, v19, 5, v9
	v_mbcnt_hi_u32_b32 v15, -1, v6
	v_add_u32_e32 v13, 0x210, v9
	v_and_b32_e32 v9, 64, v15
	s_mov_b32 s43, s13
	v_cmp_neq_f32_e64 s[2:3], s42, 0
	v_lshlrev_b32_e32 v11, 3, v19
	v_mov_b32_e32 v14, 0xff7fffff
	s_mov_b64 s[36:37], 0
	v_add_u32_e32 v16, 64, v9
	v_xor_b32_e32 v17, 4, v15
	v_xor_b32_e32 v21, 2, v15
	;; [unrolled: 1-line block ×3, first 2 shown]
	v_mov_b32_e32 v9, 0xff7fffff
	v_mov_b32_e32 v23, v19
	s_branch .LBB62_14
.LBB62_12:                              ;   in Loop: Header=BB62_14 Depth=1
	s_or_b64 exec, exec, s[38:39]
.LBB62_13:                              ;   in Loop: Header=BB62_14 Depth=1
	s_or_b64 exec, exec, s[8:9]
	v_add_u32_e32 v23, 2, v23
	v_cmp_le_i32_e64 s[0:1], s16, v23
	v_lshl_add_u64 v[4:5], v[4:5], 0, 8
	v_add_u32_e32 v11, 16, v11
	s_or_b64 s[36:37], s[0:1], s[36:37]
	v_add_u32_e32 v13, 64, v13
	s_andn2_b64 exec, exec, s[36:37]
	s_cbranch_execz .LBB62_21
.LBB62_14:                              ; =>This Inner Loop Header: Depth=1
	v_mul_hi_u32 v24, v11, s40
	s_waitcnt lgkmcnt(0)
	v_mul_lo_u32 v25, v24, s21
	v_sub_u32_e32 v25, v11, v25
	v_add_u32_e32 v26, 1, v24
	v_cmp_le_u32_e64 s[0:1], s21, v25
	s_nop 1
	v_cndmask_b32_e64 v24, v24, v26, s[0:1]
	v_subrev_u32_e32 v26, s21, v25
	v_cndmask_b32_e64 v25, v25, v26, s[0:1]
	v_add_u32_e32 v26, 1, v24
	v_cmp_le_u32_e64 s[0:1], s21, v25
	s_nop 1
	v_cndmask_b32_e64 v24, v24, v26, s[0:1]
	v_xor_b32_e32 v24, s19, v24
	v_subrev_u32_e32 v24, s19, v24
	v_add_u32_e32 v25, s41, v24
	v_sub_u32_e32 v27, 0, v25
	v_ashrrev_i32_e32 v26, 31, v25
	v_max_i32_e32 v25, v25, v27
	v_mul_hi_u32 v27, v25, v10
	v_mul_lo_u32 v27, v27, s15
	v_sub_u32_e32 v25, v25, v27
	v_subrev_u32_e32 v27, s15, v25
	v_cmp_le_u32_e64 s[0:1], s15, v25
	v_cmp_ge_i32_e64 s[8:9], s30, v24
	s_nop 0
	v_cndmask_b32_e64 v25, v25, v27, s[0:1]
	v_subrev_u32_e32 v27, s15, v25
	v_cmp_le_u32_e64 s[0:1], s15, v25
	s_nop 1
	v_cndmask_b32_e64 v25, v25, v27, s[0:1]
	v_xor_b32_e32 v25, v25, v26
	v_sub_u32_e32 v25, v25, v26
	v_cmp_ne_u32_e64 s[0:1], 0, v25
	s_and_b64 s[0:1], s[0:1], s[8:9]
	s_and_saveexec_b64 s[8:9], s[0:1]
	s_xor_b64 s[0:1], exec, s[8:9]
	s_cbranch_execz .LBB62_18
; %bb.15:                               ;   in Loop: Header=BB62_14 Depth=1
	s_and_saveexec_b64 s[8:9], vcc
; %bb.16:                               ;   in Loop: Header=BB62_14 Depth=1
	ds_write_b32 v13, v14
; %bb.17:                               ;   in Loop: Header=BB62_14 Depth=1
	s_or_b64 exec, exec, s[8:9]
.LBB62_18:                              ;   in Loop: Header=BB62_14 Depth=1
	s_andn2_saveexec_b64 s[8:9], s[0:1]
	s_cbranch_execz .LBB62_13
; %bb.19:                               ;   in Loop: Header=BB62_14 Depth=1
	global_load_dword v24, v[4:5], off
	s_waitcnt vmcnt(0)
	v_mad_i64_i32 v[24:25], s[0:1], v24, s43, 0
	v_lshl_add_u64 v[32:33], v[24:25], 1, v[2:3]
	global_load_ushort v34, v[32:33], off
	global_load_ushort v35, v[32:33], off offset:128
	global_load_ushort v36, v[32:33], off offset:256
	;; [unrolled: 1-line block ×7, first 2 shown]
	ds_read_u16 v31, v8
	global_load_ushort v48, v[32:33], off offset:1024
	global_load_ushort v50, v[32:33], off offset:1152
	;; [unrolled: 1-line block ×24, first 2 shown]
	s_waitcnt lgkmcnt(0)
	;;#ASMSTART
	v_cvt_f32_f16 v31, v31;
	;;#ASMEND
	v_cmp_lt_i32_e64 s[0:1], v17, v16
	s_waitcnt vmcnt(31)
	;;#ASMSTART
	v_cvt_f32_f16 v32, v34;
	;;#ASMEND
	ds_read_u16 v33, v8 offset:2
	s_waitcnt lgkmcnt(0)
	;;#ASMSTART
	v_cvt_f32_f16 v33, v33;
	;;#ASMEND
	s_waitcnt vmcnt(30)
	;;#ASMSTART
	v_cvt_f32_f16 v34, v35;
	;;#ASMEND
	ds_read_u16 v35, v8 offset:4
	v_mul_f32_e32 v33, v33, v34
	v_fmac_f32_e32 v33, v31, v32
	s_waitcnt lgkmcnt(0)
	;;#ASMSTART
	v_cvt_f32_f16 v35, v35;
	;;#ASMEND
	s_waitcnt vmcnt(29)
	;;#ASMSTART
	v_cvt_f32_f16 v36, v36;
	;;#ASMEND
	ds_read_u16 v37, v8 offset:6
	v_fmac_f32_e32 v33, v35, v36
	s_waitcnt lgkmcnt(0)
	;;#ASMSTART
	v_cvt_f32_f16 v37, v37;
	;;#ASMEND
	s_waitcnt vmcnt(28)
	;;#ASMSTART
	v_cvt_f32_f16 v38, v38;
	;;#ASMEND
	ds_read_u16 v39, v8 offset:8
	;; [unrolled: 10-line block ×27, first 2 shown]
	v_fmac_f32_e32 v33, v37, v27
	s_waitcnt lgkmcnt(0)
	;;#ASMSTART
	v_cvt_f32_f16 v38, v38;
	;;#ASMEND
	s_waitcnt vmcnt(2)
	;;#ASMSTART
	v_cvt_f32_f16 v26, v26;
	;;#ASMEND
	v_cndmask_b32_e64 v77, v15, v17, s[0:1]
	v_fmac_f32_e32 v33, v38, v26
	ds_read_u16 v39, v8 offset:60
	s_waitcnt lgkmcnt(0)
	;;#ASMSTART
	v_cvt_f32_f16 v29, v39;
	;;#ASMEND
	s_waitcnt vmcnt(1)
	;;#ASMSTART
	v_cvt_f32_f16 v25, v25;
	;;#ASMEND
	v_lshlrev_b32_e32 v77, 2, v77
	v_fmac_f32_e32 v33, v29, v25
	ds_read_u16 v30, v8 offset:62
	s_waitcnt lgkmcnt(0)
	;;#ASMSTART
	v_cvt_f32_f16 v25, v30;
	;;#ASMEND
	s_waitcnt vmcnt(0)
	;;#ASMSTART
	v_cvt_f32_f16 v24, v24;
	;;#ASMEND
	v_cmp_lt_i32_e64 s[0:1], v21, v16
	v_fmac_f32_e32 v33, v25, v24
	ds_bpermute_b32 v24, v77, v33
	v_cndmask_b32_e64 v25, v15, v21, s[0:1]
	v_lshlrev_b32_e32 v25, 2, v25
	v_cmp_lt_i32_e64 s[0:1], v22, v16
	s_waitcnt lgkmcnt(0)
	v_add_f32_e32 v24, v33, v24
	ds_bpermute_b32 v25, v25, v24
	v_cndmask_b32_e64 v26, v15, v22, s[0:1]
	s_waitcnt lgkmcnt(0)
	v_add_f32_e32 v24, v24, v25
	v_lshlrev_b32_e32 v25, 2, v26
	ds_bpermute_b32 v25, v25, v24
	s_and_saveexec_b64 s[38:39], vcc
	s_cbranch_execz .LBB62_12
; %bb.20:                               ;   in Loop: Header=BB62_14 Depth=1
	v_add_u32_e32 v26, v12, v11
	v_cvt_f32_i32_e32 v26, v26
	s_waitcnt lgkmcnt(0)
	v_add_f32_e32 v24, v24, v25
	v_add_u32_e32 v27, v7, v11
	v_cmp_gt_i32_e64 s[0:1], s33, v27
	v_mul_f32_e32 v25, s42, v26
	v_cndmask_b32_e64 v25, 0, v25, s[2:3]
	v_fmac_f32_e32 v25, s31, v24
	v_cndmask_b32_e64 v24, 0, v25, s[0:1]
	ds_write_b32 v13, v24
	v_max_f32_e32 v24, v9, v9
	v_max_f32_e32 v24, v24, v25
	v_cndmask_b32_e64 v9, v9, v24, s[0:1]
	s_branch .LBB62_12
.LBB62_21:
	s_or_b64 exec, exec, s[36:37]
.LBB62_22:
	s_or_b64 exec, exec, s[34:35]
	v_mbcnt_hi_u32_b32 v2, -1, v6
	v_and_b32_e32 v10, 64, v2
	v_add_u32_e32 v3, 64, v10
	v_xor_b32_e32 v4, 32, v2
	v_cmp_lt_i32_e32 vcc, v4, v3
	v_xor_b32_e32 v7, 16, v2
	v_max_f32_e32 v6, v9, v9
	v_cndmask_b32_e32 v4, v2, v4, vcc
	v_lshlrev_b32_e32 v5, 2, v4
	ds_bpermute_b32 v4, v5, v9
	v_cmp_lt_i32_e32 vcc, v7, v3
	v_xor_b32_e32 v8, 8, v2
	v_and_b32_e32 v21, 63, v0
	s_waitcnt lgkmcnt(0)
	v_max_f32_e32 v4, v4, v4
	v_max_f32_e32 v4, v6, v4
	v_cndmask_b32_e32 v6, v2, v7, vcc
	v_lshlrev_b32_e32 v7, 2, v6
	ds_bpermute_b32 v6, v7, v4
	v_cmp_lt_i32_e32 vcc, v8, v3
	s_waitcnt lgkmcnt(0)
	v_max_f32_e32 v6, v6, v6
	v_max_f32_e32 v6, v4, v6
	v_cndmask_b32_e32 v4, v2, v8, vcc
	v_lshlrev_b32_e32 v9, 2, v4
	ds_bpermute_b32 v8, v9, v6
	v_cmp_eq_u32_e32 vcc, 0, v21
	v_lshlrev_b32_e32 v4, 2, v19
	s_and_saveexec_b64 s[0:1], vcc
	s_cbranch_execz .LBB62_24
; %bb.23:
	s_waitcnt lgkmcnt(0)
	v_max_f32_e32 v8, v8, v8
	v_max_f32_e32 v6, v6, v6
	;; [unrolled: 1-line block ×3, first 2 shown]
	ds_write_b32 v4, v6 offset:512
.LBB62_24:
	s_or_b64 exec, exec, s[0:1]
	v_cmp_gt_u32_e64 s[0:1], 2, v21
	v_mov_b32_e32 v11, 0xff7fffff
	v_lshlrev_b32_e32 v6, 2, v21
	s_waitcnt lgkmcnt(0)
	s_barrier
	s_and_saveexec_b64 s[2:3], s[0:1]
; %bb.25:
	ds_read_b32 v11, v6 offset:512
; %bb.26:
	s_or_b64 exec, exec, s[2:3]
	v_xor_b32_e32 v8, 1, v2
	v_cmp_lt_i32_e64 s[2:3], v8, v3
	v_lshlrev_b32_e32 v10, 2, v10
	s_nop 0
	v_cndmask_b32_e64 v8, v2, v8, s[2:3]
	v_lshlrev_b32_e32 v8, 2, v8
	s_waitcnt lgkmcnt(0)
	ds_bpermute_b32 v12, v8, v11
	v_max_f32_e32 v11, v11, v11
	s_lshl_b32 s2, s16, 3
	s_min_i32 s15, s2, s33
	v_cmp_gt_i32_e64 s[2:3], s15, v0
	s_waitcnt lgkmcnt(0)
	v_max_f32_e32 v12, v12, v12
	v_max_f32_e32 v11, v11, v12
	ds_bpermute_b32 v11, v10, v11
	v_mov_b32_e32 v10, 0
	s_and_saveexec_b64 s[30:31], s[2:3]
	s_cbranch_execz .LBB62_30
; %bb.27:
	v_mov_b32_e32 v10, 0x210
	v_lshl_add_u32 v12, v0, 2, v10
	v_mov_b32_e32 v10, 0
	s_mov_b64 s[34:35], 0
	v_mov_b32_e32 v13, v0
.LBB62_28:                              ; =>This Inner Loop Header: Depth=1
	ds_read_b32 v14, v12
	v_add_u32_e32 v13, 0x80, v13
	v_cmp_le_i32_e64 s[8:9], s15, v13
	s_or_b64 s[34:35], s[8:9], s[34:35]
	s_waitcnt lgkmcnt(0)
	v_sub_f32_e32 v14, v14, v11
	v_mul_f32_e32 v14, 0x3fb8aa3b, v14
	v_exp_f32_e32 v14, v14
	ds_write_b32 v12, v14
	v_add_f32_e32 v10, v10, v14
	v_add_u32_e32 v12, 0x200, v12
	s_andn2_b64 exec, exec, s[34:35]
	s_cbranch_execnz .LBB62_28
; %bb.29:
	s_or_b64 exec, exec, s[34:35]
.LBB62_30:
	s_or_b64 exec, exec, s[30:31]
	ds_bpermute_b32 v5, v5, v10
	s_waitcnt lgkmcnt(0)
	v_add_f32_e32 v5, v10, v5
	ds_bpermute_b32 v7, v7, v5
	s_waitcnt lgkmcnt(0)
	v_add_f32_e32 v5, v5, v7
	ds_bpermute_b32 v7, v9, v5
	v_xor_b32_e32 v9, 4, v2
	v_cmp_lt_i32_e64 s[8:9], v9, v3
	s_waitcnt lgkmcnt(0)
	v_add_f32_e32 v5, v5, v7
	v_cndmask_b32_e64 v9, v2, v9, s[8:9]
	v_lshlrev_b32_e32 v9, 2, v9
	ds_bpermute_b32 v7, v9, v5
	v_xor_b32_e32 v9, 2, v2
	v_cmp_lt_i32_e64 s[8:9], v9, v3
	s_waitcnt lgkmcnt(0)
	v_add_f32_e32 v5, v5, v7
	v_cndmask_b32_e64 v3, v2, v9, s[8:9]
	v_lshlrev_b32_e32 v3, 2, v3
	ds_bpermute_b32 v3, v3, v5
	s_waitcnt lgkmcnt(0)
	v_add_f32_e32 v3, v5, v3
	ds_bpermute_b32 v5, v8, v3
	s_waitcnt lgkmcnt(0)
	v_add_f32_e32 v3, v3, v5
	s_and_saveexec_b64 s[8:9], vcc
; %bb.31:
	ds_write_b32 v4, v3 offset:520
; %bb.32:
	s_or_b64 exec, exec, s[8:9]
	s_waitcnt lgkmcnt(0)
	s_barrier
	s_and_saveexec_b64 s[8:9], s[0:1]
; %bb.33:
	ds_read_b32 v3, v6 offset:520
; %bb.34:
	s_or_b64 exec, exec, s[8:9]
	s_waitcnt lgkmcnt(0)
	ds_bpermute_b32 v4, v8, v3
	v_lshlrev_b32_e32 v2, 2, v2
	v_and_b32_e32 v2, 0x100, v2
	s_waitcnt lgkmcnt(0)
	v_add_f32_e32 v3, v3, v4
	ds_bpermute_b32 v2, v2, v3
	s_and_saveexec_b64 s[0:1], s[2:3]
	s_cbranch_execz .LBB62_47
; %bb.35:
	s_waitcnt lgkmcnt(0)
	v_add_f32_e32 v2, 0x358637bd, v2
	v_div_scale_f32 v3, s[2:3], v2, v2, 1.0
	v_rcp_f32_e32 v4, v3
	v_div_scale_f32 v5, vcc, 1.0, v2, 1.0
	s_movk_i32 s2, 0x7f
	v_fma_f32 v6, -v3, v4, 1.0
	v_fmac_f32_e32 v4, v6, v4
	v_mul_f32_e32 v6, v5, v4
	v_fma_f32 v7, -v3, v6, v5
	v_fmac_f32_e32 v6, v7, v4
	v_fma_f32 v3, -v3, v6, v5
	v_div_fmas_f32 v3, v3, v4, v6
	v_xad_u32 v4, v0, -1, s15
	v_div_fixup_f32 v2, v3, v2, 1.0
	v_cmp_lt_u32_e32 vcc, s2, v4
	s_mov_b64 s[8:9], -1
	v_mov_b32_e32 v3, v0
	s_and_saveexec_b64 s[2:3], vcc
	s_cbranch_execz .LBB62_44
; %bb.36:
	v_lshrrev_b32_e32 v4, 7, v4
	v_add_u32_e32 v6, -1, v4
	v_lshrrev_b32_e32 v5, 1, v6
	v_mov_b32_e32 v3, v2
	v_add_u32_e32 v5, 1, v5
	v_cmp_lt_u32_e32 vcc, 13, v6
	v_mov_b32_e32 v8, 0
	s_and_saveexec_b64 s[8:9], vcc
	s_cbranch_execz .LBB62_40
; %bb.37:
	v_mov_b32_e32 v7, 0x210
	v_and_b32_e32 v6, -8, v5
	v_lshl_add_u32 v7, v0, 2, v7
	s_mov_b32 s34, 0
	s_mov_b64 s[30:31], 0
.LBB62_38:                              ; =>This Inner Loop Header: Depth=1
	ds_read2st64_b32 v[8:9], v7 offset1:2
	ds_read2st64_b32 v[10:11], v7 offset0:4 offset1:6
	ds_read2st64_b32 v[12:13], v7 offset0:8 offset1:10
	;; [unrolled: 1-line block ×3, first 2 shown]
	v_add_u32_e32 v6, -8, v6
	s_waitcnt lgkmcnt(3)
	v_pk_mul_f32 v[8:9], v[2:3], v[8:9]
	s_waitcnt lgkmcnt(2)
	v_pk_mul_f32 v[10:11], v[2:3], v[10:11]
	ds_write2st64_b32 v7, v8, v9 offset1:2
	ds_write2st64_b32 v7, v10, v11 offset0:4 offset1:6
	ds_read2st64_b32 v[10:11], v7 offset0:16 offset1:18
	s_waitcnt lgkmcnt(4)
	v_pk_mul_f32 v[8:9], v[2:3], v[12:13]
	ds_write2st64_b32 v7, v8, v9 offset0:8 offset1:10
	s_waitcnt lgkmcnt(4)
	v_pk_mul_f32 v[8:9], v[2:3], v[14:15]
	ds_write2st64_b32 v7, v8, v9 offset0:12 offset1:14
	ds_read2st64_b32 v[8:9], v7 offset0:20 offset1:22
	s_waitcnt lgkmcnt(3)
	v_pk_mul_f32 v[10:11], v[2:3], v[10:11]
	ds_read2st64_b32 v[12:13], v7 offset0:24 offset1:26
	ds_write2st64_b32 v7, v10, v11 offset0:16 offset1:18
	ds_read2st64_b32 v[10:11], v7 offset0:28 offset1:30
	s_waitcnt lgkmcnt(3)
	v_pk_mul_f32 v[8:9], v[2:3], v[8:9]
	ds_write2st64_b32 v7, v8, v9 offset0:20 offset1:22
	s_waitcnt lgkmcnt(3)
	v_pk_mul_f32 v[8:9], v[2:3], v[12:13]
	ds_write2st64_b32 v7, v8, v9 offset0:24 offset1:26
	s_waitcnt lgkmcnt(2)
	v_pk_mul_f32 v[8:9], v[2:3], v[10:11]
	s_add_i32 s34, s34, 16
	v_cmp_eq_u32_e32 vcc, 0, v6
	ds_write2st64_b32 v7, v8, v9 offset0:28 offset1:30
	v_add_u32_e32 v7, 0x2000, v7
	s_or_b64 s[30:31], vcc, s[30:31]
	v_mov_b32_e32 v8, s34
	s_andn2_b64 exec, exec, s[30:31]
	s_cbranch_execnz .LBB62_38
; %bb.39:
	s_or_b64 exec, exec, s[30:31]
.LBB62_40:
	s_or_b64 exec, exec, s[8:9]
	v_and_b32_e32 v5, 7, v5
	v_cmp_ne_u32_e32 vcc, 0, v5
	s_and_saveexec_b64 s[8:9], vcc
	s_cbranch_execz .LBB62_43
; %bb.41:
	v_lshlrev_b32_e32 v6, 9, v8
	v_lshlrev_b32_e32 v7, 2, v0
	s_movk_i32 s30, 0x210
	v_add3_u32 v6, v6, v7, s30
	s_mov_b64 s[30:31], 0
.LBB62_42:                              ; =>This Inner Loop Header: Depth=1
	ds_read2st64_b32 v[8:9], v6 offset1:2
	v_add_u32_e32 v5, -1, v5
	v_cmp_eq_u32_e32 vcc, 0, v5
	s_or_b64 s[30:31], vcc, s[30:31]
	s_waitcnt lgkmcnt(0)
	v_pk_mul_f32 v[8:9], v[2:3], v[8:9]
	ds_write2st64_b32 v6, v8, v9 offset1:2
	v_add_u32_e32 v6, 0x400, v6
	s_andn2_b64 exec, exec, s[30:31]
	s_cbranch_execnz .LBB62_42
.LBB62_43:
	s_or_b64 exec, exec, s[8:9]
	v_add_u32_e32 v4, 1, v4
	v_and_b32_e32 v5, 0x3fffffe, v4
	v_cmp_ne_u32_e32 vcc, v4, v5
	v_lshl_add_u32 v3, v5, 7, v0
	s_orn2_b64 s[8:9], vcc, exec
.LBB62_44:
	s_or_b64 exec, exec, s[2:3]
	s_and_b64 exec, exec, s[8:9]
	s_cbranch_execz .LBB62_47
; %bb.45:
	v_mov_b32_e32 v4, 0x210
	v_lshl_add_u32 v4, v3, 2, v4
	s_mov_b64 s[2:3], 0
.LBB62_46:                              ; =>This Inner Loop Header: Depth=1
	ds_read_b32 v5, v4
	v_add_u32_e32 v3, 0x80, v3
	v_cmp_le_i32_e32 vcc, s15, v3
	s_or_b64 s[2:3], vcc, s[2:3]
	s_waitcnt lgkmcnt(0)
	v_mul_f32_e32 v5, v2, v5
	ds_write_b32 v4, v5
	v_add_u32_e32 v4, 0x200, v4
	s_andn2_b64 exec, exec, s[2:3]
	s_cbranch_execnz .LBB62_46
.LBB62_47:
	s_or_b64 exec, exec, s[0:1]
	v_mov_b32_e32 v7, 0
	v_mov_b32_e32 v6, 0
	;; [unrolled: 1-line block ×4, first 2 shown]
	s_waitcnt lgkmcnt(0)
	s_barrier
	s_and_saveexec_b64 s[2:3], s[6:7]
	s_cbranch_execz .LBB62_61
; %bb.48:
	s_ashr_i32 s15, s14, 31
	s_sub_i32 s17, s12, s17
	s_lshl_b64 s[0:1], s[14:15], 1
	s_add_u32 s0, s28, s0
	s_addc_u32 s1, s29, s1
	s_abs_i32 s14, s18
	v_cvt_f32_u32_e32 v2, s14
	v_lshlrev_b32_e32 v10, 4, v21
	v_mov_b32_e32 v11, 0
	v_lshl_add_u64 v[12:13], s[0:1], 0, v[10:11]
	v_rcp_iflag_f32_e32 v2, v2
	s_sub_i32 s0, 0, s14
	s_add_i32 s28, s16, -1
	v_and_b32_e32 v10, 60, v1
	v_mul_f32_e32 v2, 0x4f7ffffe, v2
	v_cvt_u32_f32_e32 v2, v2
	v_mov_b32_e32 v1, 0x210
	s_mov_b32 s15, s13
	s_mov_b32 s18, s33
	v_mul_lo_u32 v3, s0, v2
	s_lshl_b64 s[0:1], s[26:27], 2
	s_add_u32 s0, s24, s0
	v_mul_hi_u32 v3, v2, v3
	s_addc_u32 s1, s25, s1
	v_add_u32_e32 v22, v2, v3
	v_lshl_add_u64 v[14:15], s[0:1], 0, v[10:11]
	v_lshl_add_u32 v23, v19, 5, v1
	s_mov_b64 s[6:7], 0
	s_mov_b32 s24, 0xffff
	v_mov_b32_e32 v8, 0
	v_mov_b32_e32 v9, 0
	;; [unrolled: 1-line block ×4, first 2 shown]
	s_branch .LBB62_51
.LBB62_49:                              ;   in Loop: Header=BB62_51 Depth=1
	s_or_b64 exec, exec, s[12:13]
	v_lshlrev_b32_e32 v10, 16, v10
	v_lshlrev_b32_e32 v1, 16, v1
	v_and_or_b32 v2, v2, s24, v10
	v_and_or_b32 v1, v3, s24, v1
	v_lshlrev_b32_e32 v3, 16, v16
	v_and_or_b32 v3, v4, s24, v3
	;;#ASMSTART
	v_pk_mul_f16 v2, v32, v2;

	;;#ASMEND
	;;#ASMSTART
	v_pk_mul_f16 v1, v33, v1;

	;;#ASMEND
	;; [unrolled: 4-line block ×4, first 2 shown]
	v_add_f32_e32 v17, v39, v40
	;;#ASMSTART
	v_pk_add_f16 v1, v2, v1;

	;;#ASMEND
	v_add_f32_e32 v6, v6, v17
	;;#ASMSTART
	v_pk_add_f16 v1, v1, v3;

	;;#ASMEND
	;; [unrolled: 5-line block ×3, first 2 shown]
	v_add_f32_e32 v9, v9, v17
	v_lshrrev_b32_e32 v2, 16, v1
	v_and_b32_e32 v1, 0xffff, v1
	;;#ASMSTART
	v_cvt_f32_f16 v1, v1;
	;;#ASMEND
	v_add_f32_e32 v17, v35, v36
	;;#ASMSTART
	v_cvt_f32_f16 v2, v2;
	;;#ASMEND
	v_add_f32_e32 v8, v8, v17
	v_add_f32_e32 v1, v1, v2
	v_add_f32_e32 v7, v7, v1
.LBB62_50:                              ;   in Loop: Header=BB62_51 Depth=1
	s_or_b64 exec, exec, s[8:9]
	v_add_u32_e32 v19, 2, v19
	v_cmp_le_i32_e32 vcc, s16, v19
	v_lshl_add_u64 v[14:15], v[14:15], 0, 8
	v_add_u32_e32 v20, 16, v20
	s_or_b64 s[6:7], vcc, s[6:7]
	v_add_u32_e32 v23, 64, v23
	s_andn2_b64 exec, exec, s[6:7]
	s_cbranch_execz .LBB62_60
.LBB62_51:                              ; =>This Inner Loop Header: Depth=1
	v_mul_hi_u32 v1, v20, s40
	v_mul_lo_u32 v2, v1, s21
	v_sub_u32_e32 v2, v20, v2
	v_add_u32_e32 v3, 1, v1
	v_cmp_le_u32_e32 vcc, s21, v2
	s_nop 1
	v_cndmask_b32_e32 v1, v1, v3, vcc
	v_subrev_u32_e32 v3, s21, v2
	v_cndmask_b32_e32 v2, v2, v3, vcc
	v_add_u32_e32 v3, 1, v1
	v_cmp_le_u32_e32 vcc, s21, v2
	s_nop 1
	v_cndmask_b32_e32 v1, v1, v3, vcc
	v_xor_b32_e32 v1, s19, v1
	v_subrev_u32_e32 v1, s19, v1
	v_add_u32_e32 v2, s41, v1
	v_sub_u32_e32 v4, 0, v2
	v_ashrrev_i32_e32 v3, 31, v2
	v_max_i32_e32 v2, v2, v4
	v_mul_hi_u32 v4, v2, v22
	v_mul_lo_u32 v4, v4, s14
	v_sub_u32_e32 v2, v2, v4
	v_subrev_u32_e32 v4, s14, v2
	v_cmp_le_u32_e32 vcc, s14, v2
	v_cmp_lt_i32_e64 s[0:1], s17, v1
	s_nop 0
	v_cndmask_b32_e32 v2, v2, v4, vcc
	v_subrev_u32_e32 v4, s14, v2
	v_cmp_le_u32_e32 vcc, s14, v2
	s_nop 1
	v_cndmask_b32_e32 v2, v2, v4, vcc
	v_xor_b32_e32 v2, v2, v3
	v_sub_u32_e32 v2, v2, v3
	v_cmp_eq_u32_e32 vcc, 0, v2
	s_or_b64 s[0:1], vcc, s[0:1]
	s_and_saveexec_b64 s[8:9], s[0:1]
	s_cbranch_execz .LBB62_50
; %bb.52:                               ;   in Loop: Header=BB62_51 Depth=1
	global_load_dword v1, v[14:15], off
	ds_read2_b64 v[2:5], v23 offset1:1
	ds_read2_b64 v[24:27], v23 offset0:2 offset1:3
	v_add_u32_e32 v28, 2, v20
	v_or_b32_e32 v29, 3, v20
	s_waitcnt lgkmcnt(1)
	;;#ASMSTART
	v_cvt_f16_f32 v31, v2;

	;;#ASMEND
	;;#ASMSTART
	v_cvt_f16_f32 v32, v3;

	;;#ASMEND
	;; [unrolled: 4-line block ×4, first 2 shown]
	s_waitcnt lgkmcnt(0)
	;;#ASMSTART
	v_cvt_f16_f32 v35, v24;

	;;#ASMEND
	;;#ASMSTART
	v_cvt_f16_f32 v36, v25;

	;;#ASMEND
	;; [unrolled: 4-line block ×4, first 2 shown]
	v_add_u32_e32 v27, 4, v20
	v_add_u32_e32 v26, 5, v20
	;; [unrolled: 1-line block ×4, first 2 shown]
	v_or_b32_e32 v30, 1, v20
	s_waitcnt vmcnt(0)
	v_mad_i64_i32 v[2:3], s[0:1], v1, s15, 0
	v_lshl_add_u64 v[16:17], v[2:3], 1, v[12:13]
	global_load_dwordx4 v[2:5], v[16:17], off
	v_cmp_eq_u32_e64 s[0:1], s28, v19
	s_waitcnt vmcnt(0)
	v_lshrrev_b32_e32 v1, 16, v3
	v_lshrrev_b32_e32 v10, 16, v2
	;; [unrolled: 1-line block ×3, first 2 shown]
	s_and_saveexec_b64 s[12:13], s[0:1]
	s_cbranch_execz .LBB62_54
; %bb.53:                               ;   in Loop: Header=BB62_51 Depth=1
	v_cmp_gt_i32_e32 vcc, s33, v20
	s_nop 1
	v_cndmask_b32_e32 v2, 0, v2, vcc
	v_cmp_gt_i32_e32 vcc, s33, v28
	s_nop 1
	v_cndmask_b32_e32 v3, 0, v3, vcc
	;; [unrolled: 3-line block ×6, first 2 shown]
	v_cmp_gt_i32_e32 vcc, s33, v25
	s_nop 1
	v_cndmask_b32_sdwa v40, v11, v5, vcc dst_sel:DWORD dst_unused:UNUSED_PAD src0_sel:DWORD src1_sel:WORD_0
	v_and_b32_e32 v5, 0xffff0000, v5
	v_cmp_gt_i32_e32 vcc, s33, v24
	s_nop 1
	v_cndmask_b32_e32 v5, 0, v5, vcc
	v_or_b32_e32 v5, v40, v5
.LBB62_54:                              ;   in Loop: Header=BB62_51 Depth=1
	s_or_b64 exec, exec, s[12:13]
	v_and_b32_e32 v31, 0xffff, v31
	v_lshl_or_b32 v32, v32, 16, v31
	v_and_b32_e32 v31, 0xffff, v33
	v_lshlrev_b32_e32 v10, 16, v10
	v_lshlrev_b32_e32 v1, 16, v1
	v_lshl_or_b32 v33, v34, 16, v31
	v_and_b32_e32 v31, 0xffff, v35
	v_and_or_b32 v2, v2, s24, v10
	v_and_or_b32 v1, v3, s24, v1
	v_lshlrev_b32_e32 v3, 16, v39
	v_lshl_or_b32 v34, v36, 16, v31
	v_and_b32_e32 v31, 0xffff, v37
	v_and_or_b32 v3, v4, s24, v3
	;;#ASMSTART
	v_pk_mul_f16 v2, v32, v2;

	;;#ASMEND
	;;#ASMSTART
	v_pk_mul_f16 v1, v33, v1;

	;;#ASMEND
	v_lshl_or_b32 v31, v38, 16, v31
	;;#ASMSTART
	v_pk_mul_f16 v3, v34, v3;

	;;#ASMEND
	;;#ASMSTART
	v_pk_mul_f16 v4, v31, v5;

	;;#ASMEND
	;;#ASMSTART
	v_pk_add_f16 v1, v2, v1;

	;;#ASMEND
	s_nop 0
	;;#ASMSTART
	v_pk_add_f16 v1, v1, v3;

	;;#ASMEND
	s_nop 0
	;; [unrolled: 5-line block ×3, first 2 shown]
	v_lshrrev_b32_e32 v2, 16, v1
	v_and_b32_e32 v1, 0xffff, v1
	;;#ASMSTART
	v_cvt_f32_f16 v35, v1;
	;;#ASMEND
	;;#ASMSTART
	v_cvt_f32_f16 v36, v2;
	;;#ASMEND
	global_load_dwordx4 v[2:5], v[16:17], off offset:1024
	s_waitcnt vmcnt(0)
	v_lshrrev_b32_e32 v1, 16, v3
	v_lshrrev_b32_e32 v10, 16, v2
	;; [unrolled: 1-line block ×3, first 2 shown]
	s_and_saveexec_b64 s[12:13], s[0:1]
	s_cbranch_execz .LBB62_56
; %bb.55:                               ;   in Loop: Header=BB62_51 Depth=1
	v_cmp_gt_i32_e32 vcc, s33, v20
	s_nop 1
	v_cndmask_b32_e32 v2, 0, v2, vcc
	v_cmp_gt_i32_e32 vcc, s33, v28
	s_nop 1
	v_cndmask_b32_e32 v3, 0, v3, vcc
	;; [unrolled: 3-line block ×6, first 2 shown]
	v_cmp_gt_i32_e32 vcc, s33, v25
	s_nop 1
	v_cndmask_b32_sdwa v38, v11, v5, vcc dst_sel:DWORD dst_unused:UNUSED_PAD src0_sel:DWORD src1_sel:WORD_0
	v_and_b32_e32 v5, 0xffff0000, v5
	v_cmp_gt_i32_e32 vcc, s33, v24
	s_nop 1
	v_cndmask_b32_e32 v5, 0, v5, vcc
	v_or_b32_e32 v5, v38, v5
.LBB62_56:                              ;   in Loop: Header=BB62_51 Depth=1
	s_or_b64 exec, exec, s[12:13]
	v_lshlrev_b32_e32 v10, 16, v10
	v_lshlrev_b32_e32 v1, 16, v1
	v_and_or_b32 v2, v2, s24, v10
	v_and_or_b32 v1, v3, s24, v1
	v_lshlrev_b32_e32 v3, 16, v37
	v_and_or_b32 v3, v4, s24, v3
	;;#ASMSTART
	v_pk_mul_f16 v2, v32, v2;

	;;#ASMEND
	;;#ASMSTART
	v_pk_mul_f16 v1, v33, v1;

	;;#ASMEND
	;;#ASMSTART
	v_pk_mul_f16 v3, v34, v3;

	;;#ASMEND
	;;#ASMSTART
	v_pk_mul_f16 v4, v31, v5;

	;;#ASMEND
	s_nop 0
	;;#ASMSTART
	v_pk_add_f16 v1, v2, v1;

	;;#ASMEND
	s_nop 0
	;;#ASMSTART
	v_pk_add_f16 v1, v1, v3;

	;;#ASMEND
	;; [unrolled: 5-line block ×3, first 2 shown]
	s_nop 0
	v_lshrrev_b32_e32 v2, 16, v1
	v_and_b32_e32 v1, 0xffff, v1
	;;#ASMSTART
	v_cvt_f32_f16 v37, v1;
	;;#ASMEND
	;;#ASMSTART
	v_cvt_f32_f16 v38, v2;
	;;#ASMEND
	global_load_dwordx4 v[2:5], v[16:17], off offset:2048
	s_waitcnt vmcnt(0)
	v_lshrrev_b32_e32 v1, 16, v3
	v_lshrrev_b32_e32 v10, 16, v2
	;; [unrolled: 1-line block ×3, first 2 shown]
	s_and_saveexec_b64 s[12:13], s[0:1]
	s_cbranch_execz .LBB62_58
; %bb.57:                               ;   in Loop: Header=BB62_51 Depth=1
	v_cmp_gt_i32_e32 vcc, s33, v20
	s_nop 1
	v_cndmask_b32_e32 v2, 0, v2, vcc
	v_cmp_gt_i32_e32 vcc, s33, v28
	s_nop 1
	v_cndmask_b32_e32 v3, 0, v3, vcc
	;; [unrolled: 3-line block ×6, first 2 shown]
	v_cmp_gt_i32_e32 vcc, s33, v25
	s_nop 1
	v_cndmask_b32_sdwa v40, v11, v5, vcc dst_sel:DWORD dst_unused:UNUSED_PAD src0_sel:DWORD src1_sel:WORD_0
	v_and_b32_e32 v5, 0xffff0000, v5
	v_cmp_gt_i32_e32 vcc, s33, v24
	s_nop 1
	v_cndmask_b32_e32 v5, 0, v5, vcc
	v_or_b32_e32 v5, v40, v5
.LBB62_58:                              ;   in Loop: Header=BB62_51 Depth=1
	s_or_b64 exec, exec, s[12:13]
	v_lshlrev_b32_e32 v10, 16, v10
	v_lshlrev_b32_e32 v1, 16, v1
	v_and_or_b32 v2, v2, s24, v10
	v_and_or_b32 v1, v3, s24, v1
	v_lshlrev_b32_e32 v3, 16, v39
	v_and_or_b32 v3, v4, s24, v3
	;;#ASMSTART
	v_pk_mul_f16 v2, v32, v2;

	;;#ASMEND
	;;#ASMSTART
	v_pk_mul_f16 v1, v33, v1;

	;;#ASMEND
	;; [unrolled: 4-line block ×4, first 2 shown]
	s_nop 0
	;;#ASMSTART
	v_pk_add_f16 v1, v2, v1;

	;;#ASMEND
	s_nop 0
	;;#ASMSTART
	v_pk_add_f16 v1, v1, v3;

	;;#ASMEND
	;; [unrolled: 5-line block ×3, first 2 shown]
	s_nop 0
	v_lshrrev_b32_e32 v2, 16, v1
	v_and_b32_e32 v1, 0xffff, v1
	;;#ASMSTART
	v_cvt_f32_f16 v39, v1;
	;;#ASMEND
	;;#ASMSTART
	v_cvt_f32_f16 v40, v2;
	;;#ASMEND
	global_load_dwordx4 v[2:5], v[16:17], off offset:3072
	s_waitcnt vmcnt(0)
	v_lshrrev_b32_e32 v1, 16, v3
	v_lshrrev_b32_e32 v10, 16, v2
	v_lshrrev_b32_e32 v16, 16, v4
	s_and_saveexec_b64 s[12:13], s[0:1]
	s_cbranch_execz .LBB62_49
; %bb.59:                               ;   in Loop: Header=BB62_51 Depth=1
	v_cmp_gt_i32_e32 vcc, s33, v20
	s_nop 1
	v_cndmask_b32_e32 v2, 0, v2, vcc
	v_cmp_gt_i32_e32 vcc, s33, v28
	s_nop 1
	v_cndmask_b32_e32 v3, 0, v3, vcc
	;; [unrolled: 3-line block ×6, first 2 shown]
	v_cmp_gt_i32_e32 vcc, s33, v25
	s_nop 1
	v_cndmask_b32_sdwa v17, v11, v5, vcc dst_sel:DWORD dst_unused:UNUSED_PAD src0_sel:DWORD src1_sel:WORD_0
	v_and_b32_e32 v5, 0xffff0000, v5
	v_cmp_gt_i32_e32 vcc, s33, v24
	s_nop 1
	v_cndmask_b32_e32 v5, 0, v5, vcc
	v_or_b32_e32 v5, v17, v5
	s_branch .LBB62_49
.LBB62_60:
	s_or_b64 exec, exec, s[6:7]
.LBB62_61:
	s_or_b64 exec, exec, s[2:3]
	v_and_b32_e32 v1, 0x3c0, v0
	v_cmp_eq_u32_e32 vcc, 64, v1
	s_barrier
	s_and_saveexec_b64 s[0:1], vcc
	s_cbranch_execz .LBB62_63
; %bb.62:
	v_mov_b32_e32 v1, 0x210
	v_lshl_add_u32 v1, v21, 2, v1
	ds_write2st64_b32 v1, v8, v9 offset1:1
	ds_write2st64_b32 v1, v6, v7 offset0:2 offset1:3
.LBB62_63:
	s_or_b64 exec, exec, s[0:1]
	v_cmp_gt_u32_e32 vcc, 64, v0
	s_waitcnt lgkmcnt(0)
	s_barrier
	s_and_saveexec_b64 s[0:1], vcc
	s_cbranch_execz .LBB62_65
; %bb.64:
	v_mov_b32_e32 v1, 0x210
	v_lshl_add_u32 v2, v0, 2, v1
	ds_read2st64_b32 v[0:1], v2 offset1:1
	ds_read2st64_b32 v[2:3], v2 offset0:2 offset1:3
	s_waitcnt lgkmcnt(1)
	v_pk_add_f32 v[8:9], v[8:9], v[0:1]
	s_waitcnt lgkmcnt(0)
	v_pk_add_f32 v[6:7], v[6:7], v[2:3]
.LBB62_65:
	s_or_b64 exec, exec, s[0:1]
	s_barrier
	s_and_saveexec_b64 s[0:1], vcc
	s_cbranch_execz .LBB62_67
; %bb.66:
	s_mul_i32 s0, s10, s11
	s_mul_i32 s0, s0, s5
	s_lshl_b32 s0, s0, 8
	s_ashr_i32 s1, s0, 31
	s_lshl_b64 s[0:1], s[0:1], 1
	s_add_u32 s2, s22, s0
	s_mul_i32 s0, s11, s20
	s_addc_u32 s3, s23, s1
	s_ashr_i32 s1, s0, 31
	s_lshl_b64 s[0:1], s[0:1], 1
	s_add_u32 s2, s2, s0
	s_addc_u32 s3, s3, s1
	s_lshl_b32 s0, s4, 8
	s_ashr_i32 s1, s0, 31
	s_lshl_b64 s[0:1], s[0:1], 1
	s_add_u32 s0, s2, s0
	s_addc_u32 s1, s3, s1
	;;#ASMSTART
	v_cvt_f16_f32 v0, v8;

	;;#ASMEND
	global_store_short v18, v0, s[0:1]
	;;#ASMSTART
	v_cvt_f16_f32 v0, v9;

	;;#ASMEND
	global_store_short v18, v0, s[0:1] offset:128
	;;#ASMSTART
	v_cvt_f16_f32 v0, v6;

	;;#ASMEND
	global_store_short v18, v0, s[0:1] offset:256
	;; [unrolled: 5-line block ×3, first 2 shown]
.LBB62_67:
	s_endpgm
	.section	.rodata,"a",@progbits
	.p2align	6, 0x0
	.amdhsa_kernel _ZN4vllm25paged_attention_v1_kernelIttLi256ELi8ELi128ELNS_18Fp8KVCacheDataTypeE0ELb1EEEvPT_PKS2_PKT0_S8_ifPKiSA_iPKfiiiSC_SC_iiiii
		.amdhsa_group_segment_fixed_size 528
		.amdhsa_private_segment_fixed_size 0
		.amdhsa_kernarg_size 384
		.amdhsa_user_sgpr_count 2
		.amdhsa_user_sgpr_dispatch_ptr 0
		.amdhsa_user_sgpr_queue_ptr 0
		.amdhsa_user_sgpr_kernarg_segment_ptr 1
		.amdhsa_user_sgpr_dispatch_id 0
		.amdhsa_user_sgpr_kernarg_preload_length 0
		.amdhsa_user_sgpr_kernarg_preload_offset 0
		.amdhsa_user_sgpr_private_segment_size 0
		.amdhsa_uses_dynamic_stack 0
		.amdhsa_enable_private_segment 0
		.amdhsa_system_sgpr_workgroup_id_x 1
		.amdhsa_system_sgpr_workgroup_id_y 1
		.amdhsa_system_sgpr_workgroup_id_z 1
		.amdhsa_system_sgpr_workgroup_info 0
		.amdhsa_system_vgpr_workitem_id 0
		.amdhsa_next_free_vgpr 82
		.amdhsa_next_free_sgpr 44
		.amdhsa_accum_offset 84
		.amdhsa_reserve_vcc 1
		.amdhsa_float_round_mode_32 0
		.amdhsa_float_round_mode_16_64 0
		.amdhsa_float_denorm_mode_32 3
		.amdhsa_float_denorm_mode_16_64 3
		.amdhsa_dx10_clamp 1
		.amdhsa_ieee_mode 1
		.amdhsa_fp16_overflow 0
		.amdhsa_tg_split 0
		.amdhsa_exception_fp_ieee_invalid_op 0
		.amdhsa_exception_fp_denorm_src 0
		.amdhsa_exception_fp_ieee_div_zero 0
		.amdhsa_exception_fp_ieee_overflow 0
		.amdhsa_exception_fp_ieee_underflow 0
		.amdhsa_exception_fp_ieee_inexact 0
		.amdhsa_exception_int_div_zero 0
	.end_amdhsa_kernel
	.section	.text._ZN4vllm25paged_attention_v1_kernelIttLi256ELi8ELi128ELNS_18Fp8KVCacheDataTypeE0ELb1EEEvPT_PKS2_PKT0_S8_ifPKiSA_iPKfiiiSC_SC_iiiii,"axG",@progbits,_ZN4vllm25paged_attention_v1_kernelIttLi256ELi8ELi128ELNS_18Fp8KVCacheDataTypeE0ELb1EEEvPT_PKS2_PKT0_S8_ifPKiSA_iPKfiiiSC_SC_iiiii,comdat
.Lfunc_end62:
	.size	_ZN4vllm25paged_attention_v1_kernelIttLi256ELi8ELi128ELNS_18Fp8KVCacheDataTypeE0ELb1EEEvPT_PKS2_PKT0_S8_ifPKiSA_iPKfiiiSC_SC_iiiii, .Lfunc_end62-_ZN4vllm25paged_attention_v1_kernelIttLi256ELi8ELi128ELNS_18Fp8KVCacheDataTypeE0ELb1EEEvPT_PKS2_PKT0_S8_ifPKiSA_iPKfiiiSC_SC_iiiii
                                        ; -- End function
	.set _ZN4vllm25paged_attention_v1_kernelIttLi256ELi8ELi128ELNS_18Fp8KVCacheDataTypeE0ELb1EEEvPT_PKS2_PKT0_S8_ifPKiSA_iPKfiiiSC_SC_iiiii.num_vgpr, 82
	.set _ZN4vllm25paged_attention_v1_kernelIttLi256ELi8ELi128ELNS_18Fp8KVCacheDataTypeE0ELb1EEEvPT_PKS2_PKT0_S8_ifPKiSA_iPKfiiiSC_SC_iiiii.num_agpr, 0
	.set _ZN4vllm25paged_attention_v1_kernelIttLi256ELi8ELi128ELNS_18Fp8KVCacheDataTypeE0ELb1EEEvPT_PKS2_PKT0_S8_ifPKiSA_iPKfiiiSC_SC_iiiii.numbered_sgpr, 44
	.set _ZN4vllm25paged_attention_v1_kernelIttLi256ELi8ELi128ELNS_18Fp8KVCacheDataTypeE0ELb1EEEvPT_PKS2_PKT0_S8_ifPKiSA_iPKfiiiSC_SC_iiiii.num_named_barrier, 0
	.set _ZN4vllm25paged_attention_v1_kernelIttLi256ELi8ELi128ELNS_18Fp8KVCacheDataTypeE0ELb1EEEvPT_PKS2_PKT0_S8_ifPKiSA_iPKfiiiSC_SC_iiiii.private_seg_size, 0
	.set _ZN4vllm25paged_attention_v1_kernelIttLi256ELi8ELi128ELNS_18Fp8KVCacheDataTypeE0ELb1EEEvPT_PKS2_PKT0_S8_ifPKiSA_iPKfiiiSC_SC_iiiii.uses_vcc, 1
	.set _ZN4vllm25paged_attention_v1_kernelIttLi256ELi8ELi128ELNS_18Fp8KVCacheDataTypeE0ELb1EEEvPT_PKS2_PKT0_S8_ifPKiSA_iPKfiiiSC_SC_iiiii.uses_flat_scratch, 0
	.set _ZN4vllm25paged_attention_v1_kernelIttLi256ELi8ELi128ELNS_18Fp8KVCacheDataTypeE0ELb1EEEvPT_PKS2_PKT0_S8_ifPKiSA_iPKfiiiSC_SC_iiiii.has_dyn_sized_stack, 0
	.set _ZN4vllm25paged_attention_v1_kernelIttLi256ELi8ELi128ELNS_18Fp8KVCacheDataTypeE0ELb1EEEvPT_PKS2_PKT0_S8_ifPKiSA_iPKfiiiSC_SC_iiiii.has_recursion, 0
	.set _ZN4vllm25paged_attention_v1_kernelIttLi256ELi8ELi128ELNS_18Fp8KVCacheDataTypeE0ELb1EEEvPT_PKS2_PKT0_S8_ifPKiSA_iPKfiiiSC_SC_iiiii.has_indirect_call, 0
	.section	.AMDGPU.csdata,"",@progbits
; Kernel info:
; codeLenInByte = 7288
; TotalNumSgprs: 50
; NumVgprs: 82
; NumAgprs: 0
; TotalNumVgprs: 82
; ScratchSize: 0
; MemoryBound: 0
; FloatMode: 240
; IeeeMode: 1
; LDSByteSize: 528 bytes/workgroup (compile time only)
; SGPRBlocks: 6
; VGPRBlocks: 10
; NumSGPRsForWavesPerEU: 50
; NumVGPRsForWavesPerEU: 82
; AccumOffset: 84
; Occupancy: 5
; WaveLimiterHint : 1
; COMPUTE_PGM_RSRC2:SCRATCH_EN: 0
; COMPUTE_PGM_RSRC2:USER_SGPR: 2
; COMPUTE_PGM_RSRC2:TRAP_HANDLER: 0
; COMPUTE_PGM_RSRC2:TGID_X_EN: 1
; COMPUTE_PGM_RSRC2:TGID_Y_EN: 1
; COMPUTE_PGM_RSRC2:TGID_Z_EN: 1
; COMPUTE_PGM_RSRC2:TIDIG_COMP_CNT: 0
; COMPUTE_PGM_RSRC3_GFX90A:ACCUM_OFFSET: 20
; COMPUTE_PGM_RSRC3_GFX90A:TG_SPLIT: 0
	.section	.text._ZN4vllm25paged_attention_v1_kernelIttLi32ELi8ELi128ELNS_18Fp8KVCacheDataTypeE0ELb0EEEvPT_PKS2_PKT0_S8_ifPKiSA_iPKfiiiSC_SC_iiiii,"axG",@progbits,_ZN4vllm25paged_attention_v1_kernelIttLi32ELi8ELi128ELNS_18Fp8KVCacheDataTypeE0ELb0EEEvPT_PKS2_PKT0_S8_ifPKiSA_iPKfiiiSC_SC_iiiii,comdat
	.protected	_ZN4vllm25paged_attention_v1_kernelIttLi32ELi8ELi128ELNS_18Fp8KVCacheDataTypeE0ELb0EEEvPT_PKS2_PKT0_S8_ifPKiSA_iPKfiiiSC_SC_iiiii ; -- Begin function _ZN4vllm25paged_attention_v1_kernelIttLi32ELi8ELi128ELNS_18Fp8KVCacheDataTypeE0ELb0EEEvPT_PKS2_PKT0_S8_ifPKiSA_iPKfiiiSC_SC_iiiii
	.globl	_ZN4vllm25paged_attention_v1_kernelIttLi32ELi8ELi128ELNS_18Fp8KVCacheDataTypeE0ELb0EEEvPT_PKS2_PKT0_S8_ifPKiSA_iPKfiiiSC_SC_iiiii
	.p2align	8
	.type	_ZN4vllm25paged_attention_v1_kernelIttLi32ELi8ELi128ELNS_18Fp8KVCacheDataTypeE0ELb0EEEvPT_PKS2_PKT0_S8_ifPKiSA_iPKfiiiSC_SC_iiiii,@function
_ZN4vllm25paged_attention_v1_kernelIttLi32ELi8ELi128ELNS_18Fp8KVCacheDataTypeE0ELb0EEEvPT_PKS2_PKT0_S8_ifPKiSA_iPKfiiiSC_SC_iiiii: ; @_ZN4vllm25paged_attention_v1_kernelIttLi32ELi8ELi128ELNS_18Fp8KVCacheDataTypeE0ELb0EEEvPT_PKS2_PKT0_S8_ifPKiSA_iPKfiiiSC_SC_iiiii
; %bb.0:
	s_load_dword s5, s[0:1], 0x80
	s_load_dwordx2 s[6:7], s[0:1], 0x30
	s_load_dwordx2 s[8:9], s[0:1], 0x20
	s_mov_b32 s10, s3
	s_ashr_i32 s11, s3, 31
	s_lshl_b64 s[12:13], s[10:11], 2
	s_waitcnt lgkmcnt(0)
	s_add_u32 s6, s6, s12
	s_addc_u32 s7, s7, s13
	s_abs_i32 s3, s8
	v_cvt_f32_u32_e32 v1, s3
	s_sub_i32 s12, 0, s3
	s_abs_i32 s11, s5
	s_xor_b32 s8, s5, s8
	v_rcp_iflag_f32_e32 v1, v1
	s_ashr_i32 s8, s8, 31
	v_mul_f32_e32 v1, 0x4f7ffffe, v1
	v_cvt_u32_f32_e32 v1, v1
	s_nop 0
	v_readfirstlane_b32 s13, v1
	s_mul_i32 s12, s12, s13
	s_mul_hi_u32 s12, s13, s12
	s_add_i32 s13, s13, s12
	s_mul_hi_u32 s12, s11, s13
	s_mul_i32 s13, s12, s3
	s_sub_i32 s11, s11, s13
	s_add_i32 s13, s12, 1
	s_sub_i32 s14, s11, s3
	s_cmp_ge_u32 s11, s3
	s_cselect_b32 s12, s13, s12
	s_cselect_b32 s11, s14, s11
	s_add_i32 s13, s12, 1
	s_cmp_ge_u32 s11, s3
	s_cselect_b32 s3, s13, s12
	s_xor_b32 s3, s3, s8
	s_sub_i32 s16, s3, s8
	s_abs_i32 s18, s16
	v_cvt_f32_u32_e32 v1, s18
	s_load_dwordx2 s[12:13], s[0:1], 0x40
	s_sub_i32 s3, 0, s18
	s_abs_i32 s19, s2
	v_rcp_iflag_f32_e32 v1, v1
	s_mov_b32 s8, 0
	v_mul_f32_e32 v1, 0x4f7ffffe, v1
	v_cvt_u32_f32_e32 v1, v1
	s_nop 0
	v_readfirstlane_b32 s11, v1
	s_mul_i32 s3, s3, s11
	s_mul_hi_u32 s3, s11, s3
	s_add_i32 s11, s11, s3
	s_waitcnt lgkmcnt(0)
	s_cmp_eq_u64 s[12:13], 0
	s_mul_hi_u32 s22, s19, s11
	s_cbranch_scc1 .LBB63_2
; %bb.1:
	s_ashr_i32 s3, s2, 31
	s_lshl_b64 s[14:15], s[2:3], 2
	s_add_u32 s12, s12, s14
	s_addc_u32 s13, s13, s15
	s_load_dword s8, s[12:13], 0x0
.LBB63_2:
	s_load_dword s11, s[6:7], 0x0
	s_nop 0
	s_load_dwordx4 s[12:15], s[0:1], 0x48
	s_ashr_i32 s6, s2, 31
	s_ashr_i32 s7, s16, 31
	v_and_b32_e32 v4, 7, v0
	s_lshl_b32 s16, s2, 5
	v_cmp_gt_u32_e32 vcc, 32, v0
	s_and_saveexec_b64 s[2:3], vcc
	s_cbranch_execz .LBB63_4
; %bb.3:
	s_load_dwordx2 s[20:21], s[0:1], 0x8
	s_waitcnt lgkmcnt(0)
	s_mul_i32 s24, s12, s10
	s_ashr_i32 s25, s24, 31
	s_lshl_b64 s[24:25], s[24:25], 1
	v_lshlrev_b32_e32 v1, 1, v0
	s_add_u32 s12, s20, s24
	s_addc_u32 s15, s21, s25
	s_ashr_i32 s17, s16, 31
	s_lshl_b64 s[20:21], s[16:17], 1
	s_add_u32 s20, s12, s20
	s_addc_u32 s21, s15, s21
	global_load_ushort v1, v1, s[20:21]
	v_lshrrev_b32_e32 v2, 2, v0
	v_and_b32_e32 v2, 0xfe, v2
	v_lshl_add_u32 v2, v4, 3, v2
	s_waitcnt vmcnt(0)
	ds_write_b16 v2, v1
.LBB63_4:
	s_or_b64 exec, exec, s[2:3]
	s_waitcnt lgkmcnt(0)
	s_add_i32 s3, s11, 7
	s_ashr_i32 s12, s3, 31
	s_lshr_b32 s12, s12, 29
	s_add_i32 s3, s3, s12
	s_ashr_i32 s33, s3, 3
	s_xor_b32 s3, s6, s7
	s_mul_i32 s6, s22, s18
	s_sub_i32 s6, s19, s6
	s_add_i32 s7, s22, 1
	s_sub_i32 s12, s6, s18
	s_load_dwordx2 s[20:21], s[0:1], 0x28
	s_load_dword s2, s[0:1], 0x38
	s_cmp_ge_u32 s6, s18
	s_cselect_b32 s7, s7, s22
	s_cselect_b32 s6, s12, s6
	s_add_i32 s12, s7, 1
	s_cmp_ge_u32 s6, s18
	s_cselect_b32 s6, s12, s7
	v_lshrrev_b32_e32 v12, 6, v0
	s_xor_b32 s6, s6, s3
	s_waitcnt lgkmcnt(0)
	s_mul_i32 s22, s2, s10
	s_sub_i32 s12, s6, s3
	s_ashr_i32 s23, s22, 31
	v_cmp_gt_i32_e64 s[2:3], s33, v12
	v_cmp_le_i32_e32 vcc, s33, v12
	v_mbcnt_lo_u32_b32 v14, -1, 0
	s_barrier
                                        ; implicit-def: $vgpr6
                                        ; implicit-def: $vgpr8
                                        ; implicit-def: $vgpr7
	s_and_saveexec_b64 s[6:7], vcc
	s_xor_b64 s[6:7], exec, s[6:7]
; %bb.5:
	v_mbcnt_hi_u32_b32 v6, -1, v14
	v_and_b32_e32 v8, 64, v6
	v_add_u32_e32 v7, 64, v8
                                        ; implicit-def: $vgpr4
                                        ; implicit-def: $vgpr14
; %bb.6:
	s_or_saveexec_b64 s[26:27], s[6:7]
	s_load_dwordx2 s[18:19], s[0:1], 0x0
	s_load_dwordx2 s[24:25], s[0:1], 0x18
	s_load_dword s17, s[0:1], 0x88
	v_mov_b32_e32 v9, 0xff7fffff
	s_mul_i32 s14, s12, s14
	v_lshrrev_b32_e32 v1, 4, v0
	s_xor_b64 exec, exec, s[26:27]
	s_cbranch_execz .LBB63_12
; %bb.7:
	s_load_dwordx2 s[0:1], s[0:1], 0x10
	s_ashr_i32 s15, s14, 31
	s_lshl_b64 s[6:7], s[14:15], 1
	v_bfe_u32 v5, v0, 3, 3
	v_lshlrev_b32_e32 v6, 4, v5
	s_waitcnt lgkmcnt(0)
	s_add_u32 s0, s0, s6
	s_addc_u32 s1, s1, s7
	v_mov_b32_e32 v7, 0
	s_sub_i32 s15, 1, s11
	s_lshl_b64 s[6:7], s[22:23], 2
	v_lshl_add_u64 v[2:3], s[0:1], 0, v[6:7]
	v_lshlrev_b32_e32 v6, 1, v4
	v_lshlrev_b32_e32 v10, 3, v4
	v_cmp_eq_u32_e32 vcc, 0, v4
	v_lshlrev_b32_e32 v4, 2, v5
	s_add_u32 s6, s20, s6
	v_lshl_add_u64 v[2:3], v[2:3], 0, v[6:7]
	v_lshl_or_b32 v4, v12, 5, v4
	v_and_b32_e32 v6, 60, v1
	s_addc_u32 s7, s21, s7
	v_lshl_or_b32 v11, v12, 3, v5
	v_add_u32_e32 v13, 0x50, v4
	v_lshl_add_u64 v[4:5], s[6:7], 0, v[6:7]
	v_mbcnt_hi_u32_b32 v6, -1, v14
	v_and_b32_e32 v8, 64, v6
	s_mov_b32 s12, s13
	v_cmp_neq_f32_e64 s[0:1], s8, 0
	v_mov_b32_e32 v9, 0xff7fffff
	s_mov_b64 s[28:29], 0
	v_add_u32_e32 v7, 64, v8
	v_xor_b32_e32 v14, 4, v6
	v_xor_b32_e32 v15, 2, v6
	;; [unrolled: 1-line block ×3, first 2 shown]
	v_mov_b32_e32 v17, v12
	s_branch .LBB63_9
.LBB63_8:                               ;   in Loop: Header=BB63_9 Depth=1
	s_or_b64 exec, exec, s[30:31]
	v_add_u32_e32 v17, 2, v17
	v_cmp_le_i32_e64 s[6:7], s33, v17
	v_add_u32_e32 v11, 16, v11
	v_add_u32_e32 v13, 64, v13
	s_or_b64 s[28:29], s[6:7], s[28:29]
	v_lshl_add_u64 v[4:5], v[4:5], 0, 8
	s_andn2_b64 exec, exec, s[28:29]
	s_cbranch_execz .LBB63_11
.LBB63_9:                               ; =>This Inner Loop Header: Depth=1
	global_load_dword v18, v[4:5], off
	s_waitcnt vmcnt(0) lgkmcnt(0)
	v_mad_i64_i32 v[18:19], s[6:7], v18, s12, 0
	v_lshl_add_u64 v[18:19], v[18:19], 1, v[2:3]
	global_load_ushort v20, v[18:19], off
	global_load_ushort v21, v[18:19], off offset:128
	global_load_ushort v24, v[18:19], off offset:256
	;; [unrolled: 1-line block ×3, first 2 shown]
	ds_read_u16 v18, v10
	s_waitcnt lgkmcnt(0)
	;;#ASMSTART
	v_cvt_f32_f16 v18, v18;
	;;#ASMEND
	v_cmp_lt_i32_e64 s[6:7], v14, v7
	s_waitcnt vmcnt(3)
	;;#ASMSTART
	v_cvt_f32_f16 v19, v20;
	;;#ASMEND
	ds_read_u16 v20, v10 offset:2
	s_waitcnt lgkmcnt(0)
	;;#ASMSTART
	v_cvt_f32_f16 v20, v20;
	;;#ASMEND
	s_waitcnt vmcnt(2)
	;;#ASMSTART
	v_cvt_f32_f16 v21, v21;
	;;#ASMEND
	ds_read_u16 v23, v10 offset:4
	v_mul_f32_e32 v20, v20, v21
	v_fmac_f32_e32 v20, v18, v19
	v_cndmask_b32_e64 v22, v6, v14, s[6:7]
	s_waitcnt lgkmcnt(0)
	;;#ASMSTART
	v_cvt_f32_f16 v23, v23;
	;;#ASMEND
	s_waitcnt vmcnt(1)
	;;#ASMSTART
	v_cvt_f32_f16 v24, v24;
	;;#ASMEND
	ds_read_u16 v26, v10 offset:6
	v_fmac_f32_e32 v20, v23, v24
	v_lshlrev_b32_e32 v22, 2, v22
	s_waitcnt lgkmcnt(0)
	;;#ASMSTART
	v_cvt_f32_f16 v18, v26;
	;;#ASMEND
	s_waitcnt vmcnt(0)
	;;#ASMSTART
	v_cvt_f32_f16 v19, v25;
	;;#ASMEND
	v_cmp_lt_i32_e64 s[6:7], v15, v7
	v_fmac_f32_e32 v20, v18, v19
	ds_bpermute_b32 v18, v22, v20
	v_cndmask_b32_e64 v19, v6, v15, s[6:7]
	v_lshlrev_b32_e32 v19, 2, v19
	v_cmp_lt_i32_e64 s[6:7], v16, v7
	s_waitcnt lgkmcnt(0)
	v_add_f32_e32 v18, v20, v18
	ds_bpermute_b32 v19, v19, v18
	v_cndmask_b32_e64 v20, v6, v16, s[6:7]
	s_waitcnt lgkmcnt(0)
	v_add_f32_e32 v18, v18, v19
	v_lshlrev_b32_e32 v19, 2, v20
	ds_bpermute_b32 v19, v19, v18
	s_and_saveexec_b64 s[30:31], vcc
	s_cbranch_execz .LBB63_8
; %bb.10:                               ;   in Loop: Header=BB63_9 Depth=1
	v_add_u32_e32 v20, s15, v11
	v_cvt_f32_i32_e32 v20, v20
	s_waitcnt lgkmcnt(0)
	v_add_f32_e32 v18, v18, v19
	v_cmp_gt_i32_e64 s[6:7], s11, v11
	v_max_f32_e32 v19, v9, v9
	v_mul_f32_e32 v20, s8, v20
	v_cndmask_b32_e64 v20, 0, v20, s[0:1]
	v_fmac_f32_e32 v20, s9, v18
	v_cndmask_b32_e64 v18, 0, v20, s[6:7]
	ds_write_b32 v13, v18
	v_max_f32_e32 v18, v19, v20
	v_cndmask_b32_e64 v9, v9, v18, s[6:7]
	s_branch .LBB63_8
.LBB63_11:
	s_or_b64 exec, exec, s[28:29]
.LBB63_12:
	s_or_b64 exec, exec, s[26:27]
	v_xor_b32_e32 v2, 32, v6
	v_cmp_lt_i32_e32 vcc, v2, v7
	v_xor_b32_e32 v5, 16, v6
	v_max_f32_e32 v4, v9, v9
	v_cndmask_b32_e32 v2, v6, v2, vcc
	v_lshlrev_b32_e32 v3, 2, v2
	ds_bpermute_b32 v2, v3, v9
	v_cmp_lt_i32_e32 vcc, v5, v7
	v_xor_b32_e32 v9, 8, v6
	v_and_b32_e32 v13, 63, v0
	s_waitcnt lgkmcnt(0)
	v_max_f32_e32 v2, v2, v2
	v_max_f32_e32 v2, v4, v2
	v_cndmask_b32_e32 v4, v6, v5, vcc
	v_lshlrev_b32_e32 v5, 2, v4
	ds_bpermute_b32 v4, v5, v2
	v_cmp_lt_i32_e32 vcc, v9, v7
	s_waitcnt lgkmcnt(0)
	v_max_f32_e32 v4, v4, v4
	v_max_f32_e32 v4, v2, v4
	v_cndmask_b32_e32 v2, v6, v9, vcc
	v_lshlrev_b32_e32 v10, 2, v2
	ds_bpermute_b32 v9, v10, v4
	v_cmp_eq_u32_e32 vcc, 0, v13
	v_lshlrev_b32_e32 v2, 2, v12
	s_and_saveexec_b64 s[0:1], vcc
	s_cbranch_execz .LBB63_14
; %bb.13:
	s_waitcnt lgkmcnt(0)
	v_max_f32_e32 v9, v9, v9
	v_max_f32_e32 v4, v4, v4
	;; [unrolled: 1-line block ×3, first 2 shown]
	ds_write_b32 v2, v4 offset:64
.LBB63_14:
	s_or_b64 exec, exec, s[0:1]
	v_cmp_gt_u32_e64 s[0:1], 2, v13
	v_mov_b32_e32 v11, 0xff7fffff
	v_lshlrev_b32_e32 v4, 2, v13
	s_waitcnt lgkmcnt(0)
	s_barrier
	s_and_saveexec_b64 s[6:7], s[0:1]
; %bb.15:
	ds_read_b32 v11, v4 offset:64
; %bb.16:
	s_or_b64 exec, exec, s[6:7]
	v_xor_b32_e32 v9, 1, v6
	v_cmp_lt_i32_e64 s[6:7], v9, v7
	v_lshlrev_b32_e32 v8, 2, v8
	s_nop 0
	v_cndmask_b32_e64 v9, v6, v9, s[6:7]
	v_lshlrev_b32_e32 v9, 2, v9
	s_waitcnt lgkmcnt(0)
	ds_bpermute_b32 v14, v9, v11
	v_max_f32_e32 v11, v11, v11
	s_lshl_b32 s6, s33, 3
	s_min_i32 s12, s6, s11
	v_cmp_gt_i32_e64 s[6:7], s12, v0
	s_waitcnt lgkmcnt(0)
	v_max_f32_e32 v14, v14, v14
	v_max_f32_e32 v11, v11, v14
	ds_bpermute_b32 v11, v8, v11
	v_mov_b32_e32 v8, 0
	s_and_saveexec_b64 s[26:27], s[6:7]
	s_cbranch_execz .LBB63_20
; %bb.17:
	v_mov_b32_e32 v8, 0x50
	v_lshl_add_u32 v14, v0, 2, v8
	v_mov_b32_e32 v8, 0
	s_mov_b64 s[28:29], 0
	v_mov_b32_e32 v15, v0
.LBB63_18:                              ; =>This Inner Loop Header: Depth=1
	ds_read_b32 v16, v14
	v_add_u32_e32 v15, 0x80, v15
	v_cmp_le_i32_e64 s[8:9], s12, v15
	s_or_b64 s[28:29], s[8:9], s[28:29]
	s_waitcnt lgkmcnt(0)
	v_sub_f32_e32 v16, v16, v11
	v_mul_f32_e32 v16, 0x3fb8aa3b, v16
	v_exp_f32_e32 v16, v16
	ds_write_b32 v14, v16
	v_add_f32_e32 v8, v8, v16
	v_add_u32_e32 v14, 0x200, v14
	s_andn2_b64 exec, exec, s[28:29]
	s_cbranch_execnz .LBB63_18
; %bb.19:
	s_or_b64 exec, exec, s[28:29]
.LBB63_20:
	s_or_b64 exec, exec, s[26:27]
	ds_bpermute_b32 v3, v3, v8
	s_waitcnt lgkmcnt(0)
	v_add_f32_e32 v3, v8, v3
	ds_bpermute_b32 v5, v5, v3
	v_xor_b32_e32 v8, 4, v6
	v_cmp_lt_i32_e64 s[8:9], v8, v7
	s_waitcnt lgkmcnt(0)
	v_add_f32_e32 v3, v3, v5
	ds_bpermute_b32 v5, v10, v3
	v_cndmask_b32_e64 v8, v6, v8, s[8:9]
	v_lshlrev_b32_e32 v8, 2, v8
	s_waitcnt lgkmcnt(0)
	v_add_f32_e32 v3, v3, v5
	ds_bpermute_b32 v5, v8, v3
	v_xor_b32_e32 v8, 2, v6
	v_cmp_lt_i32_e64 s[8:9], v8, v7
	s_waitcnt lgkmcnt(0)
	v_add_f32_e32 v3, v3, v5
	v_cndmask_b32_e64 v7, v6, v8, s[8:9]
	v_lshlrev_b32_e32 v5, 2, v7
	ds_bpermute_b32 v5, v5, v3
	s_waitcnt lgkmcnt(0)
	v_add_f32_e32 v3, v3, v5
	ds_bpermute_b32 v5, v9, v3
	s_waitcnt lgkmcnt(0)
	v_add_f32_e32 v3, v3, v5
	s_and_saveexec_b64 s[8:9], vcc
; %bb.21:
	ds_write_b32 v2, v3 offset:72
; %bb.22:
	s_or_b64 exec, exec, s[8:9]
	s_waitcnt lgkmcnt(0)
	s_barrier
	s_and_saveexec_b64 s[8:9], s[0:1]
; %bb.23:
	ds_read_b32 v3, v4 offset:72
; %bb.24:
	s_or_b64 exec, exec, s[8:9]
	s_waitcnt lgkmcnt(0)
	ds_bpermute_b32 v2, v9, v3
	v_lshlrev_b32_e32 v4, 2, v6
	s_waitcnt lgkmcnt(0)
	v_add_f32_e32 v2, v3, v2
	v_and_b32_e32 v3, 0xffffff00, v4
	ds_bpermute_b32 v2, v3, v2
	s_and_saveexec_b64 s[0:1], s[6:7]
	s_cbranch_execz .LBB63_37
; %bb.25:
	s_waitcnt lgkmcnt(0)
	v_add_f32_e32 v2, 0x358637bd, v2
	v_div_scale_f32 v3, s[6:7], v2, v2, 1.0
	v_rcp_f32_e32 v4, v3
	v_div_scale_f32 v5, vcc, 1.0, v2, 1.0
	s_movk_i32 s6, 0x7f
	v_fma_f32 v6, -v3, v4, 1.0
	v_fmac_f32_e32 v4, v6, v4
	v_mul_f32_e32 v6, v5, v4
	v_fma_f32 v7, -v3, v6, v5
	v_fmac_f32_e32 v6, v7, v4
	v_fma_f32 v3, -v3, v6, v5
	v_div_fmas_f32 v3, v3, v4, v6
	v_xad_u32 v4, v0, -1, s12
	v_div_fixup_f32 v2, v3, v2, 1.0
	v_cmp_lt_u32_e32 vcc, s6, v4
	s_mov_b64 s[8:9], -1
	v_mov_b32_e32 v3, v0
	s_and_saveexec_b64 s[6:7], vcc
	s_cbranch_execz .LBB63_34
; %bb.26:
	v_lshrrev_b32_e32 v4, 7, v4
	v_add_u32_e32 v6, -1, v4
	v_lshrrev_b32_e32 v5, 1, v6
	v_mov_b32_e32 v3, v2
	v_add_u32_e32 v5, 1, v5
	v_cmp_lt_u32_e32 vcc, 13, v6
	v_mov_b32_e32 v8, 0
	s_and_saveexec_b64 s[8:9], vcc
	s_cbranch_execz .LBB63_30
; %bb.27:
	v_mov_b32_e32 v7, 0x50
	v_and_b32_e32 v6, -8, v5
	v_lshl_add_u32 v7, v0, 2, v7
	s_mov_b32 s15, 0
	s_mov_b64 s[26:27], 0
.LBB63_28:                              ; =>This Inner Loop Header: Depth=1
	ds_read2st64_b32 v[8:9], v7 offset1:2
	ds_read2st64_b32 v[10:11], v7 offset0:4 offset1:6
	ds_read2st64_b32 v[14:15], v7 offset0:8 offset1:10
	;; [unrolled: 1-line block ×3, first 2 shown]
	v_add_u32_e32 v6, -8, v6
	s_waitcnt lgkmcnt(3)
	v_pk_mul_f32 v[8:9], v[2:3], v[8:9]
	s_waitcnt lgkmcnt(2)
	v_pk_mul_f32 v[10:11], v[2:3], v[10:11]
	ds_write2st64_b32 v7, v8, v9 offset1:2
	ds_write2st64_b32 v7, v10, v11 offset0:4 offset1:6
	ds_read2st64_b32 v[10:11], v7 offset0:16 offset1:18
	s_waitcnt lgkmcnt(4)
	v_pk_mul_f32 v[8:9], v[2:3], v[14:15]
	ds_write2st64_b32 v7, v8, v9 offset0:8 offset1:10
	s_waitcnt lgkmcnt(4)
	v_pk_mul_f32 v[8:9], v[2:3], v[16:17]
	ds_write2st64_b32 v7, v8, v9 offset0:12 offset1:14
	ds_read2st64_b32 v[8:9], v7 offset0:20 offset1:22
	s_waitcnt lgkmcnt(3)
	v_pk_mul_f32 v[10:11], v[2:3], v[10:11]
	ds_read2st64_b32 v[14:15], v7 offset0:24 offset1:26
	ds_write2st64_b32 v7, v10, v11 offset0:16 offset1:18
	ds_read2st64_b32 v[10:11], v7 offset0:28 offset1:30
	s_waitcnt lgkmcnt(3)
	v_pk_mul_f32 v[8:9], v[2:3], v[8:9]
	ds_write2st64_b32 v7, v8, v9 offset0:20 offset1:22
	s_waitcnt lgkmcnt(3)
	v_pk_mul_f32 v[8:9], v[2:3], v[14:15]
	ds_write2st64_b32 v7, v8, v9 offset0:24 offset1:26
	s_waitcnt lgkmcnt(2)
	v_pk_mul_f32 v[8:9], v[2:3], v[10:11]
	s_add_i32 s15, s15, 16
	v_cmp_eq_u32_e32 vcc, 0, v6
	ds_write2st64_b32 v7, v8, v9 offset0:28 offset1:30
	v_add_u32_e32 v7, 0x2000, v7
	s_or_b64 s[26:27], vcc, s[26:27]
	v_mov_b32_e32 v8, s15
	s_andn2_b64 exec, exec, s[26:27]
	s_cbranch_execnz .LBB63_28
; %bb.29:
	s_or_b64 exec, exec, s[26:27]
.LBB63_30:
	s_or_b64 exec, exec, s[8:9]
	v_and_b32_e32 v5, 7, v5
	v_cmp_ne_u32_e32 vcc, 0, v5
	s_and_saveexec_b64 s[8:9], vcc
	s_cbranch_execz .LBB63_33
; %bb.31:
	v_lshlrev_b32_e32 v6, 9, v8
	v_lshlrev_b32_e32 v7, 2, v0
	s_movk_i32 s15, 0x50
	v_add3_u32 v6, v6, v7, s15
	s_mov_b64 s[26:27], 0
.LBB63_32:                              ; =>This Inner Loop Header: Depth=1
	ds_read2st64_b32 v[8:9], v6 offset1:2
	v_add_u32_e32 v5, -1, v5
	v_cmp_eq_u32_e32 vcc, 0, v5
	s_or_b64 s[26:27], vcc, s[26:27]
	s_waitcnt lgkmcnt(0)
	v_pk_mul_f32 v[8:9], v[2:3], v[8:9]
	ds_write2st64_b32 v6, v8, v9 offset1:2
	v_add_u32_e32 v6, 0x400, v6
	s_andn2_b64 exec, exec, s[26:27]
	s_cbranch_execnz .LBB63_32
.LBB63_33:
	s_or_b64 exec, exec, s[8:9]
	v_add_u32_e32 v4, 1, v4
	v_and_b32_e32 v5, 0x3fffffe, v4
	v_cmp_ne_u32_e32 vcc, v4, v5
	v_lshl_add_u32 v3, v5, 7, v0
	s_orn2_b64 s[8:9], vcc, exec
.LBB63_34:
	s_or_b64 exec, exec, s[6:7]
	s_and_b64 exec, exec, s[8:9]
	s_cbranch_execz .LBB63_37
; %bb.35:
	v_mov_b32_e32 v4, 0x50
	v_lshl_add_u32 v4, v3, 2, v4
	s_mov_b64 s[6:7], 0
.LBB63_36:                              ; =>This Inner Loop Header: Depth=1
	ds_read_b32 v5, v4
	v_add_u32_e32 v3, 0x80, v3
	v_cmp_le_i32_e32 vcc, s12, v3
	s_or_b64 s[6:7], vcc, s[6:7]
	s_waitcnt lgkmcnt(0)
	v_mul_f32_e32 v5, v2, v5
	ds_write_b32 v4, v5
	v_add_u32_e32 v4, 0x200, v4
	s_andn2_b64 exec, exec, s[6:7]
	s_cbranch_execnz .LBB63_36
.LBB63_37:
	s_or_b64 exec, exec, s[0:1]
	v_mov_b32_e32 v14, 0
	s_waitcnt lgkmcnt(0)
	s_barrier
	s_and_saveexec_b64 s[6:7], s[2:3]
	s_cbranch_execz .LBB63_45
; %bb.38:
	s_ashr_i32 s15, s14, 31
	s_lshl_b64 s[0:1], s[14:15], 1
	s_add_u32 s2, s24, s0
	s_addc_u32 s3, s25, s1
	v_lshlrev_b32_e32 v6, 4, v13
	v_mov_b32_e32 v7, 0
	v_lshl_add_u64 v[8:9], s[2:3], 0, v[6:7]
	s_add_i32 s14, s33, -1
	s_lshl_b64 s[2:3], s[22:23], 2
	s_add_u32 s2, s20, s2
	v_mov_b32_e32 v2, 0x50
	v_and_b32_e32 v6, 60, v1
	s_addc_u32 s3, s21, s3
	s_mov_b32 s26, s13
	v_cmp_gt_u32_e64 s[0:1], 32, v13
	s_mov_b32 s15, s11
	v_lshlrev_b32_e32 v15, 3, v12
	v_lshl_add_u32 v16, v12, 5, v2
	v_lshl_add_u64 v[10:11], s[2:3], 0, v[6:7]
	s_mov_b64 s[2:3], 0
	s_mov_b32 s20, 0xffff
	v_mov_b32_e32 v14, 0
	s_branch .LBB63_41
.LBB63_39:                              ;   in Loop: Header=BB63_41 Depth=1
	s_or_b64 exec, exec, s[12:13]
	v_and_b32_e32 v17, 0xffff, v17
	v_lshlrev_b32_e32 v6, 16, v6
	v_lshlrev_b32_e32 v1, 16, v1
	v_lshl_or_b32 v17, v18, 16, v17
	v_and_b32_e32 v18, 0xffff, v19
	v_and_or_b32 v2, v2, s20, v6
	v_and_or_b32 v1, v3, s20, v1
	v_lshlrev_b32_e32 v3, 16, v25
	v_lshl_or_b32 v18, v20, 16, v18
	v_and_b32_e32 v19, 0xffff, v21
	v_and_b32_e32 v20, 0xffff, v23
	v_and_or_b32 v3, v4, s20, v3
	;;#ASMSTART
	v_pk_mul_f16 v2, v17, v2;

	;;#ASMEND
	;;#ASMSTART
	v_pk_mul_f16 v1, v18, v1;

	;;#ASMEND
	v_lshl_or_b32 v19, v22, 16, v19
	v_lshl_or_b32 v20, v24, 16, v20
	;;#ASMSTART
	v_pk_mul_f16 v3, v19, v3;

	;;#ASMEND
	;;#ASMSTART
	v_pk_mul_f16 v4, v20, v5;

	;;#ASMEND
	;;#ASMSTART
	v_pk_add_f16 v1, v2, v1;

	;;#ASMEND
	s_nop 0
	;;#ASMSTART
	v_pk_add_f16 v1, v1, v3;

	;;#ASMEND
	s_nop 0
	;; [unrolled: 5-line block ×3, first 2 shown]
	v_lshrrev_b32_e32 v2, 16, v1
	v_and_b32_e32 v1, 0xffff, v1
	;;#ASMSTART
	v_cvt_f32_f16 v1, v1;
	;;#ASMEND
	;;#ASMSTART
	v_cvt_f32_f16 v2, v2;
	;;#ASMEND
	s_nop 0
	v_add_f32_e32 v1, v1, v2
	v_add_f32_e32 v14, v14, v1
.LBB63_40:                              ;   in Loop: Header=BB63_41 Depth=1
	s_or_b64 exec, exec, s[8:9]
	v_add_u32_e32 v12, 2, v12
	v_cmp_le_i32_e32 vcc, s33, v12
	v_add_u32_e32 v15, 16, v15
	v_add_u32_e32 v16, 64, v16
	s_or_b64 s[2:3], vcc, s[2:3]
	v_lshl_add_u64 v[10:11], v[10:11], 0, 8
	s_andn2_b64 exec, exec, s[2:3]
	s_cbranch_execz .LBB63_44
.LBB63_41:                              ; =>This Inner Loop Header: Depth=1
	ds_read2_b64 v[2:5], v16 offset1:1
	ds_read2_b64 v[22:25], v16 offset0:2 offset1:3
	s_waitcnt lgkmcnt(1)
	;;#ASMSTART
	v_cvt_f16_f32 v17, v2;

	;;#ASMEND
	;;#ASMSTART
	v_cvt_f16_f32 v18, v3;

	;;#ASMEND
	;; [unrolled: 4-line block ×4, first 2 shown]
	s_waitcnt lgkmcnt(0)
	;;#ASMSTART
	v_cvt_f16_f32 v21, v22;

	;;#ASMEND
	;;#ASMSTART
	v_cvt_f16_f32 v22, v23;

	;;#ASMEND
	;; [unrolled: 4-line block ×4, first 2 shown]
	s_and_saveexec_b64 s[8:9], s[0:1]
	s_cbranch_execz .LBB63_40
; %bb.42:                               ;   in Loop: Header=BB63_41 Depth=1
	global_load_dword v1, v[10:11], off
	v_cmp_eq_u32_e32 vcc, s14, v12
	s_waitcnt vmcnt(0)
	v_mad_i64_i32 v[2:3], s[12:13], v1, s26, 0
	v_lshl_add_u64 v[2:3], v[2:3], 1, v[8:9]
	global_load_dwordx4 v[2:5], v[2:3], off
	s_waitcnt vmcnt(0)
	v_lshrrev_b32_e32 v1, 16, v3
	v_lshrrev_b32_e32 v6, 16, v2
	;; [unrolled: 1-line block ×3, first 2 shown]
	s_and_saveexec_b64 s[12:13], vcc
	s_cbranch_execz .LBB63_39
; %bb.43:                               ;   in Loop: Header=BB63_41 Depth=1
	v_cmp_gt_i32_e32 vcc, s11, v15
	v_add_u32_e32 v28, 2, v15
	v_or_b32_e32 v26, 3, v15
	v_cndmask_b32_e32 v2, 0, v2, vcc
	v_cmp_gt_i32_e32 vcc, s11, v28
	v_or_b32_e32 v27, 1, v15
	s_nop 0
	v_cndmask_b32_e32 v3, 0, v3, vcc
	v_cmp_gt_i32_e32 vcc, s15, v26
	v_add_u32_e32 v26, 4, v15
	s_nop 0
	v_cndmask_b32_e32 v1, 0, v1, vcc
	v_cmp_gt_i32_e32 vcc, s11, v27
	v_add_u32_e32 v27, 7, v15
	;; [unrolled: 4-line block ×4, first 2 shown]
	s_nop 0
	v_cndmask_b32_e32 v25, 0, v25, vcc
	v_cmp_gt_i32_e32 vcc, s11, v26
	s_nop 1
	v_cndmask_b32_sdwa v26, v7, v5, vcc dst_sel:DWORD dst_unused:UNUSED_PAD src0_sel:DWORD src1_sel:WORD_0
	v_and_b32_e32 v5, 0xffff0000, v5
	v_cmp_gt_i32_e32 vcc, s11, v27
	s_nop 1
	v_cndmask_b32_e32 v5, 0, v5, vcc
	v_or_b32_e32 v5, v26, v5
	s_branch .LBB63_39
.LBB63_44:
	s_or_b64 exec, exec, s[2:3]
.LBB63_45:
	s_or_b64 exec, exec, s[6:7]
	v_and_b32_e32 v1, 0x3c0, v0
	v_cmp_eq_u32_e64 s[0:1], 64, v1
	v_cmp_gt_u32_e64 s[2:3], 32, v13
	v_mov_b32_e32 v1, 0x50
	v_cmp_lt_u32_e32 vcc, 31, v13
	v_lshl_add_u32 v1, v13, 2, v1
	s_and_b64 s[2:3], s[0:1], s[2:3]
	s_barrier
	s_and_saveexec_b64 s[0:1], s[2:3]
; %bb.46:
	ds_write_b32 v1, v14
; %bb.47:
	s_or_b64 exec, exec, s[0:1]
	v_cmp_gt_u32_e64 s[0:1], 64, v0
	s_xor_b64 s[2:3], vcc, -1
	s_and_b64 s[2:3], s[0:1], s[2:3]
	s_waitcnt lgkmcnt(0)
	s_barrier
	s_and_saveexec_b64 s[0:1], s[2:3]
	s_cbranch_execz .LBB63_49
; %bb.48:
	ds_read_b32 v1, v1
	s_waitcnt lgkmcnt(0)
	v_add_f32_e32 v14, v14, v1
.LBB63_49:
	s_or_b64 exec, exec, s[0:1]
	v_cmp_gt_u32_e32 vcc, 64, v0
	v_cmp_gt_u32_e64 s[0:1], 32, v13
	s_and_b64 s[0:1], vcc, s[0:1]
	s_barrier
	s_and_saveexec_b64 s[2:3], s[0:1]
	s_cbranch_execz .LBB63_51
; %bb.50:
	s_mul_i32 s0, s10, s17
	s_mul_i32 s0, s0, s5
	s_lshl_b32 s0, s0, 5
	s_ashr_i32 s1, s0, 31
	s_lshl_b64 s[0:1], s[0:1], 1
	s_add_u32 s2, s18, s0
	s_mul_i32 s0, s17, s16
	s_addc_u32 s3, s19, s1
	s_ashr_i32 s1, s0, 31
	s_lshl_b64 s[0:1], s[0:1], 1
	s_add_u32 s2, s2, s0
	s_addc_u32 s3, s3, s1
	s_lshl_b32 s0, s4, 5
	s_ashr_i32 s1, s0, 31
	s_lshl_b64 s[0:1], s[0:1], 1
	s_add_u32 s0, s2, s0
	s_addc_u32 s1, s3, s1
	v_lshlrev_b32_e32 v0, 1, v13
	;;#ASMSTART
	v_cvt_f16_f32 v1, v14;

	;;#ASMEND
	global_store_short v0, v1, s[0:1]
.LBB63_51:
	s_endpgm
	.section	.rodata,"a",@progbits
	.p2align	6, 0x0
	.amdhsa_kernel _ZN4vllm25paged_attention_v1_kernelIttLi32ELi8ELi128ELNS_18Fp8KVCacheDataTypeE0ELb0EEEvPT_PKS2_PKT0_S8_ifPKiSA_iPKfiiiSC_SC_iiiii
		.amdhsa_group_segment_fixed_size 80
		.amdhsa_private_segment_fixed_size 0
		.amdhsa_kernarg_size 384
		.amdhsa_user_sgpr_count 2
		.amdhsa_user_sgpr_dispatch_ptr 0
		.amdhsa_user_sgpr_queue_ptr 0
		.amdhsa_user_sgpr_kernarg_segment_ptr 1
		.amdhsa_user_sgpr_dispatch_id 0
		.amdhsa_user_sgpr_kernarg_preload_length 0
		.amdhsa_user_sgpr_kernarg_preload_offset 0
		.amdhsa_user_sgpr_private_segment_size 0
		.amdhsa_uses_dynamic_stack 0
		.amdhsa_enable_private_segment 0
		.amdhsa_system_sgpr_workgroup_id_x 1
		.amdhsa_system_sgpr_workgroup_id_y 1
		.amdhsa_system_sgpr_workgroup_id_z 1
		.amdhsa_system_sgpr_workgroup_info 0
		.amdhsa_system_vgpr_workitem_id 0
		.amdhsa_next_free_vgpr 29
		.amdhsa_next_free_sgpr 34
		.amdhsa_accum_offset 32
		.amdhsa_reserve_vcc 1
		.amdhsa_float_round_mode_32 0
		.amdhsa_float_round_mode_16_64 0
		.amdhsa_float_denorm_mode_32 3
		.amdhsa_float_denorm_mode_16_64 3
		.amdhsa_dx10_clamp 1
		.amdhsa_ieee_mode 1
		.amdhsa_fp16_overflow 0
		.amdhsa_tg_split 0
		.amdhsa_exception_fp_ieee_invalid_op 0
		.amdhsa_exception_fp_denorm_src 0
		.amdhsa_exception_fp_ieee_div_zero 0
		.amdhsa_exception_fp_ieee_overflow 0
		.amdhsa_exception_fp_ieee_underflow 0
		.amdhsa_exception_fp_ieee_inexact 0
		.amdhsa_exception_int_div_zero 0
	.end_amdhsa_kernel
	.section	.text._ZN4vllm25paged_attention_v1_kernelIttLi32ELi8ELi128ELNS_18Fp8KVCacheDataTypeE0ELb0EEEvPT_PKS2_PKT0_S8_ifPKiSA_iPKfiiiSC_SC_iiiii,"axG",@progbits,_ZN4vllm25paged_attention_v1_kernelIttLi32ELi8ELi128ELNS_18Fp8KVCacheDataTypeE0ELb0EEEvPT_PKS2_PKT0_S8_ifPKiSA_iPKfiiiSC_SC_iiiii,comdat
.Lfunc_end63:
	.size	_ZN4vllm25paged_attention_v1_kernelIttLi32ELi8ELi128ELNS_18Fp8KVCacheDataTypeE0ELb0EEEvPT_PKS2_PKT0_S8_ifPKiSA_iPKfiiiSC_SC_iiiii, .Lfunc_end63-_ZN4vllm25paged_attention_v1_kernelIttLi32ELi8ELi128ELNS_18Fp8KVCacheDataTypeE0ELb0EEEvPT_PKS2_PKT0_S8_ifPKiSA_iPKfiiiSC_SC_iiiii
                                        ; -- End function
	.set _ZN4vllm25paged_attention_v1_kernelIttLi32ELi8ELi128ELNS_18Fp8KVCacheDataTypeE0ELb0EEEvPT_PKS2_PKT0_S8_ifPKiSA_iPKfiiiSC_SC_iiiii.num_vgpr, 29
	.set _ZN4vllm25paged_attention_v1_kernelIttLi32ELi8ELi128ELNS_18Fp8KVCacheDataTypeE0ELb0EEEvPT_PKS2_PKT0_S8_ifPKiSA_iPKfiiiSC_SC_iiiii.num_agpr, 0
	.set _ZN4vllm25paged_attention_v1_kernelIttLi32ELi8ELi128ELNS_18Fp8KVCacheDataTypeE0ELb0EEEvPT_PKS2_PKT0_S8_ifPKiSA_iPKfiiiSC_SC_iiiii.numbered_sgpr, 34
	.set _ZN4vllm25paged_attention_v1_kernelIttLi32ELi8ELi128ELNS_18Fp8KVCacheDataTypeE0ELb0EEEvPT_PKS2_PKT0_S8_ifPKiSA_iPKfiiiSC_SC_iiiii.num_named_barrier, 0
	.set _ZN4vllm25paged_attention_v1_kernelIttLi32ELi8ELi128ELNS_18Fp8KVCacheDataTypeE0ELb0EEEvPT_PKS2_PKT0_S8_ifPKiSA_iPKfiiiSC_SC_iiiii.private_seg_size, 0
	.set _ZN4vllm25paged_attention_v1_kernelIttLi32ELi8ELi128ELNS_18Fp8KVCacheDataTypeE0ELb0EEEvPT_PKS2_PKT0_S8_ifPKiSA_iPKfiiiSC_SC_iiiii.uses_vcc, 1
	.set _ZN4vllm25paged_attention_v1_kernelIttLi32ELi8ELi128ELNS_18Fp8KVCacheDataTypeE0ELb0EEEvPT_PKS2_PKT0_S8_ifPKiSA_iPKfiiiSC_SC_iiiii.uses_flat_scratch, 0
	.set _ZN4vllm25paged_attention_v1_kernelIttLi32ELi8ELi128ELNS_18Fp8KVCacheDataTypeE0ELb0EEEvPT_PKS2_PKT0_S8_ifPKiSA_iPKfiiiSC_SC_iiiii.has_dyn_sized_stack, 0
	.set _ZN4vllm25paged_attention_v1_kernelIttLi32ELi8ELi128ELNS_18Fp8KVCacheDataTypeE0ELb0EEEvPT_PKS2_PKT0_S8_ifPKiSA_iPKfiiiSC_SC_iiiii.has_recursion, 0
	.set _ZN4vllm25paged_attention_v1_kernelIttLi32ELi8ELi128ELNS_18Fp8KVCacheDataTypeE0ELb0EEEvPT_PKS2_PKT0_S8_ifPKiSA_iPKfiiiSC_SC_iiiii.has_indirect_call, 0
	.section	.AMDGPU.csdata,"",@progbits
; Kernel info:
; codeLenInByte = 3688
; TotalNumSgprs: 40
; NumVgprs: 29
; NumAgprs: 0
; TotalNumVgprs: 29
; ScratchSize: 0
; MemoryBound: 0
; FloatMode: 240
; IeeeMode: 1
; LDSByteSize: 80 bytes/workgroup (compile time only)
; SGPRBlocks: 4
; VGPRBlocks: 3
; NumSGPRsForWavesPerEU: 40
; NumVGPRsForWavesPerEU: 29
; AccumOffset: 32
; Occupancy: 8
; WaveLimiterHint : 1
; COMPUTE_PGM_RSRC2:SCRATCH_EN: 0
; COMPUTE_PGM_RSRC2:USER_SGPR: 2
; COMPUTE_PGM_RSRC2:TRAP_HANDLER: 0
; COMPUTE_PGM_RSRC2:TGID_X_EN: 1
; COMPUTE_PGM_RSRC2:TGID_Y_EN: 1
; COMPUTE_PGM_RSRC2:TGID_Z_EN: 1
; COMPUTE_PGM_RSRC2:TIDIG_COMP_CNT: 0
; COMPUTE_PGM_RSRC3_GFX90A:ACCUM_OFFSET: 7
; COMPUTE_PGM_RSRC3_GFX90A:TG_SPLIT: 0
	.section	.text._ZN4vllm25paged_attention_v1_kernelIttLi64ELi8ELi128ELNS_18Fp8KVCacheDataTypeE0ELb0EEEvPT_PKS2_PKT0_S8_ifPKiSA_iPKfiiiSC_SC_iiiii,"axG",@progbits,_ZN4vllm25paged_attention_v1_kernelIttLi64ELi8ELi128ELNS_18Fp8KVCacheDataTypeE0ELb0EEEvPT_PKS2_PKT0_S8_ifPKiSA_iPKfiiiSC_SC_iiiii,comdat
	.protected	_ZN4vllm25paged_attention_v1_kernelIttLi64ELi8ELi128ELNS_18Fp8KVCacheDataTypeE0ELb0EEEvPT_PKS2_PKT0_S8_ifPKiSA_iPKfiiiSC_SC_iiiii ; -- Begin function _ZN4vllm25paged_attention_v1_kernelIttLi64ELi8ELi128ELNS_18Fp8KVCacheDataTypeE0ELb0EEEvPT_PKS2_PKT0_S8_ifPKiSA_iPKfiiiSC_SC_iiiii
	.globl	_ZN4vllm25paged_attention_v1_kernelIttLi64ELi8ELi128ELNS_18Fp8KVCacheDataTypeE0ELb0EEEvPT_PKS2_PKT0_S8_ifPKiSA_iPKfiiiSC_SC_iiiii
	.p2align	8
	.type	_ZN4vllm25paged_attention_v1_kernelIttLi64ELi8ELi128ELNS_18Fp8KVCacheDataTypeE0ELb0EEEvPT_PKS2_PKT0_S8_ifPKiSA_iPKfiiiSC_SC_iiiii,@function
_ZN4vllm25paged_attention_v1_kernelIttLi64ELi8ELi128ELNS_18Fp8KVCacheDataTypeE0ELb0EEEvPT_PKS2_PKT0_S8_ifPKiSA_iPKfiiiSC_SC_iiiii: ; @_ZN4vllm25paged_attention_v1_kernelIttLi64ELi8ELi128ELNS_18Fp8KVCacheDataTypeE0ELb0EEEvPT_PKS2_PKT0_S8_ifPKiSA_iPKfiiiSC_SC_iiiii
; %bb.0:
	s_load_dword s5, s[0:1], 0x80
	s_load_dwordx2 s[6:7], s[0:1], 0x30
	s_load_dwordx2 s[10:11], s[0:1], 0x20
	s_mov_b32 s16, s3
	s_ashr_i32 s17, s3, 31
	s_lshl_b64 s[8:9], s[16:17], 2
	s_waitcnt lgkmcnt(0)
	s_add_u32 s6, s6, s8
	s_addc_u32 s7, s7, s9
	s_abs_i32 s3, s10
	v_cvt_f32_u32_e32 v1, s3
	s_xor_b32 s8, s5, s10
	s_sub_i32 s10, 0, s3
	s_abs_i32 s9, s5
	v_rcp_iflag_f32_e32 v1, v1
	s_ashr_i32 s8, s8, 31
	v_mul_f32_e32 v1, 0x4f7ffffe, v1
	v_cvt_u32_f32_e32 v1, v1
	s_nop 0
	v_readfirstlane_b32 s12, v1
	s_mul_i32 s10, s10, s12
	s_mul_hi_u32 s10, s12, s10
	s_add_i32 s12, s12, s10
	s_mul_hi_u32 s10, s9, s12
	s_mul_i32 s12, s10, s3
	s_sub_i32 s9, s9, s12
	s_add_i32 s12, s10, 1
	s_sub_i32 s13, s9, s3
	s_cmp_ge_u32 s9, s3
	s_cselect_b32 s10, s12, s10
	s_cselect_b32 s9, s13, s9
	s_add_i32 s12, s10, 1
	s_cmp_ge_u32 s9, s3
	s_cselect_b32 s3, s12, s10
	s_xor_b32 s3, s3, s8
	s_sub_i32 s18, s3, s8
	s_abs_i32 s20, s18
	v_cvt_f32_u32_e32 v1, s20
	s_load_dwordx2 s[8:9], s[0:1], 0x40
	s_sub_i32 s3, 0, s20
	s_abs_i32 s21, s2
	v_rcp_iflag_f32_e32 v1, v1
	s_mov_b32 s10, 0
	v_mul_f32_e32 v1, 0x4f7ffffe, v1
	v_cvt_u32_f32_e32 v1, v1
	s_nop 0
	v_readfirstlane_b32 s12, v1
	s_mul_i32 s3, s3, s12
	s_mul_hi_u32 s3, s12, s3
	s_add_i32 s12, s12, s3
	s_waitcnt lgkmcnt(0)
	s_cmp_eq_u64 s[8:9], 0
	s_mul_hi_u32 s24, s21, s12
	s_cbranch_scc1 .LBB64_2
; %bb.1:
	s_ashr_i32 s3, s2, 31
	s_lshl_b64 s[12:13], s[2:3], 2
	s_add_u32 s8, s8, s12
	s_addc_u32 s9, s9, s13
	s_load_dword s10, s[8:9], 0x0
.LBB64_2:
	s_load_dword s17, s[6:7], 0x0
	s_load_dwordx4 s[12:15], s[0:1], 0x48
	s_ashr_i32 s6, s2, 31
	s_ashr_i32 s7, s18, 31
	v_and_b32_e32 v4, 7, v0
	s_lshl_b32 s18, s2, 6
	v_cmp_gt_u32_e64 s[8:9], 64, v0
	s_and_saveexec_b64 s[2:3], s[8:9]
	s_cbranch_execz .LBB64_4
; %bb.3:
	s_load_dwordx2 s[22:23], s[0:1], 0x8
	s_waitcnt lgkmcnt(0)
	s_mul_i32 s26, s12, s16
	s_ashr_i32 s27, s26, 31
	s_lshl_b64 s[26:27], s[26:27], 1
	v_lshlrev_b32_e32 v1, 1, v0
	s_add_u32 s12, s22, s26
	s_addc_u32 s15, s23, s27
	s_ashr_i32 s19, s18, 31
	s_lshl_b64 s[22:23], s[18:19], 1
	s_add_u32 s22, s12, s22
	s_addc_u32 s23, s15, s23
	global_load_ushort v1, v1, s[22:23]
	v_lshrrev_b32_e32 v2, 2, v0
	v_and_b32_e32 v2, 0xfe, v2
	v_lshl_add_u32 v2, v4, 4, v2
	s_waitcnt vmcnt(0)
	ds_write_b16 v2, v1
.LBB64_4:
	s_or_b64 exec, exec, s[2:3]
	s_waitcnt lgkmcnt(0)
	s_add_i32 s3, s17, 7
	s_ashr_i32 s12, s3, 31
	s_lshr_b32 s12, s12, 29
	s_add_i32 s3, s3, s12
	s_ashr_i32 s19, s3, 3
	s_xor_b32 s3, s6, s7
	s_mul_i32 s6, s24, s20
	s_sub_i32 s6, s21, s6
	s_add_i32 s7, s24, 1
	s_sub_i32 s12, s6, s20
	s_load_dwordx2 s[22:23], s[0:1], 0x28
	s_load_dword s2, s[0:1], 0x38
	s_cmp_ge_u32 s6, s20
	s_cselect_b32 s7, s7, s24
	s_cselect_b32 s6, s12, s6
	s_add_i32 s12, s7, 1
	s_cmp_ge_u32 s6, s20
	s_cselect_b32 s6, s12, s7
	v_lshrrev_b32_e32 v12, 6, v0
	s_xor_b32 s6, s6, s3
	s_waitcnt lgkmcnt(0)
	s_mul_i32 s24, s2, s16
	s_sub_i32 s15, s6, s3
	s_ashr_i32 s25, s24, 31
	v_cmp_gt_i32_e64 s[2:3], s19, v12
	v_cmp_le_i32_e32 vcc, s19, v12
	v_mbcnt_lo_u32_b32 v14, -1, 0
	s_barrier
                                        ; implicit-def: $vgpr6
                                        ; implicit-def: $vgpr8
                                        ; implicit-def: $vgpr7
	s_and_saveexec_b64 s[6:7], vcc
	s_xor_b64 s[6:7], exec, s[6:7]
; %bb.5:
	v_mbcnt_hi_u32_b32 v6, -1, v14
	v_and_b32_e32 v8, 64, v6
	v_add_u32_e32 v7, 64, v8
                                        ; implicit-def: $vgpr4
                                        ; implicit-def: $vgpr14
; %bb.6:
	s_or_saveexec_b64 s[28:29], s[6:7]
	s_load_dwordx2 s[20:21], s[0:1], 0x0
	s_load_dwordx2 s[26:27], s[0:1], 0x18
	s_load_dword s12, s[0:1], 0x88
	v_mov_b32_e32 v9, 0xff7fffff
	s_mul_i32 s14, s15, s14
	v_lshrrev_b32_e32 v1, 4, v0
	s_xor_b64 exec, exec, s[28:29]
	s_cbranch_execz .LBB64_12
; %bb.7:
	s_load_dwordx2 s[0:1], s[0:1], 0x10
	s_ashr_i32 s15, s14, 31
	s_lshl_b64 s[6:7], s[14:15], 1
	v_bfe_u32 v5, v0, 3, 3
	v_lshlrev_b32_e32 v6, 4, v5
	s_waitcnt lgkmcnt(0)
	s_add_u32 s0, s0, s6
	s_addc_u32 s1, s1, s7
	v_mov_b32_e32 v7, 0
	s_sub_i32 s15, 1, s17
	s_lshl_b64 s[6:7], s[24:25], 2
	v_lshl_add_u64 v[2:3], s[0:1], 0, v[6:7]
	v_lshlrev_b32_e32 v6, 1, v4
	v_lshlrev_b32_e32 v10, 4, v4
	v_cmp_eq_u32_e32 vcc, 0, v4
	v_lshlrev_b32_e32 v4, 2, v5
	s_add_u32 s6, s22, s6
	v_lshl_add_u64 v[2:3], v[2:3], 0, v[6:7]
	v_lshl_or_b32 v4, v12, 5, v4
	v_and_b32_e32 v6, 60, v1
	s_addc_u32 s7, s23, s7
	v_lshl_or_b32 v11, v12, 3, v5
	v_add_u32_e32 v13, 0x90, v4
	v_lshl_add_u64 v[4:5], s[6:7], 0, v[6:7]
	v_mbcnt_hi_u32_b32 v6, -1, v14
	v_and_b32_e32 v8, 64, v6
	s_mov_b32 s33, s13
	v_cmp_neq_f32_e64 s[0:1], s10, 0
	v_mov_b32_e32 v9, 0xff7fffff
	s_mov_b64 s[30:31], 0
	v_add_u32_e32 v7, 64, v8
	v_xor_b32_e32 v14, 4, v6
	v_xor_b32_e32 v15, 2, v6
	;; [unrolled: 1-line block ×3, first 2 shown]
	v_mov_b32_e32 v17, v12
	s_branch .LBB64_9
.LBB64_8:                               ;   in Loop: Header=BB64_9 Depth=1
	s_or_b64 exec, exec, s[34:35]
	v_add_u32_e32 v17, 2, v17
	v_cmp_le_i32_e64 s[6:7], s19, v17
	v_add_u32_e32 v11, 16, v11
	v_add_u32_e32 v13, 64, v13
	s_or_b64 s[30:31], s[6:7], s[30:31]
	v_lshl_add_u64 v[4:5], v[4:5], 0, 8
	s_andn2_b64 exec, exec, s[30:31]
	s_cbranch_execz .LBB64_11
.LBB64_9:                               ; =>This Inner Loop Header: Depth=1
	global_load_dword v18, v[4:5], off
	s_waitcnt vmcnt(0) lgkmcnt(0)
	v_mad_i64_i32 v[18:19], s[6:7], v18, s33, 0
	v_lshl_add_u64 v[18:19], v[18:19], 1, v[2:3]
	global_load_ushort v20, v[18:19], off
	global_load_ushort v21, v[18:19], off offset:128
	global_load_ushort v23, v[18:19], off offset:256
	;; [unrolled: 1-line block ×7, first 2 shown]
	ds_read_u16 v18, v10
	s_waitcnt lgkmcnt(0)
	;;#ASMSTART
	v_cvt_f32_f16 v18, v18;
	;;#ASMEND
	v_cmp_lt_i32_e64 s[6:7], v14, v7
	s_waitcnt vmcnt(7)
	;;#ASMSTART
	v_cvt_f32_f16 v19, v20;
	;;#ASMEND
	ds_read_u16 v20, v10 offset:2
	s_waitcnt lgkmcnt(0)
	;;#ASMSTART
	v_cvt_f32_f16 v20, v20;
	;;#ASMEND
	s_waitcnt vmcnt(6)
	;;#ASMSTART
	v_cvt_f32_f16 v21, v21;
	;;#ASMEND
	ds_read_u16 v22, v10 offset:4
	v_mul_f32_e32 v20, v20, v21
	v_fmac_f32_e32 v20, v18, v19
	s_waitcnt lgkmcnt(0)
	;;#ASMSTART
	v_cvt_f32_f16 v22, v22;
	;;#ASMEND
	s_waitcnt vmcnt(5)
	;;#ASMSTART
	v_cvt_f32_f16 v23, v23;
	;;#ASMEND
	ds_read_u16 v24, v10 offset:6
	v_fmac_f32_e32 v20, v22, v23
	s_waitcnt lgkmcnt(0)
	;;#ASMSTART
	v_cvt_f32_f16 v24, v24;
	;;#ASMEND
	s_waitcnt vmcnt(4)
	;;#ASMSTART
	v_cvt_f32_f16 v25, v25;
	;;#ASMEND
	ds_read_u16 v26, v10 offset:8
	;; [unrolled: 10-line block ×3, first 2 shown]
	v_fmac_f32_e32 v20, v26, v27
	s_waitcnt lgkmcnt(0)
	;;#ASMSTART
	v_cvt_f32_f16 v29, v29;
	;;#ASMEND
	s_waitcnt vmcnt(2)
	;;#ASMSTART
	v_cvt_f32_f16 v30, v30;
	;;#ASMEND
	v_cndmask_b32_e64 v28, v6, v14, s[6:7]
	v_fmac_f32_e32 v20, v29, v30
	ds_read_u16 v33, v10 offset:12
	s_waitcnt lgkmcnt(0)
	;;#ASMSTART
	v_cvt_f32_f16 v18, v33;
	;;#ASMEND
	s_waitcnt vmcnt(1)
	;;#ASMSTART
	v_cvt_f32_f16 v19, v31;
	;;#ASMEND
	v_lshlrev_b32_e32 v28, 2, v28
	v_fmac_f32_e32 v20, v18, v19
	ds_read_u16 v21, v10 offset:14
	s_waitcnt lgkmcnt(0)
	;;#ASMSTART
	v_cvt_f32_f16 v18, v21;
	;;#ASMEND
	s_waitcnt vmcnt(0)
	;;#ASMSTART
	v_cvt_f32_f16 v19, v32;
	;;#ASMEND
	v_cmp_lt_i32_e64 s[6:7], v15, v7
	v_fmac_f32_e32 v20, v18, v19
	ds_bpermute_b32 v18, v28, v20
	v_cndmask_b32_e64 v19, v6, v15, s[6:7]
	v_lshlrev_b32_e32 v19, 2, v19
	v_cmp_lt_i32_e64 s[6:7], v16, v7
	s_waitcnt lgkmcnt(0)
	v_add_f32_e32 v18, v20, v18
	ds_bpermute_b32 v19, v19, v18
	v_cndmask_b32_e64 v20, v6, v16, s[6:7]
	s_waitcnt lgkmcnt(0)
	v_add_f32_e32 v18, v18, v19
	v_lshlrev_b32_e32 v19, 2, v20
	ds_bpermute_b32 v19, v19, v18
	s_and_saveexec_b64 s[34:35], vcc
	s_cbranch_execz .LBB64_8
; %bb.10:                               ;   in Loop: Header=BB64_9 Depth=1
	v_add_u32_e32 v20, s15, v11
	v_cvt_f32_i32_e32 v20, v20
	s_waitcnt lgkmcnt(0)
	v_add_f32_e32 v18, v18, v19
	v_cmp_gt_i32_e64 s[6:7], s17, v11
	v_max_f32_e32 v19, v9, v9
	v_mul_f32_e32 v20, s10, v20
	v_cndmask_b32_e64 v20, 0, v20, s[0:1]
	v_fmac_f32_e32 v20, s11, v18
	v_cndmask_b32_e64 v18, 0, v20, s[6:7]
	ds_write_b32 v13, v18
	v_max_f32_e32 v18, v19, v20
	v_cndmask_b32_e64 v9, v9, v18, s[6:7]
	s_branch .LBB64_8
.LBB64_11:
	s_or_b64 exec, exec, s[30:31]
.LBB64_12:
	s_or_b64 exec, exec, s[28:29]
	v_xor_b32_e32 v2, 32, v6
	v_cmp_lt_i32_e32 vcc, v2, v7
	v_xor_b32_e32 v5, 16, v6
	v_max_f32_e32 v4, v9, v9
	v_cndmask_b32_e32 v2, v6, v2, vcc
	v_lshlrev_b32_e32 v3, 2, v2
	ds_bpermute_b32 v2, v3, v9
	v_cmp_lt_i32_e32 vcc, v5, v7
	v_xor_b32_e32 v9, 8, v6
	v_and_b32_e32 v13, 63, v0
	s_waitcnt lgkmcnt(0)
	v_max_f32_e32 v2, v2, v2
	v_max_f32_e32 v2, v4, v2
	v_cndmask_b32_e32 v4, v6, v5, vcc
	v_lshlrev_b32_e32 v5, 2, v4
	ds_bpermute_b32 v4, v5, v2
	v_cmp_lt_i32_e32 vcc, v9, v7
	s_waitcnt lgkmcnt(0)
	v_max_f32_e32 v4, v4, v4
	v_max_f32_e32 v4, v2, v4
	v_cndmask_b32_e32 v2, v6, v9, vcc
	v_lshlrev_b32_e32 v10, 2, v2
	ds_bpermute_b32 v9, v10, v4
	v_cmp_eq_u32_e32 vcc, 0, v13
	v_lshlrev_b32_e32 v2, 2, v12
	s_and_saveexec_b64 s[0:1], vcc
	s_cbranch_execz .LBB64_14
; %bb.13:
	s_waitcnt lgkmcnt(0)
	v_max_f32_e32 v9, v9, v9
	v_max_f32_e32 v4, v4, v4
	;; [unrolled: 1-line block ×3, first 2 shown]
	ds_write_b32 v2, v4 offset:128
.LBB64_14:
	s_or_b64 exec, exec, s[0:1]
	v_cmp_gt_u32_e64 s[0:1], 2, v13
	v_mov_b32_e32 v11, 0xff7fffff
	v_lshlrev_b32_e32 v4, 2, v13
	s_waitcnt lgkmcnt(0)
	s_barrier
	s_and_saveexec_b64 s[6:7], s[0:1]
; %bb.15:
	ds_read_b32 v11, v4 offset:128
; %bb.16:
	s_or_b64 exec, exec, s[6:7]
	v_xor_b32_e32 v9, 1, v6
	v_cmp_lt_i32_e64 s[6:7], v9, v7
	v_lshlrev_b32_e32 v8, 2, v8
	s_nop 0
	v_cndmask_b32_e64 v9, v6, v9, s[6:7]
	v_lshlrev_b32_e32 v9, 2, v9
	s_waitcnt lgkmcnt(0)
	ds_bpermute_b32 v14, v9, v11
	v_max_f32_e32 v11, v11, v11
	s_lshl_b32 s6, s19, 3
	s_min_i32 s15, s6, s17
	v_cmp_gt_i32_e64 s[6:7], s15, v0
	s_waitcnt lgkmcnt(0)
	v_max_f32_e32 v14, v14, v14
	v_max_f32_e32 v11, v11, v14
	ds_bpermute_b32 v11, v8, v11
	v_mov_b32_e32 v8, 0
	s_and_saveexec_b64 s[28:29], s[6:7]
	s_cbranch_execz .LBB64_20
; %bb.17:
	v_mov_b32_e32 v8, 0x90
	v_lshl_add_u32 v14, v0, 2, v8
	v_mov_b32_e32 v8, 0
	s_mov_b64 s[30:31], 0
	v_mov_b32_e32 v15, v0
.LBB64_18:                              ; =>This Inner Loop Header: Depth=1
	ds_read_b32 v16, v14
	v_add_u32_e32 v15, 0x80, v15
	v_cmp_le_i32_e64 s[10:11], s15, v15
	s_or_b64 s[30:31], s[10:11], s[30:31]
	s_waitcnt lgkmcnt(0)
	v_sub_f32_e32 v16, v16, v11
	v_mul_f32_e32 v16, 0x3fb8aa3b, v16
	v_exp_f32_e32 v16, v16
	ds_write_b32 v14, v16
	v_add_f32_e32 v8, v8, v16
	v_add_u32_e32 v14, 0x200, v14
	s_andn2_b64 exec, exec, s[30:31]
	s_cbranch_execnz .LBB64_18
; %bb.19:
	s_or_b64 exec, exec, s[30:31]
.LBB64_20:
	s_or_b64 exec, exec, s[28:29]
	ds_bpermute_b32 v3, v3, v8
	s_waitcnt lgkmcnt(0)
	v_add_f32_e32 v3, v8, v3
	ds_bpermute_b32 v5, v5, v3
	v_xor_b32_e32 v8, 4, v6
	v_cmp_lt_i32_e64 s[10:11], v8, v7
	s_waitcnt lgkmcnt(0)
	v_add_f32_e32 v3, v3, v5
	ds_bpermute_b32 v5, v10, v3
	v_cndmask_b32_e64 v8, v6, v8, s[10:11]
	v_lshlrev_b32_e32 v8, 2, v8
	s_waitcnt lgkmcnt(0)
	v_add_f32_e32 v3, v3, v5
	ds_bpermute_b32 v5, v8, v3
	v_xor_b32_e32 v8, 2, v6
	v_cmp_lt_i32_e64 s[10:11], v8, v7
	s_waitcnt lgkmcnt(0)
	v_add_f32_e32 v3, v3, v5
	v_cndmask_b32_e64 v7, v6, v8, s[10:11]
	v_lshlrev_b32_e32 v5, 2, v7
	ds_bpermute_b32 v5, v5, v3
	s_waitcnt lgkmcnt(0)
	v_add_f32_e32 v3, v3, v5
	ds_bpermute_b32 v5, v9, v3
	s_waitcnt lgkmcnt(0)
	v_add_f32_e32 v3, v3, v5
	s_and_saveexec_b64 s[10:11], vcc
; %bb.21:
	ds_write_b32 v2, v3 offset:136
; %bb.22:
	s_or_b64 exec, exec, s[10:11]
	s_waitcnt lgkmcnt(0)
	s_barrier
	s_and_saveexec_b64 s[10:11], s[0:1]
; %bb.23:
	ds_read_b32 v3, v4 offset:136
; %bb.24:
	s_or_b64 exec, exec, s[10:11]
	s_waitcnt lgkmcnt(0)
	ds_bpermute_b32 v2, v9, v3
	v_lshlrev_b32_e32 v4, 2, v6
	s_waitcnt lgkmcnt(0)
	v_add_f32_e32 v2, v3, v2
	v_and_b32_e32 v3, 0xffffff00, v4
	ds_bpermute_b32 v2, v3, v2
	s_and_saveexec_b64 s[0:1], s[6:7]
	s_cbranch_execz .LBB64_37
; %bb.25:
	s_waitcnt lgkmcnt(0)
	v_add_f32_e32 v2, 0x358637bd, v2
	v_div_scale_f32 v3, s[6:7], v2, v2, 1.0
	v_rcp_f32_e32 v4, v3
	v_div_scale_f32 v5, vcc, 1.0, v2, 1.0
	s_movk_i32 s6, 0x7f
	v_fma_f32 v6, -v3, v4, 1.0
	v_fmac_f32_e32 v4, v6, v4
	v_mul_f32_e32 v6, v5, v4
	v_fma_f32 v7, -v3, v6, v5
	v_fmac_f32_e32 v6, v7, v4
	v_fma_f32 v3, -v3, v6, v5
	v_div_fmas_f32 v3, v3, v4, v6
	v_xad_u32 v4, v0, -1, s15
	v_div_fixup_f32 v2, v3, v2, 1.0
	v_cmp_lt_u32_e32 vcc, s6, v4
	s_mov_b64 s[10:11], -1
	v_mov_b32_e32 v3, v0
	s_and_saveexec_b64 s[6:7], vcc
	s_cbranch_execz .LBB64_34
; %bb.26:
	v_lshrrev_b32_e32 v4, 7, v4
	v_add_u32_e32 v6, -1, v4
	v_lshrrev_b32_e32 v5, 1, v6
	v_mov_b32_e32 v3, v2
	v_add_u32_e32 v5, 1, v5
	v_cmp_lt_u32_e32 vcc, 13, v6
	v_mov_b32_e32 v8, 0
	s_and_saveexec_b64 s[10:11], vcc
	s_cbranch_execz .LBB64_30
; %bb.27:
	v_mov_b32_e32 v7, 0x90
	v_and_b32_e32 v6, -8, v5
	v_lshl_add_u32 v7, v0, 2, v7
	s_mov_b32 s30, 0
	s_mov_b64 s[28:29], 0
.LBB64_28:                              ; =>This Inner Loop Header: Depth=1
	ds_read2st64_b32 v[8:9], v7 offset1:2
	ds_read2st64_b32 v[10:11], v7 offset0:4 offset1:6
	ds_read2st64_b32 v[14:15], v7 offset0:8 offset1:10
	;; [unrolled: 1-line block ×3, first 2 shown]
	v_add_u32_e32 v6, -8, v6
	s_waitcnt lgkmcnt(3)
	v_pk_mul_f32 v[8:9], v[2:3], v[8:9]
	s_waitcnt lgkmcnt(2)
	v_pk_mul_f32 v[10:11], v[2:3], v[10:11]
	ds_write2st64_b32 v7, v8, v9 offset1:2
	ds_write2st64_b32 v7, v10, v11 offset0:4 offset1:6
	ds_read2st64_b32 v[10:11], v7 offset0:16 offset1:18
	s_waitcnt lgkmcnt(4)
	v_pk_mul_f32 v[8:9], v[2:3], v[14:15]
	ds_write2st64_b32 v7, v8, v9 offset0:8 offset1:10
	s_waitcnt lgkmcnt(4)
	v_pk_mul_f32 v[8:9], v[2:3], v[16:17]
	ds_write2st64_b32 v7, v8, v9 offset0:12 offset1:14
	ds_read2st64_b32 v[8:9], v7 offset0:20 offset1:22
	s_waitcnt lgkmcnt(3)
	v_pk_mul_f32 v[10:11], v[2:3], v[10:11]
	ds_read2st64_b32 v[14:15], v7 offset0:24 offset1:26
	ds_write2st64_b32 v7, v10, v11 offset0:16 offset1:18
	ds_read2st64_b32 v[10:11], v7 offset0:28 offset1:30
	s_waitcnt lgkmcnt(3)
	v_pk_mul_f32 v[8:9], v[2:3], v[8:9]
	ds_write2st64_b32 v7, v8, v9 offset0:20 offset1:22
	s_waitcnt lgkmcnt(3)
	v_pk_mul_f32 v[8:9], v[2:3], v[14:15]
	ds_write2st64_b32 v7, v8, v9 offset0:24 offset1:26
	s_waitcnt lgkmcnt(2)
	v_pk_mul_f32 v[8:9], v[2:3], v[10:11]
	s_add_i32 s30, s30, 16
	v_cmp_eq_u32_e32 vcc, 0, v6
	ds_write2st64_b32 v7, v8, v9 offset0:28 offset1:30
	v_add_u32_e32 v7, 0x2000, v7
	s_or_b64 s[28:29], vcc, s[28:29]
	v_mov_b32_e32 v8, s30
	s_andn2_b64 exec, exec, s[28:29]
	s_cbranch_execnz .LBB64_28
; %bb.29:
	s_or_b64 exec, exec, s[28:29]
.LBB64_30:
	s_or_b64 exec, exec, s[10:11]
	v_and_b32_e32 v5, 7, v5
	v_cmp_ne_u32_e32 vcc, 0, v5
	s_and_saveexec_b64 s[10:11], vcc
	s_cbranch_execz .LBB64_33
; %bb.31:
	v_lshlrev_b32_e32 v6, 9, v8
	v_lshlrev_b32_e32 v7, 2, v0
	s_movk_i32 s28, 0x90
	v_add3_u32 v6, v6, v7, s28
	s_mov_b64 s[28:29], 0
.LBB64_32:                              ; =>This Inner Loop Header: Depth=1
	ds_read2st64_b32 v[8:9], v6 offset1:2
	v_add_u32_e32 v5, -1, v5
	v_cmp_eq_u32_e32 vcc, 0, v5
	s_or_b64 s[28:29], vcc, s[28:29]
	s_waitcnt lgkmcnt(0)
	v_pk_mul_f32 v[8:9], v[2:3], v[8:9]
	ds_write2st64_b32 v6, v8, v9 offset1:2
	v_add_u32_e32 v6, 0x400, v6
	s_andn2_b64 exec, exec, s[28:29]
	s_cbranch_execnz .LBB64_32
.LBB64_33:
	s_or_b64 exec, exec, s[10:11]
	v_add_u32_e32 v4, 1, v4
	v_and_b32_e32 v5, 0x3fffffe, v4
	v_cmp_ne_u32_e32 vcc, v4, v5
	v_lshl_add_u32 v3, v5, 7, v0
	s_orn2_b64 s[10:11], vcc, exec
.LBB64_34:
	s_or_b64 exec, exec, s[6:7]
	s_and_b64 exec, exec, s[10:11]
	s_cbranch_execz .LBB64_37
; %bb.35:
	v_mov_b32_e32 v4, 0x90
	v_lshl_add_u32 v4, v3, 2, v4
	s_mov_b64 s[6:7], 0
.LBB64_36:                              ; =>This Inner Loop Header: Depth=1
	ds_read_b32 v5, v4
	v_add_u32_e32 v3, 0x80, v3
	v_cmp_le_i32_e32 vcc, s15, v3
	s_or_b64 s[6:7], vcc, s[6:7]
	s_waitcnt lgkmcnt(0)
	v_mul_f32_e32 v5, v2, v5
	ds_write_b32 v4, v5
	v_add_u32_e32 v4, 0x200, v4
	s_andn2_b64 exec, exec, s[6:7]
	s_cbranch_execnz .LBB64_36
.LBB64_37:
	s_or_b64 exec, exec, s[0:1]
	v_mov_b32_e32 v14, 0
	s_waitcnt lgkmcnt(0)
	s_barrier
	s_and_saveexec_b64 s[0:1], s[2:3]
	s_cbranch_execz .LBB64_43
; %bb.38:
	s_ashr_i32 s15, s14, 31
	s_lshl_b64 s[2:3], s[14:15], 1
	s_add_u32 s2, s26, s2
	s_addc_u32 s3, s27, s3
	v_lshlrev_b32_e32 v6, 4, v13
	v_mov_b32_e32 v7, 0
	v_lshl_add_u64 v[8:9], s[2:3], 0, v[6:7]
	s_add_i32 s11, s19, -1
	s_lshl_b64 s[2:3], s[24:25], 2
	s_add_u32 s2, s22, s2
	v_mov_b32_e32 v2, 0x90
	v_and_b32_e32 v6, 60, v1
	s_addc_u32 s3, s23, s3
	s_mov_b32 s10, s13
	s_mov_b32 s13, s17
	v_lshlrev_b32_e32 v15, 3, v12
	v_lshl_add_u32 v16, v12, 5, v2
	v_lshl_add_u64 v[10:11], s[2:3], 0, v[6:7]
	s_mov_b64 s[2:3], 0
	s_mov_b32 s14, 0xffff
	v_mov_b32_e32 v14, 0
	s_branch .LBB64_40
.LBB64_39:                              ;   in Loop: Header=BB64_40 Depth=1
	s_or_b64 exec, exec, s[6:7]
	v_and_b32_e32 v17, 0xffff, v17
	v_lshlrev_b32_e32 v6, 16, v6
	v_lshlrev_b32_e32 v1, 16, v1
	v_lshl_or_b32 v17, v18, 16, v17
	v_and_b32_e32 v18, 0xffff, v19
	v_and_or_b32 v2, v2, s14, v6
	v_and_or_b32 v1, v3, s14, v1
	v_lshlrev_b32_e32 v3, 16, v25
	v_lshl_or_b32 v18, v20, 16, v18
	v_and_b32_e32 v19, 0xffff, v21
	v_and_b32_e32 v20, 0xffff, v23
	v_and_or_b32 v3, v4, s14, v3
	;;#ASMSTART
	v_pk_mul_f16 v2, v17, v2;

	;;#ASMEND
	;;#ASMSTART
	v_pk_mul_f16 v1, v18, v1;

	;;#ASMEND
	v_lshl_or_b32 v19, v22, 16, v19
	v_lshl_or_b32 v20, v24, 16, v20
	;;#ASMSTART
	v_pk_mul_f16 v3, v19, v3;

	;;#ASMEND
	;;#ASMSTART
	v_pk_mul_f16 v4, v20, v5;

	;;#ASMEND
	;;#ASMSTART
	v_pk_add_f16 v1, v2, v1;

	;;#ASMEND
	v_add_u32_e32 v12, 2, v12
	;;#ASMSTART
	v_pk_add_f16 v1, v1, v3;

	;;#ASMEND
	v_cmp_le_i32_e32 vcc, s19, v12
	;;#ASMSTART
	v_pk_add_f16 v1, v1, v4;

	;;#ASMEND
	v_add_u32_e32 v15, 16, v15
	v_lshrrev_b32_e32 v2, 16, v1
	v_and_b32_e32 v1, 0xffff, v1
	;;#ASMSTART
	v_cvt_f32_f16 v1, v1;
	;;#ASMEND
	;;#ASMSTART
	v_cvt_f32_f16 v2, v2;
	;;#ASMEND
	v_add_u32_e32 v16, 64, v16
	v_add_f32_e32 v1, v1, v2
	v_add_f32_e32 v14, v14, v1
	s_or_b64 s[2:3], vcc, s[2:3]
	v_lshl_add_u64 v[10:11], v[10:11], 0, 8
	s_andn2_b64 exec, exec, s[2:3]
	s_cbranch_execz .LBB64_42
.LBB64_40:                              ; =>This Inner Loop Header: Depth=1
	global_load_dword v1, v[10:11], off
	ds_read2_b64 v[2:5], v16 offset1:1
	ds_read2_b64 v[22:25], v16 offset0:2 offset1:3
	v_cmp_eq_u32_e32 vcc, s11, v12
	s_waitcnt lgkmcnt(1)
	;;#ASMSTART
	v_cvt_f16_f32 v17, v2;

	;;#ASMEND
	;;#ASMSTART
	v_cvt_f16_f32 v18, v3;

	;;#ASMEND
	;; [unrolled: 4-line block ×4, first 2 shown]
	s_waitcnt lgkmcnt(0)
	;;#ASMSTART
	v_cvt_f16_f32 v21, v22;

	;;#ASMEND
	;;#ASMSTART
	v_cvt_f16_f32 v22, v23;

	;;#ASMEND
	;; [unrolled: 4-line block ×4, first 2 shown]
	s_waitcnt vmcnt(0)
	v_mad_i64_i32 v[2:3], s[6:7], v1, s10, 0
	v_lshl_add_u64 v[2:3], v[2:3], 1, v[8:9]
	global_load_dwordx4 v[2:5], v[2:3], off
	s_waitcnt vmcnt(0)
	v_lshrrev_b32_e32 v1, 16, v3
	v_lshrrev_b32_e32 v6, 16, v2
	;; [unrolled: 1-line block ×3, first 2 shown]
	s_and_saveexec_b64 s[6:7], vcc
	s_cbranch_execz .LBB64_39
; %bb.41:                               ;   in Loop: Header=BB64_40 Depth=1
	v_cmp_gt_i32_e32 vcc, s17, v15
	v_add_u32_e32 v28, 2, v15
	v_or_b32_e32 v26, 3, v15
	v_cndmask_b32_e32 v2, 0, v2, vcc
	v_cmp_gt_i32_e32 vcc, s17, v28
	v_or_b32_e32 v27, 1, v15
	s_nop 0
	v_cndmask_b32_e32 v3, 0, v3, vcc
	v_cmp_gt_i32_e32 vcc, s13, v26
	v_add_u32_e32 v26, 4, v15
	s_nop 0
	v_cndmask_b32_e32 v1, 0, v1, vcc
	v_cmp_gt_i32_e32 vcc, s17, v27
	v_add_u32_e32 v27, 7, v15
	;; [unrolled: 4-line block ×4, first 2 shown]
	s_nop 0
	v_cndmask_b32_e32 v25, 0, v25, vcc
	v_cmp_gt_i32_e32 vcc, s17, v26
	s_nop 1
	v_cndmask_b32_sdwa v26, v7, v5, vcc dst_sel:DWORD dst_unused:UNUSED_PAD src0_sel:DWORD src1_sel:WORD_0
	v_and_b32_e32 v5, 0xffff0000, v5
	v_cmp_gt_i32_e32 vcc, s17, v27
	s_nop 1
	v_cndmask_b32_e32 v5, 0, v5, vcc
	v_or_b32_e32 v5, v26, v5
	s_branch .LBB64_39
.LBB64_42:
	s_or_b64 exec, exec, s[2:3]
.LBB64_43:
	s_or_b64 exec, exec, s[0:1]
	v_and_b32_e32 v0, 0x3c0, v0
	v_cmp_eq_u32_e32 vcc, 64, v0
	v_mov_b32_e32 v0, 0x90
	v_lshl_add_u32 v0, v13, 2, v0
	s_barrier
	s_and_saveexec_b64 s[0:1], vcc
; %bb.44:
	ds_write_b32 v0, v14
; %bb.45:
	s_or_b64 exec, exec, s[0:1]
	s_waitcnt lgkmcnt(0)
	s_barrier
	s_and_saveexec_b64 s[0:1], s[8:9]
	s_cbranch_execz .LBB64_47
; %bb.46:
	ds_read_b32 v0, v0
	s_waitcnt lgkmcnt(0)
	v_add_f32_e32 v14, v14, v0
.LBB64_47:
	s_or_b64 exec, exec, s[0:1]
	s_barrier
	s_and_saveexec_b64 s[0:1], s[8:9]
	s_cbranch_execz .LBB64_49
; %bb.48:
	s_mul_i32 s0, s16, s12
	s_mul_i32 s0, s0, s5
	s_lshl_b32 s0, s0, 6
	s_ashr_i32 s1, s0, 31
	s_lshl_b64 s[0:1], s[0:1], 1
	s_add_u32 s2, s20, s0
	s_mul_i32 s0, s12, s18
	s_addc_u32 s3, s21, s1
	s_ashr_i32 s1, s0, 31
	s_lshl_b64 s[0:1], s[0:1], 1
	s_add_u32 s2, s2, s0
	s_addc_u32 s3, s3, s1
	s_lshl_b32 s0, s4, 6
	s_ashr_i32 s1, s0, 31
	s_lshl_b64 s[0:1], s[0:1], 1
	s_add_u32 s0, s2, s0
	s_addc_u32 s1, s3, s1
	v_lshlrev_b32_e32 v0, 1, v13
	;;#ASMSTART
	v_cvt_f16_f32 v1, v14;

	;;#ASMEND
	global_store_short v0, v1, s[0:1]
.LBB64_49:
	s_endpgm
	.section	.rodata,"a",@progbits
	.p2align	6, 0x0
	.amdhsa_kernel _ZN4vllm25paged_attention_v1_kernelIttLi64ELi8ELi128ELNS_18Fp8KVCacheDataTypeE0ELb0EEEvPT_PKS2_PKT0_S8_ifPKiSA_iPKfiiiSC_SC_iiiii
		.amdhsa_group_segment_fixed_size 144
		.amdhsa_private_segment_fixed_size 0
		.amdhsa_kernarg_size 384
		.amdhsa_user_sgpr_count 2
		.amdhsa_user_sgpr_dispatch_ptr 0
		.amdhsa_user_sgpr_queue_ptr 0
		.amdhsa_user_sgpr_kernarg_segment_ptr 1
		.amdhsa_user_sgpr_dispatch_id 0
		.amdhsa_user_sgpr_kernarg_preload_length 0
		.amdhsa_user_sgpr_kernarg_preload_offset 0
		.amdhsa_user_sgpr_private_segment_size 0
		.amdhsa_uses_dynamic_stack 0
		.amdhsa_enable_private_segment 0
		.amdhsa_system_sgpr_workgroup_id_x 1
		.amdhsa_system_sgpr_workgroup_id_y 1
		.amdhsa_system_sgpr_workgroup_id_z 1
		.amdhsa_system_sgpr_workgroup_info 0
		.amdhsa_system_vgpr_workitem_id 0
		.amdhsa_next_free_vgpr 34
		.amdhsa_next_free_sgpr 36
		.amdhsa_accum_offset 36
		.amdhsa_reserve_vcc 1
		.amdhsa_float_round_mode_32 0
		.amdhsa_float_round_mode_16_64 0
		.amdhsa_float_denorm_mode_32 3
		.amdhsa_float_denorm_mode_16_64 3
		.amdhsa_dx10_clamp 1
		.amdhsa_ieee_mode 1
		.amdhsa_fp16_overflow 0
		.amdhsa_tg_split 0
		.amdhsa_exception_fp_ieee_invalid_op 0
		.amdhsa_exception_fp_denorm_src 0
		.amdhsa_exception_fp_ieee_div_zero 0
		.amdhsa_exception_fp_ieee_overflow 0
		.amdhsa_exception_fp_ieee_underflow 0
		.amdhsa_exception_fp_ieee_inexact 0
		.amdhsa_exception_int_div_zero 0
	.end_amdhsa_kernel
	.section	.text._ZN4vllm25paged_attention_v1_kernelIttLi64ELi8ELi128ELNS_18Fp8KVCacheDataTypeE0ELb0EEEvPT_PKS2_PKT0_S8_ifPKiSA_iPKfiiiSC_SC_iiiii,"axG",@progbits,_ZN4vllm25paged_attention_v1_kernelIttLi64ELi8ELi128ELNS_18Fp8KVCacheDataTypeE0ELb0EEEvPT_PKS2_PKT0_S8_ifPKiSA_iPKfiiiSC_SC_iiiii,comdat
.Lfunc_end64:
	.size	_ZN4vllm25paged_attention_v1_kernelIttLi64ELi8ELi128ELNS_18Fp8KVCacheDataTypeE0ELb0EEEvPT_PKS2_PKT0_S8_ifPKiSA_iPKfiiiSC_SC_iiiii, .Lfunc_end64-_ZN4vllm25paged_attention_v1_kernelIttLi64ELi8ELi128ELNS_18Fp8KVCacheDataTypeE0ELb0EEEvPT_PKS2_PKT0_S8_ifPKiSA_iPKfiiiSC_SC_iiiii
                                        ; -- End function
	.set _ZN4vllm25paged_attention_v1_kernelIttLi64ELi8ELi128ELNS_18Fp8KVCacheDataTypeE0ELb0EEEvPT_PKS2_PKT0_S8_ifPKiSA_iPKfiiiSC_SC_iiiii.num_vgpr, 34
	.set _ZN4vllm25paged_attention_v1_kernelIttLi64ELi8ELi128ELNS_18Fp8KVCacheDataTypeE0ELb0EEEvPT_PKS2_PKT0_S8_ifPKiSA_iPKfiiiSC_SC_iiiii.num_agpr, 0
	.set _ZN4vllm25paged_attention_v1_kernelIttLi64ELi8ELi128ELNS_18Fp8KVCacheDataTypeE0ELb0EEEvPT_PKS2_PKT0_S8_ifPKiSA_iPKfiiiSC_SC_iiiii.numbered_sgpr, 36
	.set _ZN4vllm25paged_attention_v1_kernelIttLi64ELi8ELi128ELNS_18Fp8KVCacheDataTypeE0ELb0EEEvPT_PKS2_PKT0_S8_ifPKiSA_iPKfiiiSC_SC_iiiii.num_named_barrier, 0
	.set _ZN4vllm25paged_attention_v1_kernelIttLi64ELi8ELi128ELNS_18Fp8KVCacheDataTypeE0ELb0EEEvPT_PKS2_PKT0_S8_ifPKiSA_iPKfiiiSC_SC_iiiii.private_seg_size, 0
	.set _ZN4vllm25paged_attention_v1_kernelIttLi64ELi8ELi128ELNS_18Fp8KVCacheDataTypeE0ELb0EEEvPT_PKS2_PKT0_S8_ifPKiSA_iPKfiiiSC_SC_iiiii.uses_vcc, 1
	.set _ZN4vllm25paged_attention_v1_kernelIttLi64ELi8ELi128ELNS_18Fp8KVCacheDataTypeE0ELb0EEEvPT_PKS2_PKT0_S8_ifPKiSA_iPKfiiiSC_SC_iiiii.uses_flat_scratch, 0
	.set _ZN4vllm25paged_attention_v1_kernelIttLi64ELi8ELi128ELNS_18Fp8KVCacheDataTypeE0ELb0EEEvPT_PKS2_PKT0_S8_ifPKiSA_iPKfiiiSC_SC_iiiii.has_dyn_sized_stack, 0
	.set _ZN4vllm25paged_attention_v1_kernelIttLi64ELi8ELi128ELNS_18Fp8KVCacheDataTypeE0ELb0EEEvPT_PKS2_PKT0_S8_ifPKiSA_iPKfiiiSC_SC_iiiii.has_recursion, 0
	.set _ZN4vllm25paged_attention_v1_kernelIttLi64ELi8ELi128ELNS_18Fp8KVCacheDataTypeE0ELb0EEEvPT_PKS2_PKT0_S8_ifPKiSA_iPKfiiiSC_SC_iiiii.has_indirect_call, 0
	.section	.AMDGPU.csdata,"",@progbits
; Kernel info:
; codeLenInByte = 3840
; TotalNumSgprs: 42
; NumVgprs: 34
; NumAgprs: 0
; TotalNumVgprs: 34
; ScratchSize: 0
; MemoryBound: 0
; FloatMode: 240
; IeeeMode: 1
; LDSByteSize: 144 bytes/workgroup (compile time only)
; SGPRBlocks: 5
; VGPRBlocks: 4
; NumSGPRsForWavesPerEU: 42
; NumVGPRsForWavesPerEU: 34
; AccumOffset: 36
; Occupancy: 8
; WaveLimiterHint : 1
; COMPUTE_PGM_RSRC2:SCRATCH_EN: 0
; COMPUTE_PGM_RSRC2:USER_SGPR: 2
; COMPUTE_PGM_RSRC2:TRAP_HANDLER: 0
; COMPUTE_PGM_RSRC2:TGID_X_EN: 1
; COMPUTE_PGM_RSRC2:TGID_Y_EN: 1
; COMPUTE_PGM_RSRC2:TGID_Z_EN: 1
; COMPUTE_PGM_RSRC2:TIDIG_COMP_CNT: 0
; COMPUTE_PGM_RSRC3_GFX90A:ACCUM_OFFSET: 8
; COMPUTE_PGM_RSRC3_GFX90A:TG_SPLIT: 0
	.section	.text._ZN4vllm25paged_attention_v1_kernelIttLi80ELi8ELi128ELNS_18Fp8KVCacheDataTypeE0ELb0EEEvPT_PKS2_PKT0_S8_ifPKiSA_iPKfiiiSC_SC_iiiii,"axG",@progbits,_ZN4vllm25paged_attention_v1_kernelIttLi80ELi8ELi128ELNS_18Fp8KVCacheDataTypeE0ELb0EEEvPT_PKS2_PKT0_S8_ifPKiSA_iPKfiiiSC_SC_iiiii,comdat
	.protected	_ZN4vllm25paged_attention_v1_kernelIttLi80ELi8ELi128ELNS_18Fp8KVCacheDataTypeE0ELb0EEEvPT_PKS2_PKT0_S8_ifPKiSA_iPKfiiiSC_SC_iiiii ; -- Begin function _ZN4vllm25paged_attention_v1_kernelIttLi80ELi8ELi128ELNS_18Fp8KVCacheDataTypeE0ELb0EEEvPT_PKS2_PKT0_S8_ifPKiSA_iPKfiiiSC_SC_iiiii
	.globl	_ZN4vllm25paged_attention_v1_kernelIttLi80ELi8ELi128ELNS_18Fp8KVCacheDataTypeE0ELb0EEEvPT_PKS2_PKT0_S8_ifPKiSA_iPKfiiiSC_SC_iiiii
	.p2align	8
	.type	_ZN4vllm25paged_attention_v1_kernelIttLi80ELi8ELi128ELNS_18Fp8KVCacheDataTypeE0ELb0EEEvPT_PKS2_PKT0_S8_ifPKiSA_iPKfiiiSC_SC_iiiii,@function
_ZN4vllm25paged_attention_v1_kernelIttLi80ELi8ELi128ELNS_18Fp8KVCacheDataTypeE0ELb0EEEvPT_PKS2_PKT0_S8_ifPKiSA_iPKfiiiSC_SC_iiiii: ; @_ZN4vllm25paged_attention_v1_kernelIttLi80ELi8ELi128ELNS_18Fp8KVCacheDataTypeE0ELb0EEEvPT_PKS2_PKT0_S8_ifPKiSA_iPKfiiiSC_SC_iiiii
; %bb.0:
	s_load_dword s5, s[0:1], 0x80
	s_load_dwordx2 s[6:7], s[0:1], 0x30
	s_load_dwordx2 s[10:11], s[0:1], 0x20
	s_mov_b32 s16, s3
	s_ashr_i32 s17, s3, 31
	s_lshl_b64 s[8:9], s[16:17], 2
	s_waitcnt lgkmcnt(0)
	s_add_u32 s6, s6, s8
	s_addc_u32 s7, s7, s9
	s_abs_i32 s3, s10
	v_cvt_f32_u32_e32 v1, s3
	s_xor_b32 s8, s5, s10
	s_sub_i32 s10, 0, s3
	s_abs_i32 s9, s5
	v_rcp_iflag_f32_e32 v1, v1
	s_ashr_i32 s8, s8, 31
	v_mul_f32_e32 v1, 0x4f7ffffe, v1
	v_cvt_u32_f32_e32 v1, v1
	s_nop 0
	v_readfirstlane_b32 s12, v1
	s_mul_i32 s10, s10, s12
	s_mul_hi_u32 s10, s12, s10
	s_add_i32 s12, s12, s10
	s_mul_hi_u32 s10, s9, s12
	s_mul_i32 s12, s10, s3
	s_sub_i32 s9, s9, s12
	s_add_i32 s12, s10, 1
	s_sub_i32 s13, s9, s3
	s_cmp_ge_u32 s9, s3
	s_cselect_b32 s10, s12, s10
	s_cselect_b32 s9, s13, s9
	s_add_i32 s12, s10, 1
	s_cmp_ge_u32 s9, s3
	s_cselect_b32 s3, s12, s10
	s_xor_b32 s3, s3, s8
	s_sub_i32 s12, s3, s8
	s_abs_i32 s20, s12
	v_cvt_f32_u32_e32 v1, s20
	s_load_dwordx2 s[8:9], s[0:1], 0x40
	s_sub_i32 s3, 0, s20
	s_abs_i32 s21, s2
	v_rcp_iflag_f32_e32 v1, v1
	s_mov_b32 s10, 0
	v_mul_f32_e32 v1, 0x4f7ffffe, v1
	v_cvt_u32_f32_e32 v1, v1
	s_nop 0
	v_readfirstlane_b32 s13, v1
	s_mul_i32 s3, s3, s13
	s_mul_hi_u32 s3, s13, s3
	s_add_i32 s13, s13, s3
	s_waitcnt lgkmcnt(0)
	s_cmp_eq_u64 s[8:9], 0
	s_mul_hi_u32 s24, s21, s13
	s_cbranch_scc1 .LBB65_2
; %bb.1:
	s_ashr_i32 s3, s2, 31
	s_lshl_b64 s[14:15], s[2:3], 2
	s_add_u32 s8, s8, s14
	s_addc_u32 s9, s9, s15
	s_load_dword s10, s[8:9], 0x0
.LBB65_2:
	s_load_dword s17, s[6:7], 0x0
	s_ashr_i32 s9, s12, 31
	s_load_dwordx4 s[12:15], s[0:1], 0x48
	s_movk_i32 s3, 0x50
	s_ashr_i32 s8, s2, 31
	v_and_b32_e32 v4, 7, v0
	s_mul_i32 s18, s2, 0x50
	v_cmp_gt_u32_e64 s[6:7], s3, v0
	v_lshlrev_b32_e32 v6, 1, v0
	s_and_saveexec_b64 s[2:3], s[6:7]
	s_cbranch_execz .LBB65_4
; %bb.3:
	s_load_dwordx2 s[22:23], s[0:1], 0x8
	s_waitcnt lgkmcnt(0)
	s_mul_i32 s26, s12, s16
	s_ashr_i32 s27, s26, 31
	s_lshl_b64 s[26:27], s[26:27], 1
	v_lshrrev_b32_e32 v2, 2, v0
	s_add_u32 s12, s22, s26
	s_addc_u32 s15, s23, s27
	s_ashr_i32 s19, s18, 31
	s_lshl_b64 s[22:23], s[18:19], 1
	s_add_u32 s22, s12, s22
	s_addc_u32 s23, s15, s23
	global_load_ushort v1, v6, s[22:23]
	v_and_b32_e32 v2, 0xfe, v2
	v_mad_u32_u24 v2, v4, 20, v2
	s_waitcnt vmcnt(0)
	ds_write_b16 v2, v1
.LBB65_4:
	s_or_b64 exec, exec, s[2:3]
	s_waitcnt lgkmcnt(0)
	s_add_i32 s3, s17, 7
	s_ashr_i32 s12, s3, 31
	s_lshr_b32 s12, s12, 29
	s_add_i32 s3, s3, s12
	s_ashr_i32 s33, s3, 3
	s_xor_b32 s3, s8, s9
	s_mul_i32 s8, s24, s20
	s_sub_i32 s8, s21, s8
	s_add_i32 s9, s24, 1
	s_sub_i32 s12, s8, s20
	s_load_dwordx2 s[22:23], s[0:1], 0x28
	s_load_dword s2, s[0:1], 0x38
	s_cmp_ge_u32 s8, s20
	s_cselect_b32 s9, s9, s24
	s_cselect_b32 s8, s12, s8
	s_add_i32 s12, s9, 1
	s_cmp_ge_u32 s8, s20
	s_cselect_b32 s8, s12, s9
	v_lshrrev_b32_e32 v7, 6, v0
	s_xor_b32 s8, s8, s3
	s_waitcnt lgkmcnt(0)
	s_mul_i32 s24, s2, s16
	s_sub_i32 s12, s8, s3
	s_ashr_i32 s25, s24, 31
	v_cmp_gt_i32_e64 s[2:3], s33, v7
	v_cmp_le_i32_e32 vcc, s33, v7
	v_mbcnt_lo_u32_b32 v15, -1, 0
	s_barrier
                                        ; implicit-def: $vgpr8
                                        ; implicit-def: $vgpr10
                                        ; implicit-def: $vgpr9
	s_and_saveexec_b64 s[8:9], vcc
	s_xor_b64 s[8:9], exec, s[8:9]
; %bb.5:
	v_mbcnt_hi_u32_b32 v8, -1, v15
	v_and_b32_e32 v10, 64, v8
	v_add_u32_e32 v9, 64, v10
                                        ; implicit-def: $vgpr4
                                        ; implicit-def: $vgpr15
; %bb.6:
	s_or_saveexec_b64 s[28:29], s[8:9]
	s_load_dwordx2 s[20:21], s[0:1], 0x0
	s_load_dwordx2 s[26:27], s[0:1], 0x18
	s_load_dword s19, s[0:1], 0x88
	v_mov_b32_e32 v11, 0xff7fffff
	s_mul_i32 s14, s12, s14
	v_lshrrev_b32_e32 v1, 4, v0
	s_xor_b64 exec, exec, s[28:29]
	s_cbranch_execz .LBB65_12
; %bb.7:
	s_load_dwordx2 s[0:1], s[0:1], 0x10
	s_ashr_i32 s15, s14, 31
	s_lshl_b64 s[8:9], s[14:15], 1
	v_bfe_u32 v5, v0, 3, 3
	v_lshlrev_b32_e32 v8, 4, v5
	s_waitcnt lgkmcnt(0)
	s_add_u32 s0, s0, s8
	s_addc_u32 s1, s1, s9
	v_mov_b32_e32 v9, 0
	s_sub_i32 s15, 1, s17
	s_lshl_b64 s[8:9], s[24:25], 2
	v_lshl_add_u64 v[2:3], s[0:1], 0, v[8:9]
	v_lshlrev_b32_e32 v8, 1, v4
	v_mul_u32_u24_e32 v12, 20, v4
	v_cmp_eq_u32_e32 vcc, 0, v4
	v_lshlrev_b32_e32 v4, 2, v5
	s_add_u32 s8, s22, s8
	v_lshl_add_u64 v[2:3], v[2:3], 0, v[8:9]
	v_lshl_or_b32 v4, v7, 5, v4
	v_and_b32_e32 v8, 60, v1
	s_addc_u32 s9, s23, s9
	v_lshl_or_b32 v13, v7, 3, v5
	v_add_u32_e32 v14, 0xb0, v4
	v_lshl_add_u64 v[4:5], s[8:9], 0, v[8:9]
	v_mbcnt_hi_u32_b32 v8, -1, v15
	v_and_b32_e32 v10, 64, v8
	s_mov_b32 s12, s13
	v_cmp_neq_f32_e64 s[0:1], s10, 0
	v_mov_b32_e32 v11, 0xff7fffff
	s_mov_b64 s[30:31], 0
	v_add_u32_e32 v9, 64, v10
	v_xor_b32_e32 v15, 4, v8
	v_xor_b32_e32 v16, 2, v8
	;; [unrolled: 1-line block ×3, first 2 shown]
	v_mov_b32_e32 v18, v7
	s_branch .LBB65_9
.LBB65_8:                               ;   in Loop: Header=BB65_9 Depth=1
	s_or_b64 exec, exec, s[34:35]
	v_add_u32_e32 v18, 2, v18
	v_cmp_le_i32_e64 s[8:9], s33, v18
	v_add_u32_e32 v13, 16, v13
	v_add_u32_e32 v14, 64, v14
	s_or_b64 s[30:31], s[8:9], s[30:31]
	v_lshl_add_u64 v[4:5], v[4:5], 0, 8
	s_andn2_b64 exec, exec, s[30:31]
	s_cbranch_execz .LBB65_11
.LBB65_9:                               ; =>This Inner Loop Header: Depth=1
	global_load_dword v19, v[4:5], off
	s_waitcnt vmcnt(0) lgkmcnt(0)
	v_mad_i64_i32 v[20:21], s[8:9], v19, s12, 0
	v_lshl_add_u64 v[20:21], v[20:21], 1, v[2:3]
	global_load_ushort v22, v[20:21], off
	global_load_ushort v23, v[20:21], off offset:128
	global_load_ushort v24, v[20:21], off offset:256
	;; [unrolled: 1-line block ×9, first 2 shown]
	ds_read_u16 v19, v12
	s_waitcnt lgkmcnt(0)
	;;#ASMSTART
	v_cvt_f32_f16 v19, v19;
	;;#ASMEND
	v_cmp_lt_i32_e64 s[8:9], v15, v9
	s_waitcnt vmcnt(9)
	;;#ASMSTART
	v_cvt_f32_f16 v20, v22;
	;;#ASMEND
	ds_read_u16 v21, v12 offset:2
	s_waitcnt lgkmcnt(0)
	;;#ASMSTART
	v_cvt_f32_f16 v21, v21;
	;;#ASMEND
	s_waitcnt vmcnt(8)
	;;#ASMSTART
	v_cvt_f32_f16 v22, v23;
	;;#ASMEND
	ds_read_u16 v23, v12 offset:4
	v_mul_f32_e32 v21, v21, v22
	v_fmac_f32_e32 v21, v19, v20
	s_waitcnt lgkmcnt(0)
	;;#ASMSTART
	v_cvt_f32_f16 v23, v23;
	;;#ASMEND
	s_waitcnt vmcnt(7)
	;;#ASMSTART
	v_cvt_f32_f16 v24, v24;
	;;#ASMEND
	ds_read_u16 v25, v12 offset:6
	v_fmac_f32_e32 v21, v23, v24
	s_waitcnt lgkmcnt(0)
	;;#ASMSTART
	v_cvt_f32_f16 v25, v25;
	;;#ASMEND
	s_waitcnt vmcnt(6)
	;;#ASMSTART
	v_cvt_f32_f16 v26, v26;
	;;#ASMEND
	ds_read_u16 v27, v12 offset:8
	v_fmac_f32_e32 v21, v25, v26
	s_waitcnt lgkmcnt(0)
	;;#ASMSTART
	v_cvt_f32_f16 v27, v27;
	;;#ASMEND
	s_waitcnt vmcnt(5)
	;;#ASMSTART
	v_cvt_f32_f16 v28, v28;
	;;#ASMEND
	ds_read_u16 v29, v12 offset:10
	v_fmac_f32_e32 v21, v27, v28
	s_waitcnt lgkmcnt(0)
	;;#ASMSTART
	v_cvt_f32_f16 v29, v29;
	;;#ASMEND
	s_waitcnt vmcnt(4)
	;;#ASMSTART
	v_cvt_f32_f16 v30, v30;
	;;#ASMEND
	ds_read_u16 v31, v12 offset:12
	v_fmac_f32_e32 v21, v29, v30
	s_waitcnt lgkmcnt(0)
	;;#ASMSTART
	v_cvt_f32_f16 v31, v31;
	;;#ASMEND
	s_waitcnt vmcnt(3)
	;;#ASMSTART
	v_cvt_f32_f16 v32, v32;
	;;#ASMEND
	ds_read_u16 v37, v12 offset:14
	v_fmac_f32_e32 v21, v31, v32
	s_waitcnt lgkmcnt(0)
	;;#ASMSTART
	v_cvt_f32_f16 v22, v37;
	;;#ASMEND
	s_waitcnt vmcnt(2)
	;;#ASMSTART
	v_cvt_f32_f16 v34, v34;
	;;#ASMEND
	v_cndmask_b32_e64 v33, v8, v15, s[8:9]
	v_fmac_f32_e32 v21, v22, v34
	ds_read_u16 v37, v12 offset:16
	s_waitcnt lgkmcnt(0)
	;;#ASMSTART
	v_cvt_f32_f16 v19, v37;
	;;#ASMEND
	s_waitcnt vmcnt(1)
	;;#ASMSTART
	v_cvt_f32_f16 v20, v35;
	;;#ASMEND
	v_lshlrev_b32_e32 v33, 2, v33
	v_fmac_f32_e32 v21, v19, v20
	ds_read_u16 v23, v12 offset:18
	s_waitcnt lgkmcnt(0)
	;;#ASMSTART
	v_cvt_f32_f16 v19, v23;
	;;#ASMEND
	s_waitcnt vmcnt(0)
	;;#ASMSTART
	v_cvt_f32_f16 v20, v36;
	;;#ASMEND
	v_cmp_lt_i32_e64 s[8:9], v16, v9
	v_fmac_f32_e32 v21, v19, v20
	ds_bpermute_b32 v19, v33, v21
	v_cndmask_b32_e64 v20, v8, v16, s[8:9]
	v_lshlrev_b32_e32 v20, 2, v20
	v_cmp_lt_i32_e64 s[8:9], v17, v9
	s_waitcnt lgkmcnt(0)
	v_add_f32_e32 v19, v21, v19
	ds_bpermute_b32 v20, v20, v19
	v_cndmask_b32_e64 v21, v8, v17, s[8:9]
	s_waitcnt lgkmcnt(0)
	v_add_f32_e32 v19, v19, v20
	v_lshlrev_b32_e32 v20, 2, v21
	ds_bpermute_b32 v20, v20, v19
	s_and_saveexec_b64 s[34:35], vcc
	s_cbranch_execz .LBB65_8
; %bb.10:                               ;   in Loop: Header=BB65_9 Depth=1
	v_add_u32_e32 v21, s15, v13
	v_cvt_f32_i32_e32 v21, v21
	s_waitcnt lgkmcnt(0)
	v_add_f32_e32 v19, v19, v20
	v_cmp_gt_i32_e64 s[8:9], s17, v13
	v_max_f32_e32 v20, v11, v11
	v_mul_f32_e32 v21, s10, v21
	v_cndmask_b32_e64 v21, 0, v21, s[0:1]
	v_fmac_f32_e32 v21, s11, v19
	v_cndmask_b32_e64 v19, 0, v21, s[8:9]
	ds_write_b32 v14, v19
	v_max_f32_e32 v19, v20, v21
	v_cndmask_b32_e64 v11, v11, v19, s[8:9]
	s_branch .LBB65_8
.LBB65_11:
	s_or_b64 exec, exec, s[30:31]
.LBB65_12:
	s_or_b64 exec, exec, s[28:29]
	v_xor_b32_e32 v2, 32, v8
	v_cmp_lt_i32_e32 vcc, v2, v9
	v_xor_b32_e32 v5, 16, v8
	v_max_f32_e32 v4, v11, v11
	v_cndmask_b32_e32 v2, v8, v2, vcc
	v_lshlrev_b32_e32 v3, 2, v2
	ds_bpermute_b32 v2, v3, v11
	v_cmp_lt_i32_e32 vcc, v5, v9
	v_xor_b32_e32 v11, 8, v8
	v_and_b32_e32 v17, 63, v0
	s_waitcnt lgkmcnt(0)
	v_max_f32_e32 v2, v2, v2
	v_max_f32_e32 v2, v4, v2
	v_cndmask_b32_e32 v4, v8, v5, vcc
	v_lshlrev_b32_e32 v5, 2, v4
	ds_bpermute_b32 v4, v5, v2
	v_cmp_lt_i32_e32 vcc, v11, v9
	s_waitcnt lgkmcnt(0)
	v_max_f32_e32 v4, v4, v4
	v_max_f32_e32 v4, v2, v4
	v_cndmask_b32_e32 v2, v8, v11, vcc
	v_lshlrev_b32_e32 v12, 2, v2
	ds_bpermute_b32 v11, v12, v4
	v_cmp_eq_u32_e32 vcc, 0, v17
	v_lshlrev_b32_e32 v2, 2, v7
	s_and_saveexec_b64 s[0:1], vcc
	s_cbranch_execz .LBB65_14
; %bb.13:
	s_waitcnt lgkmcnt(0)
	v_max_f32_e32 v11, v11, v11
	v_max_f32_e32 v4, v4, v4
	;; [unrolled: 1-line block ×3, first 2 shown]
	ds_write_b32 v2, v4 offset:160
.LBB65_14:
	s_or_b64 exec, exec, s[0:1]
	v_cmp_gt_u32_e64 s[0:1], 2, v17
	v_mov_b32_e32 v13, 0xff7fffff
	v_lshlrev_b32_e32 v4, 2, v17
	s_waitcnt lgkmcnt(0)
	s_barrier
	s_and_saveexec_b64 s[8:9], s[0:1]
; %bb.15:
	ds_read_b32 v13, v4 offset:160
; %bb.16:
	s_or_b64 exec, exec, s[8:9]
	v_xor_b32_e32 v11, 1, v8
	v_cmp_lt_i32_e64 s[8:9], v11, v9
	v_lshlrev_b32_e32 v10, 2, v10
	s_nop 0
	v_cndmask_b32_e64 v11, v8, v11, s[8:9]
	v_lshlrev_b32_e32 v11, 2, v11
	s_waitcnt lgkmcnt(0)
	ds_bpermute_b32 v14, v11, v13
	v_max_f32_e32 v13, v13, v13
	s_lshl_b32 s8, s33, 3
	s_min_i32 s12, s8, s17
	v_cmp_gt_i32_e64 s[8:9], s12, v0
	s_waitcnt lgkmcnt(0)
	v_max_f32_e32 v14, v14, v14
	v_max_f32_e32 v13, v13, v14
	ds_bpermute_b32 v13, v10, v13
	v_mov_b32_e32 v10, 0
	s_and_saveexec_b64 s[28:29], s[8:9]
	s_cbranch_execz .LBB65_20
; %bb.17:
	v_mov_b32_e32 v10, 0xb0
	v_lshl_add_u32 v14, v0, 2, v10
	v_mov_b32_e32 v10, 0
	s_mov_b64 s[30:31], 0
	v_mov_b32_e32 v15, v0
.LBB65_18:                              ; =>This Inner Loop Header: Depth=1
	ds_read_b32 v16, v14
	v_add_u32_e32 v15, 0x80, v15
	v_cmp_le_i32_e64 s[10:11], s12, v15
	s_or_b64 s[30:31], s[10:11], s[30:31]
	s_waitcnt lgkmcnt(0)
	v_sub_f32_e32 v16, v16, v13
	v_mul_f32_e32 v16, 0x3fb8aa3b, v16
	v_exp_f32_e32 v16, v16
	ds_write_b32 v14, v16
	v_add_f32_e32 v10, v10, v16
	v_add_u32_e32 v14, 0x200, v14
	s_andn2_b64 exec, exec, s[30:31]
	s_cbranch_execnz .LBB65_18
; %bb.19:
	s_or_b64 exec, exec, s[30:31]
.LBB65_20:
	s_or_b64 exec, exec, s[28:29]
	ds_bpermute_b32 v3, v3, v10
	s_waitcnt lgkmcnt(0)
	v_add_f32_e32 v3, v10, v3
	ds_bpermute_b32 v5, v5, v3
	v_xor_b32_e32 v10, 4, v8
	v_cmp_lt_i32_e64 s[10:11], v10, v9
	s_waitcnt lgkmcnt(0)
	v_add_f32_e32 v3, v3, v5
	ds_bpermute_b32 v5, v12, v3
	v_cndmask_b32_e64 v10, v8, v10, s[10:11]
	v_lshlrev_b32_e32 v10, 2, v10
	s_waitcnt lgkmcnt(0)
	v_add_f32_e32 v3, v3, v5
	ds_bpermute_b32 v5, v10, v3
	v_xor_b32_e32 v10, 2, v8
	v_cmp_lt_i32_e64 s[10:11], v10, v9
	s_waitcnt lgkmcnt(0)
	v_add_f32_e32 v3, v3, v5
	v_cndmask_b32_e64 v9, v8, v10, s[10:11]
	v_lshlrev_b32_e32 v5, 2, v9
	ds_bpermute_b32 v5, v5, v3
	s_waitcnt lgkmcnt(0)
	v_add_f32_e32 v3, v3, v5
	ds_bpermute_b32 v5, v11, v3
	s_waitcnt lgkmcnt(0)
	v_add_f32_e32 v3, v3, v5
	s_and_saveexec_b64 s[10:11], vcc
; %bb.21:
	ds_write_b32 v2, v3 offset:168
; %bb.22:
	s_or_b64 exec, exec, s[10:11]
	s_waitcnt lgkmcnt(0)
	s_barrier
	s_and_saveexec_b64 s[10:11], s[0:1]
; %bb.23:
	ds_read_b32 v3, v4 offset:168
; %bb.24:
	s_or_b64 exec, exec, s[10:11]
	s_waitcnt lgkmcnt(0)
	ds_bpermute_b32 v2, v11, v3
	v_lshlrev_b32_e32 v4, 2, v8
	s_waitcnt lgkmcnt(0)
	v_add_f32_e32 v2, v3, v2
	v_and_b32_e32 v3, 0xffffff00, v4
	ds_bpermute_b32 v2, v3, v2
	s_and_saveexec_b64 s[0:1], s[8:9]
	s_cbranch_execz .LBB65_37
; %bb.25:
	s_waitcnt lgkmcnt(0)
	v_add_f32_e32 v2, 0x358637bd, v2
	v_div_scale_f32 v3, s[8:9], v2, v2, 1.0
	v_rcp_f32_e32 v4, v3
	v_div_scale_f32 v5, vcc, 1.0, v2, 1.0
	s_movk_i32 s8, 0x7f
	v_fma_f32 v8, -v3, v4, 1.0
	v_fmac_f32_e32 v4, v8, v4
	v_mul_f32_e32 v8, v5, v4
	v_fma_f32 v9, -v3, v8, v5
	v_fmac_f32_e32 v8, v9, v4
	v_fma_f32 v3, -v3, v8, v5
	v_div_fmas_f32 v3, v3, v4, v8
	v_xad_u32 v4, v0, -1, s12
	v_div_fixup_f32 v2, v3, v2, 1.0
	v_cmp_lt_u32_e32 vcc, s8, v4
	s_mov_b64 s[10:11], -1
	v_mov_b32_e32 v3, v0
	s_and_saveexec_b64 s[8:9], vcc
	s_cbranch_execz .LBB65_34
; %bb.26:
	v_lshrrev_b32_e32 v4, 7, v4
	v_add_u32_e32 v8, -1, v4
	v_lshrrev_b32_e32 v5, 1, v8
	v_mov_b32_e32 v3, v2
	v_add_u32_e32 v5, 1, v5
	v_cmp_lt_u32_e32 vcc, 13, v8
	v_mov_b32_e32 v10, 0
	s_and_saveexec_b64 s[10:11], vcc
	s_cbranch_execz .LBB65_30
; %bb.27:
	v_mov_b32_e32 v9, 0xb0
	v_and_b32_e32 v8, -8, v5
	v_lshl_add_u32 v9, v0, 2, v9
	s_mov_b32 s15, 0
	s_mov_b64 s[28:29], 0
.LBB65_28:                              ; =>This Inner Loop Header: Depth=1
	ds_read2st64_b32 v[10:11], v9 offset1:2
	ds_read2st64_b32 v[12:13], v9 offset0:4 offset1:6
	ds_read2st64_b32 v[14:15], v9 offset0:8 offset1:10
	;; [unrolled: 1-line block ×3, first 2 shown]
	v_add_u32_e32 v8, -8, v8
	s_waitcnt lgkmcnt(3)
	v_pk_mul_f32 v[10:11], v[2:3], v[10:11]
	s_waitcnt lgkmcnt(2)
	v_pk_mul_f32 v[12:13], v[2:3], v[12:13]
	ds_write2st64_b32 v9, v10, v11 offset1:2
	ds_write2st64_b32 v9, v12, v13 offset0:4 offset1:6
	ds_read2st64_b32 v[12:13], v9 offset0:16 offset1:18
	s_waitcnt lgkmcnt(4)
	v_pk_mul_f32 v[10:11], v[2:3], v[14:15]
	ds_write2st64_b32 v9, v10, v11 offset0:8 offset1:10
	s_waitcnt lgkmcnt(4)
	v_pk_mul_f32 v[10:11], v[2:3], v[18:19]
	ds_write2st64_b32 v9, v10, v11 offset0:12 offset1:14
	ds_read2st64_b32 v[10:11], v9 offset0:20 offset1:22
	s_waitcnt lgkmcnt(3)
	v_pk_mul_f32 v[12:13], v[2:3], v[12:13]
	ds_read2st64_b32 v[14:15], v9 offset0:24 offset1:26
	ds_write2st64_b32 v9, v12, v13 offset0:16 offset1:18
	ds_read2st64_b32 v[12:13], v9 offset0:28 offset1:30
	s_waitcnt lgkmcnt(3)
	v_pk_mul_f32 v[10:11], v[2:3], v[10:11]
	ds_write2st64_b32 v9, v10, v11 offset0:20 offset1:22
	s_waitcnt lgkmcnt(3)
	v_pk_mul_f32 v[10:11], v[2:3], v[14:15]
	ds_write2st64_b32 v9, v10, v11 offset0:24 offset1:26
	s_waitcnt lgkmcnt(2)
	v_pk_mul_f32 v[10:11], v[2:3], v[12:13]
	s_add_i32 s15, s15, 16
	v_cmp_eq_u32_e32 vcc, 0, v8
	ds_write2st64_b32 v9, v10, v11 offset0:28 offset1:30
	v_add_u32_e32 v9, 0x2000, v9
	s_or_b64 s[28:29], vcc, s[28:29]
	v_mov_b32_e32 v10, s15
	s_andn2_b64 exec, exec, s[28:29]
	s_cbranch_execnz .LBB65_28
; %bb.29:
	s_or_b64 exec, exec, s[28:29]
.LBB65_30:
	s_or_b64 exec, exec, s[10:11]
	v_and_b32_e32 v5, 7, v5
	v_cmp_ne_u32_e32 vcc, 0, v5
	s_and_saveexec_b64 s[10:11], vcc
	s_cbranch_execz .LBB65_33
; %bb.31:
	v_lshlrev_b32_e32 v8, 9, v10
	v_lshlrev_b32_e32 v9, 2, v0
	s_movk_i32 s15, 0xb0
	v_add3_u32 v8, v8, v9, s15
	s_mov_b64 s[28:29], 0
.LBB65_32:                              ; =>This Inner Loop Header: Depth=1
	ds_read2st64_b32 v[10:11], v8 offset1:2
	v_add_u32_e32 v5, -1, v5
	v_cmp_eq_u32_e32 vcc, 0, v5
	s_or_b64 s[28:29], vcc, s[28:29]
	s_waitcnt lgkmcnt(0)
	v_pk_mul_f32 v[10:11], v[2:3], v[10:11]
	ds_write2st64_b32 v8, v10, v11 offset1:2
	v_add_u32_e32 v8, 0x400, v8
	s_andn2_b64 exec, exec, s[28:29]
	s_cbranch_execnz .LBB65_32
.LBB65_33:
	s_or_b64 exec, exec, s[10:11]
	v_add_u32_e32 v4, 1, v4
	v_and_b32_e32 v5, 0x3fffffe, v4
	v_cmp_ne_u32_e32 vcc, v4, v5
	v_lshl_add_u32 v3, v5, 7, v0
	s_orn2_b64 s[10:11], vcc, exec
.LBB65_34:
	s_or_b64 exec, exec, s[8:9]
	s_and_b64 exec, exec, s[10:11]
	s_cbranch_execz .LBB65_37
; %bb.35:
	v_mov_b32_e32 v4, 0xb0
	v_lshl_add_u32 v4, v3, 2, v4
	s_mov_b64 s[8:9], 0
.LBB65_36:                              ; =>This Inner Loop Header: Depth=1
	ds_read_b32 v5, v4
	v_add_u32_e32 v3, 0x80, v3
	v_cmp_le_i32_e32 vcc, s12, v3
	s_or_b64 s[8:9], vcc, s[8:9]
	s_waitcnt lgkmcnt(0)
	v_mul_f32_e32 v5, v2, v5
	ds_write_b32 v4, v5
	v_add_u32_e32 v4, 0x200, v4
	s_andn2_b64 exec, exec, s[8:9]
	s_cbranch_execnz .LBB65_36
.LBB65_37:
	s_or_b64 exec, exec, s[0:1]
	v_mov_b32_e32 v19, 0
	v_mov_b32_e32 v18, 0
	s_waitcnt lgkmcnt(0)
	s_barrier
	s_and_saveexec_b64 s[8:9], s[2:3]
	s_cbranch_execz .LBB65_47
; %bb.38:
	s_ashr_i32 s15, s14, 31
	s_lshl_b64 s[0:1], s[14:15], 1
	s_add_u32 s10, s26, s0
	v_or_b32_e32 v3, 64, v17
	s_movk_i32 s0, 0x50
	s_addc_u32 s11, s27, s1
	s_add_i32 s26, s33, -1
	v_cmp_gt_u32_e64 s[2:3], s0, v3
	s_lshl_b64 s[0:1], s[24:25], 2
	s_add_u32 s0, s22, s0
	v_lshlrev_b32_e32 v2, 3, v17
	v_mov_b32_e32 v9, 0
	v_lshlrev_b32_e32 v4, 3, v3
	v_mov_b32_e32 v3, 0xb0
	v_and_b32_e32 v8, 60, v1
	s_addc_u32 s1, s23, s1
	s_mov_b32 s28, s13
	s_mov_b32 s27, s17
	v_lshlrev_b32_e32 v20, 3, v7
	v_lshl_add_u32 v21, v7, 5, v3
	v_lshl_add_u64 v[10:11], s[0:1], 0, v[8:9]
	s_mov_b64 s[12:13], 0
	v_lshlrev_b32_e32 v12, 1, v2
	v_mov_b32_e32 v13, v9
	s_mov_b32 s24, 0xffff
	v_lshlrev_b32_e32 v8, 1, v4
	v_mov_b32_e32 v18, v9
	v_mov_b32_e32 v19, v9
	s_branch .LBB65_41
.LBB65_39:                              ;   in Loop: Header=BB65_41 Depth=1
	s_or_b64 exec, exec, s[22:23]
	v_lshlrev_b32_e32 v14, 16, v14
	v_lshlrev_b32_e32 v1, 16, v1
	v_and_or_b32 v2, v2, s24, v14
	v_and_or_b32 v1, v3, s24, v1
	v_lshlrev_b32_e32 v3, 16, v15
	v_and_or_b32 v3, v4, s24, v3
	;;#ASMSTART
	v_pk_mul_f16 v2, v24, v2;

	;;#ASMEND
	;;#ASMSTART
	v_pk_mul_f16 v1, v25, v1;

	;;#ASMEND
	;; [unrolled: 4-line block ×4, first 2 shown]
	s_nop 0
	;;#ASMSTART
	v_pk_add_f16 v1, v2, v1;

	;;#ASMEND
	s_nop 0
	;;#ASMSTART
	v_pk_add_f16 v1, v1, v3;

	;;#ASMEND
	;; [unrolled: 5-line block ×3, first 2 shown]
	s_nop 0
	v_lshrrev_b32_e32 v2, 16, v1
	v_and_b32_e32 v1, 0xffff, v1
	;;#ASMSTART
	v_cvt_f32_f16 v1, v1;
	;;#ASMEND
	;;#ASMSTART
	v_cvt_f32_f16 v2, v2;
	;;#ASMEND
	s_nop 0
	v_add_f32_e32 v1, v1, v2
	v_add_f32_e32 v18, v18, v1
.LBB65_40:                              ;   in Loop: Header=BB65_41 Depth=1
	s_or_b64 exec, exec, s[14:15]
	v_add_u32_e32 v7, 2, v7
	v_add_f32_e32 v1, v16, v22
	v_cmp_le_i32_e32 vcc, s33, v7
	v_add_f32_e32 v19, v19, v1
	v_add_u32_e32 v20, 16, v20
	v_add_u32_e32 v21, 64, v21
	s_or_b64 s[12:13], vcc, s[12:13]
	v_lshl_add_u64 v[10:11], v[10:11], 0, 8
	s_andn2_b64 exec, exec, s[12:13]
	s_cbranch_execz .LBB65_46
.LBB65_41:                              ; =>This Inner Loop Header: Depth=1
	global_load_dword v1, v[10:11], off
	ds_read2_b64 v[2:5], v21 offset1:1
	ds_read2_b64 v[28:31], v21 offset0:2 offset1:3
	s_waitcnt lgkmcnt(1)
	;;#ASMSTART
	v_cvt_f16_f32 v22, v2;

	;;#ASMEND
	;;#ASMSTART
	v_cvt_f16_f32 v23, v3;

	;;#ASMEND
	;; [unrolled: 4-line block ×4, first 2 shown]
	s_waitcnt lgkmcnt(0)
	;;#ASMSTART
	v_cvt_f16_f32 v27, v28;

	;;#ASMEND
	;;#ASMSTART
	v_cvt_f16_f32 v28, v29;

	;;#ASMEND
	;; [unrolled: 4-line block ×4, first 2 shown]
	s_waitcnt vmcnt(0)
	v_mad_i64_i32 v[2:3], s[0:1], v1, s28, 0
	v_lshl_add_u64 v[14:15], v[2:3], 1, s[10:11]
	v_lshl_add_u64 v[2:3], v[14:15], 0, v[12:13]
	global_load_dwordx4 v[2:5], v[2:3], off
	v_cmp_eq_u32_e64 s[0:1], s26, v7
	s_waitcnt vmcnt(0)
	v_lshrrev_b32_e32 v1, 16, v3
	v_lshrrev_b32_e32 v16, 16, v2
	;; [unrolled: 1-line block ×3, first 2 shown]
	s_and_saveexec_b64 s[14:15], s[0:1]
	s_cbranch_execz .LBB65_43
; %bb.42:                               ;   in Loop: Header=BB65_41 Depth=1
	v_cmp_gt_i32_e32 vcc, s17, v20
	v_add_u32_e32 v33, 2, v20
	v_or_b32_e32 v24, 3, v20
	v_cndmask_b32_e32 v2, 0, v2, vcc
	v_cmp_gt_i32_e32 vcc, s17, v33
	v_or_b32_e32 v32, 1, v20
	s_nop 0
	v_cndmask_b32_e32 v3, 0, v3, vcc
	v_cmp_gt_i32_e32 vcc, s27, v24
	v_add_u32_e32 v24, 4, v20
	s_nop 0
	v_cndmask_b32_e32 v1, 0, v1, vcc
	v_cmp_gt_i32_e32 vcc, s17, v32
	v_add_u32_e32 v32, 7, v20
	;; [unrolled: 4-line block ×4, first 2 shown]
	s_nop 0
	v_cndmask_b32_e32 v31, 0, v31, vcc
	v_cmp_gt_i32_e32 vcc, s17, v24
	s_nop 1
	v_cndmask_b32_sdwa v24, v9, v5, vcc dst_sel:DWORD dst_unused:UNUSED_PAD src0_sel:DWORD src1_sel:WORD_0
	v_and_b32_e32 v5, 0xffff0000, v5
	v_cmp_gt_i32_e32 vcc, s17, v32
	s_nop 1
	v_cndmask_b32_e32 v5, 0, v5, vcc
	v_or_b32_e32 v5, v24, v5
.LBB65_43:                              ;   in Loop: Header=BB65_41 Depth=1
	s_or_b64 exec, exec, s[14:15]
	v_and_b32_e32 v22, 0xffff, v22
	v_lshl_or_b32 v24, v23, 16, v22
	v_and_b32_e32 v22, 0xffff, v25
	v_lshlrev_b32_e32 v16, 16, v16
	v_lshlrev_b32_e32 v1, 16, v1
	v_lshl_or_b32 v25, v26, 16, v22
	v_and_b32_e32 v22, 0xffff, v27
	v_and_or_b32 v2, v2, s24, v16
	v_and_or_b32 v1, v3, s24, v1
	v_lshlrev_b32_e32 v3, 16, v31
	v_lshl_or_b32 v26, v28, 16, v22
	v_and_b32_e32 v22, 0xffff, v29
	v_and_or_b32 v3, v4, s24, v3
	;;#ASMSTART
	v_pk_mul_f16 v2, v24, v2;

	;;#ASMEND
	;;#ASMSTART
	v_pk_mul_f16 v1, v25, v1;

	;;#ASMEND
	v_lshl_or_b32 v23, v30, 16, v22
	;;#ASMSTART
	v_pk_mul_f16 v3, v26, v3;

	;;#ASMEND
	;;#ASMSTART
	v_pk_mul_f16 v4, v23, v5;

	;;#ASMEND
	;;#ASMSTART
	v_pk_add_f16 v1, v2, v1;

	;;#ASMEND
	s_nop 0
	;;#ASMSTART
	v_pk_add_f16 v1, v1, v3;

	;;#ASMEND
	s_nop 0
	;; [unrolled: 5-line block ×3, first 2 shown]
	v_lshrrev_b32_e32 v2, 16, v1
	v_and_b32_e32 v1, 0xffff, v1
	;;#ASMSTART
	v_cvt_f32_f16 v16, v1;
	;;#ASMEND
	;;#ASMSTART
	v_cvt_f32_f16 v22, v2;
	;;#ASMEND
	s_and_saveexec_b64 s[14:15], s[2:3]
	s_cbranch_execz .LBB65_40
; %bb.44:                               ;   in Loop: Header=BB65_41 Depth=1
	v_lshl_add_u64 v[2:3], v[14:15], 0, v[8:9]
	global_load_dwordx4 v[2:5], v[2:3], off
	s_waitcnt vmcnt(0)
	v_lshrrev_b32_e32 v1, 16, v3
	v_lshrrev_b32_e32 v14, 16, v2
	;; [unrolled: 1-line block ×3, first 2 shown]
	s_and_saveexec_b64 s[22:23], s[0:1]
	s_cbranch_execz .LBB65_39
; %bb.45:                               ;   in Loop: Header=BB65_41 Depth=1
	v_cmp_gt_i32_e32 vcc, s17, v20
	v_add_u32_e32 v29, 2, v20
	v_or_b32_e32 v27, 3, v20
	v_cndmask_b32_e32 v2, 0, v2, vcc
	v_cmp_gt_i32_e32 vcc, s17, v29
	v_or_b32_e32 v28, 1, v20
	s_nop 0
	v_cndmask_b32_e32 v3, 0, v3, vcc
	v_cmp_gt_i32_e32 vcc, s27, v27
	v_add_u32_e32 v27, 4, v20
	s_nop 0
	v_cndmask_b32_e32 v1, 0, v1, vcc
	v_cmp_gt_i32_e32 vcc, s17, v28
	v_add_u32_e32 v28, 7, v20
	;; [unrolled: 4-line block ×4, first 2 shown]
	s_nop 0
	v_cndmask_b32_e32 v15, 0, v15, vcc
	v_cmp_gt_i32_e32 vcc, s17, v27
	s_nop 1
	v_cndmask_b32_sdwa v27, v9, v5, vcc dst_sel:DWORD dst_unused:UNUSED_PAD src0_sel:DWORD src1_sel:WORD_0
	v_and_b32_e32 v5, 0xffff0000, v5
	v_cmp_gt_i32_e32 vcc, s17, v28
	s_nop 1
	v_cndmask_b32_e32 v5, 0, v5, vcc
	v_or_b32_e32 v5, v27, v5
	s_branch .LBB65_39
.LBB65_46:
	s_or_b64 exec, exec, s[12:13]
.LBB65_47:
	s_or_b64 exec, exec, s[8:9]
	v_and_b32_e32 v1, 0x3c0, v0
	v_cmp_eq_u32_e32 vcc, 64, v1
	s_barrier
	s_and_saveexec_b64 s[0:1], vcc
	s_cbranch_execz .LBB65_50
; %bb.48:
	v_mov_b32_e32 v1, 0xb0
	v_lshl_add_u32 v2, v17, 2, v1
	ds_write_b32 v2, v19
	s_and_b64 exec, exec, s[6:7]
; %bb.49:
	v_lshl_add_u32 v1, v0, 2, v1
	ds_write_b32 v1, v18
.LBB65_50:
	s_or_b64 exec, exec, s[0:1]
	v_cmp_gt_u32_e32 vcc, 64, v0
	v_or_b32_e32 v1, 64, v0
	s_waitcnt lgkmcnt(0)
	s_barrier
	s_and_saveexec_b64 s[2:3], vcc
	s_cbranch_execz .LBB65_54
; %bb.51:
	v_mov_b32_e32 v2, 0xb0
	v_lshl_add_u32 v2, v0, 2, v2
	ds_read_b32 v0, v2
	s_movk_i32 s0, 0x50
	v_cmp_gt_u32_e64 s[0:1], s0, v1
	s_and_saveexec_b64 s[6:7], s[0:1]
	s_cbranch_execz .LBB65_53
; %bb.52:
	ds_read_b32 v2, v2 offset:256
	s_waitcnt lgkmcnt(0)
	v_add_f32_e32 v18, v18, v2
.LBB65_53:
	s_or_b64 exec, exec, s[6:7]
	s_waitcnt lgkmcnt(0)
	v_add_f32_e32 v19, v19, v0
.LBB65_54:
	s_or_b64 exec, exec, s[2:3]
	s_barrier
	s_and_saveexec_b64 s[0:1], vcc
	s_cbranch_execz .LBB65_57
; %bb.55:
	s_mul_i32 s0, s16, s19
	s_mul_i32 s0, s0, s5
	s_mulk_i32 s0, 0x50
	s_ashr_i32 s1, s0, 31
	s_lshl_b64 s[0:1], s[0:1], 1
	s_add_u32 s3, s20, s0
	s_mul_i32 s0, s19, s18
	s_addc_u32 s5, s21, s1
	s_ashr_i32 s1, s0, 31
	s_lshl_b64 s[0:1], s[0:1], 1
	s_add_u32 s3, s3, s0
	s_mul_i32 s0, s4, 0x50
	s_addc_u32 s5, s5, s1
	s_ashr_i32 s1, s0, 31
	s_lshl_b64 s[0:1], s[0:1], 1
	s_movk_i32 s2, 0x50
	s_add_u32 s0, s3, s0
	s_addc_u32 s1, s5, s1
	v_cmp_gt_u32_e32 vcc, s2, v1
	;;#ASMSTART
	v_cvt_f16_f32 v0, v19;

	;;#ASMEND
	global_store_short v6, v0, s[0:1]
	s_and_b64 exec, exec, vcc
	s_cbranch_execz .LBB65_57
; %bb.56:
	v_mov_b32_e32 v7, 0
	v_lshl_add_u64 v[0:1], s[0:1], 0, v[6:7]
	;;#ASMSTART
	v_cvt_f16_f32 v2, v18;

	;;#ASMEND
	global_store_short v[0:1], v2, off offset:128
.LBB65_57:
	s_endpgm
	.section	.rodata,"a",@progbits
	.p2align	6, 0x0
	.amdhsa_kernel _ZN4vllm25paged_attention_v1_kernelIttLi80ELi8ELi128ELNS_18Fp8KVCacheDataTypeE0ELb0EEEvPT_PKS2_PKT0_S8_ifPKiSA_iPKfiiiSC_SC_iiiii
		.amdhsa_group_segment_fixed_size 176
		.amdhsa_private_segment_fixed_size 0
		.amdhsa_kernarg_size 384
		.amdhsa_user_sgpr_count 2
		.amdhsa_user_sgpr_dispatch_ptr 0
		.amdhsa_user_sgpr_queue_ptr 0
		.amdhsa_user_sgpr_kernarg_segment_ptr 1
		.amdhsa_user_sgpr_dispatch_id 0
		.amdhsa_user_sgpr_kernarg_preload_length 0
		.amdhsa_user_sgpr_kernarg_preload_offset 0
		.amdhsa_user_sgpr_private_segment_size 0
		.amdhsa_uses_dynamic_stack 0
		.amdhsa_enable_private_segment 0
		.amdhsa_system_sgpr_workgroup_id_x 1
		.amdhsa_system_sgpr_workgroup_id_y 1
		.amdhsa_system_sgpr_workgroup_id_z 1
		.amdhsa_system_sgpr_workgroup_info 0
		.amdhsa_system_vgpr_workitem_id 0
		.amdhsa_next_free_vgpr 38
		.amdhsa_next_free_sgpr 36
		.amdhsa_accum_offset 40
		.amdhsa_reserve_vcc 1
		.amdhsa_float_round_mode_32 0
		.amdhsa_float_round_mode_16_64 0
		.amdhsa_float_denorm_mode_32 3
		.amdhsa_float_denorm_mode_16_64 3
		.amdhsa_dx10_clamp 1
		.amdhsa_ieee_mode 1
		.amdhsa_fp16_overflow 0
		.amdhsa_tg_split 0
		.amdhsa_exception_fp_ieee_invalid_op 0
		.amdhsa_exception_fp_denorm_src 0
		.amdhsa_exception_fp_ieee_div_zero 0
		.amdhsa_exception_fp_ieee_overflow 0
		.amdhsa_exception_fp_ieee_underflow 0
		.amdhsa_exception_fp_ieee_inexact 0
		.amdhsa_exception_int_div_zero 0
	.end_amdhsa_kernel
	.section	.text._ZN4vllm25paged_attention_v1_kernelIttLi80ELi8ELi128ELNS_18Fp8KVCacheDataTypeE0ELb0EEEvPT_PKS2_PKT0_S8_ifPKiSA_iPKfiiiSC_SC_iiiii,"axG",@progbits,_ZN4vllm25paged_attention_v1_kernelIttLi80ELi8ELi128ELNS_18Fp8KVCacheDataTypeE0ELb0EEEvPT_PKS2_PKT0_S8_ifPKiSA_iPKfiiiSC_SC_iiiii,comdat
.Lfunc_end65:
	.size	_ZN4vllm25paged_attention_v1_kernelIttLi80ELi8ELi128ELNS_18Fp8KVCacheDataTypeE0ELb0EEEvPT_PKS2_PKT0_S8_ifPKiSA_iPKfiiiSC_SC_iiiii, .Lfunc_end65-_ZN4vllm25paged_attention_v1_kernelIttLi80ELi8ELi128ELNS_18Fp8KVCacheDataTypeE0ELb0EEEvPT_PKS2_PKT0_S8_ifPKiSA_iPKfiiiSC_SC_iiiii
                                        ; -- End function
	.set _ZN4vllm25paged_attention_v1_kernelIttLi80ELi8ELi128ELNS_18Fp8KVCacheDataTypeE0ELb0EEEvPT_PKS2_PKT0_S8_ifPKiSA_iPKfiiiSC_SC_iiiii.num_vgpr, 38
	.set _ZN4vllm25paged_attention_v1_kernelIttLi80ELi8ELi128ELNS_18Fp8KVCacheDataTypeE0ELb0EEEvPT_PKS2_PKT0_S8_ifPKiSA_iPKfiiiSC_SC_iiiii.num_agpr, 0
	.set _ZN4vllm25paged_attention_v1_kernelIttLi80ELi8ELi128ELNS_18Fp8KVCacheDataTypeE0ELb0EEEvPT_PKS2_PKT0_S8_ifPKiSA_iPKfiiiSC_SC_iiiii.numbered_sgpr, 36
	.set _ZN4vllm25paged_attention_v1_kernelIttLi80ELi8ELi128ELNS_18Fp8KVCacheDataTypeE0ELb0EEEvPT_PKS2_PKT0_S8_ifPKiSA_iPKfiiiSC_SC_iiiii.num_named_barrier, 0
	.set _ZN4vllm25paged_attention_v1_kernelIttLi80ELi8ELi128ELNS_18Fp8KVCacheDataTypeE0ELb0EEEvPT_PKS2_PKT0_S8_ifPKiSA_iPKfiiiSC_SC_iiiii.private_seg_size, 0
	.set _ZN4vllm25paged_attention_v1_kernelIttLi80ELi8ELi128ELNS_18Fp8KVCacheDataTypeE0ELb0EEEvPT_PKS2_PKT0_S8_ifPKiSA_iPKfiiiSC_SC_iiiii.uses_vcc, 1
	.set _ZN4vllm25paged_attention_v1_kernelIttLi80ELi8ELi128ELNS_18Fp8KVCacheDataTypeE0ELb0EEEvPT_PKS2_PKT0_S8_ifPKiSA_iPKfiiiSC_SC_iiiii.uses_flat_scratch, 0
	.set _ZN4vllm25paged_attention_v1_kernelIttLi80ELi8ELi128ELNS_18Fp8KVCacheDataTypeE0ELb0EEEvPT_PKS2_PKT0_S8_ifPKiSA_iPKfiiiSC_SC_iiiii.has_dyn_sized_stack, 0
	.set _ZN4vllm25paged_attention_v1_kernelIttLi80ELi8ELi128ELNS_18Fp8KVCacheDataTypeE0ELb0EEEvPT_PKS2_PKT0_S8_ifPKiSA_iPKfiiiSC_SC_iiiii.has_recursion, 0
	.set _ZN4vllm25paged_attention_v1_kernelIttLi80ELi8ELi128ELNS_18Fp8KVCacheDataTypeE0ELb0EEEvPT_PKS2_PKT0_S8_ifPKiSA_iPKfiiiSC_SC_iiiii.has_indirect_call, 0
	.section	.AMDGPU.csdata,"",@progbits
; Kernel info:
; codeLenInByte = 4576
; TotalNumSgprs: 42
; NumVgprs: 38
; NumAgprs: 0
; TotalNumVgprs: 38
; ScratchSize: 0
; MemoryBound: 0
; FloatMode: 240
; IeeeMode: 1
; LDSByteSize: 176 bytes/workgroup (compile time only)
; SGPRBlocks: 5
; VGPRBlocks: 4
; NumSGPRsForWavesPerEU: 42
; NumVGPRsForWavesPerEU: 38
; AccumOffset: 40
; Occupancy: 8
; WaveLimiterHint : 1
; COMPUTE_PGM_RSRC2:SCRATCH_EN: 0
; COMPUTE_PGM_RSRC2:USER_SGPR: 2
; COMPUTE_PGM_RSRC2:TRAP_HANDLER: 0
; COMPUTE_PGM_RSRC2:TGID_X_EN: 1
; COMPUTE_PGM_RSRC2:TGID_Y_EN: 1
; COMPUTE_PGM_RSRC2:TGID_Z_EN: 1
; COMPUTE_PGM_RSRC2:TIDIG_COMP_CNT: 0
; COMPUTE_PGM_RSRC3_GFX90A:ACCUM_OFFSET: 9
; COMPUTE_PGM_RSRC3_GFX90A:TG_SPLIT: 0
	.section	.text._ZN4vllm25paged_attention_v1_kernelIttLi96ELi8ELi128ELNS_18Fp8KVCacheDataTypeE0ELb0EEEvPT_PKS2_PKT0_S8_ifPKiSA_iPKfiiiSC_SC_iiiii,"axG",@progbits,_ZN4vllm25paged_attention_v1_kernelIttLi96ELi8ELi128ELNS_18Fp8KVCacheDataTypeE0ELb0EEEvPT_PKS2_PKT0_S8_ifPKiSA_iPKfiiiSC_SC_iiiii,comdat
	.protected	_ZN4vllm25paged_attention_v1_kernelIttLi96ELi8ELi128ELNS_18Fp8KVCacheDataTypeE0ELb0EEEvPT_PKS2_PKT0_S8_ifPKiSA_iPKfiiiSC_SC_iiiii ; -- Begin function _ZN4vllm25paged_attention_v1_kernelIttLi96ELi8ELi128ELNS_18Fp8KVCacheDataTypeE0ELb0EEEvPT_PKS2_PKT0_S8_ifPKiSA_iPKfiiiSC_SC_iiiii
	.globl	_ZN4vllm25paged_attention_v1_kernelIttLi96ELi8ELi128ELNS_18Fp8KVCacheDataTypeE0ELb0EEEvPT_PKS2_PKT0_S8_ifPKiSA_iPKfiiiSC_SC_iiiii
	.p2align	8
	.type	_ZN4vllm25paged_attention_v1_kernelIttLi96ELi8ELi128ELNS_18Fp8KVCacheDataTypeE0ELb0EEEvPT_PKS2_PKT0_S8_ifPKiSA_iPKfiiiSC_SC_iiiii,@function
_ZN4vllm25paged_attention_v1_kernelIttLi96ELi8ELi128ELNS_18Fp8KVCacheDataTypeE0ELb0EEEvPT_PKS2_PKT0_S8_ifPKiSA_iPKfiiiSC_SC_iiiii: ; @_ZN4vllm25paged_attention_v1_kernelIttLi96ELi8ELi128ELNS_18Fp8KVCacheDataTypeE0ELb0EEEvPT_PKS2_PKT0_S8_ifPKiSA_iPKfiiiSC_SC_iiiii
; %bb.0:
	s_load_dword s5, s[0:1], 0x80
	s_load_dwordx2 s[6:7], s[0:1], 0x30
	s_load_dwordx2 s[10:11], s[0:1], 0x20
	s_mov_b32 s16, s3
	s_ashr_i32 s17, s3, 31
	s_lshl_b64 s[8:9], s[16:17], 2
	s_waitcnt lgkmcnt(0)
	s_add_u32 s6, s6, s8
	s_addc_u32 s7, s7, s9
	s_abs_i32 s3, s10
	v_cvt_f32_u32_e32 v1, s3
	s_xor_b32 s8, s5, s10
	s_sub_i32 s10, 0, s3
	s_abs_i32 s9, s5
	v_rcp_iflag_f32_e32 v1, v1
	s_ashr_i32 s8, s8, 31
	v_mul_f32_e32 v1, 0x4f7ffffe, v1
	v_cvt_u32_f32_e32 v1, v1
	s_nop 0
	v_readfirstlane_b32 s12, v1
	s_mul_i32 s10, s10, s12
	s_mul_hi_u32 s10, s12, s10
	s_add_i32 s12, s12, s10
	s_mul_hi_u32 s10, s9, s12
	s_mul_i32 s12, s10, s3
	s_sub_i32 s9, s9, s12
	s_add_i32 s12, s10, 1
	s_sub_i32 s13, s9, s3
	s_cmp_ge_u32 s9, s3
	s_cselect_b32 s10, s12, s10
	s_cselect_b32 s9, s13, s9
	s_add_i32 s12, s10, 1
	s_cmp_ge_u32 s9, s3
	s_cselect_b32 s3, s12, s10
	s_xor_b32 s3, s3, s8
	s_sub_i32 s12, s3, s8
	s_abs_i32 s20, s12
	v_cvt_f32_u32_e32 v1, s20
	s_load_dwordx2 s[8:9], s[0:1], 0x40
	s_sub_i32 s3, 0, s20
	s_abs_i32 s21, s2
	v_rcp_iflag_f32_e32 v1, v1
	s_mov_b32 s10, 0
	v_mul_f32_e32 v1, 0x4f7ffffe, v1
	v_cvt_u32_f32_e32 v1, v1
	s_nop 0
	v_readfirstlane_b32 s13, v1
	s_mul_i32 s3, s3, s13
	s_mul_hi_u32 s3, s13, s3
	s_add_i32 s13, s13, s3
	s_waitcnt lgkmcnt(0)
	s_cmp_eq_u64 s[8:9], 0
	s_mul_hi_u32 s24, s21, s13
	s_cbranch_scc1 .LBB66_2
; %bb.1:
	s_ashr_i32 s3, s2, 31
	s_lshl_b64 s[14:15], s[2:3], 2
	s_add_u32 s8, s8, s14
	s_addc_u32 s9, s9, s15
	s_load_dword s10, s[8:9], 0x0
.LBB66_2:
	s_load_dword s17, s[6:7], 0x0
	s_ashr_i32 s9, s12, 31
	s_load_dwordx4 s[12:15], s[0:1], 0x48
	s_movk_i32 s3, 0x60
	s_ashr_i32 s8, s2, 31
	v_and_b32_e32 v4, 7, v0
	s_mul_i32 s18, s2, 0x60
	v_cmp_gt_u32_e64 s[6:7], s3, v0
	v_lshlrev_b32_e32 v6, 1, v0
	s_and_saveexec_b64 s[2:3], s[6:7]
	s_cbranch_execz .LBB66_4
; %bb.3:
	s_load_dwordx2 s[22:23], s[0:1], 0x8
	s_waitcnt lgkmcnt(0)
	s_mul_i32 s26, s12, s16
	s_ashr_i32 s27, s26, 31
	s_lshl_b64 s[26:27], s[26:27], 1
	v_lshrrev_b32_e32 v2, 2, v0
	s_add_u32 s12, s22, s26
	s_addc_u32 s15, s23, s27
	s_ashr_i32 s19, s18, 31
	s_lshl_b64 s[22:23], s[18:19], 1
	s_add_u32 s22, s12, s22
	s_addc_u32 s23, s15, s23
	global_load_ushort v1, v6, s[22:23]
	v_and_b32_e32 v2, 0xfe, v2
	v_mad_u32_u24 v2, v4, 24, v2
	s_waitcnt vmcnt(0)
	ds_write_b16 v2, v1
.LBB66_4:
	s_or_b64 exec, exec, s[2:3]
	s_waitcnt lgkmcnt(0)
	s_add_i32 s3, s17, 7
	s_ashr_i32 s12, s3, 31
	s_lshr_b32 s12, s12, 29
	s_add_i32 s3, s3, s12
	s_ashr_i32 s33, s3, 3
	s_xor_b32 s3, s8, s9
	s_mul_i32 s8, s24, s20
	s_sub_i32 s8, s21, s8
	s_add_i32 s9, s24, 1
	s_sub_i32 s12, s8, s20
	s_load_dwordx2 s[22:23], s[0:1], 0x28
	s_load_dword s2, s[0:1], 0x38
	s_cmp_ge_u32 s8, s20
	s_cselect_b32 s9, s9, s24
	s_cselect_b32 s8, s12, s8
	s_add_i32 s12, s9, 1
	s_cmp_ge_u32 s8, s20
	s_cselect_b32 s8, s12, s9
	v_lshrrev_b32_e32 v7, 6, v0
	s_xor_b32 s8, s8, s3
	s_waitcnt lgkmcnt(0)
	s_mul_i32 s24, s2, s16
	s_sub_i32 s12, s8, s3
	s_ashr_i32 s25, s24, 31
	v_cmp_gt_i32_e64 s[2:3], s33, v7
	v_cmp_le_i32_e32 vcc, s33, v7
	v_mbcnt_lo_u32_b32 v15, -1, 0
	s_barrier
                                        ; implicit-def: $vgpr8
                                        ; implicit-def: $vgpr10
                                        ; implicit-def: $vgpr9
	s_and_saveexec_b64 s[8:9], vcc
	s_xor_b64 s[8:9], exec, s[8:9]
; %bb.5:
	v_mbcnt_hi_u32_b32 v8, -1, v15
	v_and_b32_e32 v10, 64, v8
	v_add_u32_e32 v9, 64, v10
                                        ; implicit-def: $vgpr4
                                        ; implicit-def: $vgpr15
; %bb.6:
	s_or_saveexec_b64 s[28:29], s[8:9]
	s_load_dwordx2 s[20:21], s[0:1], 0x0
	s_load_dwordx2 s[26:27], s[0:1], 0x18
	s_load_dword s19, s[0:1], 0x88
	v_mov_b32_e32 v11, 0xff7fffff
	s_mul_i32 s14, s12, s14
	v_lshrrev_b32_e32 v1, 4, v0
	s_xor_b64 exec, exec, s[28:29]
	s_cbranch_execz .LBB66_12
; %bb.7:
	s_load_dwordx2 s[0:1], s[0:1], 0x10
	s_ashr_i32 s15, s14, 31
	s_lshl_b64 s[8:9], s[14:15], 1
	v_bfe_u32 v5, v0, 3, 3
	v_lshlrev_b32_e32 v8, 4, v5
	s_waitcnt lgkmcnt(0)
	s_add_u32 s0, s0, s8
	s_addc_u32 s1, s1, s9
	v_mov_b32_e32 v9, 0
	s_sub_i32 s15, 1, s17
	s_lshl_b64 s[8:9], s[24:25], 2
	v_lshl_add_u64 v[2:3], s[0:1], 0, v[8:9]
	v_lshlrev_b32_e32 v8, 1, v4
	v_mul_u32_u24_e32 v12, 24, v4
	v_cmp_eq_u32_e32 vcc, 0, v4
	v_lshlrev_b32_e32 v4, 2, v5
	s_add_u32 s8, s22, s8
	v_lshl_add_u64 v[2:3], v[2:3], 0, v[8:9]
	v_lshl_or_b32 v4, v7, 5, v4
	v_and_b32_e32 v8, 60, v1
	s_addc_u32 s9, s23, s9
	v_lshl_or_b32 v13, v7, 3, v5
	v_add_u32_e32 v14, 0xd0, v4
	v_lshl_add_u64 v[4:5], s[8:9], 0, v[8:9]
	v_mbcnt_hi_u32_b32 v8, -1, v15
	v_and_b32_e32 v10, 64, v8
	s_mov_b32 s12, s13
	v_cmp_neq_f32_e64 s[0:1], s10, 0
	v_mov_b32_e32 v11, 0xff7fffff
	s_mov_b64 s[30:31], 0
	v_add_u32_e32 v9, 64, v10
	v_xor_b32_e32 v15, 4, v8
	v_xor_b32_e32 v16, 2, v8
	;; [unrolled: 1-line block ×3, first 2 shown]
	v_mov_b32_e32 v18, v7
	s_branch .LBB66_9
.LBB66_8:                               ;   in Loop: Header=BB66_9 Depth=1
	s_or_b64 exec, exec, s[34:35]
	v_add_u32_e32 v18, 2, v18
	v_cmp_le_i32_e64 s[8:9], s33, v18
	v_add_u32_e32 v13, 16, v13
	v_add_u32_e32 v14, 64, v14
	s_or_b64 s[30:31], s[8:9], s[30:31]
	v_lshl_add_u64 v[4:5], v[4:5], 0, 8
	s_andn2_b64 exec, exec, s[30:31]
	s_cbranch_execz .LBB66_11
.LBB66_9:                               ; =>This Inner Loop Header: Depth=1
	global_load_dword v19, v[4:5], off
	s_waitcnt vmcnt(0) lgkmcnt(0)
	v_mad_i64_i32 v[20:21], s[8:9], v19, s12, 0
	v_lshl_add_u64 v[20:21], v[20:21], 1, v[2:3]
	global_load_ushort v22, v[20:21], off
	global_load_ushort v23, v[20:21], off offset:128
	global_load_ushort v24, v[20:21], off offset:256
	;; [unrolled: 1-line block ×10, first 2 shown]
	ds_read_u16 v19, v12
	global_load_ushort v40, v[20:21], off offset:1408
	s_waitcnt lgkmcnt(0)
	;;#ASMSTART
	v_cvt_f32_f16 v19, v19;
	;;#ASMEND
	v_cmp_lt_i32_e64 s[8:9], v15, v9
	s_waitcnt vmcnt(11)
	;;#ASMSTART
	v_cvt_f32_f16 v20, v22;
	;;#ASMEND
	ds_read_u16 v21, v12 offset:2
	s_waitcnt lgkmcnt(0)
	;;#ASMSTART
	v_cvt_f32_f16 v21, v21;
	;;#ASMEND
	s_waitcnt vmcnt(10)
	;;#ASMSTART
	v_cvt_f32_f16 v22, v23;
	;;#ASMEND
	ds_read_u16 v23, v12 offset:4
	v_mul_f32_e32 v21, v21, v22
	v_fmac_f32_e32 v21, v19, v20
	s_waitcnt lgkmcnt(0)
	;;#ASMSTART
	v_cvt_f32_f16 v23, v23;
	;;#ASMEND
	s_waitcnt vmcnt(9)
	;;#ASMSTART
	v_cvt_f32_f16 v24, v24;
	;;#ASMEND
	ds_read_u16 v25, v12 offset:6
	v_fmac_f32_e32 v21, v23, v24
	s_waitcnt lgkmcnt(0)
	;;#ASMSTART
	v_cvt_f32_f16 v25, v25;
	;;#ASMEND
	s_waitcnt vmcnt(8)
	;;#ASMSTART
	v_cvt_f32_f16 v26, v26;
	;;#ASMEND
	ds_read_u16 v27, v12 offset:8
	;; [unrolled: 10-line block ×8, first 2 shown]
	v_fmac_f32_e32 v21, v19, v20
	v_cndmask_b32_e64 v35, v8, v15, s[8:9]
	s_waitcnt lgkmcnt(0)
	;;#ASMSTART
	v_cvt_f32_f16 v22, v22;
	;;#ASMEND
	s_waitcnt vmcnt(1)
	;;#ASMSTART
	v_cvt_f32_f16 v23, v39;
	;;#ASMEND
	v_lshlrev_b32_e32 v35, 2, v35
	v_fmac_f32_e32 v21, v22, v23
	ds_read_u16 v24, v12 offset:22
	s_waitcnt lgkmcnt(0)
	;;#ASMSTART
	v_cvt_f32_f16 v19, v24;
	;;#ASMEND
	s_waitcnt vmcnt(0)
	;;#ASMSTART
	v_cvt_f32_f16 v20, v40;
	;;#ASMEND
	v_cmp_lt_i32_e64 s[8:9], v16, v9
	v_fmac_f32_e32 v21, v19, v20
	ds_bpermute_b32 v19, v35, v21
	v_cndmask_b32_e64 v20, v8, v16, s[8:9]
	v_lshlrev_b32_e32 v20, 2, v20
	v_cmp_lt_i32_e64 s[8:9], v17, v9
	s_waitcnt lgkmcnt(0)
	v_add_f32_e32 v19, v21, v19
	ds_bpermute_b32 v20, v20, v19
	v_cndmask_b32_e64 v21, v8, v17, s[8:9]
	s_waitcnt lgkmcnt(0)
	v_add_f32_e32 v19, v19, v20
	v_lshlrev_b32_e32 v20, 2, v21
	ds_bpermute_b32 v20, v20, v19
	s_and_saveexec_b64 s[34:35], vcc
	s_cbranch_execz .LBB66_8
; %bb.10:                               ;   in Loop: Header=BB66_9 Depth=1
	v_add_u32_e32 v21, s15, v13
	v_cvt_f32_i32_e32 v21, v21
	s_waitcnt lgkmcnt(0)
	v_add_f32_e32 v19, v19, v20
	v_cmp_gt_i32_e64 s[8:9], s17, v13
	v_max_f32_e32 v20, v11, v11
	v_mul_f32_e32 v21, s10, v21
	v_cndmask_b32_e64 v21, 0, v21, s[0:1]
	v_fmac_f32_e32 v21, s11, v19
	v_cndmask_b32_e64 v19, 0, v21, s[8:9]
	ds_write_b32 v14, v19
	v_max_f32_e32 v19, v20, v21
	v_cndmask_b32_e64 v11, v11, v19, s[8:9]
	s_branch .LBB66_8
.LBB66_11:
	s_or_b64 exec, exec, s[30:31]
.LBB66_12:
	s_or_b64 exec, exec, s[28:29]
	v_xor_b32_e32 v2, 32, v8
	v_cmp_lt_i32_e32 vcc, v2, v9
	v_xor_b32_e32 v5, 16, v8
	v_max_f32_e32 v4, v11, v11
	v_cndmask_b32_e32 v2, v8, v2, vcc
	v_lshlrev_b32_e32 v3, 2, v2
	ds_bpermute_b32 v2, v3, v11
	v_cmp_lt_i32_e32 vcc, v5, v9
	v_xor_b32_e32 v11, 8, v8
	v_and_b32_e32 v17, 63, v0
	s_waitcnt lgkmcnt(0)
	v_max_f32_e32 v2, v2, v2
	v_max_f32_e32 v2, v4, v2
	v_cndmask_b32_e32 v4, v8, v5, vcc
	v_lshlrev_b32_e32 v5, 2, v4
	ds_bpermute_b32 v4, v5, v2
	v_cmp_lt_i32_e32 vcc, v11, v9
	s_waitcnt lgkmcnt(0)
	v_max_f32_e32 v4, v4, v4
	v_max_f32_e32 v4, v2, v4
	v_cndmask_b32_e32 v2, v8, v11, vcc
	v_lshlrev_b32_e32 v12, 2, v2
	ds_bpermute_b32 v11, v12, v4
	v_cmp_eq_u32_e32 vcc, 0, v17
	v_lshlrev_b32_e32 v2, 2, v7
	s_and_saveexec_b64 s[0:1], vcc
	s_cbranch_execz .LBB66_14
; %bb.13:
	s_waitcnt lgkmcnt(0)
	v_max_f32_e32 v11, v11, v11
	v_max_f32_e32 v4, v4, v4
	;; [unrolled: 1-line block ×3, first 2 shown]
	ds_write_b32 v2, v4 offset:192
.LBB66_14:
	s_or_b64 exec, exec, s[0:1]
	v_cmp_gt_u32_e64 s[0:1], 2, v17
	v_mov_b32_e32 v13, 0xff7fffff
	v_lshlrev_b32_e32 v4, 2, v17
	s_waitcnt lgkmcnt(0)
	s_barrier
	s_and_saveexec_b64 s[8:9], s[0:1]
; %bb.15:
	ds_read_b32 v13, v4 offset:192
; %bb.16:
	s_or_b64 exec, exec, s[8:9]
	v_xor_b32_e32 v11, 1, v8
	v_cmp_lt_i32_e64 s[8:9], v11, v9
	v_lshlrev_b32_e32 v10, 2, v10
	s_nop 0
	v_cndmask_b32_e64 v11, v8, v11, s[8:9]
	v_lshlrev_b32_e32 v11, 2, v11
	s_waitcnt lgkmcnt(0)
	ds_bpermute_b32 v14, v11, v13
	v_max_f32_e32 v13, v13, v13
	s_lshl_b32 s8, s33, 3
	s_min_i32 s12, s8, s17
	v_cmp_gt_i32_e64 s[8:9], s12, v0
	s_waitcnt lgkmcnt(0)
	v_max_f32_e32 v14, v14, v14
	v_max_f32_e32 v13, v13, v14
	ds_bpermute_b32 v13, v10, v13
	v_mov_b32_e32 v10, 0
	s_and_saveexec_b64 s[28:29], s[8:9]
	s_cbranch_execz .LBB66_20
; %bb.17:
	v_mov_b32_e32 v10, 0xd0
	v_lshl_add_u32 v14, v0, 2, v10
	v_mov_b32_e32 v10, 0
	s_mov_b64 s[30:31], 0
	v_mov_b32_e32 v15, v0
.LBB66_18:                              ; =>This Inner Loop Header: Depth=1
	ds_read_b32 v16, v14
	v_add_u32_e32 v15, 0x80, v15
	v_cmp_le_i32_e64 s[10:11], s12, v15
	s_or_b64 s[30:31], s[10:11], s[30:31]
	s_waitcnt lgkmcnt(0)
	v_sub_f32_e32 v16, v16, v13
	v_mul_f32_e32 v16, 0x3fb8aa3b, v16
	v_exp_f32_e32 v16, v16
	ds_write_b32 v14, v16
	v_add_f32_e32 v10, v10, v16
	v_add_u32_e32 v14, 0x200, v14
	s_andn2_b64 exec, exec, s[30:31]
	s_cbranch_execnz .LBB66_18
; %bb.19:
	s_or_b64 exec, exec, s[30:31]
.LBB66_20:
	s_or_b64 exec, exec, s[28:29]
	ds_bpermute_b32 v3, v3, v10
	s_waitcnt lgkmcnt(0)
	v_add_f32_e32 v3, v10, v3
	ds_bpermute_b32 v5, v5, v3
	v_xor_b32_e32 v10, 4, v8
	v_cmp_lt_i32_e64 s[10:11], v10, v9
	s_waitcnt lgkmcnt(0)
	v_add_f32_e32 v3, v3, v5
	ds_bpermute_b32 v5, v12, v3
	v_cndmask_b32_e64 v10, v8, v10, s[10:11]
	v_lshlrev_b32_e32 v10, 2, v10
	s_waitcnt lgkmcnt(0)
	v_add_f32_e32 v3, v3, v5
	ds_bpermute_b32 v5, v10, v3
	v_xor_b32_e32 v10, 2, v8
	v_cmp_lt_i32_e64 s[10:11], v10, v9
	s_waitcnt lgkmcnt(0)
	v_add_f32_e32 v3, v3, v5
	v_cndmask_b32_e64 v9, v8, v10, s[10:11]
	v_lshlrev_b32_e32 v5, 2, v9
	ds_bpermute_b32 v5, v5, v3
	s_waitcnt lgkmcnt(0)
	v_add_f32_e32 v3, v3, v5
	ds_bpermute_b32 v5, v11, v3
	s_waitcnt lgkmcnt(0)
	v_add_f32_e32 v3, v3, v5
	s_and_saveexec_b64 s[10:11], vcc
; %bb.21:
	ds_write_b32 v2, v3 offset:200
; %bb.22:
	s_or_b64 exec, exec, s[10:11]
	s_waitcnt lgkmcnt(0)
	s_barrier
	s_and_saveexec_b64 s[10:11], s[0:1]
; %bb.23:
	ds_read_b32 v3, v4 offset:200
; %bb.24:
	s_or_b64 exec, exec, s[10:11]
	s_waitcnt lgkmcnt(0)
	ds_bpermute_b32 v2, v11, v3
	v_lshlrev_b32_e32 v4, 2, v8
	s_waitcnt lgkmcnt(0)
	v_add_f32_e32 v2, v3, v2
	v_and_b32_e32 v3, 0xffffff00, v4
	ds_bpermute_b32 v2, v3, v2
	s_and_saveexec_b64 s[0:1], s[8:9]
	s_cbranch_execz .LBB66_37
; %bb.25:
	s_waitcnt lgkmcnt(0)
	v_add_f32_e32 v2, 0x358637bd, v2
	v_div_scale_f32 v3, s[8:9], v2, v2, 1.0
	v_rcp_f32_e32 v4, v3
	v_div_scale_f32 v5, vcc, 1.0, v2, 1.0
	s_movk_i32 s8, 0x7f
	v_fma_f32 v8, -v3, v4, 1.0
	v_fmac_f32_e32 v4, v8, v4
	v_mul_f32_e32 v8, v5, v4
	v_fma_f32 v9, -v3, v8, v5
	v_fmac_f32_e32 v8, v9, v4
	v_fma_f32 v3, -v3, v8, v5
	v_div_fmas_f32 v3, v3, v4, v8
	v_xad_u32 v4, v0, -1, s12
	v_div_fixup_f32 v2, v3, v2, 1.0
	v_cmp_lt_u32_e32 vcc, s8, v4
	s_mov_b64 s[10:11], -1
	v_mov_b32_e32 v3, v0
	s_and_saveexec_b64 s[8:9], vcc
	s_cbranch_execz .LBB66_34
; %bb.26:
	v_lshrrev_b32_e32 v4, 7, v4
	v_add_u32_e32 v8, -1, v4
	v_lshrrev_b32_e32 v5, 1, v8
	v_mov_b32_e32 v3, v2
	v_add_u32_e32 v5, 1, v5
	v_cmp_lt_u32_e32 vcc, 13, v8
	v_mov_b32_e32 v10, 0
	s_and_saveexec_b64 s[10:11], vcc
	s_cbranch_execz .LBB66_30
; %bb.27:
	v_mov_b32_e32 v9, 0xd0
	v_and_b32_e32 v8, -8, v5
	v_lshl_add_u32 v9, v0, 2, v9
	s_mov_b32 s15, 0
	s_mov_b64 s[28:29], 0
.LBB66_28:                              ; =>This Inner Loop Header: Depth=1
	ds_read2st64_b32 v[10:11], v9 offset1:2
	ds_read2st64_b32 v[12:13], v9 offset0:4 offset1:6
	ds_read2st64_b32 v[14:15], v9 offset0:8 offset1:10
	;; [unrolled: 1-line block ×3, first 2 shown]
	v_add_u32_e32 v8, -8, v8
	s_waitcnt lgkmcnt(3)
	v_pk_mul_f32 v[10:11], v[2:3], v[10:11]
	s_waitcnt lgkmcnt(2)
	v_pk_mul_f32 v[12:13], v[2:3], v[12:13]
	ds_write2st64_b32 v9, v10, v11 offset1:2
	ds_write2st64_b32 v9, v12, v13 offset0:4 offset1:6
	ds_read2st64_b32 v[12:13], v9 offset0:16 offset1:18
	s_waitcnt lgkmcnt(4)
	v_pk_mul_f32 v[10:11], v[2:3], v[14:15]
	ds_write2st64_b32 v9, v10, v11 offset0:8 offset1:10
	s_waitcnt lgkmcnt(4)
	v_pk_mul_f32 v[10:11], v[2:3], v[18:19]
	ds_write2st64_b32 v9, v10, v11 offset0:12 offset1:14
	ds_read2st64_b32 v[10:11], v9 offset0:20 offset1:22
	s_waitcnt lgkmcnt(3)
	v_pk_mul_f32 v[12:13], v[2:3], v[12:13]
	ds_read2st64_b32 v[14:15], v9 offset0:24 offset1:26
	ds_write2st64_b32 v9, v12, v13 offset0:16 offset1:18
	ds_read2st64_b32 v[12:13], v9 offset0:28 offset1:30
	s_waitcnt lgkmcnt(3)
	v_pk_mul_f32 v[10:11], v[2:3], v[10:11]
	ds_write2st64_b32 v9, v10, v11 offset0:20 offset1:22
	s_waitcnt lgkmcnt(3)
	v_pk_mul_f32 v[10:11], v[2:3], v[14:15]
	ds_write2st64_b32 v9, v10, v11 offset0:24 offset1:26
	s_waitcnt lgkmcnt(2)
	v_pk_mul_f32 v[10:11], v[2:3], v[12:13]
	s_add_i32 s15, s15, 16
	v_cmp_eq_u32_e32 vcc, 0, v8
	ds_write2st64_b32 v9, v10, v11 offset0:28 offset1:30
	v_add_u32_e32 v9, 0x2000, v9
	s_or_b64 s[28:29], vcc, s[28:29]
	v_mov_b32_e32 v10, s15
	s_andn2_b64 exec, exec, s[28:29]
	s_cbranch_execnz .LBB66_28
; %bb.29:
	s_or_b64 exec, exec, s[28:29]
.LBB66_30:
	s_or_b64 exec, exec, s[10:11]
	v_and_b32_e32 v5, 7, v5
	v_cmp_ne_u32_e32 vcc, 0, v5
	s_and_saveexec_b64 s[10:11], vcc
	s_cbranch_execz .LBB66_33
; %bb.31:
	v_lshlrev_b32_e32 v8, 9, v10
	v_lshlrev_b32_e32 v9, 2, v0
	s_movk_i32 s15, 0xd0
	v_add3_u32 v8, v8, v9, s15
	s_mov_b64 s[28:29], 0
.LBB66_32:                              ; =>This Inner Loop Header: Depth=1
	ds_read2st64_b32 v[10:11], v8 offset1:2
	v_add_u32_e32 v5, -1, v5
	v_cmp_eq_u32_e32 vcc, 0, v5
	s_or_b64 s[28:29], vcc, s[28:29]
	s_waitcnt lgkmcnt(0)
	v_pk_mul_f32 v[10:11], v[2:3], v[10:11]
	ds_write2st64_b32 v8, v10, v11 offset1:2
	v_add_u32_e32 v8, 0x400, v8
	s_andn2_b64 exec, exec, s[28:29]
	s_cbranch_execnz .LBB66_32
.LBB66_33:
	s_or_b64 exec, exec, s[10:11]
	v_add_u32_e32 v4, 1, v4
	v_and_b32_e32 v5, 0x3fffffe, v4
	v_cmp_ne_u32_e32 vcc, v4, v5
	v_lshl_add_u32 v3, v5, 7, v0
	s_orn2_b64 s[10:11], vcc, exec
.LBB66_34:
	s_or_b64 exec, exec, s[8:9]
	s_and_b64 exec, exec, s[10:11]
	s_cbranch_execz .LBB66_37
; %bb.35:
	v_mov_b32_e32 v4, 0xd0
	v_lshl_add_u32 v4, v3, 2, v4
	s_mov_b64 s[8:9], 0
.LBB66_36:                              ; =>This Inner Loop Header: Depth=1
	ds_read_b32 v5, v4
	v_add_u32_e32 v3, 0x80, v3
	v_cmp_le_i32_e32 vcc, s12, v3
	s_or_b64 s[8:9], vcc, s[8:9]
	s_waitcnt lgkmcnt(0)
	v_mul_f32_e32 v5, v2, v5
	ds_write_b32 v4, v5
	v_add_u32_e32 v4, 0x200, v4
	s_andn2_b64 exec, exec, s[8:9]
	s_cbranch_execnz .LBB66_36
.LBB66_37:
	s_or_b64 exec, exec, s[0:1]
	v_mov_b32_e32 v19, 0
	v_mov_b32_e32 v18, 0
	s_waitcnt lgkmcnt(0)
	s_barrier
	s_and_saveexec_b64 s[8:9], s[2:3]
	s_cbranch_execz .LBB66_47
; %bb.38:
	s_ashr_i32 s15, s14, 31
	s_lshl_b64 s[0:1], s[14:15], 1
	s_add_u32 s10, s26, s0
	v_or_b32_e32 v3, 64, v17
	s_movk_i32 s0, 0x60
	s_addc_u32 s11, s27, s1
	s_add_i32 s26, s33, -1
	v_cmp_gt_u32_e64 s[2:3], s0, v3
	s_lshl_b64 s[0:1], s[24:25], 2
	s_add_u32 s0, s22, s0
	v_lshlrev_b32_e32 v2, 3, v17
	v_mov_b32_e32 v9, 0
	v_lshlrev_b32_e32 v4, 3, v3
	v_mov_b32_e32 v3, 0xd0
	v_and_b32_e32 v8, 60, v1
	s_addc_u32 s1, s23, s1
	s_mov_b32 s28, s13
	s_mov_b32 s27, s17
	v_lshlrev_b32_e32 v20, 3, v7
	v_lshl_add_u32 v21, v7, 5, v3
	v_lshl_add_u64 v[10:11], s[0:1], 0, v[8:9]
	s_mov_b64 s[12:13], 0
	v_lshlrev_b32_e32 v12, 1, v2
	v_mov_b32_e32 v13, v9
	s_mov_b32 s24, 0xffff
	v_lshlrev_b32_e32 v8, 1, v4
	v_mov_b32_e32 v18, v9
	v_mov_b32_e32 v19, v9
	s_branch .LBB66_41
.LBB66_39:                              ;   in Loop: Header=BB66_41 Depth=1
	s_or_b64 exec, exec, s[22:23]
	v_lshlrev_b32_e32 v14, 16, v14
	v_lshlrev_b32_e32 v1, 16, v1
	v_and_or_b32 v2, v2, s24, v14
	v_and_or_b32 v1, v3, s24, v1
	v_lshlrev_b32_e32 v3, 16, v15
	v_and_or_b32 v3, v4, s24, v3
	;;#ASMSTART
	v_pk_mul_f16 v2, v24, v2;

	;;#ASMEND
	;;#ASMSTART
	v_pk_mul_f16 v1, v25, v1;

	;;#ASMEND
	;; [unrolled: 4-line block ×4, first 2 shown]
	s_nop 0
	;;#ASMSTART
	v_pk_add_f16 v1, v2, v1;

	;;#ASMEND
	s_nop 0
	;;#ASMSTART
	v_pk_add_f16 v1, v1, v3;

	;;#ASMEND
	;; [unrolled: 5-line block ×3, first 2 shown]
	s_nop 0
	v_lshrrev_b32_e32 v2, 16, v1
	v_and_b32_e32 v1, 0xffff, v1
	;;#ASMSTART
	v_cvt_f32_f16 v1, v1;
	;;#ASMEND
	;;#ASMSTART
	v_cvt_f32_f16 v2, v2;
	;;#ASMEND
	s_nop 0
	v_add_f32_e32 v1, v1, v2
	v_add_f32_e32 v18, v18, v1
.LBB66_40:                              ;   in Loop: Header=BB66_41 Depth=1
	s_or_b64 exec, exec, s[14:15]
	v_add_u32_e32 v7, 2, v7
	v_add_f32_e32 v1, v16, v22
	v_cmp_le_i32_e32 vcc, s33, v7
	v_add_f32_e32 v19, v19, v1
	v_add_u32_e32 v20, 16, v20
	v_add_u32_e32 v21, 64, v21
	s_or_b64 s[12:13], vcc, s[12:13]
	v_lshl_add_u64 v[10:11], v[10:11], 0, 8
	s_andn2_b64 exec, exec, s[12:13]
	s_cbranch_execz .LBB66_46
.LBB66_41:                              ; =>This Inner Loop Header: Depth=1
	global_load_dword v1, v[10:11], off
	ds_read2_b64 v[2:5], v21 offset1:1
	ds_read2_b64 v[28:31], v21 offset0:2 offset1:3
	s_waitcnt lgkmcnt(1)
	;;#ASMSTART
	v_cvt_f16_f32 v22, v2;

	;;#ASMEND
	;;#ASMSTART
	v_cvt_f16_f32 v23, v3;

	;;#ASMEND
	;; [unrolled: 4-line block ×4, first 2 shown]
	s_waitcnt lgkmcnt(0)
	;;#ASMSTART
	v_cvt_f16_f32 v27, v28;

	;;#ASMEND
	;;#ASMSTART
	v_cvt_f16_f32 v28, v29;

	;;#ASMEND
	;; [unrolled: 4-line block ×4, first 2 shown]
	s_waitcnt vmcnt(0)
	v_mad_i64_i32 v[2:3], s[0:1], v1, s28, 0
	v_lshl_add_u64 v[14:15], v[2:3], 1, s[10:11]
	v_lshl_add_u64 v[2:3], v[14:15], 0, v[12:13]
	global_load_dwordx4 v[2:5], v[2:3], off
	v_cmp_eq_u32_e64 s[0:1], s26, v7
	s_waitcnt vmcnt(0)
	v_lshrrev_b32_e32 v1, 16, v3
	v_lshrrev_b32_e32 v16, 16, v2
	;; [unrolled: 1-line block ×3, first 2 shown]
	s_and_saveexec_b64 s[14:15], s[0:1]
	s_cbranch_execz .LBB66_43
; %bb.42:                               ;   in Loop: Header=BB66_41 Depth=1
	v_cmp_gt_i32_e32 vcc, s17, v20
	v_add_u32_e32 v33, 2, v20
	v_or_b32_e32 v24, 3, v20
	v_cndmask_b32_e32 v2, 0, v2, vcc
	v_cmp_gt_i32_e32 vcc, s17, v33
	v_or_b32_e32 v32, 1, v20
	s_nop 0
	v_cndmask_b32_e32 v3, 0, v3, vcc
	v_cmp_gt_i32_e32 vcc, s27, v24
	v_add_u32_e32 v24, 4, v20
	s_nop 0
	v_cndmask_b32_e32 v1, 0, v1, vcc
	v_cmp_gt_i32_e32 vcc, s17, v32
	v_add_u32_e32 v32, 7, v20
	;; [unrolled: 4-line block ×4, first 2 shown]
	s_nop 0
	v_cndmask_b32_e32 v31, 0, v31, vcc
	v_cmp_gt_i32_e32 vcc, s17, v24
	s_nop 1
	v_cndmask_b32_sdwa v24, v9, v5, vcc dst_sel:DWORD dst_unused:UNUSED_PAD src0_sel:DWORD src1_sel:WORD_0
	v_and_b32_e32 v5, 0xffff0000, v5
	v_cmp_gt_i32_e32 vcc, s17, v32
	s_nop 1
	v_cndmask_b32_e32 v5, 0, v5, vcc
	v_or_b32_e32 v5, v24, v5
.LBB66_43:                              ;   in Loop: Header=BB66_41 Depth=1
	s_or_b64 exec, exec, s[14:15]
	v_and_b32_e32 v22, 0xffff, v22
	v_lshl_or_b32 v24, v23, 16, v22
	v_and_b32_e32 v22, 0xffff, v25
	v_lshlrev_b32_e32 v16, 16, v16
	v_lshlrev_b32_e32 v1, 16, v1
	v_lshl_or_b32 v25, v26, 16, v22
	v_and_b32_e32 v22, 0xffff, v27
	v_and_or_b32 v2, v2, s24, v16
	v_and_or_b32 v1, v3, s24, v1
	v_lshlrev_b32_e32 v3, 16, v31
	v_lshl_or_b32 v26, v28, 16, v22
	v_and_b32_e32 v22, 0xffff, v29
	v_and_or_b32 v3, v4, s24, v3
	;;#ASMSTART
	v_pk_mul_f16 v2, v24, v2;

	;;#ASMEND
	;;#ASMSTART
	v_pk_mul_f16 v1, v25, v1;

	;;#ASMEND
	v_lshl_or_b32 v23, v30, 16, v22
	;;#ASMSTART
	v_pk_mul_f16 v3, v26, v3;

	;;#ASMEND
	;;#ASMSTART
	v_pk_mul_f16 v4, v23, v5;

	;;#ASMEND
	;;#ASMSTART
	v_pk_add_f16 v1, v2, v1;

	;;#ASMEND
	s_nop 0
	;;#ASMSTART
	v_pk_add_f16 v1, v1, v3;

	;;#ASMEND
	s_nop 0
	;; [unrolled: 5-line block ×3, first 2 shown]
	v_lshrrev_b32_e32 v2, 16, v1
	v_and_b32_e32 v1, 0xffff, v1
	;;#ASMSTART
	v_cvt_f32_f16 v16, v1;
	;;#ASMEND
	;;#ASMSTART
	v_cvt_f32_f16 v22, v2;
	;;#ASMEND
	s_and_saveexec_b64 s[14:15], s[2:3]
	s_cbranch_execz .LBB66_40
; %bb.44:                               ;   in Loop: Header=BB66_41 Depth=1
	v_lshl_add_u64 v[2:3], v[14:15], 0, v[8:9]
	global_load_dwordx4 v[2:5], v[2:3], off
	s_waitcnt vmcnt(0)
	v_lshrrev_b32_e32 v1, 16, v3
	v_lshrrev_b32_e32 v14, 16, v2
	;; [unrolled: 1-line block ×3, first 2 shown]
	s_and_saveexec_b64 s[22:23], s[0:1]
	s_cbranch_execz .LBB66_39
; %bb.45:                               ;   in Loop: Header=BB66_41 Depth=1
	v_cmp_gt_i32_e32 vcc, s17, v20
	v_add_u32_e32 v29, 2, v20
	v_or_b32_e32 v27, 3, v20
	v_cndmask_b32_e32 v2, 0, v2, vcc
	v_cmp_gt_i32_e32 vcc, s17, v29
	v_or_b32_e32 v28, 1, v20
	s_nop 0
	v_cndmask_b32_e32 v3, 0, v3, vcc
	v_cmp_gt_i32_e32 vcc, s27, v27
	v_add_u32_e32 v27, 4, v20
	s_nop 0
	v_cndmask_b32_e32 v1, 0, v1, vcc
	v_cmp_gt_i32_e32 vcc, s17, v28
	v_add_u32_e32 v28, 7, v20
	;; [unrolled: 4-line block ×4, first 2 shown]
	s_nop 0
	v_cndmask_b32_e32 v15, 0, v15, vcc
	v_cmp_gt_i32_e32 vcc, s17, v27
	s_nop 1
	v_cndmask_b32_sdwa v27, v9, v5, vcc dst_sel:DWORD dst_unused:UNUSED_PAD src0_sel:DWORD src1_sel:WORD_0
	v_and_b32_e32 v5, 0xffff0000, v5
	v_cmp_gt_i32_e32 vcc, s17, v28
	s_nop 1
	v_cndmask_b32_e32 v5, 0, v5, vcc
	v_or_b32_e32 v5, v27, v5
	s_branch .LBB66_39
.LBB66_46:
	s_or_b64 exec, exec, s[12:13]
.LBB66_47:
	s_or_b64 exec, exec, s[8:9]
	v_and_b32_e32 v1, 0x3c0, v0
	v_cmp_eq_u32_e32 vcc, 64, v1
	s_barrier
	s_and_saveexec_b64 s[0:1], vcc
	s_cbranch_execz .LBB66_50
; %bb.48:
	v_mov_b32_e32 v1, 0xd0
	v_lshl_add_u32 v2, v17, 2, v1
	ds_write_b32 v2, v19
	s_and_b64 exec, exec, s[6:7]
; %bb.49:
	v_lshl_add_u32 v1, v0, 2, v1
	ds_write_b32 v1, v18
.LBB66_50:
	s_or_b64 exec, exec, s[0:1]
	v_cmp_gt_u32_e32 vcc, 64, v0
	v_or_b32_e32 v1, 64, v0
	s_waitcnt lgkmcnt(0)
	s_barrier
	s_and_saveexec_b64 s[2:3], vcc
	s_cbranch_execz .LBB66_54
; %bb.51:
	v_mov_b32_e32 v2, 0xd0
	v_lshl_add_u32 v2, v0, 2, v2
	ds_read_b32 v0, v2
	s_movk_i32 s0, 0x60
	v_cmp_gt_u32_e64 s[0:1], s0, v1
	s_and_saveexec_b64 s[6:7], s[0:1]
	s_cbranch_execz .LBB66_53
; %bb.52:
	ds_read_b32 v2, v2 offset:256
	s_waitcnt lgkmcnt(0)
	v_add_f32_e32 v18, v18, v2
.LBB66_53:
	s_or_b64 exec, exec, s[6:7]
	s_waitcnt lgkmcnt(0)
	v_add_f32_e32 v19, v19, v0
.LBB66_54:
	s_or_b64 exec, exec, s[2:3]
	s_barrier
	s_and_saveexec_b64 s[0:1], vcc
	s_cbranch_execz .LBB66_57
; %bb.55:
	s_mul_i32 s0, s16, s19
	s_mul_i32 s0, s0, s5
	s_mulk_i32 s0, 0x60
	s_ashr_i32 s1, s0, 31
	s_lshl_b64 s[0:1], s[0:1], 1
	s_add_u32 s3, s20, s0
	s_mul_i32 s0, s19, s18
	s_addc_u32 s5, s21, s1
	s_ashr_i32 s1, s0, 31
	s_lshl_b64 s[0:1], s[0:1], 1
	s_add_u32 s3, s3, s0
	s_mul_i32 s0, s4, 0x60
	s_addc_u32 s5, s5, s1
	s_ashr_i32 s1, s0, 31
	s_lshl_b64 s[0:1], s[0:1], 1
	s_movk_i32 s2, 0x60
	s_add_u32 s0, s3, s0
	s_addc_u32 s1, s5, s1
	v_cmp_gt_u32_e32 vcc, s2, v1
	;;#ASMSTART
	v_cvt_f16_f32 v0, v19;

	;;#ASMEND
	global_store_short v6, v0, s[0:1]
	s_and_b64 exec, exec, vcc
	s_cbranch_execz .LBB66_57
; %bb.56:
	v_mov_b32_e32 v7, 0
	v_lshl_add_u64 v[0:1], s[0:1], 0, v[6:7]
	;;#ASMSTART
	v_cvt_f16_f32 v2, v18;

	;;#ASMEND
	global_store_short v[0:1], v2, off offset:128
.LBB66_57:
	s_endpgm
	.section	.rodata,"a",@progbits
	.p2align	6, 0x0
	.amdhsa_kernel _ZN4vllm25paged_attention_v1_kernelIttLi96ELi8ELi128ELNS_18Fp8KVCacheDataTypeE0ELb0EEEvPT_PKS2_PKT0_S8_ifPKiSA_iPKfiiiSC_SC_iiiii
		.amdhsa_group_segment_fixed_size 208
		.amdhsa_private_segment_fixed_size 0
		.amdhsa_kernarg_size 384
		.amdhsa_user_sgpr_count 2
		.amdhsa_user_sgpr_dispatch_ptr 0
		.amdhsa_user_sgpr_queue_ptr 0
		.amdhsa_user_sgpr_kernarg_segment_ptr 1
		.amdhsa_user_sgpr_dispatch_id 0
		.amdhsa_user_sgpr_kernarg_preload_length 0
		.amdhsa_user_sgpr_kernarg_preload_offset 0
		.amdhsa_user_sgpr_private_segment_size 0
		.amdhsa_uses_dynamic_stack 0
		.amdhsa_enable_private_segment 0
		.amdhsa_system_sgpr_workgroup_id_x 1
		.amdhsa_system_sgpr_workgroup_id_y 1
		.amdhsa_system_sgpr_workgroup_id_z 1
		.amdhsa_system_sgpr_workgroup_info 0
		.amdhsa_system_vgpr_workitem_id 0
		.amdhsa_next_free_vgpr 42
		.amdhsa_next_free_sgpr 36
		.amdhsa_accum_offset 44
		.amdhsa_reserve_vcc 1
		.amdhsa_float_round_mode_32 0
		.amdhsa_float_round_mode_16_64 0
		.amdhsa_float_denorm_mode_32 3
		.amdhsa_float_denorm_mode_16_64 3
		.amdhsa_dx10_clamp 1
		.amdhsa_ieee_mode 1
		.amdhsa_fp16_overflow 0
		.amdhsa_tg_split 0
		.amdhsa_exception_fp_ieee_invalid_op 0
		.amdhsa_exception_fp_denorm_src 0
		.amdhsa_exception_fp_ieee_div_zero 0
		.amdhsa_exception_fp_ieee_overflow 0
		.amdhsa_exception_fp_ieee_underflow 0
		.amdhsa_exception_fp_ieee_inexact 0
		.amdhsa_exception_int_div_zero 0
	.end_amdhsa_kernel
	.section	.text._ZN4vllm25paged_attention_v1_kernelIttLi96ELi8ELi128ELNS_18Fp8KVCacheDataTypeE0ELb0EEEvPT_PKS2_PKT0_S8_ifPKiSA_iPKfiiiSC_SC_iiiii,"axG",@progbits,_ZN4vllm25paged_attention_v1_kernelIttLi96ELi8ELi128ELNS_18Fp8KVCacheDataTypeE0ELb0EEEvPT_PKS2_PKT0_S8_ifPKiSA_iPKfiiiSC_SC_iiiii,comdat
.Lfunc_end66:
	.size	_ZN4vllm25paged_attention_v1_kernelIttLi96ELi8ELi128ELNS_18Fp8KVCacheDataTypeE0ELb0EEEvPT_PKS2_PKT0_S8_ifPKiSA_iPKfiiiSC_SC_iiiii, .Lfunc_end66-_ZN4vllm25paged_attention_v1_kernelIttLi96ELi8ELi128ELNS_18Fp8KVCacheDataTypeE0ELb0EEEvPT_PKS2_PKT0_S8_ifPKiSA_iPKfiiiSC_SC_iiiii
                                        ; -- End function
	.set _ZN4vllm25paged_attention_v1_kernelIttLi96ELi8ELi128ELNS_18Fp8KVCacheDataTypeE0ELb0EEEvPT_PKS2_PKT0_S8_ifPKiSA_iPKfiiiSC_SC_iiiii.num_vgpr, 42
	.set _ZN4vllm25paged_attention_v1_kernelIttLi96ELi8ELi128ELNS_18Fp8KVCacheDataTypeE0ELb0EEEvPT_PKS2_PKT0_S8_ifPKiSA_iPKfiiiSC_SC_iiiii.num_agpr, 0
	.set _ZN4vllm25paged_attention_v1_kernelIttLi96ELi8ELi128ELNS_18Fp8KVCacheDataTypeE0ELb0EEEvPT_PKS2_PKT0_S8_ifPKiSA_iPKfiiiSC_SC_iiiii.numbered_sgpr, 36
	.set _ZN4vllm25paged_attention_v1_kernelIttLi96ELi8ELi128ELNS_18Fp8KVCacheDataTypeE0ELb0EEEvPT_PKS2_PKT0_S8_ifPKiSA_iPKfiiiSC_SC_iiiii.num_named_barrier, 0
	.set _ZN4vllm25paged_attention_v1_kernelIttLi96ELi8ELi128ELNS_18Fp8KVCacheDataTypeE0ELb0EEEvPT_PKS2_PKT0_S8_ifPKiSA_iPKfiiiSC_SC_iiiii.private_seg_size, 0
	.set _ZN4vllm25paged_attention_v1_kernelIttLi96ELi8ELi128ELNS_18Fp8KVCacheDataTypeE0ELb0EEEvPT_PKS2_PKT0_S8_ifPKiSA_iPKfiiiSC_SC_iiiii.uses_vcc, 1
	.set _ZN4vllm25paged_attention_v1_kernelIttLi96ELi8ELi128ELNS_18Fp8KVCacheDataTypeE0ELb0EEEvPT_PKS2_PKT0_S8_ifPKiSA_iPKfiiiSC_SC_iiiii.uses_flat_scratch, 0
	.set _ZN4vllm25paged_attention_v1_kernelIttLi96ELi8ELi128ELNS_18Fp8KVCacheDataTypeE0ELb0EEEvPT_PKS2_PKT0_S8_ifPKiSA_iPKfiiiSC_SC_iiiii.has_dyn_sized_stack, 0
	.set _ZN4vllm25paged_attention_v1_kernelIttLi96ELi8ELi128ELNS_18Fp8KVCacheDataTypeE0ELb0EEEvPT_PKS2_PKT0_S8_ifPKiSA_iPKfiiiSC_SC_iiiii.has_recursion, 0
	.set _ZN4vllm25paged_attention_v1_kernelIttLi96ELi8ELi128ELNS_18Fp8KVCacheDataTypeE0ELb0EEEvPT_PKS2_PKT0_S8_ifPKiSA_iPKfiiiSC_SC_iiiii.has_indirect_call, 0
	.section	.AMDGPU.csdata,"",@progbits
; Kernel info:
; codeLenInByte = 4696
; TotalNumSgprs: 42
; NumVgprs: 42
; NumAgprs: 0
; TotalNumVgprs: 42
; ScratchSize: 0
; MemoryBound: 0
; FloatMode: 240
; IeeeMode: 1
; LDSByteSize: 208 bytes/workgroup (compile time only)
; SGPRBlocks: 5
; VGPRBlocks: 5
; NumSGPRsForWavesPerEU: 42
; NumVGPRsForWavesPerEU: 42
; AccumOffset: 44
; Occupancy: 8
; WaveLimiterHint : 1
; COMPUTE_PGM_RSRC2:SCRATCH_EN: 0
; COMPUTE_PGM_RSRC2:USER_SGPR: 2
; COMPUTE_PGM_RSRC2:TRAP_HANDLER: 0
; COMPUTE_PGM_RSRC2:TGID_X_EN: 1
; COMPUTE_PGM_RSRC2:TGID_Y_EN: 1
; COMPUTE_PGM_RSRC2:TGID_Z_EN: 1
; COMPUTE_PGM_RSRC2:TIDIG_COMP_CNT: 0
; COMPUTE_PGM_RSRC3_GFX90A:ACCUM_OFFSET: 10
; COMPUTE_PGM_RSRC3_GFX90A:TG_SPLIT: 0
	.section	.text._ZN4vllm25paged_attention_v1_kernelIttLi112ELi8ELi128ELNS_18Fp8KVCacheDataTypeE0ELb0EEEvPT_PKS2_PKT0_S8_ifPKiSA_iPKfiiiSC_SC_iiiii,"axG",@progbits,_ZN4vllm25paged_attention_v1_kernelIttLi112ELi8ELi128ELNS_18Fp8KVCacheDataTypeE0ELb0EEEvPT_PKS2_PKT0_S8_ifPKiSA_iPKfiiiSC_SC_iiiii,comdat
	.protected	_ZN4vllm25paged_attention_v1_kernelIttLi112ELi8ELi128ELNS_18Fp8KVCacheDataTypeE0ELb0EEEvPT_PKS2_PKT0_S8_ifPKiSA_iPKfiiiSC_SC_iiiii ; -- Begin function _ZN4vllm25paged_attention_v1_kernelIttLi112ELi8ELi128ELNS_18Fp8KVCacheDataTypeE0ELb0EEEvPT_PKS2_PKT0_S8_ifPKiSA_iPKfiiiSC_SC_iiiii
	.globl	_ZN4vllm25paged_attention_v1_kernelIttLi112ELi8ELi128ELNS_18Fp8KVCacheDataTypeE0ELb0EEEvPT_PKS2_PKT0_S8_ifPKiSA_iPKfiiiSC_SC_iiiii
	.p2align	8
	.type	_ZN4vllm25paged_attention_v1_kernelIttLi112ELi8ELi128ELNS_18Fp8KVCacheDataTypeE0ELb0EEEvPT_PKS2_PKT0_S8_ifPKiSA_iPKfiiiSC_SC_iiiii,@function
_ZN4vllm25paged_attention_v1_kernelIttLi112ELi8ELi128ELNS_18Fp8KVCacheDataTypeE0ELb0EEEvPT_PKS2_PKT0_S8_ifPKiSA_iPKfiiiSC_SC_iiiii: ; @_ZN4vllm25paged_attention_v1_kernelIttLi112ELi8ELi128ELNS_18Fp8KVCacheDataTypeE0ELb0EEEvPT_PKS2_PKT0_S8_ifPKiSA_iPKfiiiSC_SC_iiiii
; %bb.0:
	s_load_dword s5, s[0:1], 0x80
	s_load_dwordx2 s[6:7], s[0:1], 0x30
	s_load_dwordx2 s[10:11], s[0:1], 0x20
	s_mov_b32 s16, s3
	s_ashr_i32 s17, s3, 31
	s_lshl_b64 s[8:9], s[16:17], 2
	s_waitcnt lgkmcnt(0)
	s_add_u32 s6, s6, s8
	s_addc_u32 s7, s7, s9
	s_abs_i32 s3, s10
	v_cvt_f32_u32_e32 v1, s3
	s_xor_b32 s8, s5, s10
	s_sub_i32 s10, 0, s3
	s_abs_i32 s9, s5
	v_rcp_iflag_f32_e32 v1, v1
	s_ashr_i32 s8, s8, 31
	v_mul_f32_e32 v1, 0x4f7ffffe, v1
	v_cvt_u32_f32_e32 v1, v1
	s_nop 0
	v_readfirstlane_b32 s12, v1
	s_mul_i32 s10, s10, s12
	s_mul_hi_u32 s10, s12, s10
	s_add_i32 s12, s12, s10
	s_mul_hi_u32 s10, s9, s12
	s_mul_i32 s12, s10, s3
	s_sub_i32 s9, s9, s12
	s_add_i32 s12, s10, 1
	s_sub_i32 s13, s9, s3
	s_cmp_ge_u32 s9, s3
	s_cselect_b32 s10, s12, s10
	s_cselect_b32 s9, s13, s9
	s_add_i32 s12, s10, 1
	s_cmp_ge_u32 s9, s3
	s_cselect_b32 s3, s12, s10
	s_xor_b32 s3, s3, s8
	s_sub_i32 s12, s3, s8
	s_abs_i32 s20, s12
	v_cvt_f32_u32_e32 v1, s20
	s_load_dwordx2 s[8:9], s[0:1], 0x40
	s_sub_i32 s3, 0, s20
	s_abs_i32 s21, s2
	v_rcp_iflag_f32_e32 v1, v1
	s_mov_b32 s10, 0
	v_mul_f32_e32 v1, 0x4f7ffffe, v1
	v_cvt_u32_f32_e32 v1, v1
	s_nop 0
	v_readfirstlane_b32 s13, v1
	s_mul_i32 s3, s3, s13
	s_mul_hi_u32 s3, s13, s3
	s_add_i32 s13, s13, s3
	s_waitcnt lgkmcnt(0)
	s_cmp_eq_u64 s[8:9], 0
	s_mul_hi_u32 s24, s21, s13
	s_cbranch_scc1 .LBB67_2
; %bb.1:
	s_ashr_i32 s3, s2, 31
	s_lshl_b64 s[14:15], s[2:3], 2
	s_add_u32 s8, s8, s14
	s_addc_u32 s9, s9, s15
	s_load_dword s10, s[8:9], 0x0
.LBB67_2:
	s_load_dword s17, s[6:7], 0x0
	s_ashr_i32 s9, s12, 31
	s_load_dwordx4 s[12:15], s[0:1], 0x48
	s_movk_i32 s3, 0x70
	s_ashr_i32 s8, s2, 31
	v_and_b32_e32 v4, 7, v0
	s_mul_i32 s18, s2, 0x70
	v_cmp_gt_u32_e64 s[6:7], s3, v0
	v_lshlrev_b32_e32 v6, 1, v0
	s_and_saveexec_b64 s[2:3], s[6:7]
	s_cbranch_execz .LBB67_4
; %bb.3:
	s_load_dwordx2 s[22:23], s[0:1], 0x8
	s_waitcnt lgkmcnt(0)
	s_mul_i32 s26, s12, s16
	s_ashr_i32 s27, s26, 31
	s_lshl_b64 s[26:27], s[26:27], 1
	v_lshrrev_b32_e32 v2, 2, v0
	s_add_u32 s12, s22, s26
	s_addc_u32 s15, s23, s27
	s_ashr_i32 s19, s18, 31
	s_lshl_b64 s[22:23], s[18:19], 1
	s_add_u32 s22, s12, s22
	s_addc_u32 s23, s15, s23
	global_load_ushort v1, v6, s[22:23]
	v_and_b32_e32 v2, 0xfe, v2
	v_mad_u32_u24 v2, v4, 28, v2
	s_waitcnt vmcnt(0)
	ds_write_b16 v2, v1
.LBB67_4:
	s_or_b64 exec, exec, s[2:3]
	s_waitcnt lgkmcnt(0)
	s_add_i32 s3, s17, 7
	s_ashr_i32 s12, s3, 31
	s_lshr_b32 s12, s12, 29
	s_add_i32 s3, s3, s12
	s_ashr_i32 s33, s3, 3
	s_xor_b32 s3, s8, s9
	s_mul_i32 s8, s24, s20
	s_sub_i32 s8, s21, s8
	s_add_i32 s9, s24, 1
	s_sub_i32 s12, s8, s20
	s_load_dwordx2 s[22:23], s[0:1], 0x28
	s_load_dword s2, s[0:1], 0x38
	s_cmp_ge_u32 s8, s20
	s_cselect_b32 s9, s9, s24
	s_cselect_b32 s8, s12, s8
	s_add_i32 s12, s9, 1
	s_cmp_ge_u32 s8, s20
	s_cselect_b32 s8, s12, s9
	v_lshrrev_b32_e32 v7, 6, v0
	s_xor_b32 s8, s8, s3
	s_waitcnt lgkmcnt(0)
	s_mul_i32 s24, s2, s16
	s_sub_i32 s12, s8, s3
	s_ashr_i32 s25, s24, 31
	v_cmp_gt_i32_e64 s[2:3], s33, v7
	v_cmp_le_i32_e32 vcc, s33, v7
	v_mbcnt_lo_u32_b32 v15, -1, 0
	s_barrier
                                        ; implicit-def: $vgpr8
                                        ; implicit-def: $vgpr10
                                        ; implicit-def: $vgpr9
	s_and_saveexec_b64 s[8:9], vcc
	s_xor_b64 s[8:9], exec, s[8:9]
; %bb.5:
	v_mbcnt_hi_u32_b32 v8, -1, v15
	v_and_b32_e32 v10, 64, v8
	v_add_u32_e32 v9, 64, v10
                                        ; implicit-def: $vgpr4
                                        ; implicit-def: $vgpr15
; %bb.6:
	s_or_saveexec_b64 s[28:29], s[8:9]
	s_load_dwordx2 s[20:21], s[0:1], 0x0
	s_load_dwordx2 s[26:27], s[0:1], 0x18
	s_load_dword s19, s[0:1], 0x88
	v_mov_b32_e32 v11, 0xff7fffff
	s_mul_i32 s14, s12, s14
	v_lshrrev_b32_e32 v1, 4, v0
	s_xor_b64 exec, exec, s[28:29]
	s_cbranch_execz .LBB67_12
; %bb.7:
	s_load_dwordx2 s[0:1], s[0:1], 0x10
	s_ashr_i32 s15, s14, 31
	s_lshl_b64 s[8:9], s[14:15], 1
	v_bfe_u32 v5, v0, 3, 3
	v_lshlrev_b32_e32 v8, 4, v5
	s_waitcnt lgkmcnt(0)
	s_add_u32 s0, s0, s8
	s_addc_u32 s1, s1, s9
	v_mov_b32_e32 v9, 0
	s_sub_i32 s15, 1, s17
	s_lshl_b64 s[8:9], s[24:25], 2
	v_lshl_add_u64 v[2:3], s[0:1], 0, v[8:9]
	v_lshlrev_b32_e32 v8, 1, v4
	v_mul_u32_u24_e32 v12, 28, v4
	v_cmp_eq_u32_e32 vcc, 0, v4
	v_lshlrev_b32_e32 v4, 2, v5
	s_add_u32 s8, s22, s8
	v_lshl_add_u64 v[2:3], v[2:3], 0, v[8:9]
	v_lshl_or_b32 v4, v7, 5, v4
	v_and_b32_e32 v8, 60, v1
	s_addc_u32 s9, s23, s9
	v_lshl_or_b32 v13, v7, 3, v5
	v_add_u32_e32 v14, 0xf0, v4
	v_lshl_add_u64 v[4:5], s[8:9], 0, v[8:9]
	v_mbcnt_hi_u32_b32 v8, -1, v15
	v_and_b32_e32 v10, 64, v8
	s_mov_b32 s12, s13
	v_cmp_neq_f32_e64 s[0:1], s10, 0
	v_mov_b32_e32 v11, 0xff7fffff
	s_mov_b64 s[30:31], 0
	v_add_u32_e32 v9, 64, v10
	v_xor_b32_e32 v15, 4, v8
	v_xor_b32_e32 v16, 2, v8
	;; [unrolled: 1-line block ×3, first 2 shown]
	v_mov_b32_e32 v18, v7
	s_branch .LBB67_9
.LBB67_8:                               ;   in Loop: Header=BB67_9 Depth=1
	s_or_b64 exec, exec, s[34:35]
	v_add_u32_e32 v18, 2, v18
	v_cmp_le_i32_e64 s[8:9], s33, v18
	v_add_u32_e32 v13, 16, v13
	v_add_u32_e32 v14, 64, v14
	s_or_b64 s[30:31], s[8:9], s[30:31]
	v_lshl_add_u64 v[4:5], v[4:5], 0, 8
	s_andn2_b64 exec, exec, s[30:31]
	s_cbranch_execz .LBB67_11
.LBB67_9:                               ; =>This Inner Loop Header: Depth=1
	global_load_dword v19, v[4:5], off
	s_waitcnt vmcnt(0) lgkmcnt(0)
	v_mad_i64_i32 v[20:21], s[8:9], v19, s12, 0
	v_lshl_add_u64 v[20:21], v[20:21], 1, v[2:3]
	global_load_ushort v22, v[20:21], off
	global_load_ushort v23, v[20:21], off offset:128
	global_load_ushort v24, v[20:21], off offset:256
	;; [unrolled: 1-line block ×10, first 2 shown]
	ds_read_u16 v19, v12
	global_load_ushort v41, v[20:21], off offset:1408
	global_load_ushort v42, v[20:21], off offset:1536
	;; [unrolled: 1-line block ×3, first 2 shown]
	s_waitcnt lgkmcnt(0)
	;;#ASMSTART
	v_cvt_f32_f16 v19, v19;
	;;#ASMEND
	v_cmp_lt_i32_e64 s[8:9], v15, v9
	s_waitcnt vmcnt(13)
	;;#ASMSTART
	v_cvt_f32_f16 v20, v22;
	;;#ASMEND
	ds_read_u16 v21, v12 offset:2
	s_waitcnt lgkmcnt(0)
	;;#ASMSTART
	v_cvt_f32_f16 v21, v21;
	;;#ASMEND
	s_waitcnt vmcnt(12)
	;;#ASMSTART
	v_cvt_f32_f16 v22, v23;
	;;#ASMEND
	ds_read_u16 v23, v12 offset:4
	v_mul_f32_e32 v21, v21, v22
	v_fmac_f32_e32 v21, v19, v20
	s_waitcnt lgkmcnt(0)
	;;#ASMSTART
	v_cvt_f32_f16 v23, v23;
	;;#ASMEND
	s_waitcnt vmcnt(11)
	;;#ASMSTART
	v_cvt_f32_f16 v24, v24;
	;;#ASMEND
	ds_read_u16 v25, v12 offset:6
	v_fmac_f32_e32 v21, v23, v24
	s_waitcnt lgkmcnt(0)
	;;#ASMSTART
	v_cvt_f32_f16 v25, v25;
	;;#ASMEND
	s_waitcnt vmcnt(10)
	;;#ASMSTART
	v_cvt_f32_f16 v26, v26;
	;;#ASMEND
	ds_read_u16 v27, v12 offset:8
	;; [unrolled: 10-line block ×10, first 2 shown]
	v_fmac_f32_e32 v21, v19, v20
	v_cndmask_b32_e64 v39, v8, v15, s[8:9]
	s_waitcnt lgkmcnt(0)
	;;#ASMSTART
	v_cvt_f32_f16 v23, v23;
	;;#ASMEND
	s_waitcnt vmcnt(1)
	;;#ASMSTART
	v_cvt_f32_f16 v24, v42;
	;;#ASMEND
	v_lshlrev_b32_e32 v39, 2, v39
	v_fmac_f32_e32 v21, v23, v24
	ds_read_u16 v25, v12 offset:26
	s_waitcnt lgkmcnt(0)
	;;#ASMSTART
	v_cvt_f32_f16 v19, v25;
	;;#ASMEND
	s_waitcnt vmcnt(0)
	;;#ASMSTART
	v_cvt_f32_f16 v20, v43;
	;;#ASMEND
	v_cmp_lt_i32_e64 s[8:9], v16, v9
	v_fmac_f32_e32 v21, v19, v20
	ds_bpermute_b32 v19, v39, v21
	v_cndmask_b32_e64 v20, v8, v16, s[8:9]
	v_lshlrev_b32_e32 v20, 2, v20
	v_cmp_lt_i32_e64 s[8:9], v17, v9
	s_waitcnt lgkmcnt(0)
	v_add_f32_e32 v19, v21, v19
	ds_bpermute_b32 v20, v20, v19
	v_cndmask_b32_e64 v21, v8, v17, s[8:9]
	s_waitcnt lgkmcnt(0)
	v_add_f32_e32 v19, v19, v20
	v_lshlrev_b32_e32 v20, 2, v21
	ds_bpermute_b32 v20, v20, v19
	s_and_saveexec_b64 s[34:35], vcc
	s_cbranch_execz .LBB67_8
; %bb.10:                               ;   in Loop: Header=BB67_9 Depth=1
	v_add_u32_e32 v21, s15, v13
	v_cvt_f32_i32_e32 v21, v21
	s_waitcnt lgkmcnt(0)
	v_add_f32_e32 v19, v19, v20
	v_cmp_gt_i32_e64 s[8:9], s17, v13
	v_max_f32_e32 v20, v11, v11
	v_mul_f32_e32 v21, s10, v21
	v_cndmask_b32_e64 v21, 0, v21, s[0:1]
	v_fmac_f32_e32 v21, s11, v19
	v_cndmask_b32_e64 v19, 0, v21, s[8:9]
	ds_write_b32 v14, v19
	v_max_f32_e32 v19, v20, v21
	v_cndmask_b32_e64 v11, v11, v19, s[8:9]
	s_branch .LBB67_8
.LBB67_11:
	s_or_b64 exec, exec, s[30:31]
.LBB67_12:
	s_or_b64 exec, exec, s[28:29]
	v_xor_b32_e32 v2, 32, v8
	v_cmp_lt_i32_e32 vcc, v2, v9
	v_xor_b32_e32 v5, 16, v8
	v_max_f32_e32 v4, v11, v11
	v_cndmask_b32_e32 v2, v8, v2, vcc
	v_lshlrev_b32_e32 v3, 2, v2
	ds_bpermute_b32 v2, v3, v11
	v_cmp_lt_i32_e32 vcc, v5, v9
	v_xor_b32_e32 v11, 8, v8
	v_and_b32_e32 v17, 63, v0
	s_waitcnt lgkmcnt(0)
	v_max_f32_e32 v2, v2, v2
	v_max_f32_e32 v2, v4, v2
	v_cndmask_b32_e32 v4, v8, v5, vcc
	v_lshlrev_b32_e32 v5, 2, v4
	ds_bpermute_b32 v4, v5, v2
	v_cmp_lt_i32_e32 vcc, v11, v9
	s_waitcnt lgkmcnt(0)
	v_max_f32_e32 v4, v4, v4
	v_max_f32_e32 v4, v2, v4
	v_cndmask_b32_e32 v2, v8, v11, vcc
	v_lshlrev_b32_e32 v12, 2, v2
	ds_bpermute_b32 v11, v12, v4
	v_cmp_eq_u32_e32 vcc, 0, v17
	v_lshlrev_b32_e32 v2, 2, v7
	s_and_saveexec_b64 s[0:1], vcc
	s_cbranch_execz .LBB67_14
; %bb.13:
	s_waitcnt lgkmcnt(0)
	v_max_f32_e32 v11, v11, v11
	v_max_f32_e32 v4, v4, v4
	v_max_f32_e32 v4, v4, v11
	ds_write_b32 v2, v4 offset:224
.LBB67_14:
	s_or_b64 exec, exec, s[0:1]
	v_cmp_gt_u32_e64 s[0:1], 2, v17
	v_mov_b32_e32 v13, 0xff7fffff
	v_lshlrev_b32_e32 v4, 2, v17
	s_waitcnt lgkmcnt(0)
	s_barrier
	s_and_saveexec_b64 s[8:9], s[0:1]
; %bb.15:
	ds_read_b32 v13, v4 offset:224
; %bb.16:
	s_or_b64 exec, exec, s[8:9]
	v_xor_b32_e32 v11, 1, v8
	v_cmp_lt_i32_e64 s[8:9], v11, v9
	v_lshlrev_b32_e32 v10, 2, v10
	s_nop 0
	v_cndmask_b32_e64 v11, v8, v11, s[8:9]
	v_lshlrev_b32_e32 v11, 2, v11
	s_waitcnt lgkmcnt(0)
	ds_bpermute_b32 v14, v11, v13
	v_max_f32_e32 v13, v13, v13
	s_lshl_b32 s8, s33, 3
	s_min_i32 s12, s8, s17
	v_cmp_gt_i32_e64 s[8:9], s12, v0
	s_waitcnt lgkmcnt(0)
	v_max_f32_e32 v14, v14, v14
	v_max_f32_e32 v13, v13, v14
	ds_bpermute_b32 v13, v10, v13
	v_mov_b32_e32 v10, 0
	s_and_saveexec_b64 s[28:29], s[8:9]
	s_cbranch_execz .LBB67_20
; %bb.17:
	v_mov_b32_e32 v10, 0xf0
	v_lshl_add_u32 v14, v0, 2, v10
	v_mov_b32_e32 v10, 0
	s_mov_b64 s[30:31], 0
	v_mov_b32_e32 v15, v0
.LBB67_18:                              ; =>This Inner Loop Header: Depth=1
	ds_read_b32 v16, v14
	v_add_u32_e32 v15, 0x80, v15
	v_cmp_le_i32_e64 s[10:11], s12, v15
	s_or_b64 s[30:31], s[10:11], s[30:31]
	s_waitcnt lgkmcnt(0)
	v_sub_f32_e32 v16, v16, v13
	v_mul_f32_e32 v16, 0x3fb8aa3b, v16
	v_exp_f32_e32 v16, v16
	ds_write_b32 v14, v16
	v_add_f32_e32 v10, v10, v16
	v_add_u32_e32 v14, 0x200, v14
	s_andn2_b64 exec, exec, s[30:31]
	s_cbranch_execnz .LBB67_18
; %bb.19:
	s_or_b64 exec, exec, s[30:31]
.LBB67_20:
	s_or_b64 exec, exec, s[28:29]
	ds_bpermute_b32 v3, v3, v10
	s_waitcnt lgkmcnt(0)
	v_add_f32_e32 v3, v10, v3
	ds_bpermute_b32 v5, v5, v3
	v_xor_b32_e32 v10, 4, v8
	v_cmp_lt_i32_e64 s[10:11], v10, v9
	s_waitcnt lgkmcnt(0)
	v_add_f32_e32 v3, v3, v5
	ds_bpermute_b32 v5, v12, v3
	v_cndmask_b32_e64 v10, v8, v10, s[10:11]
	v_lshlrev_b32_e32 v10, 2, v10
	s_waitcnt lgkmcnt(0)
	v_add_f32_e32 v3, v3, v5
	ds_bpermute_b32 v5, v10, v3
	v_xor_b32_e32 v10, 2, v8
	v_cmp_lt_i32_e64 s[10:11], v10, v9
	s_waitcnt lgkmcnt(0)
	v_add_f32_e32 v3, v3, v5
	v_cndmask_b32_e64 v9, v8, v10, s[10:11]
	v_lshlrev_b32_e32 v5, 2, v9
	ds_bpermute_b32 v5, v5, v3
	s_waitcnt lgkmcnt(0)
	v_add_f32_e32 v3, v3, v5
	ds_bpermute_b32 v5, v11, v3
	s_waitcnt lgkmcnt(0)
	v_add_f32_e32 v3, v3, v5
	s_and_saveexec_b64 s[10:11], vcc
; %bb.21:
	ds_write_b32 v2, v3 offset:232
; %bb.22:
	s_or_b64 exec, exec, s[10:11]
	s_waitcnt lgkmcnt(0)
	s_barrier
	s_and_saveexec_b64 s[10:11], s[0:1]
; %bb.23:
	ds_read_b32 v3, v4 offset:232
; %bb.24:
	s_or_b64 exec, exec, s[10:11]
	s_waitcnt lgkmcnt(0)
	ds_bpermute_b32 v2, v11, v3
	v_lshlrev_b32_e32 v4, 2, v8
	s_waitcnt lgkmcnt(0)
	v_add_f32_e32 v2, v3, v2
	v_and_b32_e32 v3, 0xffffff00, v4
	ds_bpermute_b32 v2, v3, v2
	s_and_saveexec_b64 s[0:1], s[8:9]
	s_cbranch_execz .LBB67_37
; %bb.25:
	s_waitcnt lgkmcnt(0)
	v_add_f32_e32 v2, 0x358637bd, v2
	v_div_scale_f32 v3, s[8:9], v2, v2, 1.0
	v_rcp_f32_e32 v4, v3
	v_div_scale_f32 v5, vcc, 1.0, v2, 1.0
	s_movk_i32 s8, 0x7f
	v_fma_f32 v8, -v3, v4, 1.0
	v_fmac_f32_e32 v4, v8, v4
	v_mul_f32_e32 v8, v5, v4
	v_fma_f32 v9, -v3, v8, v5
	v_fmac_f32_e32 v8, v9, v4
	v_fma_f32 v3, -v3, v8, v5
	v_div_fmas_f32 v3, v3, v4, v8
	v_xad_u32 v4, v0, -1, s12
	v_div_fixup_f32 v2, v3, v2, 1.0
	v_cmp_lt_u32_e32 vcc, s8, v4
	s_mov_b64 s[10:11], -1
	v_mov_b32_e32 v3, v0
	s_and_saveexec_b64 s[8:9], vcc
	s_cbranch_execz .LBB67_34
; %bb.26:
	v_lshrrev_b32_e32 v4, 7, v4
	v_add_u32_e32 v8, -1, v4
	v_lshrrev_b32_e32 v5, 1, v8
	v_mov_b32_e32 v3, v2
	v_add_u32_e32 v5, 1, v5
	v_cmp_lt_u32_e32 vcc, 13, v8
	v_mov_b32_e32 v10, 0
	s_and_saveexec_b64 s[10:11], vcc
	s_cbranch_execz .LBB67_30
; %bb.27:
	v_mov_b32_e32 v9, 0xf0
	v_and_b32_e32 v8, -8, v5
	v_lshl_add_u32 v9, v0, 2, v9
	s_mov_b32 s15, 0
	s_mov_b64 s[28:29], 0
.LBB67_28:                              ; =>This Inner Loop Header: Depth=1
	ds_read2st64_b32 v[10:11], v9 offset1:2
	ds_read2st64_b32 v[12:13], v9 offset0:4 offset1:6
	ds_read2st64_b32 v[14:15], v9 offset0:8 offset1:10
	;; [unrolled: 1-line block ×3, first 2 shown]
	v_add_u32_e32 v8, -8, v8
	s_waitcnt lgkmcnt(3)
	v_pk_mul_f32 v[10:11], v[2:3], v[10:11]
	s_waitcnt lgkmcnt(2)
	v_pk_mul_f32 v[12:13], v[2:3], v[12:13]
	ds_write2st64_b32 v9, v10, v11 offset1:2
	ds_write2st64_b32 v9, v12, v13 offset0:4 offset1:6
	ds_read2st64_b32 v[12:13], v9 offset0:16 offset1:18
	s_waitcnt lgkmcnt(4)
	v_pk_mul_f32 v[10:11], v[2:3], v[14:15]
	ds_write2st64_b32 v9, v10, v11 offset0:8 offset1:10
	s_waitcnt lgkmcnt(4)
	v_pk_mul_f32 v[10:11], v[2:3], v[18:19]
	ds_write2st64_b32 v9, v10, v11 offset0:12 offset1:14
	ds_read2st64_b32 v[10:11], v9 offset0:20 offset1:22
	s_waitcnt lgkmcnt(3)
	v_pk_mul_f32 v[12:13], v[2:3], v[12:13]
	ds_read2st64_b32 v[14:15], v9 offset0:24 offset1:26
	ds_write2st64_b32 v9, v12, v13 offset0:16 offset1:18
	ds_read2st64_b32 v[12:13], v9 offset0:28 offset1:30
	s_waitcnt lgkmcnt(3)
	v_pk_mul_f32 v[10:11], v[2:3], v[10:11]
	ds_write2st64_b32 v9, v10, v11 offset0:20 offset1:22
	s_waitcnt lgkmcnt(3)
	v_pk_mul_f32 v[10:11], v[2:3], v[14:15]
	ds_write2st64_b32 v9, v10, v11 offset0:24 offset1:26
	s_waitcnt lgkmcnt(2)
	v_pk_mul_f32 v[10:11], v[2:3], v[12:13]
	s_add_i32 s15, s15, 16
	v_cmp_eq_u32_e32 vcc, 0, v8
	ds_write2st64_b32 v9, v10, v11 offset0:28 offset1:30
	v_add_u32_e32 v9, 0x2000, v9
	s_or_b64 s[28:29], vcc, s[28:29]
	v_mov_b32_e32 v10, s15
	s_andn2_b64 exec, exec, s[28:29]
	s_cbranch_execnz .LBB67_28
; %bb.29:
	s_or_b64 exec, exec, s[28:29]
.LBB67_30:
	s_or_b64 exec, exec, s[10:11]
	v_and_b32_e32 v5, 7, v5
	v_cmp_ne_u32_e32 vcc, 0, v5
	s_and_saveexec_b64 s[10:11], vcc
	s_cbranch_execz .LBB67_33
; %bb.31:
	v_lshlrev_b32_e32 v8, 9, v10
	v_lshlrev_b32_e32 v9, 2, v0
	s_movk_i32 s15, 0xf0
	v_add3_u32 v8, v8, v9, s15
	s_mov_b64 s[28:29], 0
.LBB67_32:                              ; =>This Inner Loop Header: Depth=1
	ds_read2st64_b32 v[10:11], v8 offset1:2
	v_add_u32_e32 v5, -1, v5
	v_cmp_eq_u32_e32 vcc, 0, v5
	s_or_b64 s[28:29], vcc, s[28:29]
	s_waitcnt lgkmcnt(0)
	v_pk_mul_f32 v[10:11], v[2:3], v[10:11]
	ds_write2st64_b32 v8, v10, v11 offset1:2
	v_add_u32_e32 v8, 0x400, v8
	s_andn2_b64 exec, exec, s[28:29]
	s_cbranch_execnz .LBB67_32
.LBB67_33:
	s_or_b64 exec, exec, s[10:11]
	v_add_u32_e32 v4, 1, v4
	v_and_b32_e32 v5, 0x3fffffe, v4
	v_cmp_ne_u32_e32 vcc, v4, v5
	v_lshl_add_u32 v3, v5, 7, v0
	s_orn2_b64 s[10:11], vcc, exec
.LBB67_34:
	s_or_b64 exec, exec, s[8:9]
	s_and_b64 exec, exec, s[10:11]
	s_cbranch_execz .LBB67_37
; %bb.35:
	v_mov_b32_e32 v4, 0xf0
	v_lshl_add_u32 v4, v3, 2, v4
	s_mov_b64 s[8:9], 0
.LBB67_36:                              ; =>This Inner Loop Header: Depth=1
	ds_read_b32 v5, v4
	v_add_u32_e32 v3, 0x80, v3
	v_cmp_le_i32_e32 vcc, s12, v3
	s_or_b64 s[8:9], vcc, s[8:9]
	s_waitcnt lgkmcnt(0)
	v_mul_f32_e32 v5, v2, v5
	ds_write_b32 v4, v5
	v_add_u32_e32 v4, 0x200, v4
	s_andn2_b64 exec, exec, s[8:9]
	s_cbranch_execnz .LBB67_36
.LBB67_37:
	s_or_b64 exec, exec, s[0:1]
	v_mov_b32_e32 v19, 0
	v_mov_b32_e32 v18, 0
	s_waitcnt lgkmcnt(0)
	s_barrier
	s_and_saveexec_b64 s[8:9], s[2:3]
	s_cbranch_execz .LBB67_47
; %bb.38:
	s_ashr_i32 s15, s14, 31
	s_lshl_b64 s[0:1], s[14:15], 1
	s_add_u32 s10, s26, s0
	v_or_b32_e32 v3, 64, v17
	s_movk_i32 s0, 0x70
	s_addc_u32 s11, s27, s1
	s_add_i32 s26, s33, -1
	v_cmp_gt_u32_e64 s[2:3], s0, v3
	s_lshl_b64 s[0:1], s[24:25], 2
	s_add_u32 s0, s22, s0
	v_lshlrev_b32_e32 v2, 3, v17
	v_mov_b32_e32 v9, 0
	v_lshlrev_b32_e32 v4, 3, v3
	v_mov_b32_e32 v3, 0xf0
	v_and_b32_e32 v8, 60, v1
	s_addc_u32 s1, s23, s1
	s_mov_b32 s28, s13
	s_mov_b32 s27, s17
	v_lshlrev_b32_e32 v20, 3, v7
	v_lshl_add_u32 v21, v7, 5, v3
	v_lshl_add_u64 v[10:11], s[0:1], 0, v[8:9]
	s_mov_b64 s[12:13], 0
	v_lshlrev_b32_e32 v12, 1, v2
	v_mov_b32_e32 v13, v9
	s_mov_b32 s24, 0xffff
	v_lshlrev_b32_e32 v8, 1, v4
	v_mov_b32_e32 v18, v9
	v_mov_b32_e32 v19, v9
	s_branch .LBB67_41
.LBB67_39:                              ;   in Loop: Header=BB67_41 Depth=1
	s_or_b64 exec, exec, s[22:23]
	v_lshlrev_b32_e32 v14, 16, v14
	v_lshlrev_b32_e32 v1, 16, v1
	v_and_or_b32 v2, v2, s24, v14
	v_and_or_b32 v1, v3, s24, v1
	v_lshlrev_b32_e32 v3, 16, v15
	v_and_or_b32 v3, v4, s24, v3
	;;#ASMSTART
	v_pk_mul_f16 v2, v24, v2;

	;;#ASMEND
	;;#ASMSTART
	v_pk_mul_f16 v1, v25, v1;

	;;#ASMEND
	;; [unrolled: 4-line block ×4, first 2 shown]
	s_nop 0
	;;#ASMSTART
	v_pk_add_f16 v1, v2, v1;

	;;#ASMEND
	s_nop 0
	;;#ASMSTART
	v_pk_add_f16 v1, v1, v3;

	;;#ASMEND
	;; [unrolled: 5-line block ×3, first 2 shown]
	s_nop 0
	v_lshrrev_b32_e32 v2, 16, v1
	v_and_b32_e32 v1, 0xffff, v1
	;;#ASMSTART
	v_cvt_f32_f16 v1, v1;
	;;#ASMEND
	;;#ASMSTART
	v_cvt_f32_f16 v2, v2;
	;;#ASMEND
	s_nop 0
	v_add_f32_e32 v1, v1, v2
	v_add_f32_e32 v18, v18, v1
.LBB67_40:                              ;   in Loop: Header=BB67_41 Depth=1
	s_or_b64 exec, exec, s[14:15]
	v_add_u32_e32 v7, 2, v7
	v_add_f32_e32 v1, v16, v22
	v_cmp_le_i32_e32 vcc, s33, v7
	v_add_f32_e32 v19, v19, v1
	v_add_u32_e32 v20, 16, v20
	v_add_u32_e32 v21, 64, v21
	s_or_b64 s[12:13], vcc, s[12:13]
	v_lshl_add_u64 v[10:11], v[10:11], 0, 8
	s_andn2_b64 exec, exec, s[12:13]
	s_cbranch_execz .LBB67_46
.LBB67_41:                              ; =>This Inner Loop Header: Depth=1
	global_load_dword v1, v[10:11], off
	ds_read2_b64 v[2:5], v21 offset1:1
	ds_read2_b64 v[28:31], v21 offset0:2 offset1:3
	s_waitcnt lgkmcnt(1)
	;;#ASMSTART
	v_cvt_f16_f32 v22, v2;

	;;#ASMEND
	;;#ASMSTART
	v_cvt_f16_f32 v23, v3;

	;;#ASMEND
	;;#ASMSTART
	v_cvt_f16_f32 v25, v4;

	;;#ASMEND
	;;#ASMSTART
	v_cvt_f16_f32 v26, v5;

	;;#ASMEND
	s_waitcnt lgkmcnt(0)
	;;#ASMSTART
	v_cvt_f16_f32 v27, v28;

	;;#ASMEND
	;;#ASMSTART
	v_cvt_f16_f32 v28, v29;

	;;#ASMEND
	;; [unrolled: 4-line block ×4, first 2 shown]
	s_waitcnt vmcnt(0)
	v_mad_i64_i32 v[2:3], s[0:1], v1, s28, 0
	v_lshl_add_u64 v[14:15], v[2:3], 1, s[10:11]
	v_lshl_add_u64 v[2:3], v[14:15], 0, v[12:13]
	global_load_dwordx4 v[2:5], v[2:3], off
	v_cmp_eq_u32_e64 s[0:1], s26, v7
	s_waitcnt vmcnt(0)
	v_lshrrev_b32_e32 v1, 16, v3
	v_lshrrev_b32_e32 v16, 16, v2
	;; [unrolled: 1-line block ×3, first 2 shown]
	s_and_saveexec_b64 s[14:15], s[0:1]
	s_cbranch_execz .LBB67_43
; %bb.42:                               ;   in Loop: Header=BB67_41 Depth=1
	v_cmp_gt_i32_e32 vcc, s17, v20
	v_add_u32_e32 v33, 2, v20
	v_or_b32_e32 v24, 3, v20
	v_cndmask_b32_e32 v2, 0, v2, vcc
	v_cmp_gt_i32_e32 vcc, s17, v33
	v_or_b32_e32 v32, 1, v20
	s_nop 0
	v_cndmask_b32_e32 v3, 0, v3, vcc
	v_cmp_gt_i32_e32 vcc, s27, v24
	v_add_u32_e32 v24, 4, v20
	s_nop 0
	v_cndmask_b32_e32 v1, 0, v1, vcc
	v_cmp_gt_i32_e32 vcc, s17, v32
	v_add_u32_e32 v32, 7, v20
	;; [unrolled: 4-line block ×4, first 2 shown]
	s_nop 0
	v_cndmask_b32_e32 v31, 0, v31, vcc
	v_cmp_gt_i32_e32 vcc, s17, v24
	s_nop 1
	v_cndmask_b32_sdwa v24, v9, v5, vcc dst_sel:DWORD dst_unused:UNUSED_PAD src0_sel:DWORD src1_sel:WORD_0
	v_and_b32_e32 v5, 0xffff0000, v5
	v_cmp_gt_i32_e32 vcc, s17, v32
	s_nop 1
	v_cndmask_b32_e32 v5, 0, v5, vcc
	v_or_b32_e32 v5, v24, v5
.LBB67_43:                              ;   in Loop: Header=BB67_41 Depth=1
	s_or_b64 exec, exec, s[14:15]
	v_and_b32_e32 v22, 0xffff, v22
	v_lshl_or_b32 v24, v23, 16, v22
	v_and_b32_e32 v22, 0xffff, v25
	v_lshlrev_b32_e32 v16, 16, v16
	v_lshlrev_b32_e32 v1, 16, v1
	v_lshl_or_b32 v25, v26, 16, v22
	v_and_b32_e32 v22, 0xffff, v27
	v_and_or_b32 v2, v2, s24, v16
	v_and_or_b32 v1, v3, s24, v1
	v_lshlrev_b32_e32 v3, 16, v31
	v_lshl_or_b32 v26, v28, 16, v22
	v_and_b32_e32 v22, 0xffff, v29
	v_and_or_b32 v3, v4, s24, v3
	;;#ASMSTART
	v_pk_mul_f16 v2, v24, v2;

	;;#ASMEND
	;;#ASMSTART
	v_pk_mul_f16 v1, v25, v1;

	;;#ASMEND
	v_lshl_or_b32 v23, v30, 16, v22
	;;#ASMSTART
	v_pk_mul_f16 v3, v26, v3;

	;;#ASMEND
	;;#ASMSTART
	v_pk_mul_f16 v4, v23, v5;

	;;#ASMEND
	;;#ASMSTART
	v_pk_add_f16 v1, v2, v1;

	;;#ASMEND
	s_nop 0
	;;#ASMSTART
	v_pk_add_f16 v1, v1, v3;

	;;#ASMEND
	s_nop 0
	;; [unrolled: 5-line block ×3, first 2 shown]
	v_lshrrev_b32_e32 v2, 16, v1
	v_and_b32_e32 v1, 0xffff, v1
	;;#ASMSTART
	v_cvt_f32_f16 v16, v1;
	;;#ASMEND
	;;#ASMSTART
	v_cvt_f32_f16 v22, v2;
	;;#ASMEND
	s_and_saveexec_b64 s[14:15], s[2:3]
	s_cbranch_execz .LBB67_40
; %bb.44:                               ;   in Loop: Header=BB67_41 Depth=1
	v_lshl_add_u64 v[2:3], v[14:15], 0, v[8:9]
	global_load_dwordx4 v[2:5], v[2:3], off
	s_waitcnt vmcnt(0)
	v_lshrrev_b32_e32 v1, 16, v3
	v_lshrrev_b32_e32 v14, 16, v2
	;; [unrolled: 1-line block ×3, first 2 shown]
	s_and_saveexec_b64 s[22:23], s[0:1]
	s_cbranch_execz .LBB67_39
; %bb.45:                               ;   in Loop: Header=BB67_41 Depth=1
	v_cmp_gt_i32_e32 vcc, s17, v20
	v_add_u32_e32 v29, 2, v20
	v_or_b32_e32 v27, 3, v20
	v_cndmask_b32_e32 v2, 0, v2, vcc
	v_cmp_gt_i32_e32 vcc, s17, v29
	v_or_b32_e32 v28, 1, v20
	s_nop 0
	v_cndmask_b32_e32 v3, 0, v3, vcc
	v_cmp_gt_i32_e32 vcc, s27, v27
	v_add_u32_e32 v27, 4, v20
	s_nop 0
	v_cndmask_b32_e32 v1, 0, v1, vcc
	v_cmp_gt_i32_e32 vcc, s17, v28
	v_add_u32_e32 v28, 7, v20
	;; [unrolled: 4-line block ×4, first 2 shown]
	s_nop 0
	v_cndmask_b32_e32 v15, 0, v15, vcc
	v_cmp_gt_i32_e32 vcc, s17, v27
	s_nop 1
	v_cndmask_b32_sdwa v27, v9, v5, vcc dst_sel:DWORD dst_unused:UNUSED_PAD src0_sel:DWORD src1_sel:WORD_0
	v_and_b32_e32 v5, 0xffff0000, v5
	v_cmp_gt_i32_e32 vcc, s17, v28
	s_nop 1
	v_cndmask_b32_e32 v5, 0, v5, vcc
	v_or_b32_e32 v5, v27, v5
	s_branch .LBB67_39
.LBB67_46:
	s_or_b64 exec, exec, s[12:13]
.LBB67_47:
	s_or_b64 exec, exec, s[8:9]
	v_and_b32_e32 v1, 0x3c0, v0
	v_cmp_eq_u32_e32 vcc, 64, v1
	s_barrier
	s_and_saveexec_b64 s[0:1], vcc
	s_cbranch_execz .LBB67_50
; %bb.48:
	v_mov_b32_e32 v1, 0xf0
	v_lshl_add_u32 v2, v17, 2, v1
	ds_write_b32 v2, v19
	s_and_b64 exec, exec, s[6:7]
; %bb.49:
	v_lshl_add_u32 v1, v0, 2, v1
	ds_write_b32 v1, v18
.LBB67_50:
	s_or_b64 exec, exec, s[0:1]
	v_cmp_gt_u32_e32 vcc, 64, v0
	v_or_b32_e32 v1, 64, v0
	s_waitcnt lgkmcnt(0)
	s_barrier
	s_and_saveexec_b64 s[2:3], vcc
	s_cbranch_execz .LBB67_54
; %bb.51:
	v_mov_b32_e32 v2, 0xf0
	v_lshl_add_u32 v2, v0, 2, v2
	ds_read_b32 v0, v2
	s_movk_i32 s0, 0x70
	v_cmp_gt_u32_e64 s[0:1], s0, v1
	s_and_saveexec_b64 s[6:7], s[0:1]
	s_cbranch_execz .LBB67_53
; %bb.52:
	ds_read_b32 v2, v2 offset:256
	s_waitcnt lgkmcnt(0)
	v_add_f32_e32 v18, v18, v2
.LBB67_53:
	s_or_b64 exec, exec, s[6:7]
	s_waitcnt lgkmcnt(0)
	v_add_f32_e32 v19, v19, v0
.LBB67_54:
	s_or_b64 exec, exec, s[2:3]
	s_barrier
	s_and_saveexec_b64 s[0:1], vcc
	s_cbranch_execz .LBB67_57
; %bb.55:
	s_mul_i32 s0, s16, s19
	s_mul_i32 s0, s0, s5
	s_mulk_i32 s0, 0x70
	s_ashr_i32 s1, s0, 31
	s_lshl_b64 s[0:1], s[0:1], 1
	s_add_u32 s3, s20, s0
	s_mul_i32 s0, s19, s18
	s_addc_u32 s5, s21, s1
	s_ashr_i32 s1, s0, 31
	s_lshl_b64 s[0:1], s[0:1], 1
	s_add_u32 s3, s3, s0
	s_mul_i32 s0, s4, 0x70
	s_addc_u32 s5, s5, s1
	s_ashr_i32 s1, s0, 31
	s_lshl_b64 s[0:1], s[0:1], 1
	s_movk_i32 s2, 0x70
	s_add_u32 s0, s3, s0
	s_addc_u32 s1, s5, s1
	v_cmp_gt_u32_e32 vcc, s2, v1
	;;#ASMSTART
	v_cvt_f16_f32 v0, v19;

	;;#ASMEND
	global_store_short v6, v0, s[0:1]
	s_and_b64 exec, exec, vcc
	s_cbranch_execz .LBB67_57
; %bb.56:
	v_mov_b32_e32 v7, 0
	v_lshl_add_u64 v[0:1], s[0:1], 0, v[6:7]
	;;#ASMSTART
	v_cvt_f16_f32 v2, v18;

	;;#ASMEND
	global_store_short v[0:1], v2, off offset:128
.LBB67_57:
	s_endpgm
	.section	.rodata,"a",@progbits
	.p2align	6, 0x0
	.amdhsa_kernel _ZN4vllm25paged_attention_v1_kernelIttLi112ELi8ELi128ELNS_18Fp8KVCacheDataTypeE0ELb0EEEvPT_PKS2_PKT0_S8_ifPKiSA_iPKfiiiSC_SC_iiiii
		.amdhsa_group_segment_fixed_size 240
		.amdhsa_private_segment_fixed_size 0
		.amdhsa_kernarg_size 384
		.amdhsa_user_sgpr_count 2
		.amdhsa_user_sgpr_dispatch_ptr 0
		.amdhsa_user_sgpr_queue_ptr 0
		.amdhsa_user_sgpr_kernarg_segment_ptr 1
		.amdhsa_user_sgpr_dispatch_id 0
		.amdhsa_user_sgpr_kernarg_preload_length 0
		.amdhsa_user_sgpr_kernarg_preload_offset 0
		.amdhsa_user_sgpr_private_segment_size 0
		.amdhsa_uses_dynamic_stack 0
		.amdhsa_enable_private_segment 0
		.amdhsa_system_sgpr_workgroup_id_x 1
		.amdhsa_system_sgpr_workgroup_id_y 1
		.amdhsa_system_sgpr_workgroup_id_z 1
		.amdhsa_system_sgpr_workgroup_info 0
		.amdhsa_system_vgpr_workitem_id 0
		.amdhsa_next_free_vgpr 45
		.amdhsa_next_free_sgpr 36
		.amdhsa_accum_offset 48
		.amdhsa_reserve_vcc 1
		.amdhsa_float_round_mode_32 0
		.amdhsa_float_round_mode_16_64 0
		.amdhsa_float_denorm_mode_32 3
		.amdhsa_float_denorm_mode_16_64 3
		.amdhsa_dx10_clamp 1
		.amdhsa_ieee_mode 1
		.amdhsa_fp16_overflow 0
		.amdhsa_tg_split 0
		.amdhsa_exception_fp_ieee_invalid_op 0
		.amdhsa_exception_fp_denorm_src 0
		.amdhsa_exception_fp_ieee_div_zero 0
		.amdhsa_exception_fp_ieee_overflow 0
		.amdhsa_exception_fp_ieee_underflow 0
		.amdhsa_exception_fp_ieee_inexact 0
		.amdhsa_exception_int_div_zero 0
	.end_amdhsa_kernel
	.section	.text._ZN4vllm25paged_attention_v1_kernelIttLi112ELi8ELi128ELNS_18Fp8KVCacheDataTypeE0ELb0EEEvPT_PKS2_PKT0_S8_ifPKiSA_iPKfiiiSC_SC_iiiii,"axG",@progbits,_ZN4vllm25paged_attention_v1_kernelIttLi112ELi8ELi128ELNS_18Fp8KVCacheDataTypeE0ELb0EEEvPT_PKS2_PKT0_S8_ifPKiSA_iPKfiiiSC_SC_iiiii,comdat
.Lfunc_end67:
	.size	_ZN4vllm25paged_attention_v1_kernelIttLi112ELi8ELi128ELNS_18Fp8KVCacheDataTypeE0ELb0EEEvPT_PKS2_PKT0_S8_ifPKiSA_iPKfiiiSC_SC_iiiii, .Lfunc_end67-_ZN4vllm25paged_attention_v1_kernelIttLi112ELi8ELi128ELNS_18Fp8KVCacheDataTypeE0ELb0EEEvPT_PKS2_PKT0_S8_ifPKiSA_iPKfiiiSC_SC_iiiii
                                        ; -- End function
	.set _ZN4vllm25paged_attention_v1_kernelIttLi112ELi8ELi128ELNS_18Fp8KVCacheDataTypeE0ELb0EEEvPT_PKS2_PKT0_S8_ifPKiSA_iPKfiiiSC_SC_iiiii.num_vgpr, 45
	.set _ZN4vllm25paged_attention_v1_kernelIttLi112ELi8ELi128ELNS_18Fp8KVCacheDataTypeE0ELb0EEEvPT_PKS2_PKT0_S8_ifPKiSA_iPKfiiiSC_SC_iiiii.num_agpr, 0
	.set _ZN4vllm25paged_attention_v1_kernelIttLi112ELi8ELi128ELNS_18Fp8KVCacheDataTypeE0ELb0EEEvPT_PKS2_PKT0_S8_ifPKiSA_iPKfiiiSC_SC_iiiii.numbered_sgpr, 36
	.set _ZN4vllm25paged_attention_v1_kernelIttLi112ELi8ELi128ELNS_18Fp8KVCacheDataTypeE0ELb0EEEvPT_PKS2_PKT0_S8_ifPKiSA_iPKfiiiSC_SC_iiiii.num_named_barrier, 0
	.set _ZN4vllm25paged_attention_v1_kernelIttLi112ELi8ELi128ELNS_18Fp8KVCacheDataTypeE0ELb0EEEvPT_PKS2_PKT0_S8_ifPKiSA_iPKfiiiSC_SC_iiiii.private_seg_size, 0
	.set _ZN4vllm25paged_attention_v1_kernelIttLi112ELi8ELi128ELNS_18Fp8KVCacheDataTypeE0ELb0EEEvPT_PKS2_PKT0_S8_ifPKiSA_iPKfiiiSC_SC_iiiii.uses_vcc, 1
	.set _ZN4vllm25paged_attention_v1_kernelIttLi112ELi8ELi128ELNS_18Fp8KVCacheDataTypeE0ELb0EEEvPT_PKS2_PKT0_S8_ifPKiSA_iPKfiiiSC_SC_iiiii.uses_flat_scratch, 0
	.set _ZN4vllm25paged_attention_v1_kernelIttLi112ELi8ELi128ELNS_18Fp8KVCacheDataTypeE0ELb0EEEvPT_PKS2_PKT0_S8_ifPKiSA_iPKfiiiSC_SC_iiiii.has_dyn_sized_stack, 0
	.set _ZN4vllm25paged_attention_v1_kernelIttLi112ELi8ELi128ELNS_18Fp8KVCacheDataTypeE0ELb0EEEvPT_PKS2_PKT0_S8_ifPKiSA_iPKfiiiSC_SC_iiiii.has_recursion, 0
	.set _ZN4vllm25paged_attention_v1_kernelIttLi112ELi8ELi128ELNS_18Fp8KVCacheDataTypeE0ELb0EEEvPT_PKS2_PKT0_S8_ifPKiSA_iPKfiiiSC_SC_iiiii.has_indirect_call, 0
	.section	.AMDGPU.csdata,"",@progbits
; Kernel info:
; codeLenInByte = 4816
; TotalNumSgprs: 42
; NumVgprs: 45
; NumAgprs: 0
; TotalNumVgprs: 45
; ScratchSize: 0
; MemoryBound: 0
; FloatMode: 240
; IeeeMode: 1
; LDSByteSize: 240 bytes/workgroup (compile time only)
; SGPRBlocks: 5
; VGPRBlocks: 5
; NumSGPRsForWavesPerEU: 42
; NumVGPRsForWavesPerEU: 45
; AccumOffset: 48
; Occupancy: 8
; WaveLimiterHint : 1
; COMPUTE_PGM_RSRC2:SCRATCH_EN: 0
; COMPUTE_PGM_RSRC2:USER_SGPR: 2
; COMPUTE_PGM_RSRC2:TRAP_HANDLER: 0
; COMPUTE_PGM_RSRC2:TGID_X_EN: 1
; COMPUTE_PGM_RSRC2:TGID_Y_EN: 1
; COMPUTE_PGM_RSRC2:TGID_Z_EN: 1
; COMPUTE_PGM_RSRC2:TIDIG_COMP_CNT: 0
; COMPUTE_PGM_RSRC3_GFX90A:ACCUM_OFFSET: 11
; COMPUTE_PGM_RSRC3_GFX90A:TG_SPLIT: 0
	.section	.text._ZN4vllm25paged_attention_v1_kernelIttLi120ELi8ELi128ELNS_18Fp8KVCacheDataTypeE0ELb0EEEvPT_PKS2_PKT0_S8_ifPKiSA_iPKfiiiSC_SC_iiiii,"axG",@progbits,_ZN4vllm25paged_attention_v1_kernelIttLi120ELi8ELi128ELNS_18Fp8KVCacheDataTypeE0ELb0EEEvPT_PKS2_PKT0_S8_ifPKiSA_iPKfiiiSC_SC_iiiii,comdat
	.protected	_ZN4vllm25paged_attention_v1_kernelIttLi120ELi8ELi128ELNS_18Fp8KVCacheDataTypeE0ELb0EEEvPT_PKS2_PKT0_S8_ifPKiSA_iPKfiiiSC_SC_iiiii ; -- Begin function _ZN4vllm25paged_attention_v1_kernelIttLi120ELi8ELi128ELNS_18Fp8KVCacheDataTypeE0ELb0EEEvPT_PKS2_PKT0_S8_ifPKiSA_iPKfiiiSC_SC_iiiii
	.globl	_ZN4vllm25paged_attention_v1_kernelIttLi120ELi8ELi128ELNS_18Fp8KVCacheDataTypeE0ELb0EEEvPT_PKS2_PKT0_S8_ifPKiSA_iPKfiiiSC_SC_iiiii
	.p2align	8
	.type	_ZN4vllm25paged_attention_v1_kernelIttLi120ELi8ELi128ELNS_18Fp8KVCacheDataTypeE0ELb0EEEvPT_PKS2_PKT0_S8_ifPKiSA_iPKfiiiSC_SC_iiiii,@function
_ZN4vllm25paged_attention_v1_kernelIttLi120ELi8ELi128ELNS_18Fp8KVCacheDataTypeE0ELb0EEEvPT_PKS2_PKT0_S8_ifPKiSA_iPKfiiiSC_SC_iiiii: ; @_ZN4vllm25paged_attention_v1_kernelIttLi120ELi8ELi128ELNS_18Fp8KVCacheDataTypeE0ELb0EEEvPT_PKS2_PKT0_S8_ifPKiSA_iPKfiiiSC_SC_iiiii
; %bb.0:
	s_load_dword s5, s[0:1], 0x80
	s_load_dwordx2 s[6:7], s[0:1], 0x30
	s_load_dwordx2 s[10:11], s[0:1], 0x20
	s_mov_b32 s16, s3
	s_ashr_i32 s17, s3, 31
	s_lshl_b64 s[8:9], s[16:17], 2
	s_waitcnt lgkmcnt(0)
	s_add_u32 s6, s6, s8
	s_addc_u32 s7, s7, s9
	s_abs_i32 s3, s10
	v_cvt_f32_u32_e32 v1, s3
	s_xor_b32 s8, s5, s10
	s_sub_i32 s10, 0, s3
	s_abs_i32 s9, s5
	v_rcp_iflag_f32_e32 v1, v1
	s_ashr_i32 s8, s8, 31
	v_mul_f32_e32 v1, 0x4f7ffffe, v1
	v_cvt_u32_f32_e32 v1, v1
	s_nop 0
	v_readfirstlane_b32 s12, v1
	s_mul_i32 s10, s10, s12
	s_mul_hi_u32 s10, s12, s10
	s_add_i32 s12, s12, s10
	s_mul_hi_u32 s10, s9, s12
	s_mul_i32 s12, s10, s3
	s_sub_i32 s9, s9, s12
	s_add_i32 s12, s10, 1
	s_sub_i32 s13, s9, s3
	s_cmp_ge_u32 s9, s3
	s_cselect_b32 s10, s12, s10
	s_cselect_b32 s9, s13, s9
	s_add_i32 s12, s10, 1
	s_cmp_ge_u32 s9, s3
	s_cselect_b32 s3, s12, s10
	s_xor_b32 s3, s3, s8
	s_sub_i32 s12, s3, s8
	s_abs_i32 s20, s12
	v_cvt_f32_u32_e32 v1, s20
	s_load_dwordx2 s[8:9], s[0:1], 0x40
	s_sub_i32 s3, 0, s20
	s_abs_i32 s21, s2
	v_rcp_iflag_f32_e32 v1, v1
	s_mov_b32 s10, 0
	v_mul_f32_e32 v1, 0x4f7ffffe, v1
	v_cvt_u32_f32_e32 v1, v1
	s_nop 0
	v_readfirstlane_b32 s13, v1
	s_mul_i32 s3, s3, s13
	s_mul_hi_u32 s3, s13, s3
	s_add_i32 s13, s13, s3
	s_waitcnt lgkmcnt(0)
	s_cmp_eq_u64 s[8:9], 0
	s_mul_hi_u32 s24, s21, s13
	s_cbranch_scc1 .LBB68_2
; %bb.1:
	s_ashr_i32 s3, s2, 31
	s_lshl_b64 s[14:15], s[2:3], 2
	s_add_u32 s8, s8, s14
	s_addc_u32 s9, s9, s15
	s_load_dword s10, s[8:9], 0x0
.LBB68_2:
	s_load_dword s17, s[6:7], 0x0
	s_ashr_i32 s9, s12, 31
	s_load_dwordx4 s[12:15], s[0:1], 0x48
	s_movk_i32 s3, 0x78
	s_ashr_i32 s8, s2, 31
	v_and_b32_e32 v4, 7, v0
	s_mul_i32 s18, s2, 0x78
	v_cmp_gt_u32_e64 s[6:7], s3, v0
	v_lshlrev_b32_e32 v6, 1, v0
	s_and_saveexec_b64 s[2:3], s[6:7]
	s_cbranch_execz .LBB68_4
; %bb.3:
	s_load_dwordx2 s[22:23], s[0:1], 0x8
	s_waitcnt lgkmcnt(0)
	s_mul_i32 s26, s12, s16
	s_ashr_i32 s27, s26, 31
	s_lshl_b64 s[26:27], s[26:27], 1
	v_lshrrev_b32_e32 v2, 2, v0
	s_add_u32 s12, s22, s26
	s_addc_u32 s15, s23, s27
	s_ashr_i32 s19, s18, 31
	s_lshl_b64 s[22:23], s[18:19], 1
	s_add_u32 s22, s12, s22
	s_addc_u32 s23, s15, s23
	global_load_ushort v1, v6, s[22:23]
	v_and_b32_e32 v2, 0xfe, v2
	v_mad_u32_u24 v2, v4, 30, v2
	s_waitcnt vmcnt(0)
	ds_write_b16 v2, v1
.LBB68_4:
	s_or_b64 exec, exec, s[2:3]
	s_waitcnt lgkmcnt(0)
	s_add_i32 s3, s17, 7
	s_ashr_i32 s12, s3, 31
	s_lshr_b32 s12, s12, 29
	s_add_i32 s3, s3, s12
	s_ashr_i32 s33, s3, 3
	s_xor_b32 s3, s8, s9
	s_mul_i32 s8, s24, s20
	s_sub_i32 s8, s21, s8
	s_add_i32 s9, s24, 1
	s_sub_i32 s12, s8, s20
	s_load_dwordx2 s[22:23], s[0:1], 0x28
	s_load_dword s2, s[0:1], 0x38
	s_cmp_ge_u32 s8, s20
	s_cselect_b32 s9, s9, s24
	s_cselect_b32 s8, s12, s8
	s_add_i32 s12, s9, 1
	s_cmp_ge_u32 s8, s20
	s_cselect_b32 s8, s12, s9
	v_lshrrev_b32_e32 v7, 6, v0
	s_xor_b32 s8, s8, s3
	s_waitcnt lgkmcnt(0)
	s_mul_i32 s24, s2, s16
	s_sub_i32 s12, s8, s3
	s_ashr_i32 s25, s24, 31
	v_cmp_gt_i32_e64 s[2:3], s33, v7
	v_cmp_le_i32_e32 vcc, s33, v7
	v_mbcnt_lo_u32_b32 v15, -1, 0
	s_barrier
                                        ; implicit-def: $vgpr8
                                        ; implicit-def: $vgpr10
                                        ; implicit-def: $vgpr9
	s_and_saveexec_b64 s[8:9], vcc
	s_xor_b64 s[8:9], exec, s[8:9]
; %bb.5:
	v_mbcnt_hi_u32_b32 v8, -1, v15
	v_and_b32_e32 v10, 64, v8
	v_add_u32_e32 v9, 64, v10
                                        ; implicit-def: $vgpr4
                                        ; implicit-def: $vgpr15
; %bb.6:
	s_or_saveexec_b64 s[28:29], s[8:9]
	s_load_dwordx2 s[20:21], s[0:1], 0x0
	s_load_dwordx2 s[26:27], s[0:1], 0x18
	s_load_dword s19, s[0:1], 0x88
	v_mov_b32_e32 v11, 0xff7fffff
	s_mul_i32 s14, s12, s14
	v_lshrrev_b32_e32 v1, 4, v0
	s_xor_b64 exec, exec, s[28:29]
	s_cbranch_execz .LBB68_12
; %bb.7:
	s_load_dwordx2 s[0:1], s[0:1], 0x10
	s_ashr_i32 s15, s14, 31
	s_lshl_b64 s[8:9], s[14:15], 1
	v_bfe_u32 v5, v0, 3, 3
	v_lshlrev_b32_e32 v8, 4, v5
	s_waitcnt lgkmcnt(0)
	s_add_u32 s0, s0, s8
	s_addc_u32 s1, s1, s9
	v_mov_b32_e32 v9, 0
	s_sub_i32 s15, 1, s17
	s_lshl_b64 s[8:9], s[24:25], 2
	v_lshl_add_u64 v[2:3], s[0:1], 0, v[8:9]
	v_lshlrev_b32_e32 v8, 1, v4
	v_mul_u32_u24_e32 v12, 30, v4
	v_cmp_eq_u32_e32 vcc, 0, v4
	v_lshlrev_b32_e32 v4, 2, v5
	s_add_u32 s8, s22, s8
	v_lshl_add_u64 v[2:3], v[2:3], 0, v[8:9]
	v_lshl_or_b32 v4, v7, 5, v4
	v_and_b32_e32 v8, 60, v1
	s_addc_u32 s9, s23, s9
	v_lshl_or_b32 v13, v7, 3, v5
	v_add_u32_e32 v14, 0x100, v4
	v_lshl_add_u64 v[4:5], s[8:9], 0, v[8:9]
	v_mbcnt_hi_u32_b32 v8, -1, v15
	v_and_b32_e32 v10, 64, v8
	s_mov_b32 s12, s13
	v_cmp_neq_f32_e64 s[0:1], s10, 0
	v_mov_b32_e32 v11, 0xff7fffff
	s_mov_b64 s[30:31], 0
	v_add_u32_e32 v9, 64, v10
	v_xor_b32_e32 v15, 4, v8
	v_xor_b32_e32 v16, 2, v8
	;; [unrolled: 1-line block ×3, first 2 shown]
	v_mov_b32_e32 v18, v7
	s_branch .LBB68_9
.LBB68_8:                               ;   in Loop: Header=BB68_9 Depth=1
	s_or_b64 exec, exec, s[34:35]
	v_add_u32_e32 v18, 2, v18
	v_cmp_le_i32_e64 s[8:9], s33, v18
	v_add_u32_e32 v13, 16, v13
	v_add_u32_e32 v14, 64, v14
	s_or_b64 s[30:31], s[8:9], s[30:31]
	v_lshl_add_u64 v[4:5], v[4:5], 0, 8
	s_andn2_b64 exec, exec, s[30:31]
	s_cbranch_execz .LBB68_11
.LBB68_9:                               ; =>This Inner Loop Header: Depth=1
	global_load_dword v19, v[4:5], off
	s_waitcnt vmcnt(0) lgkmcnt(0)
	v_mad_i64_i32 v[20:21], s[8:9], v19, s12, 0
	v_lshl_add_u64 v[20:21], v[20:21], 1, v[2:3]
	global_load_ushort v22, v[20:21], off
	global_load_ushort v23, v[20:21], off offset:128
	global_load_ushort v24, v[20:21], off offset:256
	;; [unrolled: 1-line block ×10, first 2 shown]
	ds_read_u16 v19, v12
	global_load_ushort v42, v[20:21], off offset:1408
	global_load_ushort v43, v[20:21], off offset:1536
	;; [unrolled: 1-line block ×4, first 2 shown]
	s_waitcnt lgkmcnt(0)
	;;#ASMSTART
	v_cvt_f32_f16 v19, v19;
	;;#ASMEND
	v_cmp_lt_i32_e64 s[8:9], v15, v9
	s_waitcnt vmcnt(14)
	;;#ASMSTART
	v_cvt_f32_f16 v20, v22;
	;;#ASMEND
	ds_read_u16 v21, v12 offset:2
	s_waitcnt lgkmcnt(0)
	;;#ASMSTART
	v_cvt_f32_f16 v21, v21;
	;;#ASMEND
	s_waitcnt vmcnt(13)
	;;#ASMSTART
	v_cvt_f32_f16 v22, v23;
	;;#ASMEND
	ds_read_u16 v23, v12 offset:4
	v_mul_f32_e32 v21, v21, v22
	v_fmac_f32_e32 v21, v19, v20
	s_waitcnt lgkmcnt(0)
	;;#ASMSTART
	v_cvt_f32_f16 v23, v23;
	;;#ASMEND
	s_waitcnt vmcnt(12)
	;;#ASMSTART
	v_cvt_f32_f16 v24, v24;
	;;#ASMEND
	ds_read_u16 v25, v12 offset:6
	v_fmac_f32_e32 v21, v23, v24
	s_waitcnt lgkmcnt(0)
	;;#ASMSTART
	v_cvt_f32_f16 v25, v25;
	;;#ASMEND
	s_waitcnt vmcnt(11)
	;;#ASMSTART
	v_cvt_f32_f16 v26, v26;
	;;#ASMEND
	ds_read_u16 v27, v12 offset:8
	;; [unrolled: 10-line block ×11, first 2 shown]
	v_fmac_f32_e32 v21, v22, v23
	v_cndmask_b32_e64 v41, v8, v15, s[8:9]
	s_waitcnt lgkmcnt(0)
	;;#ASMSTART
	v_cvt_f32_f16 v24, v24;
	;;#ASMEND
	s_waitcnt vmcnt(1)
	;;#ASMSTART
	v_cvt_f32_f16 v25, v44;
	;;#ASMEND
	v_lshlrev_b32_e32 v41, 2, v41
	v_fmac_f32_e32 v21, v24, v25
	ds_read_u16 v26, v12 offset:28
	s_waitcnt lgkmcnt(0)
	;;#ASMSTART
	v_cvt_f32_f16 v19, v26;
	;;#ASMEND
	s_waitcnt vmcnt(0)
	;;#ASMSTART
	v_cvt_f32_f16 v20, v45;
	;;#ASMEND
	v_cmp_lt_i32_e64 s[8:9], v16, v9
	v_fmac_f32_e32 v21, v19, v20
	ds_bpermute_b32 v19, v41, v21
	v_cndmask_b32_e64 v20, v8, v16, s[8:9]
	v_lshlrev_b32_e32 v20, 2, v20
	v_cmp_lt_i32_e64 s[8:9], v17, v9
	s_waitcnt lgkmcnt(0)
	v_add_f32_e32 v19, v21, v19
	ds_bpermute_b32 v20, v20, v19
	v_cndmask_b32_e64 v21, v8, v17, s[8:9]
	s_waitcnt lgkmcnt(0)
	v_add_f32_e32 v19, v19, v20
	v_lshlrev_b32_e32 v20, 2, v21
	ds_bpermute_b32 v20, v20, v19
	s_and_saveexec_b64 s[34:35], vcc
	s_cbranch_execz .LBB68_8
; %bb.10:                               ;   in Loop: Header=BB68_9 Depth=1
	v_add_u32_e32 v21, s15, v13
	v_cvt_f32_i32_e32 v21, v21
	s_waitcnt lgkmcnt(0)
	v_add_f32_e32 v19, v19, v20
	v_cmp_gt_i32_e64 s[8:9], s17, v13
	v_max_f32_e32 v20, v11, v11
	v_mul_f32_e32 v21, s10, v21
	v_cndmask_b32_e64 v21, 0, v21, s[0:1]
	v_fmac_f32_e32 v21, s11, v19
	v_cndmask_b32_e64 v19, 0, v21, s[8:9]
	ds_write_b32 v14, v19
	v_max_f32_e32 v19, v20, v21
	v_cndmask_b32_e64 v11, v11, v19, s[8:9]
	s_branch .LBB68_8
.LBB68_11:
	s_or_b64 exec, exec, s[30:31]
.LBB68_12:
	s_or_b64 exec, exec, s[28:29]
	v_xor_b32_e32 v2, 32, v8
	v_cmp_lt_i32_e32 vcc, v2, v9
	v_xor_b32_e32 v5, 16, v8
	v_max_f32_e32 v4, v11, v11
	v_cndmask_b32_e32 v2, v8, v2, vcc
	v_lshlrev_b32_e32 v3, 2, v2
	ds_bpermute_b32 v2, v3, v11
	v_cmp_lt_i32_e32 vcc, v5, v9
	v_xor_b32_e32 v11, 8, v8
	v_and_b32_e32 v17, 63, v0
	s_waitcnt lgkmcnt(0)
	v_max_f32_e32 v2, v2, v2
	v_max_f32_e32 v2, v4, v2
	v_cndmask_b32_e32 v4, v8, v5, vcc
	v_lshlrev_b32_e32 v5, 2, v4
	ds_bpermute_b32 v4, v5, v2
	v_cmp_lt_i32_e32 vcc, v11, v9
	s_waitcnt lgkmcnt(0)
	v_max_f32_e32 v4, v4, v4
	v_max_f32_e32 v4, v2, v4
	v_cndmask_b32_e32 v2, v8, v11, vcc
	v_lshlrev_b32_e32 v12, 2, v2
	ds_bpermute_b32 v11, v12, v4
	v_cmp_eq_u32_e32 vcc, 0, v17
	v_lshlrev_b32_e32 v2, 2, v7
	s_and_saveexec_b64 s[0:1], vcc
	s_cbranch_execz .LBB68_14
; %bb.13:
	s_waitcnt lgkmcnt(0)
	v_max_f32_e32 v11, v11, v11
	v_max_f32_e32 v4, v4, v4
	;; [unrolled: 1-line block ×3, first 2 shown]
	ds_write_b32 v2, v4 offset:240
.LBB68_14:
	s_or_b64 exec, exec, s[0:1]
	v_cmp_gt_u32_e64 s[0:1], 2, v17
	v_mov_b32_e32 v13, 0xff7fffff
	v_lshlrev_b32_e32 v4, 2, v17
	s_waitcnt lgkmcnt(0)
	s_barrier
	s_and_saveexec_b64 s[8:9], s[0:1]
; %bb.15:
	ds_read_b32 v13, v4 offset:240
; %bb.16:
	s_or_b64 exec, exec, s[8:9]
	v_xor_b32_e32 v11, 1, v8
	v_cmp_lt_i32_e64 s[8:9], v11, v9
	v_lshlrev_b32_e32 v10, 2, v10
	s_nop 0
	v_cndmask_b32_e64 v11, v8, v11, s[8:9]
	v_lshlrev_b32_e32 v11, 2, v11
	s_waitcnt lgkmcnt(0)
	ds_bpermute_b32 v14, v11, v13
	v_max_f32_e32 v13, v13, v13
	s_lshl_b32 s8, s33, 3
	s_min_i32 s12, s8, s17
	v_cmp_gt_i32_e64 s[8:9], s12, v0
	s_waitcnt lgkmcnt(0)
	v_max_f32_e32 v14, v14, v14
	v_max_f32_e32 v13, v13, v14
	ds_bpermute_b32 v13, v10, v13
	v_mov_b32_e32 v10, 0
	s_and_saveexec_b64 s[28:29], s[8:9]
	s_cbranch_execz .LBB68_20
; %bb.17:
	v_mov_b32_e32 v10, 0x100
	v_lshl_add_u32 v14, v0, 2, v10
	v_mov_b32_e32 v10, 0
	s_mov_b64 s[30:31], 0
	v_mov_b32_e32 v15, v0
.LBB68_18:                              ; =>This Inner Loop Header: Depth=1
	ds_read_b32 v16, v14
	v_add_u32_e32 v15, 0x80, v15
	v_cmp_le_i32_e64 s[10:11], s12, v15
	s_or_b64 s[30:31], s[10:11], s[30:31]
	s_waitcnt lgkmcnt(0)
	v_sub_f32_e32 v16, v16, v13
	v_mul_f32_e32 v16, 0x3fb8aa3b, v16
	v_exp_f32_e32 v16, v16
	ds_write_b32 v14, v16
	v_add_f32_e32 v10, v10, v16
	v_add_u32_e32 v14, 0x200, v14
	s_andn2_b64 exec, exec, s[30:31]
	s_cbranch_execnz .LBB68_18
; %bb.19:
	s_or_b64 exec, exec, s[30:31]
.LBB68_20:
	s_or_b64 exec, exec, s[28:29]
	ds_bpermute_b32 v3, v3, v10
	s_waitcnt lgkmcnt(0)
	v_add_f32_e32 v3, v10, v3
	ds_bpermute_b32 v5, v5, v3
	v_xor_b32_e32 v10, 4, v8
	v_cmp_lt_i32_e64 s[10:11], v10, v9
	s_waitcnt lgkmcnt(0)
	v_add_f32_e32 v3, v3, v5
	ds_bpermute_b32 v5, v12, v3
	v_cndmask_b32_e64 v10, v8, v10, s[10:11]
	v_lshlrev_b32_e32 v10, 2, v10
	s_waitcnt lgkmcnt(0)
	v_add_f32_e32 v3, v3, v5
	ds_bpermute_b32 v5, v10, v3
	v_xor_b32_e32 v10, 2, v8
	v_cmp_lt_i32_e64 s[10:11], v10, v9
	s_waitcnt lgkmcnt(0)
	v_add_f32_e32 v3, v3, v5
	v_cndmask_b32_e64 v9, v8, v10, s[10:11]
	v_lshlrev_b32_e32 v5, 2, v9
	ds_bpermute_b32 v5, v5, v3
	s_waitcnt lgkmcnt(0)
	v_add_f32_e32 v3, v3, v5
	ds_bpermute_b32 v5, v11, v3
	s_waitcnt lgkmcnt(0)
	v_add_f32_e32 v3, v3, v5
	s_and_saveexec_b64 s[10:11], vcc
; %bb.21:
	ds_write_b32 v2, v3 offset:248
; %bb.22:
	s_or_b64 exec, exec, s[10:11]
	s_waitcnt lgkmcnt(0)
	s_barrier
	s_and_saveexec_b64 s[10:11], s[0:1]
; %bb.23:
	ds_read_b32 v3, v4 offset:248
; %bb.24:
	s_or_b64 exec, exec, s[10:11]
	s_waitcnt lgkmcnt(0)
	ds_bpermute_b32 v2, v11, v3
	v_lshlrev_b32_e32 v4, 2, v8
	s_waitcnt lgkmcnt(0)
	v_add_f32_e32 v2, v3, v2
	v_and_b32_e32 v3, 0xffffff00, v4
	ds_bpermute_b32 v2, v3, v2
	s_and_saveexec_b64 s[0:1], s[8:9]
	s_cbranch_execz .LBB68_37
; %bb.25:
	s_waitcnt lgkmcnt(0)
	v_add_f32_e32 v2, 0x358637bd, v2
	v_div_scale_f32 v3, s[8:9], v2, v2, 1.0
	v_rcp_f32_e32 v4, v3
	v_div_scale_f32 v5, vcc, 1.0, v2, 1.0
	s_movk_i32 s8, 0x7f
	v_fma_f32 v8, -v3, v4, 1.0
	v_fmac_f32_e32 v4, v8, v4
	v_mul_f32_e32 v8, v5, v4
	v_fma_f32 v9, -v3, v8, v5
	v_fmac_f32_e32 v8, v9, v4
	v_fma_f32 v3, -v3, v8, v5
	v_div_fmas_f32 v3, v3, v4, v8
	v_xad_u32 v4, v0, -1, s12
	v_div_fixup_f32 v2, v3, v2, 1.0
	v_cmp_lt_u32_e32 vcc, s8, v4
	s_mov_b64 s[10:11], -1
	v_mov_b32_e32 v3, v0
	s_and_saveexec_b64 s[8:9], vcc
	s_cbranch_execz .LBB68_34
; %bb.26:
	v_lshrrev_b32_e32 v4, 7, v4
	v_add_u32_e32 v8, -1, v4
	v_lshrrev_b32_e32 v5, 1, v8
	v_mov_b32_e32 v3, v2
	v_add_u32_e32 v5, 1, v5
	v_cmp_lt_u32_e32 vcc, 13, v8
	v_mov_b32_e32 v10, 0
	s_and_saveexec_b64 s[10:11], vcc
	s_cbranch_execz .LBB68_30
; %bb.27:
	v_mov_b32_e32 v9, 0x100
	v_and_b32_e32 v8, -8, v5
	v_lshl_add_u32 v9, v0, 2, v9
	s_mov_b32 s15, 0
	s_mov_b64 s[28:29], 0
.LBB68_28:                              ; =>This Inner Loop Header: Depth=1
	ds_read2st64_b32 v[10:11], v9 offset1:2
	ds_read2st64_b32 v[12:13], v9 offset0:4 offset1:6
	ds_read2st64_b32 v[14:15], v9 offset0:8 offset1:10
	;; [unrolled: 1-line block ×3, first 2 shown]
	v_add_u32_e32 v8, -8, v8
	s_waitcnt lgkmcnt(3)
	v_pk_mul_f32 v[10:11], v[2:3], v[10:11]
	s_waitcnt lgkmcnt(2)
	v_pk_mul_f32 v[12:13], v[2:3], v[12:13]
	ds_write2st64_b32 v9, v10, v11 offset1:2
	ds_write2st64_b32 v9, v12, v13 offset0:4 offset1:6
	ds_read2st64_b32 v[12:13], v9 offset0:16 offset1:18
	s_waitcnt lgkmcnt(4)
	v_pk_mul_f32 v[10:11], v[2:3], v[14:15]
	ds_write2st64_b32 v9, v10, v11 offset0:8 offset1:10
	s_waitcnt lgkmcnt(4)
	v_pk_mul_f32 v[10:11], v[2:3], v[18:19]
	ds_write2st64_b32 v9, v10, v11 offset0:12 offset1:14
	ds_read2st64_b32 v[10:11], v9 offset0:20 offset1:22
	s_waitcnt lgkmcnt(3)
	v_pk_mul_f32 v[12:13], v[2:3], v[12:13]
	ds_read2st64_b32 v[14:15], v9 offset0:24 offset1:26
	ds_write2st64_b32 v9, v12, v13 offset0:16 offset1:18
	ds_read2st64_b32 v[12:13], v9 offset0:28 offset1:30
	s_waitcnt lgkmcnt(3)
	v_pk_mul_f32 v[10:11], v[2:3], v[10:11]
	ds_write2st64_b32 v9, v10, v11 offset0:20 offset1:22
	s_waitcnt lgkmcnt(3)
	v_pk_mul_f32 v[10:11], v[2:3], v[14:15]
	ds_write2st64_b32 v9, v10, v11 offset0:24 offset1:26
	s_waitcnt lgkmcnt(2)
	v_pk_mul_f32 v[10:11], v[2:3], v[12:13]
	s_add_i32 s15, s15, 16
	v_cmp_eq_u32_e32 vcc, 0, v8
	ds_write2st64_b32 v9, v10, v11 offset0:28 offset1:30
	v_add_u32_e32 v9, 0x2000, v9
	s_or_b64 s[28:29], vcc, s[28:29]
	v_mov_b32_e32 v10, s15
	s_andn2_b64 exec, exec, s[28:29]
	s_cbranch_execnz .LBB68_28
; %bb.29:
	s_or_b64 exec, exec, s[28:29]
.LBB68_30:
	s_or_b64 exec, exec, s[10:11]
	v_and_b32_e32 v5, 7, v5
	v_cmp_ne_u32_e32 vcc, 0, v5
	s_and_saveexec_b64 s[10:11], vcc
	s_cbranch_execz .LBB68_33
; %bb.31:
	v_lshlrev_b32_e32 v8, 9, v10
	v_lshlrev_b32_e32 v9, 2, v0
	s_movk_i32 s15, 0x100
	v_add3_u32 v8, v8, v9, s15
	s_mov_b64 s[28:29], 0
.LBB68_32:                              ; =>This Inner Loop Header: Depth=1
	ds_read2st64_b32 v[10:11], v8 offset1:2
	v_add_u32_e32 v5, -1, v5
	v_cmp_eq_u32_e32 vcc, 0, v5
	s_or_b64 s[28:29], vcc, s[28:29]
	s_waitcnt lgkmcnt(0)
	v_pk_mul_f32 v[10:11], v[2:3], v[10:11]
	ds_write2st64_b32 v8, v10, v11 offset1:2
	v_add_u32_e32 v8, 0x400, v8
	s_andn2_b64 exec, exec, s[28:29]
	s_cbranch_execnz .LBB68_32
.LBB68_33:
	s_or_b64 exec, exec, s[10:11]
	v_add_u32_e32 v4, 1, v4
	v_and_b32_e32 v5, 0x3fffffe, v4
	v_cmp_ne_u32_e32 vcc, v4, v5
	v_lshl_add_u32 v3, v5, 7, v0
	s_orn2_b64 s[10:11], vcc, exec
.LBB68_34:
	s_or_b64 exec, exec, s[8:9]
	s_and_b64 exec, exec, s[10:11]
	s_cbranch_execz .LBB68_37
; %bb.35:
	v_mov_b32_e32 v4, 0x100
	v_lshl_add_u32 v4, v3, 2, v4
	s_mov_b64 s[8:9], 0
.LBB68_36:                              ; =>This Inner Loop Header: Depth=1
	ds_read_b32 v5, v4
	v_add_u32_e32 v3, 0x80, v3
	v_cmp_le_i32_e32 vcc, s12, v3
	s_or_b64 s[8:9], vcc, s[8:9]
	s_waitcnt lgkmcnt(0)
	v_mul_f32_e32 v5, v2, v5
	ds_write_b32 v4, v5
	v_add_u32_e32 v4, 0x200, v4
	s_andn2_b64 exec, exec, s[8:9]
	s_cbranch_execnz .LBB68_36
.LBB68_37:
	s_or_b64 exec, exec, s[0:1]
	v_mov_b32_e32 v19, 0
	v_mov_b32_e32 v18, 0
	s_waitcnt lgkmcnt(0)
	s_barrier
	s_and_saveexec_b64 s[8:9], s[2:3]
	s_cbranch_execz .LBB68_47
; %bb.38:
	s_ashr_i32 s15, s14, 31
	s_lshl_b64 s[0:1], s[14:15], 1
	s_add_u32 s10, s26, s0
	v_or_b32_e32 v3, 64, v17
	s_movk_i32 s0, 0x78
	s_addc_u32 s11, s27, s1
	s_add_i32 s26, s33, -1
	v_cmp_gt_u32_e64 s[2:3], s0, v3
	s_lshl_b64 s[0:1], s[24:25], 2
	s_add_u32 s0, s22, s0
	v_lshlrev_b32_e32 v2, 3, v17
	v_mov_b32_e32 v9, 0
	v_lshlrev_b32_e32 v4, 3, v3
	v_mov_b32_e32 v3, 0x100
	v_and_b32_e32 v8, 60, v1
	s_addc_u32 s1, s23, s1
	s_mov_b32 s28, s13
	s_mov_b32 s27, s17
	v_lshlrev_b32_e32 v20, 3, v7
	v_lshl_add_u32 v21, v7, 5, v3
	v_lshl_add_u64 v[10:11], s[0:1], 0, v[8:9]
	s_mov_b64 s[12:13], 0
	v_lshlrev_b32_e32 v12, 1, v2
	v_mov_b32_e32 v13, v9
	s_mov_b32 s24, 0xffff
	v_lshlrev_b32_e32 v8, 1, v4
	v_mov_b32_e32 v18, v9
	v_mov_b32_e32 v19, v9
	s_branch .LBB68_41
.LBB68_39:                              ;   in Loop: Header=BB68_41 Depth=1
	s_or_b64 exec, exec, s[22:23]
	v_lshlrev_b32_e32 v14, 16, v14
	v_lshlrev_b32_e32 v1, 16, v1
	v_and_or_b32 v2, v2, s24, v14
	v_and_or_b32 v1, v3, s24, v1
	v_lshlrev_b32_e32 v3, 16, v15
	v_and_or_b32 v3, v4, s24, v3
	;;#ASMSTART
	v_pk_mul_f16 v2, v24, v2;

	;;#ASMEND
	;;#ASMSTART
	v_pk_mul_f16 v1, v25, v1;

	;;#ASMEND
	;; [unrolled: 4-line block ×4, first 2 shown]
	s_nop 0
	;;#ASMSTART
	v_pk_add_f16 v1, v2, v1;

	;;#ASMEND
	s_nop 0
	;;#ASMSTART
	v_pk_add_f16 v1, v1, v3;

	;;#ASMEND
	;; [unrolled: 5-line block ×3, first 2 shown]
	s_nop 0
	v_lshrrev_b32_e32 v2, 16, v1
	v_and_b32_e32 v1, 0xffff, v1
	;;#ASMSTART
	v_cvt_f32_f16 v1, v1;
	;;#ASMEND
	;;#ASMSTART
	v_cvt_f32_f16 v2, v2;
	;;#ASMEND
	s_nop 0
	v_add_f32_e32 v1, v1, v2
	v_add_f32_e32 v18, v18, v1
.LBB68_40:                              ;   in Loop: Header=BB68_41 Depth=1
	s_or_b64 exec, exec, s[14:15]
	v_add_u32_e32 v7, 2, v7
	v_add_f32_e32 v1, v16, v22
	v_cmp_le_i32_e32 vcc, s33, v7
	v_add_f32_e32 v19, v19, v1
	v_add_u32_e32 v20, 16, v20
	v_add_u32_e32 v21, 64, v21
	s_or_b64 s[12:13], vcc, s[12:13]
	v_lshl_add_u64 v[10:11], v[10:11], 0, 8
	s_andn2_b64 exec, exec, s[12:13]
	s_cbranch_execz .LBB68_46
.LBB68_41:                              ; =>This Inner Loop Header: Depth=1
	global_load_dword v1, v[10:11], off
	ds_read2_b64 v[2:5], v21 offset1:1
	ds_read2_b64 v[28:31], v21 offset0:2 offset1:3
	s_waitcnt lgkmcnt(1)
	;;#ASMSTART
	v_cvt_f16_f32 v22, v2;

	;;#ASMEND
	;;#ASMSTART
	v_cvt_f16_f32 v23, v3;

	;;#ASMEND
	;; [unrolled: 4-line block ×4, first 2 shown]
	s_waitcnt lgkmcnt(0)
	;;#ASMSTART
	v_cvt_f16_f32 v27, v28;

	;;#ASMEND
	;;#ASMSTART
	v_cvt_f16_f32 v28, v29;

	;;#ASMEND
	;; [unrolled: 4-line block ×4, first 2 shown]
	s_waitcnt vmcnt(0)
	v_mad_i64_i32 v[2:3], s[0:1], v1, s28, 0
	v_lshl_add_u64 v[14:15], v[2:3], 1, s[10:11]
	v_lshl_add_u64 v[2:3], v[14:15], 0, v[12:13]
	global_load_dwordx4 v[2:5], v[2:3], off
	v_cmp_eq_u32_e64 s[0:1], s26, v7
	s_waitcnt vmcnt(0)
	v_lshrrev_b32_e32 v1, 16, v3
	v_lshrrev_b32_e32 v16, 16, v2
	;; [unrolled: 1-line block ×3, first 2 shown]
	s_and_saveexec_b64 s[14:15], s[0:1]
	s_cbranch_execz .LBB68_43
; %bb.42:                               ;   in Loop: Header=BB68_41 Depth=1
	v_cmp_gt_i32_e32 vcc, s17, v20
	v_add_u32_e32 v33, 2, v20
	v_or_b32_e32 v24, 3, v20
	v_cndmask_b32_e32 v2, 0, v2, vcc
	v_cmp_gt_i32_e32 vcc, s17, v33
	v_or_b32_e32 v32, 1, v20
	s_nop 0
	v_cndmask_b32_e32 v3, 0, v3, vcc
	v_cmp_gt_i32_e32 vcc, s27, v24
	v_add_u32_e32 v24, 4, v20
	s_nop 0
	v_cndmask_b32_e32 v1, 0, v1, vcc
	v_cmp_gt_i32_e32 vcc, s17, v32
	v_add_u32_e32 v32, 7, v20
	;; [unrolled: 4-line block ×4, first 2 shown]
	s_nop 0
	v_cndmask_b32_e32 v31, 0, v31, vcc
	v_cmp_gt_i32_e32 vcc, s17, v24
	s_nop 1
	v_cndmask_b32_sdwa v24, v9, v5, vcc dst_sel:DWORD dst_unused:UNUSED_PAD src0_sel:DWORD src1_sel:WORD_0
	v_and_b32_e32 v5, 0xffff0000, v5
	v_cmp_gt_i32_e32 vcc, s17, v32
	s_nop 1
	v_cndmask_b32_e32 v5, 0, v5, vcc
	v_or_b32_e32 v5, v24, v5
.LBB68_43:                              ;   in Loop: Header=BB68_41 Depth=1
	s_or_b64 exec, exec, s[14:15]
	v_and_b32_e32 v22, 0xffff, v22
	v_lshl_or_b32 v24, v23, 16, v22
	v_and_b32_e32 v22, 0xffff, v25
	v_lshlrev_b32_e32 v16, 16, v16
	v_lshlrev_b32_e32 v1, 16, v1
	v_lshl_or_b32 v25, v26, 16, v22
	v_and_b32_e32 v22, 0xffff, v27
	v_and_or_b32 v2, v2, s24, v16
	v_and_or_b32 v1, v3, s24, v1
	v_lshlrev_b32_e32 v3, 16, v31
	v_lshl_or_b32 v26, v28, 16, v22
	v_and_b32_e32 v22, 0xffff, v29
	v_and_or_b32 v3, v4, s24, v3
	;;#ASMSTART
	v_pk_mul_f16 v2, v24, v2;

	;;#ASMEND
	;;#ASMSTART
	v_pk_mul_f16 v1, v25, v1;

	;;#ASMEND
	v_lshl_or_b32 v23, v30, 16, v22
	;;#ASMSTART
	v_pk_mul_f16 v3, v26, v3;

	;;#ASMEND
	;;#ASMSTART
	v_pk_mul_f16 v4, v23, v5;

	;;#ASMEND
	;;#ASMSTART
	v_pk_add_f16 v1, v2, v1;

	;;#ASMEND
	s_nop 0
	;;#ASMSTART
	v_pk_add_f16 v1, v1, v3;

	;;#ASMEND
	s_nop 0
	;;#ASMSTART
	v_pk_add_f16 v1, v1, v4;

	;;#ASMEND
	s_nop 0
	v_lshrrev_b32_e32 v2, 16, v1
	v_and_b32_e32 v1, 0xffff, v1
	;;#ASMSTART
	v_cvt_f32_f16 v16, v1;
	;;#ASMEND
	;;#ASMSTART
	v_cvt_f32_f16 v22, v2;
	;;#ASMEND
	s_and_saveexec_b64 s[14:15], s[2:3]
	s_cbranch_execz .LBB68_40
; %bb.44:                               ;   in Loop: Header=BB68_41 Depth=1
	v_lshl_add_u64 v[2:3], v[14:15], 0, v[8:9]
	global_load_dwordx4 v[2:5], v[2:3], off
	s_waitcnt vmcnt(0)
	v_lshrrev_b32_e32 v1, 16, v3
	v_lshrrev_b32_e32 v14, 16, v2
	;; [unrolled: 1-line block ×3, first 2 shown]
	s_and_saveexec_b64 s[22:23], s[0:1]
	s_cbranch_execz .LBB68_39
; %bb.45:                               ;   in Loop: Header=BB68_41 Depth=1
	v_cmp_gt_i32_e32 vcc, s17, v20
	v_add_u32_e32 v29, 2, v20
	v_or_b32_e32 v27, 3, v20
	v_cndmask_b32_e32 v2, 0, v2, vcc
	v_cmp_gt_i32_e32 vcc, s17, v29
	v_or_b32_e32 v28, 1, v20
	s_nop 0
	v_cndmask_b32_e32 v3, 0, v3, vcc
	v_cmp_gt_i32_e32 vcc, s27, v27
	v_add_u32_e32 v27, 4, v20
	s_nop 0
	v_cndmask_b32_e32 v1, 0, v1, vcc
	v_cmp_gt_i32_e32 vcc, s17, v28
	v_add_u32_e32 v28, 7, v20
	;; [unrolled: 4-line block ×4, first 2 shown]
	s_nop 0
	v_cndmask_b32_e32 v15, 0, v15, vcc
	v_cmp_gt_i32_e32 vcc, s17, v27
	s_nop 1
	v_cndmask_b32_sdwa v27, v9, v5, vcc dst_sel:DWORD dst_unused:UNUSED_PAD src0_sel:DWORD src1_sel:WORD_0
	v_and_b32_e32 v5, 0xffff0000, v5
	v_cmp_gt_i32_e32 vcc, s17, v28
	s_nop 1
	v_cndmask_b32_e32 v5, 0, v5, vcc
	v_or_b32_e32 v5, v27, v5
	s_branch .LBB68_39
.LBB68_46:
	s_or_b64 exec, exec, s[12:13]
.LBB68_47:
	s_or_b64 exec, exec, s[8:9]
	v_and_b32_e32 v1, 0x3c0, v0
	v_cmp_eq_u32_e32 vcc, 64, v1
	s_barrier
	s_and_saveexec_b64 s[0:1], vcc
	s_cbranch_execz .LBB68_50
; %bb.48:
	v_mov_b32_e32 v1, 0x100
	v_lshl_add_u32 v2, v17, 2, v1
	ds_write_b32 v2, v19
	s_and_b64 exec, exec, s[6:7]
; %bb.49:
	v_lshl_add_u32 v1, v0, 2, v1
	ds_write_b32 v1, v18
.LBB68_50:
	s_or_b64 exec, exec, s[0:1]
	v_cmp_gt_u32_e32 vcc, 64, v0
	v_or_b32_e32 v1, 64, v0
	s_waitcnt lgkmcnt(0)
	s_barrier
	s_and_saveexec_b64 s[2:3], vcc
	s_cbranch_execz .LBB68_54
; %bb.51:
	v_mov_b32_e32 v2, 0x100
	v_lshl_add_u32 v2, v0, 2, v2
	ds_read_b32 v0, v2
	s_movk_i32 s0, 0x78
	v_cmp_gt_u32_e64 s[0:1], s0, v1
	s_and_saveexec_b64 s[6:7], s[0:1]
	s_cbranch_execz .LBB68_53
; %bb.52:
	ds_read_b32 v2, v2 offset:256
	s_waitcnt lgkmcnt(0)
	v_add_f32_e32 v18, v18, v2
.LBB68_53:
	s_or_b64 exec, exec, s[6:7]
	s_waitcnt lgkmcnt(0)
	v_add_f32_e32 v19, v19, v0
.LBB68_54:
	s_or_b64 exec, exec, s[2:3]
	s_barrier
	s_and_saveexec_b64 s[0:1], vcc
	s_cbranch_execz .LBB68_57
; %bb.55:
	s_mul_i32 s0, s16, s19
	s_mul_i32 s0, s0, s5
	s_mulk_i32 s0, 0x78
	s_ashr_i32 s1, s0, 31
	s_lshl_b64 s[0:1], s[0:1], 1
	s_add_u32 s3, s20, s0
	s_mul_i32 s0, s19, s18
	s_addc_u32 s5, s21, s1
	s_ashr_i32 s1, s0, 31
	s_lshl_b64 s[0:1], s[0:1], 1
	s_add_u32 s3, s3, s0
	s_mul_i32 s0, s4, 0x78
	s_addc_u32 s5, s5, s1
	s_ashr_i32 s1, s0, 31
	s_lshl_b64 s[0:1], s[0:1], 1
	s_movk_i32 s2, 0x78
	s_add_u32 s0, s3, s0
	s_addc_u32 s1, s5, s1
	v_cmp_gt_u32_e32 vcc, s2, v1
	;;#ASMSTART
	v_cvt_f16_f32 v0, v19;

	;;#ASMEND
	global_store_short v6, v0, s[0:1]
	s_and_b64 exec, exec, vcc
	s_cbranch_execz .LBB68_57
; %bb.56:
	v_mov_b32_e32 v7, 0
	v_lshl_add_u64 v[0:1], s[0:1], 0, v[6:7]
	;;#ASMSTART
	v_cvt_f16_f32 v2, v18;

	;;#ASMEND
	global_store_short v[0:1], v2, off offset:128
.LBB68_57:
	s_endpgm
	.section	.rodata,"a",@progbits
	.p2align	6, 0x0
	.amdhsa_kernel _ZN4vllm25paged_attention_v1_kernelIttLi120ELi8ELi128ELNS_18Fp8KVCacheDataTypeE0ELb0EEEvPT_PKS2_PKT0_S8_ifPKiSA_iPKfiiiSC_SC_iiiii
		.amdhsa_group_segment_fixed_size 256
		.amdhsa_private_segment_fixed_size 0
		.amdhsa_kernarg_size 384
		.amdhsa_user_sgpr_count 2
		.amdhsa_user_sgpr_dispatch_ptr 0
		.amdhsa_user_sgpr_queue_ptr 0
		.amdhsa_user_sgpr_kernarg_segment_ptr 1
		.amdhsa_user_sgpr_dispatch_id 0
		.amdhsa_user_sgpr_kernarg_preload_length 0
		.amdhsa_user_sgpr_kernarg_preload_offset 0
		.amdhsa_user_sgpr_private_segment_size 0
		.amdhsa_uses_dynamic_stack 0
		.amdhsa_enable_private_segment 0
		.amdhsa_system_sgpr_workgroup_id_x 1
		.amdhsa_system_sgpr_workgroup_id_y 1
		.amdhsa_system_sgpr_workgroup_id_z 1
		.amdhsa_system_sgpr_workgroup_info 0
		.amdhsa_system_vgpr_workitem_id 0
		.amdhsa_next_free_vgpr 47
		.amdhsa_next_free_sgpr 36
		.amdhsa_accum_offset 48
		.amdhsa_reserve_vcc 1
		.amdhsa_float_round_mode_32 0
		.amdhsa_float_round_mode_16_64 0
		.amdhsa_float_denorm_mode_32 3
		.amdhsa_float_denorm_mode_16_64 3
		.amdhsa_dx10_clamp 1
		.amdhsa_ieee_mode 1
		.amdhsa_fp16_overflow 0
		.amdhsa_tg_split 0
		.amdhsa_exception_fp_ieee_invalid_op 0
		.amdhsa_exception_fp_denorm_src 0
		.amdhsa_exception_fp_ieee_div_zero 0
		.amdhsa_exception_fp_ieee_overflow 0
		.amdhsa_exception_fp_ieee_underflow 0
		.amdhsa_exception_fp_ieee_inexact 0
		.amdhsa_exception_int_div_zero 0
	.end_amdhsa_kernel
	.section	.text._ZN4vllm25paged_attention_v1_kernelIttLi120ELi8ELi128ELNS_18Fp8KVCacheDataTypeE0ELb0EEEvPT_PKS2_PKT0_S8_ifPKiSA_iPKfiiiSC_SC_iiiii,"axG",@progbits,_ZN4vllm25paged_attention_v1_kernelIttLi120ELi8ELi128ELNS_18Fp8KVCacheDataTypeE0ELb0EEEvPT_PKS2_PKT0_S8_ifPKiSA_iPKfiiiSC_SC_iiiii,comdat
.Lfunc_end68:
	.size	_ZN4vllm25paged_attention_v1_kernelIttLi120ELi8ELi128ELNS_18Fp8KVCacheDataTypeE0ELb0EEEvPT_PKS2_PKT0_S8_ifPKiSA_iPKfiiiSC_SC_iiiii, .Lfunc_end68-_ZN4vllm25paged_attention_v1_kernelIttLi120ELi8ELi128ELNS_18Fp8KVCacheDataTypeE0ELb0EEEvPT_PKS2_PKT0_S8_ifPKiSA_iPKfiiiSC_SC_iiiii
                                        ; -- End function
	.set _ZN4vllm25paged_attention_v1_kernelIttLi120ELi8ELi128ELNS_18Fp8KVCacheDataTypeE0ELb0EEEvPT_PKS2_PKT0_S8_ifPKiSA_iPKfiiiSC_SC_iiiii.num_vgpr, 47
	.set _ZN4vllm25paged_attention_v1_kernelIttLi120ELi8ELi128ELNS_18Fp8KVCacheDataTypeE0ELb0EEEvPT_PKS2_PKT0_S8_ifPKiSA_iPKfiiiSC_SC_iiiii.num_agpr, 0
	.set _ZN4vllm25paged_attention_v1_kernelIttLi120ELi8ELi128ELNS_18Fp8KVCacheDataTypeE0ELb0EEEvPT_PKS2_PKT0_S8_ifPKiSA_iPKfiiiSC_SC_iiiii.numbered_sgpr, 36
	.set _ZN4vllm25paged_attention_v1_kernelIttLi120ELi8ELi128ELNS_18Fp8KVCacheDataTypeE0ELb0EEEvPT_PKS2_PKT0_S8_ifPKiSA_iPKfiiiSC_SC_iiiii.num_named_barrier, 0
	.set _ZN4vllm25paged_attention_v1_kernelIttLi120ELi8ELi128ELNS_18Fp8KVCacheDataTypeE0ELb0EEEvPT_PKS2_PKT0_S8_ifPKiSA_iPKfiiiSC_SC_iiiii.private_seg_size, 0
	.set _ZN4vllm25paged_attention_v1_kernelIttLi120ELi8ELi128ELNS_18Fp8KVCacheDataTypeE0ELb0EEEvPT_PKS2_PKT0_S8_ifPKiSA_iPKfiiiSC_SC_iiiii.uses_vcc, 1
	.set _ZN4vllm25paged_attention_v1_kernelIttLi120ELi8ELi128ELNS_18Fp8KVCacheDataTypeE0ELb0EEEvPT_PKS2_PKT0_S8_ifPKiSA_iPKfiiiSC_SC_iiiii.uses_flat_scratch, 0
	.set _ZN4vllm25paged_attention_v1_kernelIttLi120ELi8ELi128ELNS_18Fp8KVCacheDataTypeE0ELb0EEEvPT_PKS2_PKT0_S8_ifPKiSA_iPKfiiiSC_SC_iiiii.has_dyn_sized_stack, 0
	.set _ZN4vllm25paged_attention_v1_kernelIttLi120ELi8ELi128ELNS_18Fp8KVCacheDataTypeE0ELb0EEEvPT_PKS2_PKT0_S8_ifPKiSA_iPKfiiiSC_SC_iiiii.has_recursion, 0
	.set _ZN4vllm25paged_attention_v1_kernelIttLi120ELi8ELi128ELNS_18Fp8KVCacheDataTypeE0ELb0EEEvPT_PKS2_PKT0_S8_ifPKiSA_iPKfiiiSC_SC_iiiii.has_indirect_call, 0
	.section	.AMDGPU.csdata,"",@progbits
; Kernel info:
; codeLenInByte = 4876
; TotalNumSgprs: 42
; NumVgprs: 47
; NumAgprs: 0
; TotalNumVgprs: 47
; ScratchSize: 0
; MemoryBound: 0
; FloatMode: 240
; IeeeMode: 1
; LDSByteSize: 256 bytes/workgroup (compile time only)
; SGPRBlocks: 5
; VGPRBlocks: 5
; NumSGPRsForWavesPerEU: 42
; NumVGPRsForWavesPerEU: 47
; AccumOffset: 48
; Occupancy: 8
; WaveLimiterHint : 1
; COMPUTE_PGM_RSRC2:SCRATCH_EN: 0
; COMPUTE_PGM_RSRC2:USER_SGPR: 2
; COMPUTE_PGM_RSRC2:TRAP_HANDLER: 0
; COMPUTE_PGM_RSRC2:TGID_X_EN: 1
; COMPUTE_PGM_RSRC2:TGID_Y_EN: 1
; COMPUTE_PGM_RSRC2:TGID_Z_EN: 1
; COMPUTE_PGM_RSRC2:TIDIG_COMP_CNT: 0
; COMPUTE_PGM_RSRC3_GFX90A:ACCUM_OFFSET: 11
; COMPUTE_PGM_RSRC3_GFX90A:TG_SPLIT: 0
	.section	.text._ZN4vllm25paged_attention_v1_kernelIttLi128ELi8ELi128ELNS_18Fp8KVCacheDataTypeE0ELb0EEEvPT_PKS2_PKT0_S8_ifPKiSA_iPKfiiiSC_SC_iiiii,"axG",@progbits,_ZN4vllm25paged_attention_v1_kernelIttLi128ELi8ELi128ELNS_18Fp8KVCacheDataTypeE0ELb0EEEvPT_PKS2_PKT0_S8_ifPKiSA_iPKfiiiSC_SC_iiiii,comdat
	.protected	_ZN4vllm25paged_attention_v1_kernelIttLi128ELi8ELi128ELNS_18Fp8KVCacheDataTypeE0ELb0EEEvPT_PKS2_PKT0_S8_ifPKiSA_iPKfiiiSC_SC_iiiii ; -- Begin function _ZN4vllm25paged_attention_v1_kernelIttLi128ELi8ELi128ELNS_18Fp8KVCacheDataTypeE0ELb0EEEvPT_PKS2_PKT0_S8_ifPKiSA_iPKfiiiSC_SC_iiiii
	.globl	_ZN4vllm25paged_attention_v1_kernelIttLi128ELi8ELi128ELNS_18Fp8KVCacheDataTypeE0ELb0EEEvPT_PKS2_PKT0_S8_ifPKiSA_iPKfiiiSC_SC_iiiii
	.p2align	8
	.type	_ZN4vllm25paged_attention_v1_kernelIttLi128ELi8ELi128ELNS_18Fp8KVCacheDataTypeE0ELb0EEEvPT_PKS2_PKT0_S8_ifPKiSA_iPKfiiiSC_SC_iiiii,@function
_ZN4vllm25paged_attention_v1_kernelIttLi128ELi8ELi128ELNS_18Fp8KVCacheDataTypeE0ELb0EEEvPT_PKS2_PKT0_S8_ifPKiSA_iPKfiiiSC_SC_iiiii: ; @_ZN4vllm25paged_attention_v1_kernelIttLi128ELi8ELi128ELNS_18Fp8KVCacheDataTypeE0ELb0EEEvPT_PKS2_PKT0_S8_ifPKiSA_iPKfiiiSC_SC_iiiii
; %bb.0:
	s_load_dword s5, s[0:1], 0x80
	s_load_dwordx2 s[6:7], s[0:1], 0x30
	s_load_dwordx2 s[8:9], s[0:1], 0x20
	s_mov_b32 s10, s3
	s_ashr_i32 s11, s3, 31
	s_lshl_b64 s[12:13], s[10:11], 2
	s_waitcnt lgkmcnt(0)
	s_add_u32 s6, s6, s12
	s_addc_u32 s7, s7, s13
	s_abs_i32 s3, s8
	v_cvt_f32_u32_e32 v1, s3
	s_sub_i32 s12, 0, s3
	s_abs_i32 s11, s5
	s_xor_b32 s8, s5, s8
	v_rcp_iflag_f32_e32 v1, v1
	s_ashr_i32 s8, s8, 31
	v_mul_f32_e32 v1, 0x4f7ffffe, v1
	v_cvt_u32_f32_e32 v1, v1
	s_nop 0
	v_readfirstlane_b32 s13, v1
	s_mul_i32 s12, s12, s13
	s_mul_hi_u32 s12, s13, s12
	s_add_i32 s13, s13, s12
	s_mul_hi_u32 s12, s11, s13
	s_mul_i32 s13, s12, s3
	s_sub_i32 s11, s11, s13
	s_add_i32 s13, s12, 1
	s_sub_i32 s14, s11, s3
	s_cmp_ge_u32 s11, s3
	s_cselect_b32 s12, s13, s12
	s_cselect_b32 s11, s14, s11
	s_add_i32 s13, s12, 1
	s_cmp_ge_u32 s11, s3
	s_cselect_b32 s3, s13, s12
	s_xor_b32 s3, s3, s8
	s_sub_i32 s14, s3, s8
	s_abs_i32 s18, s14
	v_cvt_f32_u32_e32 v1, s18
	s_load_dwordx2 s[12:13], s[0:1], 0x40
	s_sub_i32 s3, 0, s18
	s_abs_i32 s19, s2
	v_rcp_iflag_f32_e32 v1, v1
	s_mov_b32 s8, 0
	v_mul_f32_e32 v1, 0x4f7ffffe, v1
	v_cvt_u32_f32_e32 v1, v1
	s_nop 0
	v_readfirstlane_b32 s11, v1
	s_mul_i32 s3, s3, s11
	s_mul_hi_u32 s3, s11, s3
	s_add_i32 s11, s11, s3
	s_waitcnt lgkmcnt(0)
	s_cmp_eq_u64 s[12:13], 0
	s_mul_hi_u32 s22, s19, s11
	s_cbranch_scc1 .LBB69_2
; %bb.1:
	s_ashr_i32 s3, s2, 31
	s_lshl_b64 s[16:17], s[2:3], 2
	s_add_u32 s12, s12, s16
	s_addc_u32 s13, s13, s17
	s_load_dword s8, s[12:13], 0x0
.LBB69_2:
	s_load_dword s11, s[6:7], 0x0
	s_ashr_i32 s7, s14, 31
	s_load_dwordx4 s[12:15], s[0:1], 0x48
	s_ashr_i32 s6, s2, 31
	s_lshl_b32 s16, s2, 7
	s_movk_i32 s2, 0x80
	v_and_b32_e32 v4, 7, v0
	v_cmp_gt_u32_e32 vcc, s2, v0
	v_lshlrev_b32_e32 v17, 1, v0
	s_and_saveexec_b64 s[2:3], vcc
	s_cbranch_execz .LBB69_4
; %bb.3:
	s_load_dwordx2 s[20:21], s[0:1], 0x8
	s_waitcnt lgkmcnt(0)
	s_mul_i32 s24, s12, s10
	s_ashr_i32 s25, s24, 31
	s_lshl_b64 s[24:25], s[24:25], 1
	v_lshrrev_b32_e32 v2, 2, v0
	s_add_u32 s12, s20, s24
	s_addc_u32 s15, s21, s25
	s_ashr_i32 s17, s16, 31
	s_lshl_b64 s[20:21], s[16:17], 1
	s_add_u32 s20, s12, s20
	s_addc_u32 s21, s15, s21
	global_load_ushort v1, v17, s[20:21]
	v_and_b32_e32 v2, 0xfe, v2
	v_lshl_add_u32 v2, v4, 5, v2
	s_waitcnt vmcnt(0)
	ds_write_b16 v2, v1
.LBB69_4:
	s_or_b64 exec, exec, s[2:3]
	s_waitcnt lgkmcnt(0)
	s_add_i32 s3, s11, 7
	s_ashr_i32 s12, s3, 31
	s_lshr_b32 s12, s12, 29
	s_add_i32 s3, s3, s12
	s_ashr_i32 s17, s3, 3
	s_xor_b32 s3, s6, s7
	s_mul_i32 s6, s22, s18
	s_sub_i32 s6, s19, s6
	s_add_i32 s7, s22, 1
	s_sub_i32 s12, s6, s18
	s_load_dwordx2 s[20:21], s[0:1], 0x28
	s_load_dword s2, s[0:1], 0x38
	s_cmp_ge_u32 s6, s18
	s_cselect_b32 s7, s7, s22
	s_cselect_b32 s6, s12, s6
	s_add_i32 s12, s7, 1
	s_cmp_ge_u32 s6, s18
	s_cselect_b32 s6, s12, s7
	v_lshrrev_b32_e32 v18, 6, v0
	s_xor_b32 s6, s6, s3
	s_waitcnt lgkmcnt(0)
	s_mul_i32 s22, s2, s10
	s_sub_i32 s15, s6, s3
	s_ashr_i32 s23, s22, 31
	v_cmp_gt_i32_e64 s[6:7], s17, v18
	v_cmp_le_i32_e32 vcc, s17, v18
	v_mbcnt_lo_u32_b32 v13, -1, 0
	s_barrier
                                        ; implicit-def: $vgpr6
                                        ; implicit-def: $vgpr8
                                        ; implicit-def: $vgpr7
	s_and_saveexec_b64 s[2:3], vcc
	s_xor_b64 s[2:3], exec, s[2:3]
; %bb.5:
	v_mbcnt_hi_u32_b32 v6, -1, v13
	v_and_b32_e32 v8, 64, v6
	v_add_u32_e32 v7, 64, v8
                                        ; implicit-def: $vgpr4
                                        ; implicit-def: $vgpr13
; %bb.6:
	s_or_saveexec_b64 s[26:27], s[2:3]
	s_load_dwordx2 s[18:19], s[0:1], 0x0
	s_load_dwordx2 s[24:25], s[0:1], 0x18
	s_load_dword s12, s[0:1], 0x88
	v_mov_b32_e32 v9, 0xff7fffff
	s_mul_i32 s14, s15, s14
	v_lshrrev_b32_e32 v1, 4, v0
	s_xor_b64 exec, exec, s[26:27]
	s_cbranch_execz .LBB69_12
; %bb.7:
	s_load_dwordx2 s[0:1], s[0:1], 0x10
	s_ashr_i32 s15, s14, 31
	s_lshl_b64 s[2:3], s[14:15], 1
	v_bfe_u32 v5, v0, 3, 3
	v_lshlrev_b32_e32 v6, 4, v5
	s_waitcnt lgkmcnt(0)
	s_add_u32 s0, s0, s2
	s_addc_u32 s1, s1, s3
	v_mov_b32_e32 v7, 0
	v_lshl_add_u64 v[2:3], s[0:1], 0, v[6:7]
	s_sub_i32 s15, 1, s11
	s_lshl_b64 s[0:1], s[22:23], 2
	v_lshlrev_b32_e32 v6, 1, v4
	v_lshlrev_b32_e32 v10, 5, v4
	v_cmp_eq_u32_e32 vcc, 0, v4
	v_lshlrev_b32_e32 v4, 2, v5
	s_add_u32 s0, s20, s0
	v_lshl_add_u64 v[2:3], v[2:3], 0, v[6:7]
	v_lshl_or_b32 v4, v18, 5, v4
	v_and_b32_e32 v6, 60, v1
	s_addc_u32 s1, s21, s1
	v_lshl_or_b32 v11, v18, 3, v5
	v_add_u32_e32 v12, 0x110, v4
	v_lshl_add_u64 v[4:5], s[0:1], 0, v[6:7]
	v_mbcnt_hi_u32_b32 v6, -1, v13
	v_and_b32_e32 v8, 64, v6
	s_mov_b32 s33, s13
	v_cmp_neq_f32_e64 s[2:3], s8, 0
	v_mov_b32_e32 v9, 0xff7fffff
	s_mov_b64 s[28:29], 0
	v_add_u32_e32 v7, 64, v8
	v_xor_b32_e32 v13, 4, v6
	v_xor_b32_e32 v14, 2, v6
	;; [unrolled: 1-line block ×3, first 2 shown]
	v_mov_b32_e32 v16, v18
	s_branch .LBB69_9
.LBB69_8:                               ;   in Loop: Header=BB69_9 Depth=1
	s_or_b64 exec, exec, s[30:31]
	v_add_u32_e32 v16, 2, v16
	v_cmp_le_i32_e64 s[0:1], s17, v16
	v_add_u32_e32 v11, 16, v11
	v_add_u32_e32 v12, 64, v12
	s_or_b64 s[28:29], s[0:1], s[28:29]
	v_lshl_add_u64 v[4:5], v[4:5], 0, 8
	s_andn2_b64 exec, exec, s[28:29]
	s_cbranch_execz .LBB69_11
.LBB69_9:                               ; =>This Inner Loop Header: Depth=1
	global_load_dword v19, v[4:5], off
	s_waitcnt vmcnt(0) lgkmcnt(0)
	v_mad_i64_i32 v[20:21], s[0:1], v19, s33, 0
	v_lshl_add_u64 v[20:21], v[20:21], 1, v[2:3]
	global_load_ushort v22, v[20:21], off
	global_load_ushort v23, v[20:21], off offset:128
	global_load_ushort v24, v[20:21], off offset:256
	;; [unrolled: 1-line block ×10, first 2 shown]
	ds_read_u16 v19, v10
	global_load_ushort v43, v[20:21], off offset:1408
	global_load_ushort v44, v[20:21], off offset:1536
	;; [unrolled: 1-line block ×5, first 2 shown]
	s_waitcnt lgkmcnt(0)
	;;#ASMSTART
	v_cvt_f32_f16 v19, v19;
	;;#ASMEND
	v_cmp_lt_i32_e64 s[0:1], v13, v7
	s_waitcnt vmcnt(15)
	;;#ASMSTART
	v_cvt_f32_f16 v20, v22;
	;;#ASMEND
	ds_read_u16 v21, v10 offset:2
	s_waitcnt lgkmcnt(0)
	;;#ASMSTART
	v_cvt_f32_f16 v21, v21;
	;;#ASMEND
	s_waitcnt vmcnt(14)
	;;#ASMSTART
	v_cvt_f32_f16 v22, v23;
	;;#ASMEND
	ds_read_u16 v23, v10 offset:4
	v_mul_f32_e32 v21, v21, v22
	v_fmac_f32_e32 v21, v19, v20
	s_waitcnt lgkmcnt(0)
	;;#ASMSTART
	v_cvt_f32_f16 v23, v23;
	;;#ASMEND
	s_waitcnt vmcnt(13)
	;;#ASMSTART
	v_cvt_f32_f16 v24, v24;
	;;#ASMEND
	ds_read_u16 v25, v10 offset:6
	v_fmac_f32_e32 v21, v23, v24
	s_waitcnt lgkmcnt(0)
	;;#ASMSTART
	v_cvt_f32_f16 v25, v25;
	;;#ASMEND
	s_waitcnt vmcnt(12)
	;;#ASMSTART
	v_cvt_f32_f16 v26, v26;
	;;#ASMEND
	ds_read_u16 v27, v10 offset:8
	;; [unrolled: 10-line block ×12, first 2 shown]
	v_fmac_f32_e32 v21, v22, v23
	v_cndmask_b32_e64 v41, v6, v13, s[0:1]
	s_waitcnt lgkmcnt(0)
	;;#ASMSTART
	v_cvt_f32_f16 v24, v24;
	;;#ASMEND
	s_waitcnt vmcnt(1)
	;;#ASMSTART
	v_cvt_f32_f16 v25, v46;
	;;#ASMEND
	v_lshlrev_b32_e32 v41, 2, v41
	v_fmac_f32_e32 v21, v24, v25
	ds_read_u16 v26, v10 offset:30
	s_waitcnt lgkmcnt(0)
	;;#ASMSTART
	v_cvt_f32_f16 v19, v26;
	;;#ASMEND
	s_waitcnt vmcnt(0)
	;;#ASMSTART
	v_cvt_f32_f16 v20, v47;
	;;#ASMEND
	v_cmp_lt_i32_e64 s[0:1], v14, v7
	v_fmac_f32_e32 v21, v19, v20
	ds_bpermute_b32 v19, v41, v21
	v_cndmask_b32_e64 v20, v6, v14, s[0:1]
	v_lshlrev_b32_e32 v20, 2, v20
	v_cmp_lt_i32_e64 s[0:1], v15, v7
	s_waitcnt lgkmcnt(0)
	v_add_f32_e32 v19, v21, v19
	ds_bpermute_b32 v20, v20, v19
	v_cndmask_b32_e64 v21, v6, v15, s[0:1]
	s_waitcnt lgkmcnt(0)
	v_add_f32_e32 v19, v19, v20
	v_lshlrev_b32_e32 v20, 2, v21
	ds_bpermute_b32 v20, v20, v19
	s_and_saveexec_b64 s[30:31], vcc
	s_cbranch_execz .LBB69_8
; %bb.10:                               ;   in Loop: Header=BB69_9 Depth=1
	v_add_u32_e32 v21, s15, v11
	v_cvt_f32_i32_e32 v21, v21
	s_waitcnt lgkmcnt(0)
	v_add_f32_e32 v19, v19, v20
	v_cmp_gt_i32_e64 s[0:1], s11, v11
	v_max_f32_e32 v20, v9, v9
	v_mul_f32_e32 v21, s8, v21
	v_cndmask_b32_e64 v21, 0, v21, s[2:3]
	v_fmac_f32_e32 v21, s9, v19
	v_cndmask_b32_e64 v19, 0, v21, s[0:1]
	ds_write_b32 v12, v19
	v_max_f32_e32 v19, v20, v21
	v_cndmask_b32_e64 v9, v9, v19, s[0:1]
	s_branch .LBB69_8
.LBB69_11:
	s_or_b64 exec, exec, s[28:29]
.LBB69_12:
	s_or_b64 exec, exec, s[26:27]
	v_xor_b32_e32 v2, 32, v6
	v_cmp_lt_i32_e32 vcc, v2, v7
	v_xor_b32_e32 v5, 16, v6
	v_max_f32_e32 v4, v9, v9
	v_cndmask_b32_e32 v2, v6, v2, vcc
	v_lshlrev_b32_e32 v3, 2, v2
	ds_bpermute_b32 v2, v3, v9
	v_cmp_lt_i32_e32 vcc, v5, v7
	v_xor_b32_e32 v9, 8, v6
	v_and_b32_e32 v19, 63, v0
	s_waitcnt lgkmcnt(0)
	v_max_f32_e32 v2, v2, v2
	v_max_f32_e32 v2, v4, v2
	v_cndmask_b32_e32 v4, v6, v5, vcc
	v_lshlrev_b32_e32 v5, 2, v4
	ds_bpermute_b32 v4, v5, v2
	v_cmp_lt_i32_e32 vcc, v9, v7
	s_waitcnt lgkmcnt(0)
	v_max_f32_e32 v4, v4, v4
	v_max_f32_e32 v4, v2, v4
	v_cndmask_b32_e32 v2, v6, v9, vcc
	v_lshlrev_b32_e32 v10, 2, v2
	ds_bpermute_b32 v9, v10, v4
	v_cmp_eq_u32_e32 vcc, 0, v19
	v_lshlrev_b32_e32 v2, 2, v18
	s_and_saveexec_b64 s[0:1], vcc
	s_cbranch_execz .LBB69_14
; %bb.13:
	s_waitcnt lgkmcnt(0)
	v_max_f32_e32 v9, v9, v9
	v_max_f32_e32 v4, v4, v4
	;; [unrolled: 1-line block ×3, first 2 shown]
	ds_write_b32 v2, v4 offset:256
.LBB69_14:
	s_or_b64 exec, exec, s[0:1]
	v_cmp_gt_u32_e64 s[0:1], 2, v19
	v_mov_b32_e32 v11, 0xff7fffff
	v_lshlrev_b32_e32 v4, 2, v19
	s_waitcnt lgkmcnt(0)
	s_barrier
	s_and_saveexec_b64 s[2:3], s[0:1]
; %bb.15:
	ds_read_b32 v11, v4 offset:256
; %bb.16:
	s_or_b64 exec, exec, s[2:3]
	v_xor_b32_e32 v9, 1, v6
	v_cmp_lt_i32_e64 s[2:3], v9, v7
	v_lshlrev_b32_e32 v8, 2, v8
	s_nop 0
	v_cndmask_b32_e64 v9, v6, v9, s[2:3]
	v_lshlrev_b32_e32 v9, 2, v9
	s_waitcnt lgkmcnt(0)
	ds_bpermute_b32 v12, v9, v11
	v_max_f32_e32 v11, v11, v11
	s_lshl_b32 s2, s17, 3
	s_min_i32 s15, s2, s11
	v_cmp_gt_i32_e64 s[2:3], s15, v0
	s_waitcnt lgkmcnt(0)
	v_max_f32_e32 v12, v12, v12
	v_max_f32_e32 v11, v11, v12
	ds_bpermute_b32 v11, v8, v11
	v_mov_b32_e32 v8, 0
	s_and_saveexec_b64 s[26:27], s[2:3]
	s_cbranch_execz .LBB69_20
; %bb.17:
	v_mov_b32_e32 v8, 0x110
	v_lshl_add_u32 v12, v0, 2, v8
	v_mov_b32_e32 v8, 0
	s_mov_b64 s[28:29], 0
	v_mov_b32_e32 v13, v0
.LBB69_18:                              ; =>This Inner Loop Header: Depth=1
	ds_read_b32 v14, v12
	v_add_u32_e32 v13, 0x80, v13
	v_cmp_le_i32_e64 s[8:9], s15, v13
	s_or_b64 s[28:29], s[8:9], s[28:29]
	s_waitcnt lgkmcnt(0)
	v_sub_f32_e32 v14, v14, v11
	v_mul_f32_e32 v14, 0x3fb8aa3b, v14
	v_exp_f32_e32 v14, v14
	ds_write_b32 v12, v14
	v_add_f32_e32 v8, v8, v14
	v_add_u32_e32 v12, 0x200, v12
	s_andn2_b64 exec, exec, s[28:29]
	s_cbranch_execnz .LBB69_18
; %bb.19:
	s_or_b64 exec, exec, s[28:29]
.LBB69_20:
	s_or_b64 exec, exec, s[26:27]
	ds_bpermute_b32 v3, v3, v8
	s_waitcnt lgkmcnt(0)
	v_add_f32_e32 v3, v8, v3
	ds_bpermute_b32 v5, v5, v3
	v_xor_b32_e32 v8, 4, v6
	v_cmp_lt_i32_e64 s[8:9], v8, v7
	s_waitcnt lgkmcnt(0)
	v_add_f32_e32 v3, v3, v5
	ds_bpermute_b32 v5, v10, v3
	v_cndmask_b32_e64 v8, v6, v8, s[8:9]
	v_lshlrev_b32_e32 v8, 2, v8
	s_waitcnt lgkmcnt(0)
	v_add_f32_e32 v3, v3, v5
	ds_bpermute_b32 v5, v8, v3
	v_xor_b32_e32 v8, 2, v6
	v_cmp_lt_i32_e64 s[8:9], v8, v7
	s_waitcnt lgkmcnt(0)
	v_add_f32_e32 v3, v3, v5
	v_cndmask_b32_e64 v7, v6, v8, s[8:9]
	v_lshlrev_b32_e32 v5, 2, v7
	ds_bpermute_b32 v5, v5, v3
	s_waitcnt lgkmcnt(0)
	v_add_f32_e32 v3, v3, v5
	ds_bpermute_b32 v5, v9, v3
	s_waitcnt lgkmcnt(0)
	v_add_f32_e32 v3, v3, v5
	s_and_saveexec_b64 s[8:9], vcc
; %bb.21:
	ds_write_b32 v2, v3 offset:264
; %bb.22:
	s_or_b64 exec, exec, s[8:9]
	s_waitcnt lgkmcnt(0)
	s_barrier
	s_and_saveexec_b64 s[8:9], s[0:1]
; %bb.23:
	ds_read_b32 v3, v4 offset:264
; %bb.24:
	s_or_b64 exec, exec, s[8:9]
	s_waitcnt lgkmcnt(0)
	ds_bpermute_b32 v2, v9, v3
	v_lshlrev_b32_e32 v4, 2, v6
	s_waitcnt lgkmcnt(0)
	v_add_f32_e32 v2, v3, v2
	v_and_b32_e32 v3, 0xffffff00, v4
	ds_bpermute_b32 v2, v3, v2
	s_and_saveexec_b64 s[0:1], s[2:3]
	s_cbranch_execz .LBB69_37
; %bb.25:
	s_waitcnt lgkmcnt(0)
	v_add_f32_e32 v2, 0x358637bd, v2
	v_div_scale_f32 v3, s[2:3], v2, v2, 1.0
	v_rcp_f32_e32 v4, v3
	v_div_scale_f32 v5, vcc, 1.0, v2, 1.0
	s_movk_i32 s2, 0x7f
	v_fma_f32 v6, -v3, v4, 1.0
	v_fmac_f32_e32 v4, v6, v4
	v_mul_f32_e32 v6, v5, v4
	v_fma_f32 v7, -v3, v6, v5
	v_fmac_f32_e32 v6, v7, v4
	v_fma_f32 v3, -v3, v6, v5
	v_div_fmas_f32 v3, v3, v4, v6
	v_xad_u32 v4, v0, -1, s15
	v_div_fixup_f32 v2, v3, v2, 1.0
	v_cmp_lt_u32_e32 vcc, s2, v4
	s_mov_b64 s[8:9], -1
	v_mov_b32_e32 v3, v0
	s_and_saveexec_b64 s[2:3], vcc
	s_cbranch_execz .LBB69_34
; %bb.26:
	v_lshrrev_b32_e32 v4, 7, v4
	v_add_u32_e32 v6, -1, v4
	v_lshrrev_b32_e32 v5, 1, v6
	v_mov_b32_e32 v3, v2
	v_add_u32_e32 v5, 1, v5
	v_cmp_lt_u32_e32 vcc, 13, v6
	v_mov_b32_e32 v8, 0
	s_and_saveexec_b64 s[8:9], vcc
	s_cbranch_execz .LBB69_30
; %bb.27:
	v_mov_b32_e32 v7, 0x110
	v_and_b32_e32 v6, -8, v5
	v_lshl_add_u32 v7, v0, 2, v7
	s_mov_b32 s28, 0
	s_mov_b64 s[26:27], 0
.LBB69_28:                              ; =>This Inner Loop Header: Depth=1
	ds_read2st64_b32 v[8:9], v7 offset1:2
	ds_read2st64_b32 v[10:11], v7 offset0:4 offset1:6
	ds_read2st64_b32 v[12:13], v7 offset0:8 offset1:10
	;; [unrolled: 1-line block ×3, first 2 shown]
	v_add_u32_e32 v6, -8, v6
	s_waitcnt lgkmcnt(3)
	v_pk_mul_f32 v[8:9], v[2:3], v[8:9]
	s_waitcnt lgkmcnt(2)
	v_pk_mul_f32 v[10:11], v[2:3], v[10:11]
	ds_write2st64_b32 v7, v8, v9 offset1:2
	ds_write2st64_b32 v7, v10, v11 offset0:4 offset1:6
	ds_read2st64_b32 v[10:11], v7 offset0:16 offset1:18
	s_waitcnt lgkmcnt(4)
	v_pk_mul_f32 v[8:9], v[2:3], v[12:13]
	ds_write2st64_b32 v7, v8, v9 offset0:8 offset1:10
	s_waitcnt lgkmcnt(4)
	v_pk_mul_f32 v[8:9], v[2:3], v[14:15]
	ds_write2st64_b32 v7, v8, v9 offset0:12 offset1:14
	ds_read2st64_b32 v[8:9], v7 offset0:20 offset1:22
	s_waitcnt lgkmcnt(3)
	v_pk_mul_f32 v[10:11], v[2:3], v[10:11]
	ds_read2st64_b32 v[12:13], v7 offset0:24 offset1:26
	ds_write2st64_b32 v7, v10, v11 offset0:16 offset1:18
	ds_read2st64_b32 v[10:11], v7 offset0:28 offset1:30
	s_waitcnt lgkmcnt(3)
	v_pk_mul_f32 v[8:9], v[2:3], v[8:9]
	ds_write2st64_b32 v7, v8, v9 offset0:20 offset1:22
	s_waitcnt lgkmcnt(3)
	v_pk_mul_f32 v[8:9], v[2:3], v[12:13]
	ds_write2st64_b32 v7, v8, v9 offset0:24 offset1:26
	s_waitcnt lgkmcnt(2)
	v_pk_mul_f32 v[8:9], v[2:3], v[10:11]
	s_add_i32 s28, s28, 16
	v_cmp_eq_u32_e32 vcc, 0, v6
	ds_write2st64_b32 v7, v8, v9 offset0:28 offset1:30
	v_add_u32_e32 v7, 0x2000, v7
	s_or_b64 s[26:27], vcc, s[26:27]
	v_mov_b32_e32 v8, s28
	s_andn2_b64 exec, exec, s[26:27]
	s_cbranch_execnz .LBB69_28
; %bb.29:
	s_or_b64 exec, exec, s[26:27]
.LBB69_30:
	s_or_b64 exec, exec, s[8:9]
	v_and_b32_e32 v5, 7, v5
	v_cmp_ne_u32_e32 vcc, 0, v5
	s_and_saveexec_b64 s[8:9], vcc
	s_cbranch_execz .LBB69_33
; %bb.31:
	v_lshlrev_b32_e32 v6, 9, v8
	v_lshlrev_b32_e32 v7, 2, v0
	s_movk_i32 s26, 0x110
	v_add3_u32 v6, v6, v7, s26
	s_mov_b64 s[26:27], 0
.LBB69_32:                              ; =>This Inner Loop Header: Depth=1
	ds_read2st64_b32 v[8:9], v6 offset1:2
	v_add_u32_e32 v5, -1, v5
	v_cmp_eq_u32_e32 vcc, 0, v5
	s_or_b64 s[26:27], vcc, s[26:27]
	s_waitcnt lgkmcnt(0)
	v_pk_mul_f32 v[8:9], v[2:3], v[8:9]
	ds_write2st64_b32 v6, v8, v9 offset1:2
	v_add_u32_e32 v6, 0x400, v6
	s_andn2_b64 exec, exec, s[26:27]
	s_cbranch_execnz .LBB69_32
.LBB69_33:
	s_or_b64 exec, exec, s[8:9]
	v_add_u32_e32 v4, 1, v4
	v_and_b32_e32 v5, 0x3fffffe, v4
	v_cmp_ne_u32_e32 vcc, v4, v5
	v_lshl_add_u32 v3, v5, 7, v0
	s_orn2_b64 s[8:9], vcc, exec
.LBB69_34:
	s_or_b64 exec, exec, s[2:3]
	s_and_b64 exec, exec, s[8:9]
	s_cbranch_execz .LBB69_37
; %bb.35:
	v_mov_b32_e32 v4, 0x110
	v_lshl_add_u32 v4, v3, 2, v4
	s_mov_b64 s[2:3], 0
.LBB69_36:                              ; =>This Inner Loop Header: Depth=1
	ds_read_b32 v5, v4
	v_add_u32_e32 v3, 0x80, v3
	v_cmp_le_i32_e32 vcc, s15, v3
	s_or_b64 s[2:3], vcc, s[2:3]
	s_waitcnt lgkmcnt(0)
	v_mul_f32_e32 v5, v2, v5
	ds_write_b32 v4, v5
	v_add_u32_e32 v4, 0x200, v4
	s_andn2_b64 exec, exec, s[2:3]
	s_cbranch_execnz .LBB69_36
.LBB69_37:
	s_or_b64 exec, exec, s[0:1]
	v_mov_b32_e32 v6, 0
	v_mov_b32_e32 v7, v6
	s_waitcnt lgkmcnt(0)
	s_barrier
	s_and_saveexec_b64 s[2:3], s[6:7]
	s_cbranch_execz .LBB69_45
; %bb.38:
	s_ashr_i32 s15, s14, 31
	s_lshl_b64 s[0:1], s[14:15], 1
	s_add_u32 s0, s24, s0
	s_addc_u32 s1, s25, s1
	v_lshlrev_b32_e32 v2, 4, v19
	v_mov_b32_e32 v3, v6
	s_add_i32 s14, s17, -1
	v_lshl_add_u64 v[8:9], s[0:1], 0, v[2:3]
	s_lshl_b64 s[0:1], s[22:23], 2
	v_mov_b32_e32 v2, 0x110
	s_add_u32 s0, s20, s0
	v_lshl_add_u32 v20, v18, 5, v2
	v_and_b32_e32 v2, 60, v1
	s_addc_u32 s1, s21, s1
	s_mov_b32 s15, s11
	v_lshlrev_b32_e32 v7, 3, v18
	v_lshl_add_u64 v[10:11], s[0:1], 0, v[2:3]
	s_mov_b64 s[6:7], 0
	s_mov_b32 s20, 0xffff
	v_mov_b32_e32 v13, 0
	v_mov_b32_e32 v12, 0
	s_branch .LBB69_40
.LBB69_39:                              ;   in Loop: Header=BB69_40 Depth=1
	s_or_b64 exec, exec, s[8:9]
	v_lshlrev_b32_e32 v14, 16, v14
	v_lshlrev_b32_e32 v1, 16, v1
	v_and_or_b32 v2, v2, s20, v14
	v_and_or_b32 v1, v3, s20, v1
	v_lshlrev_b32_e32 v3, 16, v15
	v_and_or_b32 v3, v4, s20, v3
	;;#ASMSTART
	v_pk_mul_f16 v2, v28, v2;

	;;#ASMEND
	;;#ASMSTART
	v_pk_mul_f16 v1, v29, v1;

	;;#ASMEND
	;; [unrolled: 4-line block ×4, first 2 shown]
	v_add_u32_e32 v18, 2, v18
	;;#ASMSTART
	v_pk_add_f16 v1, v2, v1;

	;;#ASMEND
	v_add_f32_e32 v16, v16, v32
	;;#ASMSTART
	v_pk_add_f16 v1, v1, v3;

	;;#ASMEND
	v_cmp_le_i32_e32 vcc, s17, v18
	;;#ASMSTART
	v_pk_add_f16 v1, v1, v4;

	;;#ASMEND
	v_add_f32_e32 v12, v12, v16
	v_lshrrev_b32_e32 v2, 16, v1
	v_and_b32_e32 v1, 0xffff, v1
	;;#ASMSTART
	v_cvt_f32_f16 v1, v1;
	;;#ASMEND
	;;#ASMSTART
	v_cvt_f32_f16 v2, v2;
	;;#ASMEND
	v_add_u32_e32 v7, 16, v7
	v_add_f32_e32 v1, v1, v2
	v_add_f32_e32 v13, v13, v1
	v_add_u32_e32 v20, 64, v20
	s_or_b64 s[6:7], vcc, s[6:7]
	v_lshl_add_u64 v[10:11], v[10:11], 0, 8
	s_andn2_b64 exec, exec, s[6:7]
	s_cbranch_execz .LBB69_44
.LBB69_40:                              ; =>This Inner Loop Header: Depth=1
	global_load_dword v1, v[10:11], off
	ds_read2_b64 v[2:5], v20 offset1:1
	ds_read2_b64 v[22:25], v20 offset0:2 offset1:3
	v_add_u32_e32 v21, 7, v7
	v_or_b32_e32 v26, 3, v7
	s_waitcnt lgkmcnt(1)
	;;#ASMSTART
	v_cvt_f16_f32 v28, v2;

	;;#ASMEND
	;;#ASMSTART
	v_cvt_f16_f32 v29, v3;

	;;#ASMEND
	;; [unrolled: 4-line block ×4, first 2 shown]
	s_waitcnt lgkmcnt(0)
	;;#ASMSTART
	v_cvt_f16_f32 v32, v22;

	;;#ASMEND
	;;#ASMSTART
	v_cvt_f16_f32 v33, v23;

	;;#ASMEND
	;; [unrolled: 4-line block ×4, first 2 shown]
	v_add_u32_e32 v25, 2, v7
	v_add_u32_e32 v24, 4, v7
	;; [unrolled: 1-line block ×4, first 2 shown]
	v_or_b32_e32 v27, 1, v7
	s_waitcnt vmcnt(0)
	v_mad_i64_i32 v[2:3], s[0:1], v1, s13, 0
	v_lshl_add_u64 v[14:15], v[2:3], 1, v[8:9]
	global_load_dwordx4 v[2:5], v[14:15], off
	v_cmp_eq_u32_e64 s[0:1], s14, v18
	s_waitcnt vmcnt(0)
	v_lshrrev_b32_e32 v1, 16, v3
	v_lshrrev_b32_e32 v16, 16, v2
	;; [unrolled: 1-line block ×3, first 2 shown]
	s_and_saveexec_b64 s[8:9], s[0:1]
	s_cbranch_execz .LBB69_42
; %bb.41:                               ;   in Loop: Header=BB69_40 Depth=1
	v_cmp_gt_i32_e32 vcc, s11, v7
	s_nop 1
	v_cndmask_b32_e32 v2, 0, v2, vcc
	v_cmp_gt_i32_e32 vcc, s11, v25
	s_nop 1
	v_cndmask_b32_e32 v3, 0, v3, vcc
	;; [unrolled: 3-line block ×6, first 2 shown]
	v_cmp_gt_i32_e32 vcc, s11, v22
	s_nop 1
	v_cndmask_b32_sdwa v37, v6, v5, vcc dst_sel:DWORD dst_unused:UNUSED_PAD src0_sel:DWORD src1_sel:WORD_0
	v_and_b32_e32 v5, 0xffff0000, v5
	v_cmp_gt_i32_e32 vcc, s11, v21
	s_nop 1
	v_cndmask_b32_e32 v5, 0, v5, vcc
	v_or_b32_e32 v5, v37, v5
.LBB69_42:                              ;   in Loop: Header=BB69_40 Depth=1
	s_or_b64 exec, exec, s[8:9]
	v_and_b32_e32 v28, 0xffff, v28
	v_lshlrev_b32_e32 v16, 16, v16
	v_lshlrev_b32_e32 v1, 16, v1
	v_lshl_or_b32 v28, v29, 16, v28
	v_and_b32_e32 v29, 0xffff, v30
	v_and_or_b32 v2, v2, s20, v16
	v_and_or_b32 v1, v3, s20, v1
	v_lshlrev_b32_e32 v3, 16, v36
	v_lshl_or_b32 v29, v31, 16, v29
	v_and_b32_e32 v30, 0xffff, v32
	v_and_b32_e32 v31, 0xffff, v34
	v_and_or_b32 v3, v4, s20, v3
	;;#ASMSTART
	v_pk_mul_f16 v2, v28, v2;

	;;#ASMEND
	;;#ASMSTART
	v_pk_mul_f16 v1, v29, v1;

	;;#ASMEND
	v_lshl_or_b32 v30, v33, 16, v30
	v_lshl_or_b32 v31, v35, 16, v31
	;;#ASMSTART
	v_pk_mul_f16 v3, v30, v3;

	;;#ASMEND
	;;#ASMSTART
	v_pk_mul_f16 v4, v31, v5;

	;;#ASMEND
	;;#ASMSTART
	v_pk_add_f16 v1, v2, v1;

	;;#ASMEND
	s_nop 0
	;;#ASMSTART
	v_pk_add_f16 v1, v1, v3;

	;;#ASMEND
	s_nop 0
	;;#ASMSTART
	v_pk_add_f16 v1, v1, v4;

	;;#ASMEND
	s_nop 0
	v_lshrrev_b32_e32 v2, 16, v1
	v_and_b32_e32 v1, 0xffff, v1
	;;#ASMSTART
	v_cvt_f32_f16 v16, v1;
	;;#ASMEND
	;;#ASMSTART
	v_cvt_f32_f16 v32, v2;
	;;#ASMEND
	global_load_dwordx4 v[2:5], v[14:15], off offset:1024
	s_waitcnt vmcnt(0)
	v_lshrrev_b32_e32 v1, 16, v3
	v_lshrrev_b32_e32 v14, 16, v2
	v_lshrrev_b32_e32 v15, 16, v4
	s_and_saveexec_b64 s[8:9], s[0:1]
	s_cbranch_execz .LBB69_39
; %bb.43:                               ;   in Loop: Header=BB69_40 Depth=1
	v_cmp_gt_i32_e32 vcc, s11, v7
	s_nop 1
	v_cndmask_b32_e32 v2, 0, v2, vcc
	v_cmp_gt_i32_e32 vcc, s11, v25
	s_nop 1
	v_cndmask_b32_e32 v3, 0, v3, vcc
	;; [unrolled: 3-line block ×6, first 2 shown]
	v_cmp_gt_i32_e32 vcc, s11, v22
	s_nop 1
	v_cndmask_b32_sdwa v22, v6, v5, vcc dst_sel:DWORD dst_unused:UNUSED_PAD src0_sel:DWORD src1_sel:WORD_0
	v_and_b32_e32 v5, 0xffff0000, v5
	v_cmp_gt_i32_e32 vcc, s11, v21
	s_nop 1
	v_cndmask_b32_e32 v5, 0, v5, vcc
	v_or_b32_e32 v5, v22, v5
	s_branch .LBB69_39
.LBB69_44:
	s_or_b64 exec, exec, s[6:7]
	v_mov_b64_e32 v[6:7], v[12:13]
.LBB69_45:
	s_or_b64 exec, exec, s[2:3]
	v_and_b32_e32 v1, 0x3c0, v0
	v_cmp_eq_u32_e32 vcc, 64, v1
	s_barrier
	s_and_saveexec_b64 s[0:1], vcc
; %bb.46:
	v_mov_b32_e32 v1, 0x110
	v_lshl_add_u32 v1, v19, 2, v1
	ds_write2st64_b32 v1, v6, v7 offset1:1
; %bb.47:
	s_or_b64 exec, exec, s[0:1]
	v_cmp_gt_u32_e32 vcc, 64, v0
	s_waitcnt lgkmcnt(0)
	s_barrier
	s_and_saveexec_b64 s[0:1], vcc
	s_cbranch_execz .LBB69_49
; %bb.48:
	v_mov_b32_e32 v1, 0x110
	v_lshl_add_u32 v0, v0, 2, v1
	ds_read2st64_b32 v[0:1], v0 offset1:1
	s_waitcnt lgkmcnt(0)
	v_pk_add_f32 v[6:7], v[6:7], v[0:1]
.LBB69_49:
	s_or_b64 exec, exec, s[0:1]
	s_barrier
	s_and_saveexec_b64 s[0:1], vcc
	s_cbranch_execz .LBB69_51
; %bb.50:
	s_mul_i32 s0, s10, s12
	s_mul_i32 s0, s0, s5
	s_lshl_b32 s0, s0, 7
	s_ashr_i32 s1, s0, 31
	s_lshl_b64 s[0:1], s[0:1], 1
	s_add_u32 s2, s18, s0
	s_mul_i32 s0, s12, s16
	s_addc_u32 s3, s19, s1
	s_ashr_i32 s1, s0, 31
	s_lshl_b64 s[0:1], s[0:1], 1
	s_add_u32 s2, s2, s0
	s_addc_u32 s3, s3, s1
	s_lshl_b32 s0, s4, 7
	s_ashr_i32 s1, s0, 31
	s_lshl_b64 s[0:1], s[0:1], 1
	s_add_u32 s0, s2, s0
	s_addc_u32 s1, s3, s1
	;;#ASMSTART
	v_cvt_f16_f32 v0, v6;

	;;#ASMEND
	global_store_short v17, v0, s[0:1]
	;;#ASMSTART
	v_cvt_f16_f32 v0, v7;

	;;#ASMEND
	global_store_short v17, v0, s[0:1] offset:128
.LBB69_51:
	s_endpgm
	.section	.rodata,"a",@progbits
	.p2align	6, 0x0
	.amdhsa_kernel _ZN4vllm25paged_attention_v1_kernelIttLi128ELi8ELi128ELNS_18Fp8KVCacheDataTypeE0ELb0EEEvPT_PKS2_PKT0_S8_ifPKiSA_iPKfiiiSC_SC_iiiii
		.amdhsa_group_segment_fixed_size 272
		.amdhsa_private_segment_fixed_size 0
		.amdhsa_kernarg_size 384
		.amdhsa_user_sgpr_count 2
		.amdhsa_user_sgpr_dispatch_ptr 0
		.amdhsa_user_sgpr_queue_ptr 0
		.amdhsa_user_sgpr_kernarg_segment_ptr 1
		.amdhsa_user_sgpr_dispatch_id 0
		.amdhsa_user_sgpr_kernarg_preload_length 0
		.amdhsa_user_sgpr_kernarg_preload_offset 0
		.amdhsa_user_sgpr_private_segment_size 0
		.amdhsa_uses_dynamic_stack 0
		.amdhsa_enable_private_segment 0
		.amdhsa_system_sgpr_workgroup_id_x 1
		.amdhsa_system_sgpr_workgroup_id_y 1
		.amdhsa_system_sgpr_workgroup_id_z 1
		.amdhsa_system_sgpr_workgroup_info 0
		.amdhsa_system_vgpr_workitem_id 0
		.amdhsa_next_free_vgpr 49
		.amdhsa_next_free_sgpr 34
		.amdhsa_accum_offset 52
		.amdhsa_reserve_vcc 1
		.amdhsa_float_round_mode_32 0
		.amdhsa_float_round_mode_16_64 0
		.amdhsa_float_denorm_mode_32 3
		.amdhsa_float_denorm_mode_16_64 3
		.amdhsa_dx10_clamp 1
		.amdhsa_ieee_mode 1
		.amdhsa_fp16_overflow 0
		.amdhsa_tg_split 0
		.amdhsa_exception_fp_ieee_invalid_op 0
		.amdhsa_exception_fp_denorm_src 0
		.amdhsa_exception_fp_ieee_div_zero 0
		.amdhsa_exception_fp_ieee_overflow 0
		.amdhsa_exception_fp_ieee_underflow 0
		.amdhsa_exception_fp_ieee_inexact 0
		.amdhsa_exception_int_div_zero 0
	.end_amdhsa_kernel
	.section	.text._ZN4vllm25paged_attention_v1_kernelIttLi128ELi8ELi128ELNS_18Fp8KVCacheDataTypeE0ELb0EEEvPT_PKS2_PKT0_S8_ifPKiSA_iPKfiiiSC_SC_iiiii,"axG",@progbits,_ZN4vllm25paged_attention_v1_kernelIttLi128ELi8ELi128ELNS_18Fp8KVCacheDataTypeE0ELb0EEEvPT_PKS2_PKT0_S8_ifPKiSA_iPKfiiiSC_SC_iiiii,comdat
.Lfunc_end69:
	.size	_ZN4vllm25paged_attention_v1_kernelIttLi128ELi8ELi128ELNS_18Fp8KVCacheDataTypeE0ELb0EEEvPT_PKS2_PKT0_S8_ifPKiSA_iPKfiiiSC_SC_iiiii, .Lfunc_end69-_ZN4vllm25paged_attention_v1_kernelIttLi128ELi8ELi128ELNS_18Fp8KVCacheDataTypeE0ELb0EEEvPT_PKS2_PKT0_S8_ifPKiSA_iPKfiiiSC_SC_iiiii
                                        ; -- End function
	.set _ZN4vllm25paged_attention_v1_kernelIttLi128ELi8ELi128ELNS_18Fp8KVCacheDataTypeE0ELb0EEEvPT_PKS2_PKT0_S8_ifPKiSA_iPKfiiiSC_SC_iiiii.num_vgpr, 49
	.set _ZN4vllm25paged_attention_v1_kernelIttLi128ELi8ELi128ELNS_18Fp8KVCacheDataTypeE0ELb0EEEvPT_PKS2_PKT0_S8_ifPKiSA_iPKfiiiSC_SC_iiiii.num_agpr, 0
	.set _ZN4vllm25paged_attention_v1_kernelIttLi128ELi8ELi128ELNS_18Fp8KVCacheDataTypeE0ELb0EEEvPT_PKS2_PKT0_S8_ifPKiSA_iPKfiiiSC_SC_iiiii.numbered_sgpr, 34
	.set _ZN4vllm25paged_attention_v1_kernelIttLi128ELi8ELi128ELNS_18Fp8KVCacheDataTypeE0ELb0EEEvPT_PKS2_PKT0_S8_ifPKiSA_iPKfiiiSC_SC_iiiii.num_named_barrier, 0
	.set _ZN4vllm25paged_attention_v1_kernelIttLi128ELi8ELi128ELNS_18Fp8KVCacheDataTypeE0ELb0EEEvPT_PKS2_PKT0_S8_ifPKiSA_iPKfiiiSC_SC_iiiii.private_seg_size, 0
	.set _ZN4vllm25paged_attention_v1_kernelIttLi128ELi8ELi128ELNS_18Fp8KVCacheDataTypeE0ELb0EEEvPT_PKS2_PKT0_S8_ifPKiSA_iPKfiiiSC_SC_iiiii.uses_vcc, 1
	.set _ZN4vllm25paged_attention_v1_kernelIttLi128ELi8ELi128ELNS_18Fp8KVCacheDataTypeE0ELb0EEEvPT_PKS2_PKT0_S8_ifPKiSA_iPKfiiiSC_SC_iiiii.uses_flat_scratch, 0
	.set _ZN4vllm25paged_attention_v1_kernelIttLi128ELi8ELi128ELNS_18Fp8KVCacheDataTypeE0ELb0EEEvPT_PKS2_PKT0_S8_ifPKiSA_iPKfiiiSC_SC_iiiii.has_dyn_sized_stack, 0
	.set _ZN4vllm25paged_attention_v1_kernelIttLi128ELi8ELi128ELNS_18Fp8KVCacheDataTypeE0ELb0EEEvPT_PKS2_PKT0_S8_ifPKiSA_iPKfiiiSC_SC_iiiii.has_recursion, 0
	.set _ZN4vllm25paged_attention_v1_kernelIttLi128ELi8ELi128ELNS_18Fp8KVCacheDataTypeE0ELb0EEEvPT_PKS2_PKT0_S8_ifPKiSA_iPKfiiiSC_SC_iiiii.has_indirect_call, 0
	.section	.AMDGPU.csdata,"",@progbits
; Kernel info:
; codeLenInByte = 4740
; TotalNumSgprs: 40
; NumVgprs: 49
; NumAgprs: 0
; TotalNumVgprs: 49
; ScratchSize: 0
; MemoryBound: 0
; FloatMode: 240
; IeeeMode: 1
; LDSByteSize: 272 bytes/workgroup (compile time only)
; SGPRBlocks: 4
; VGPRBlocks: 6
; NumSGPRsForWavesPerEU: 40
; NumVGPRsForWavesPerEU: 49
; AccumOffset: 52
; Occupancy: 8
; WaveLimiterHint : 1
; COMPUTE_PGM_RSRC2:SCRATCH_EN: 0
; COMPUTE_PGM_RSRC2:USER_SGPR: 2
; COMPUTE_PGM_RSRC2:TRAP_HANDLER: 0
; COMPUTE_PGM_RSRC2:TGID_X_EN: 1
; COMPUTE_PGM_RSRC2:TGID_Y_EN: 1
; COMPUTE_PGM_RSRC2:TGID_Z_EN: 1
; COMPUTE_PGM_RSRC2:TIDIG_COMP_CNT: 0
; COMPUTE_PGM_RSRC3_GFX90A:ACCUM_OFFSET: 12
; COMPUTE_PGM_RSRC3_GFX90A:TG_SPLIT: 0
	.section	.text._ZN4vllm25paged_attention_v1_kernelIttLi192ELi8ELi128ELNS_18Fp8KVCacheDataTypeE0ELb0EEEvPT_PKS2_PKT0_S8_ifPKiSA_iPKfiiiSC_SC_iiiii,"axG",@progbits,_ZN4vllm25paged_attention_v1_kernelIttLi192ELi8ELi128ELNS_18Fp8KVCacheDataTypeE0ELb0EEEvPT_PKS2_PKT0_S8_ifPKiSA_iPKfiiiSC_SC_iiiii,comdat
	.protected	_ZN4vllm25paged_attention_v1_kernelIttLi192ELi8ELi128ELNS_18Fp8KVCacheDataTypeE0ELb0EEEvPT_PKS2_PKT0_S8_ifPKiSA_iPKfiiiSC_SC_iiiii ; -- Begin function _ZN4vllm25paged_attention_v1_kernelIttLi192ELi8ELi128ELNS_18Fp8KVCacheDataTypeE0ELb0EEEvPT_PKS2_PKT0_S8_ifPKiSA_iPKfiiiSC_SC_iiiii
	.globl	_ZN4vllm25paged_attention_v1_kernelIttLi192ELi8ELi128ELNS_18Fp8KVCacheDataTypeE0ELb0EEEvPT_PKS2_PKT0_S8_ifPKiSA_iPKfiiiSC_SC_iiiii
	.p2align	8
	.type	_ZN4vllm25paged_attention_v1_kernelIttLi192ELi8ELi128ELNS_18Fp8KVCacheDataTypeE0ELb0EEEvPT_PKS2_PKT0_S8_ifPKiSA_iPKfiiiSC_SC_iiiii,@function
_ZN4vllm25paged_attention_v1_kernelIttLi192ELi8ELi128ELNS_18Fp8KVCacheDataTypeE0ELb0EEEvPT_PKS2_PKT0_S8_ifPKiSA_iPKfiiiSC_SC_iiiii: ; @_ZN4vllm25paged_attention_v1_kernelIttLi192ELi8ELi128ELNS_18Fp8KVCacheDataTypeE0ELb0EEEvPT_PKS2_PKT0_S8_ifPKiSA_iPKfiiiSC_SC_iiiii
; %bb.0:
	s_load_dword s5, s[0:1], 0x80
	s_load_dwordx2 s[6:7], s[0:1], 0x30
	s_load_dwordx2 s[8:9], s[0:1], 0x20
	s_mov_b32 s10, s3
	s_ashr_i32 s11, s3, 31
	s_lshl_b64 s[12:13], s[10:11], 2
	s_waitcnt lgkmcnt(0)
	s_add_u32 s6, s6, s12
	s_addc_u32 s7, s7, s13
	s_abs_i32 s3, s8
	v_cvt_f32_u32_e32 v1, s3
	s_sub_i32 s12, 0, s3
	s_abs_i32 s11, s5
	s_xor_b32 s8, s5, s8
	v_rcp_iflag_f32_e32 v1, v1
	s_ashr_i32 s8, s8, 31
	v_mul_f32_e32 v1, 0x4f7ffffe, v1
	v_cvt_u32_f32_e32 v1, v1
	s_nop 0
	v_readfirstlane_b32 s13, v1
	s_mul_i32 s12, s12, s13
	s_mul_hi_u32 s12, s13, s12
	s_add_i32 s13, s13, s12
	s_mul_hi_u32 s12, s11, s13
	s_mul_i32 s13, s12, s3
	s_sub_i32 s11, s11, s13
	s_add_i32 s13, s12, 1
	s_sub_i32 s14, s11, s3
	s_cmp_ge_u32 s11, s3
	s_cselect_b32 s12, s13, s12
	s_cselect_b32 s11, s14, s11
	s_add_i32 s13, s12, 1
	s_cmp_ge_u32 s11, s3
	s_cselect_b32 s3, s13, s12
	s_xor_b32 s3, s3, s8
	s_sub_i32 s11, s3, s8
	s_abs_i32 s18, s11
	v_cvt_f32_u32_e32 v1, s18
	s_load_dwordx2 s[12:13], s[0:1], 0x40
	s_sub_i32 s3, 0, s18
	s_abs_i32 s19, s2
	v_rcp_iflag_f32_e32 v1, v1
	s_mov_b32 s8, 0
	v_mul_f32_e32 v1, 0x4f7ffffe, v1
	v_cvt_u32_f32_e32 v1, v1
	s_nop 0
	v_readfirstlane_b32 s14, v1
	s_mul_i32 s3, s3, s14
	s_mul_hi_u32 s3, s14, s3
	s_add_i32 s14, s14, s3
	s_waitcnt lgkmcnt(0)
	s_cmp_eq_u64 s[12:13], 0
	s_mul_hi_u32 s22, s19, s14
	s_cbranch_scc1 .LBB70_2
; %bb.1:
	s_ashr_i32 s3, s2, 31
	s_lshl_b64 s[14:15], s[2:3], 2
	s_add_u32 s12, s12, s14
	s_addc_u32 s13, s13, s15
	s_load_dword s8, s[12:13], 0x0
.LBB70_2:
	s_load_dword s33, s[6:7], 0x0
	s_ashr_i32 s24, s11, 31
	s_load_dword s11, s[0:1], 0x88
	s_load_dwordx4 s[12:15], s[0:1], 0x48
	s_movk_i32 s3, 0xc0
	s_ashr_i32 s23, s2, 31
	v_and_b32_e32 v4, 7, v0
	s_mul_i32 s16, s2, 0xc0
	v_cmp_gt_u32_e32 vcc, s3, v0
	v_lshlrev_b32_e32 v16, 1, v0
	s_and_saveexec_b64 s[2:3], vcc
	s_cbranch_execz .LBB70_5
; %bb.3:
	s_load_dwordx2 s[6:7], s[0:1], 0x8
	s_waitcnt lgkmcnt(0)
	s_mul_i32 s20, s12, s10
	s_ashr_i32 s21, s20, 31
	s_lshl_b64 s[20:21], s[20:21], 1
	v_lshrrev_b32_e32 v2, 3, v0
	s_add_u32 s12, s6, s20
	s_addc_u32 s15, s7, s21
	s_ashr_i32 s17, s16, 31
	s_lshl_b64 s[6:7], s[16:17], 1
	s_add_u32 s6, s12, s6
	s_addc_u32 s7, s15, s7
	global_load_ushort v3, v16, s[6:7]
	v_lshlrev_b32_e32 v1, 1, v2
	v_mad_u32_u24 v1, v4, 48, v1
	v_cmp_gt_u32_e32 vcc, 64, v0
	s_waitcnt vmcnt(0)
	ds_write_b16 v1, v3
	s_and_b64 exec, exec, vcc
	s_cbranch_execz .LBB70_5
; %bb.4:
	v_lshlrev_b32_e32 v2, 4, v2
	v_lshlrev_b32_e32 v3, 1, v4
	s_movk_i32 s12, 0x100
	v_or3_b32 v2, v2, v3, s12
	global_load_ushort v2, v2, s[6:7]
	s_waitcnt vmcnt(0)
	ds_write_b16 v1, v2 offset:32
.LBB70_5:
	s_or_b64 exec, exec, s[2:3]
	s_waitcnt lgkmcnt(0)
	s_add_i32 s3, s33, 7
	s_ashr_i32 s6, s3, 31
	s_lshr_b32 s6, s6, 29
	s_add_i32 s3, s3, s6
	s_mul_i32 s6, s22, s18
	s_sub_i32 s6, s19, s6
	s_ashr_i32 s12, s3, 3
	s_xor_b32 s3, s23, s24
	s_add_i32 s7, s22, 1
	s_sub_i32 s15, s6, s18
	s_load_dwordx2 s[20:21], s[0:1], 0x28
	s_load_dword s2, s[0:1], 0x38
	s_cmp_ge_u32 s6, s18
	s_cselect_b32 s7, s7, s22
	s_cselect_b32 s6, s15, s6
	s_add_i32 s15, s7, 1
	s_cmp_ge_u32 s6, s18
	s_cselect_b32 s6, s15, s7
	v_lshrrev_b32_e32 v17, 6, v0
	s_xor_b32 s6, s6, s3
	s_waitcnt lgkmcnt(0)
	s_mul_i32 s22, s2, s10
	s_sub_i32 s15, s6, s3
	s_ashr_i32 s23, s22, 31
	v_cmp_gt_i32_e64 s[6:7], s12, v17
	v_cmp_le_i32_e32 vcc, s12, v17
	v_mbcnt_lo_u32_b32 v13, -1, 0
	s_barrier
                                        ; implicit-def: $vgpr6
                                        ; implicit-def: $vgpr8
                                        ; implicit-def: $vgpr7
	s_and_saveexec_b64 s[2:3], vcc
	s_xor_b64 s[2:3], exec, s[2:3]
; %bb.6:
	v_mbcnt_hi_u32_b32 v6, -1, v13
	v_and_b32_e32 v8, 64, v6
	v_add_u32_e32 v7, 64, v8
                                        ; implicit-def: $vgpr4
                                        ; implicit-def: $vgpr13
; %bb.7:
	s_or_saveexec_b64 s[26:27], s[2:3]
	s_load_dwordx2 s[18:19], s[0:1], 0x0
	s_load_dwordx2 s[24:25], s[0:1], 0x18
	v_mov_b32_e32 v9, 0xff7fffff
	s_mul_i32 s14, s15, s14
	v_lshrrev_b32_e32 v1, 4, v0
	s_xor_b64 exec, exec, s[26:27]
	s_cbranch_execz .LBB70_13
; %bb.8:
	s_load_dwordx2 s[0:1], s[0:1], 0x10
	s_ashr_i32 s15, s14, 31
	s_lshl_b64 s[2:3], s[14:15], 1
	v_bfe_u32 v5, v0, 3, 3
	v_lshlrev_b32_e32 v6, 4, v5
	s_waitcnt lgkmcnt(0)
	s_add_u32 s0, s0, s2
	s_addc_u32 s1, s1, s3
	v_mov_b32_e32 v7, 0
	v_lshl_add_u64 v[2:3], s[0:1], 0, v[6:7]
	s_sub_i32 s15, 1, s33
	s_lshl_b64 s[0:1], s[22:23], 2
	v_lshlrev_b32_e32 v6, 1, v4
	v_mul_u32_u24_e32 v10, 48, v4
	v_cmp_eq_u32_e32 vcc, 0, v4
	v_lshlrev_b32_e32 v4, 2, v5
	s_add_u32 s0, s20, s0
	v_lshl_add_u64 v[2:3], v[2:3], 0, v[6:7]
	v_lshl_or_b32 v4, v17, 5, v4
	v_and_b32_e32 v6, 60, v1
	s_addc_u32 s1, s21, s1
	v_lshl_or_b32 v11, v17, 3, v5
	v_add_u32_e32 v12, 0x190, v4
	v_lshl_add_u64 v[4:5], s[0:1], 0, v[6:7]
	v_mbcnt_hi_u32_b32 v6, -1, v13
	v_and_b32_e32 v8, 64, v6
	s_mov_b32 s17, s13
	v_cmp_neq_f32_e64 s[2:3], s8, 0
	v_mov_b32_e32 v9, 0xff7fffff
	s_mov_b64 s[28:29], 0
	v_add_u32_e32 v7, 64, v8
	v_xor_b32_e32 v13, 4, v6
	v_xor_b32_e32 v14, 2, v6
	;; [unrolled: 1-line block ×3, first 2 shown]
	v_mov_b32_e32 v18, v17
	s_branch .LBB70_10
.LBB70_9:                               ;   in Loop: Header=BB70_10 Depth=1
	s_or_b64 exec, exec, s[30:31]
	v_add_u32_e32 v18, 2, v18
	v_cmp_le_i32_e64 s[0:1], s12, v18
	v_add_u32_e32 v11, 16, v11
	v_add_u32_e32 v12, 64, v12
	s_or_b64 s[28:29], s[0:1], s[28:29]
	v_lshl_add_u64 v[4:5], v[4:5], 0, 8
	s_andn2_b64 exec, exec, s[28:29]
	s_cbranch_execz .LBB70_12
.LBB70_10:                              ; =>This Inner Loop Header: Depth=1
	global_load_dword v19, v[4:5], off
	s_waitcnt vmcnt(0) lgkmcnt(0)
	v_mad_i64_i32 v[20:21], s[0:1], v19, s17, 0
	v_lshl_add_u64 v[20:21], v[20:21], 1, v[2:3]
	global_load_ushort v22, v[20:21], off
	global_load_ushort v23, v[20:21], off offset:128
	global_load_ushort v24, v[20:21], off offset:256
	;; [unrolled: 1-line block ×9, first 2 shown]
	ds_read_u16 v19, v10
	global_load_ushort v40, v[20:21], off offset:1280
	global_load_ushort v42, v[20:21], off offset:1408
	;; [unrolled: 1-line block ×14, first 2 shown]
	s_waitcnt lgkmcnt(0)
	;;#ASMSTART
	v_cvt_f32_f16 v19, v19;
	;;#ASMEND
	v_cmp_lt_i32_e64 s[0:1], v13, v7
	s_waitcnt vmcnt(23)
	;;#ASMSTART
	v_cvt_f32_f16 v20, v22;
	;;#ASMEND
	ds_read_u16 v21, v10 offset:2
	s_waitcnt lgkmcnt(0)
	;;#ASMSTART
	v_cvt_f32_f16 v21, v21;
	;;#ASMEND
	s_waitcnt vmcnt(22)
	;;#ASMSTART
	v_cvt_f32_f16 v22, v23;
	;;#ASMEND
	ds_read_u16 v23, v10 offset:4
	v_mul_f32_e32 v21, v21, v22
	v_fmac_f32_e32 v21, v19, v20
	s_waitcnt lgkmcnt(0)
	;;#ASMSTART
	v_cvt_f32_f16 v23, v23;
	;;#ASMEND
	s_waitcnt vmcnt(21)
	;;#ASMSTART
	v_cvt_f32_f16 v24, v24;
	;;#ASMEND
	ds_read_u16 v25, v10 offset:6
	v_fmac_f32_e32 v21, v23, v24
	s_waitcnt lgkmcnt(0)
	;;#ASMSTART
	v_cvt_f32_f16 v25, v25;
	;;#ASMEND
	s_waitcnt vmcnt(20)
	;;#ASMSTART
	v_cvt_f32_f16 v26, v26;
	;;#ASMEND
	ds_read_u16 v27, v10 offset:8
	;; [unrolled: 10-line block ×19, first 2 shown]
	v_fmac_f32_e32 v21, v24, v25
	s_waitcnt lgkmcnt(0)
	;;#ASMSTART
	v_cvt_f32_f16 v26, v26;
	;;#ASMEND
	s_waitcnt vmcnt(2)
	;;#ASMSTART
	v_cvt_f32_f16 v27, v59;
	;;#ASMEND
	v_cndmask_b32_e64 v53, v6, v13, s[0:1]
	v_fmac_f32_e32 v21, v26, v27
	ds_read_u16 v28, v10 offset:44
	s_waitcnt lgkmcnt(0)
	;;#ASMSTART
	v_cvt_f32_f16 v19, v28;
	;;#ASMEND
	s_waitcnt vmcnt(1)
	;;#ASMSTART
	v_cvt_f32_f16 v20, v60;
	;;#ASMEND
	v_lshlrev_b32_e32 v53, 2, v53
	v_fmac_f32_e32 v21, v19, v20
	ds_read_u16 v28, v10 offset:46
	s_waitcnt lgkmcnt(0)
	;;#ASMSTART
	v_cvt_f32_f16 v19, v28;
	;;#ASMEND
	s_waitcnt vmcnt(0)
	;;#ASMSTART
	v_cvt_f32_f16 v20, v61;
	;;#ASMEND
	v_cmp_lt_i32_e64 s[0:1], v14, v7
	v_fmac_f32_e32 v21, v19, v20
	ds_bpermute_b32 v19, v53, v21
	v_cndmask_b32_e64 v20, v6, v14, s[0:1]
	v_lshlrev_b32_e32 v20, 2, v20
	v_cmp_lt_i32_e64 s[0:1], v15, v7
	s_waitcnt lgkmcnt(0)
	v_add_f32_e32 v19, v21, v19
	ds_bpermute_b32 v20, v20, v19
	v_cndmask_b32_e64 v21, v6, v15, s[0:1]
	s_waitcnt lgkmcnt(0)
	v_add_f32_e32 v19, v19, v20
	v_lshlrev_b32_e32 v20, 2, v21
	ds_bpermute_b32 v20, v20, v19
	s_and_saveexec_b64 s[30:31], vcc
	s_cbranch_execz .LBB70_9
; %bb.11:                               ;   in Loop: Header=BB70_10 Depth=1
	v_add_u32_e32 v21, s15, v11
	v_cvt_f32_i32_e32 v21, v21
	s_waitcnt lgkmcnt(0)
	v_add_f32_e32 v19, v19, v20
	v_cmp_gt_i32_e64 s[0:1], s33, v11
	v_max_f32_e32 v20, v9, v9
	v_mul_f32_e32 v21, s8, v21
	v_cndmask_b32_e64 v21, 0, v21, s[2:3]
	v_fmac_f32_e32 v21, s9, v19
	v_cndmask_b32_e64 v19, 0, v21, s[0:1]
	ds_write_b32 v12, v19
	v_max_f32_e32 v19, v20, v21
	v_cndmask_b32_e64 v9, v9, v19, s[0:1]
	s_branch .LBB70_9
.LBB70_12:
	s_or_b64 exec, exec, s[28:29]
.LBB70_13:
	s_or_b64 exec, exec, s[26:27]
	v_xor_b32_e32 v2, 32, v6
	v_cmp_lt_i32_e32 vcc, v2, v7
	v_xor_b32_e32 v5, 16, v6
	v_max_f32_e32 v4, v9, v9
	v_cndmask_b32_e32 v2, v6, v2, vcc
	v_lshlrev_b32_e32 v3, 2, v2
	ds_bpermute_b32 v2, v3, v9
	v_cmp_lt_i32_e32 vcc, v5, v7
	v_xor_b32_e32 v9, 8, v6
	v_and_b32_e32 v18, 63, v0
	s_waitcnt lgkmcnt(0)
	v_max_f32_e32 v2, v2, v2
	v_max_f32_e32 v2, v4, v2
	v_cndmask_b32_e32 v4, v6, v5, vcc
	v_lshlrev_b32_e32 v5, 2, v4
	ds_bpermute_b32 v4, v5, v2
	v_cmp_lt_i32_e32 vcc, v9, v7
	s_waitcnt lgkmcnt(0)
	v_max_f32_e32 v4, v4, v4
	v_max_f32_e32 v4, v2, v4
	v_cndmask_b32_e32 v2, v6, v9, vcc
	v_lshlrev_b32_e32 v10, 2, v2
	ds_bpermute_b32 v9, v10, v4
	v_cmp_eq_u32_e32 vcc, 0, v18
	v_lshlrev_b32_e32 v2, 2, v17
	s_and_saveexec_b64 s[0:1], vcc
	s_cbranch_execz .LBB70_15
; %bb.14:
	s_waitcnt lgkmcnt(0)
	v_max_f32_e32 v9, v9, v9
	v_max_f32_e32 v4, v4, v4
	v_max_f32_e32 v4, v4, v9
	ds_write_b32 v2, v4 offset:384
.LBB70_15:
	s_or_b64 exec, exec, s[0:1]
	v_cmp_gt_u32_e64 s[0:1], 2, v18
	v_mov_b32_e32 v11, 0xff7fffff
	v_lshlrev_b32_e32 v4, 2, v18
	s_waitcnt lgkmcnt(0)
	s_barrier
	s_and_saveexec_b64 s[2:3], s[0:1]
; %bb.16:
	ds_read_b32 v11, v4 offset:384
; %bb.17:
	s_or_b64 exec, exec, s[2:3]
	v_xor_b32_e32 v9, 1, v6
	v_cmp_lt_i32_e64 s[2:3], v9, v7
	v_lshlrev_b32_e32 v8, 2, v8
	s_nop 0
	v_cndmask_b32_e64 v9, v6, v9, s[2:3]
	v_lshlrev_b32_e32 v9, 2, v9
	s_waitcnt lgkmcnt(0)
	ds_bpermute_b32 v12, v9, v11
	v_max_f32_e32 v11, v11, v11
	s_lshl_b32 s2, s12, 3
	s_min_i32 s15, s2, s33
	v_cmp_gt_i32_e64 s[2:3], s15, v0
	s_waitcnt lgkmcnt(0)
	v_max_f32_e32 v12, v12, v12
	v_max_f32_e32 v11, v11, v12
	ds_bpermute_b32 v11, v8, v11
	v_mov_b32_e32 v8, 0
	s_and_saveexec_b64 s[26:27], s[2:3]
	s_cbranch_execz .LBB70_21
; %bb.18:
	v_mov_b32_e32 v8, 0x190
	v_lshl_add_u32 v12, v0, 2, v8
	v_mov_b32_e32 v8, 0
	s_mov_b64 s[28:29], 0
	v_mov_b32_e32 v13, v0
.LBB70_19:                              ; =>This Inner Loop Header: Depth=1
	ds_read_b32 v14, v12
	v_add_u32_e32 v13, 0x80, v13
	v_cmp_le_i32_e64 s[8:9], s15, v13
	s_or_b64 s[28:29], s[8:9], s[28:29]
	s_waitcnt lgkmcnt(0)
	v_sub_f32_e32 v14, v14, v11
	v_mul_f32_e32 v14, 0x3fb8aa3b, v14
	v_exp_f32_e32 v14, v14
	ds_write_b32 v12, v14
	v_add_f32_e32 v8, v8, v14
	v_add_u32_e32 v12, 0x200, v12
	s_andn2_b64 exec, exec, s[28:29]
	s_cbranch_execnz .LBB70_19
; %bb.20:
	s_or_b64 exec, exec, s[28:29]
.LBB70_21:
	s_or_b64 exec, exec, s[26:27]
	ds_bpermute_b32 v3, v3, v8
	s_waitcnt lgkmcnt(0)
	v_add_f32_e32 v3, v8, v3
	ds_bpermute_b32 v5, v5, v3
	v_xor_b32_e32 v8, 4, v6
	v_cmp_lt_i32_e64 s[8:9], v8, v7
	s_waitcnt lgkmcnt(0)
	v_add_f32_e32 v3, v3, v5
	ds_bpermute_b32 v5, v10, v3
	v_cndmask_b32_e64 v8, v6, v8, s[8:9]
	v_lshlrev_b32_e32 v8, 2, v8
	s_waitcnt lgkmcnt(0)
	v_add_f32_e32 v3, v3, v5
	ds_bpermute_b32 v5, v8, v3
	v_xor_b32_e32 v8, 2, v6
	v_cmp_lt_i32_e64 s[8:9], v8, v7
	s_waitcnt lgkmcnt(0)
	v_add_f32_e32 v3, v3, v5
	v_cndmask_b32_e64 v7, v6, v8, s[8:9]
	v_lshlrev_b32_e32 v5, 2, v7
	ds_bpermute_b32 v5, v5, v3
	s_waitcnt lgkmcnt(0)
	v_add_f32_e32 v3, v3, v5
	ds_bpermute_b32 v5, v9, v3
	s_waitcnt lgkmcnt(0)
	v_add_f32_e32 v3, v3, v5
	s_and_saveexec_b64 s[8:9], vcc
; %bb.22:
	ds_write_b32 v2, v3 offset:392
; %bb.23:
	s_or_b64 exec, exec, s[8:9]
	s_waitcnt lgkmcnt(0)
	s_barrier
	s_and_saveexec_b64 s[8:9], s[0:1]
; %bb.24:
	ds_read_b32 v3, v4 offset:392
; %bb.25:
	s_or_b64 exec, exec, s[8:9]
	s_waitcnt lgkmcnt(0)
	ds_bpermute_b32 v2, v9, v3
	v_lshlrev_b32_e32 v4, 2, v6
	s_waitcnt lgkmcnt(0)
	v_add_f32_e32 v2, v3, v2
	v_and_b32_e32 v3, 0xffffff00, v4
	ds_bpermute_b32 v2, v3, v2
	s_and_saveexec_b64 s[0:1], s[2:3]
	s_cbranch_execz .LBB70_38
; %bb.26:
	s_waitcnt lgkmcnt(0)
	v_add_f32_e32 v2, 0x358637bd, v2
	v_div_scale_f32 v3, s[2:3], v2, v2, 1.0
	v_rcp_f32_e32 v4, v3
	v_div_scale_f32 v5, vcc, 1.0, v2, 1.0
	s_movk_i32 s2, 0x7f
	v_fma_f32 v6, -v3, v4, 1.0
	v_fmac_f32_e32 v4, v6, v4
	v_mul_f32_e32 v6, v5, v4
	v_fma_f32 v7, -v3, v6, v5
	v_fmac_f32_e32 v6, v7, v4
	v_fma_f32 v3, -v3, v6, v5
	v_div_fmas_f32 v3, v3, v4, v6
	v_xad_u32 v4, v0, -1, s15
	v_div_fixup_f32 v2, v3, v2, 1.0
	v_cmp_lt_u32_e32 vcc, s2, v4
	s_mov_b64 s[8:9], -1
	v_mov_b32_e32 v3, v0
	s_and_saveexec_b64 s[2:3], vcc
	s_cbranch_execz .LBB70_35
; %bb.27:
	v_lshrrev_b32_e32 v4, 7, v4
	v_add_u32_e32 v6, -1, v4
	v_lshrrev_b32_e32 v5, 1, v6
	v_mov_b32_e32 v3, v2
	v_add_u32_e32 v5, 1, v5
	v_cmp_lt_u32_e32 vcc, 13, v6
	v_mov_b32_e32 v8, 0
	s_and_saveexec_b64 s[8:9], vcc
	s_cbranch_execz .LBB70_31
; %bb.28:
	v_mov_b32_e32 v7, 0x190
	v_and_b32_e32 v6, -8, v5
	v_lshl_add_u32 v7, v0, 2, v7
	s_mov_b32 s17, 0
	s_mov_b64 s[26:27], 0
.LBB70_29:                              ; =>This Inner Loop Header: Depth=1
	ds_read2st64_b32 v[8:9], v7 offset1:2
	ds_read2st64_b32 v[10:11], v7 offset0:4 offset1:6
	ds_read2st64_b32 v[12:13], v7 offset0:8 offset1:10
	ds_read2st64_b32 v[14:15], v7 offset0:12 offset1:14
	v_add_u32_e32 v6, -8, v6
	s_waitcnt lgkmcnt(3)
	v_pk_mul_f32 v[8:9], v[2:3], v[8:9]
	s_waitcnt lgkmcnt(2)
	v_pk_mul_f32 v[10:11], v[2:3], v[10:11]
	ds_write2st64_b32 v7, v8, v9 offset1:2
	ds_write2st64_b32 v7, v10, v11 offset0:4 offset1:6
	ds_read2st64_b32 v[10:11], v7 offset0:16 offset1:18
	s_waitcnt lgkmcnt(4)
	v_pk_mul_f32 v[8:9], v[2:3], v[12:13]
	ds_write2st64_b32 v7, v8, v9 offset0:8 offset1:10
	s_waitcnt lgkmcnt(4)
	v_pk_mul_f32 v[8:9], v[2:3], v[14:15]
	ds_write2st64_b32 v7, v8, v9 offset0:12 offset1:14
	ds_read2st64_b32 v[8:9], v7 offset0:20 offset1:22
	s_waitcnt lgkmcnt(3)
	v_pk_mul_f32 v[10:11], v[2:3], v[10:11]
	ds_read2st64_b32 v[12:13], v7 offset0:24 offset1:26
	ds_write2st64_b32 v7, v10, v11 offset0:16 offset1:18
	ds_read2st64_b32 v[10:11], v7 offset0:28 offset1:30
	s_waitcnt lgkmcnt(3)
	v_pk_mul_f32 v[8:9], v[2:3], v[8:9]
	ds_write2st64_b32 v7, v8, v9 offset0:20 offset1:22
	s_waitcnt lgkmcnt(3)
	v_pk_mul_f32 v[8:9], v[2:3], v[12:13]
	ds_write2st64_b32 v7, v8, v9 offset0:24 offset1:26
	s_waitcnt lgkmcnt(2)
	v_pk_mul_f32 v[8:9], v[2:3], v[10:11]
	s_add_i32 s17, s17, 16
	v_cmp_eq_u32_e32 vcc, 0, v6
	ds_write2st64_b32 v7, v8, v9 offset0:28 offset1:30
	v_add_u32_e32 v7, 0x2000, v7
	s_or_b64 s[26:27], vcc, s[26:27]
	v_mov_b32_e32 v8, s17
	s_andn2_b64 exec, exec, s[26:27]
	s_cbranch_execnz .LBB70_29
; %bb.30:
	s_or_b64 exec, exec, s[26:27]
.LBB70_31:
	s_or_b64 exec, exec, s[8:9]
	v_and_b32_e32 v5, 7, v5
	v_cmp_ne_u32_e32 vcc, 0, v5
	s_and_saveexec_b64 s[8:9], vcc
	s_cbranch_execz .LBB70_34
; %bb.32:
	v_lshlrev_b32_e32 v6, 9, v8
	v_lshlrev_b32_e32 v7, 2, v0
	s_movk_i32 s17, 0x190
	v_add3_u32 v6, v6, v7, s17
	s_mov_b64 s[26:27], 0
.LBB70_33:                              ; =>This Inner Loop Header: Depth=1
	ds_read2st64_b32 v[8:9], v6 offset1:2
	v_add_u32_e32 v5, -1, v5
	v_cmp_eq_u32_e32 vcc, 0, v5
	s_or_b64 s[26:27], vcc, s[26:27]
	s_waitcnt lgkmcnt(0)
	v_pk_mul_f32 v[8:9], v[2:3], v[8:9]
	ds_write2st64_b32 v6, v8, v9 offset1:2
	v_add_u32_e32 v6, 0x400, v6
	s_andn2_b64 exec, exec, s[26:27]
	s_cbranch_execnz .LBB70_33
.LBB70_34:
	s_or_b64 exec, exec, s[8:9]
	v_add_u32_e32 v4, 1, v4
	v_and_b32_e32 v5, 0x3fffffe, v4
	v_cmp_ne_u32_e32 vcc, v4, v5
	v_lshl_add_u32 v3, v5, 7, v0
	s_orn2_b64 s[8:9], vcc, exec
.LBB70_35:
	s_or_b64 exec, exec, s[2:3]
	s_and_b64 exec, exec, s[8:9]
	s_cbranch_execz .LBB70_38
; %bb.36:
	v_mov_b32_e32 v4, 0x190
	v_lshl_add_u32 v4, v3, 2, v4
	s_mov_b64 s[2:3], 0
.LBB70_37:                              ; =>This Inner Loop Header: Depth=1
	ds_read_b32 v5, v4
	v_add_u32_e32 v3, 0x80, v3
	v_cmp_le_i32_e32 vcc, s15, v3
	s_or_b64 s[2:3], vcc, s[2:3]
	s_waitcnt lgkmcnt(0)
	v_mul_f32_e32 v5, v2, v5
	ds_write_b32 v4, v5
	v_add_u32_e32 v4, 0x200, v4
	s_andn2_b64 exec, exec, s[2:3]
	s_cbranch_execnz .LBB70_37
.LBB70_38:
	s_or_b64 exec, exec, s[0:1]
	v_mov_b32_e32 v6, 0
	v_mov_b32_e32 v7, v6
	;; [unrolled: 1-line block ×3, first 2 shown]
	s_waitcnt lgkmcnt(0)
	s_barrier
	s_and_saveexec_b64 s[2:3], s[6:7]
	s_cbranch_execz .LBB70_48
; %bb.39:
	s_ashr_i32 s15, s14, 31
	s_lshl_b64 s[0:1], s[14:15], 1
	s_add_u32 s0, s24, s0
	s_addc_u32 s1, s25, s1
	v_lshlrev_b32_e32 v8, 4, v18
	v_mov_b32_e32 v9, 0
	s_add_i32 s14, s12, -1
	v_lshl_add_u64 v[10:11], s[0:1], 0, v[8:9]
	s_lshl_b64 s[0:1], s[22:23], 2
	s_add_u32 s0, s20, s0
	v_mov_b32_e32 v2, 0x190
	v_and_b32_e32 v8, 60, v1
	s_addc_u32 s1, s21, s1
	s_mov_b32 s15, s33
	v_lshlrev_b32_e32 v20, 3, v17
	v_lshl_add_u32 v21, v17, 5, v2
	v_lshl_add_u64 v[12:13], s[0:1], 0, v[8:9]
	s_mov_b64 s[6:7], 0
	s_mov_b32 s17, 0xffff
	v_mov_b32_e32 v19, 0
	v_mov_b32_e32 v7, 0
	;; [unrolled: 1-line block ×3, first 2 shown]
	s_branch .LBB70_41
.LBB70_40:                              ;   in Loop: Header=BB70_41 Depth=1
	s_or_b64 exec, exec, s[8:9]
	v_lshlrev_b32_e32 v8, 16, v8
	v_lshlrev_b32_e32 v1, 16, v1
	v_and_or_b32 v2, v2, s17, v8
	v_and_or_b32 v1, v3, s17, v1
	v_lshlrev_b32_e32 v3, 16, v14
	v_and_or_b32 v3, v4, s17, v3
	;;#ASMSTART
	v_pk_mul_f16 v2, v29, v2;

	;;#ASMEND
	;;#ASMSTART
	v_pk_mul_f16 v1, v30, v1;

	;;#ASMEND
	;; [unrolled: 4-line block ×4, first 2 shown]
	v_add_f32_e32 v15, v35, v36
	;;#ASMSTART
	v_pk_add_f16 v1, v2, v1;

	;;#ASMEND
	v_add_u32_e32 v17, 2, v17
	;;#ASMSTART
	v_pk_add_f16 v1, v1, v3;

	;;#ASMEND
	v_add_f32_e32 v7, v7, v15
	;;#ASMSTART
	v_pk_add_f16 v1, v1, v4;

	;;#ASMEND
	v_add_f32_e32 v15, v33, v34
	v_lshrrev_b32_e32 v2, 16, v1
	v_and_b32_e32 v1, 0xffff, v1
	;;#ASMSTART
	v_cvt_f32_f16 v1, v1;
	;;#ASMEND
	;;#ASMSTART
	v_cvt_f32_f16 v2, v2;
	;;#ASMEND
	v_cmp_le_i32_e32 vcc, s12, v17
	v_add_f32_e32 v1, v1, v2
	v_add_f32_e32 v6, v6, v15
	;; [unrolled: 1-line block ×3, first 2 shown]
	v_add_u32_e32 v20, 16, v20
	v_add_u32_e32 v21, 64, v21
	s_or_b64 s[6:7], vcc, s[6:7]
	v_lshl_add_u64 v[12:13], v[12:13], 0, 8
	s_andn2_b64 exec, exec, s[6:7]
	s_cbranch_execz .LBB70_47
.LBB70_41:                              ; =>This Inner Loop Header: Depth=1
	global_load_dword v1, v[12:13], off
	ds_read2_b64 v[2:5], v21 offset1:1
	ds_read2_b64 v[22:25], v21 offset0:2 offset1:3
	v_add_u32_e32 v26, 2, v20
	v_or_b32_e32 v27, 3, v20
	s_waitcnt lgkmcnt(1)
	;;#ASMSTART
	v_cvt_f16_f32 v29, v2;

	;;#ASMEND
	;;#ASMSTART
	v_cvt_f16_f32 v30, v3;

	;;#ASMEND
	;;#ASMSTART
	v_cvt_f16_f32 v31, v4;

	;;#ASMEND
	;;#ASMSTART
	v_cvt_f16_f32 v32, v5;

	;;#ASMEND
	s_waitcnt lgkmcnt(0)
	;;#ASMSTART
	v_cvt_f16_f32 v33, v22;

	;;#ASMEND
	;;#ASMSTART
	v_cvt_f16_f32 v34, v23;

	;;#ASMEND
	;; [unrolled: 4-line block ×4, first 2 shown]
	v_add_u32_e32 v25, 4, v20
	v_add_u32_e32 v24, 5, v20
	;; [unrolled: 1-line block ×4, first 2 shown]
	v_or_b32_e32 v28, 1, v20
	s_waitcnt vmcnt(0)
	v_mad_i64_i32 v[2:3], s[0:1], v1, s13, 0
	v_lshl_add_u64 v[14:15], v[2:3], 1, v[10:11]
	global_load_dwordx4 v[2:5], v[14:15], off
	v_cmp_eq_u32_e64 s[0:1], s14, v17
	s_waitcnt vmcnt(0)
	v_lshrrev_b32_e32 v1, 16, v3
	v_lshrrev_b32_e32 v8, 16, v2
	;; [unrolled: 1-line block ×3, first 2 shown]
	s_and_saveexec_b64 s[8:9], s[0:1]
	s_cbranch_execz .LBB70_43
; %bb.42:                               ;   in Loop: Header=BB70_41 Depth=1
	v_cmp_gt_i32_e32 vcc, s33, v20
	s_nop 1
	v_cndmask_b32_e32 v2, 0, v2, vcc
	v_cmp_gt_i32_e32 vcc, s33, v26
	s_nop 1
	v_cndmask_b32_e32 v3, 0, v3, vcc
	;; [unrolled: 3-line block ×6, first 2 shown]
	v_cmp_gt_i32_e32 vcc, s33, v23
	s_nop 1
	v_cndmask_b32_sdwa v38, v9, v5, vcc dst_sel:DWORD dst_unused:UNUSED_PAD src0_sel:DWORD src1_sel:WORD_0
	v_and_b32_e32 v5, 0xffff0000, v5
	v_cmp_gt_i32_e32 vcc, s33, v22
	s_nop 1
	v_cndmask_b32_e32 v5, 0, v5, vcc
	v_or_b32_e32 v5, v38, v5
.LBB70_43:                              ;   in Loop: Header=BB70_41 Depth=1
	s_or_b64 exec, exec, s[8:9]
	v_and_b32_e32 v29, 0xffff, v29
	v_lshlrev_b32_e32 v8, 16, v8
	v_lshlrev_b32_e32 v1, 16, v1
	v_lshl_or_b32 v29, v30, 16, v29
	v_and_b32_e32 v30, 0xffff, v31
	v_and_or_b32 v2, v2, s17, v8
	v_and_or_b32 v1, v3, s17, v1
	v_lshlrev_b32_e32 v3, 16, v37
	v_lshl_or_b32 v30, v32, 16, v30
	v_and_b32_e32 v31, 0xffff, v33
	v_and_b32_e32 v32, 0xffff, v35
	v_and_or_b32 v3, v4, s17, v3
	;;#ASMSTART
	v_pk_mul_f16 v2, v29, v2;

	;;#ASMEND
	;;#ASMSTART
	v_pk_mul_f16 v1, v30, v1;

	;;#ASMEND
	v_lshl_or_b32 v31, v34, 16, v31
	v_lshl_or_b32 v32, v36, 16, v32
	;;#ASMSTART
	v_pk_mul_f16 v3, v31, v3;

	;;#ASMEND
	;;#ASMSTART
	v_pk_mul_f16 v4, v32, v5;

	;;#ASMEND
	;;#ASMSTART
	v_pk_add_f16 v1, v2, v1;

	;;#ASMEND
	s_nop 0
	;;#ASMSTART
	v_pk_add_f16 v1, v1, v3;

	;;#ASMEND
	s_nop 0
	;; [unrolled: 5-line block ×3, first 2 shown]
	v_lshrrev_b32_e32 v2, 16, v1
	v_and_b32_e32 v1, 0xffff, v1
	;;#ASMSTART
	v_cvt_f32_f16 v33, v1;
	;;#ASMEND
	;;#ASMSTART
	v_cvt_f32_f16 v34, v2;
	;;#ASMEND
	global_load_dwordx4 v[2:5], v[14:15], off offset:1024
	s_waitcnt vmcnt(0)
	v_lshrrev_b32_e32 v1, 16, v3
	v_lshrrev_b32_e32 v8, 16, v2
	;; [unrolled: 1-line block ×3, first 2 shown]
	s_and_saveexec_b64 s[8:9], s[0:1]
	s_cbranch_execz .LBB70_45
; %bb.44:                               ;   in Loop: Header=BB70_41 Depth=1
	v_cmp_gt_i32_e32 vcc, s33, v20
	s_nop 1
	v_cndmask_b32_e32 v2, 0, v2, vcc
	v_cmp_gt_i32_e32 vcc, s33, v26
	s_nop 1
	v_cndmask_b32_e32 v3, 0, v3, vcc
	;; [unrolled: 3-line block ×6, first 2 shown]
	v_cmp_gt_i32_e32 vcc, s33, v23
	s_nop 1
	v_cndmask_b32_sdwa v36, v9, v5, vcc dst_sel:DWORD dst_unused:UNUSED_PAD src0_sel:DWORD src1_sel:WORD_0
	v_and_b32_e32 v5, 0xffff0000, v5
	v_cmp_gt_i32_e32 vcc, s33, v22
	s_nop 1
	v_cndmask_b32_e32 v5, 0, v5, vcc
	v_or_b32_e32 v5, v36, v5
.LBB70_45:                              ;   in Loop: Header=BB70_41 Depth=1
	s_or_b64 exec, exec, s[8:9]
	v_lshlrev_b32_e32 v8, 16, v8
	v_lshlrev_b32_e32 v1, 16, v1
	v_and_or_b32 v2, v2, s17, v8
	v_and_or_b32 v1, v3, s17, v1
	v_lshlrev_b32_e32 v3, 16, v35
	v_and_or_b32 v3, v4, s17, v3
	;;#ASMSTART
	v_pk_mul_f16 v2, v29, v2;

	;;#ASMEND
	;;#ASMSTART
	v_pk_mul_f16 v1, v30, v1;

	;;#ASMEND
	;; [unrolled: 4-line block ×4, first 2 shown]
	s_nop 0
	;;#ASMSTART
	v_pk_add_f16 v1, v2, v1;

	;;#ASMEND
	s_nop 0
	;;#ASMSTART
	v_pk_add_f16 v1, v1, v3;

	;;#ASMEND
	;; [unrolled: 5-line block ×3, first 2 shown]
	s_nop 0
	v_lshrrev_b32_e32 v2, 16, v1
	v_and_b32_e32 v1, 0xffff, v1
	;;#ASMSTART
	v_cvt_f32_f16 v35, v1;
	;;#ASMEND
	;;#ASMSTART
	v_cvt_f32_f16 v36, v2;
	;;#ASMEND
	global_load_dwordx4 v[2:5], v[14:15], off offset:2048
	s_waitcnt vmcnt(0)
	v_lshrrev_b32_e32 v1, 16, v3
	v_lshrrev_b32_e32 v8, 16, v2
	;; [unrolled: 1-line block ×3, first 2 shown]
	s_and_saveexec_b64 s[8:9], s[0:1]
	s_cbranch_execz .LBB70_40
; %bb.46:                               ;   in Loop: Header=BB70_41 Depth=1
	v_cmp_gt_i32_e32 vcc, s33, v20
	s_nop 1
	v_cndmask_b32_e32 v2, 0, v2, vcc
	v_cmp_gt_i32_e32 vcc, s33, v26
	s_nop 1
	v_cndmask_b32_e32 v3, 0, v3, vcc
	;; [unrolled: 3-line block ×6, first 2 shown]
	v_cmp_gt_i32_e32 vcc, s33, v23
	s_nop 1
	v_cndmask_b32_sdwa v15, v9, v5, vcc dst_sel:DWORD dst_unused:UNUSED_PAD src0_sel:DWORD src1_sel:WORD_0
	v_and_b32_e32 v5, 0xffff0000, v5
	v_cmp_gt_i32_e32 vcc, s33, v22
	s_nop 1
	v_cndmask_b32_e32 v5, 0, v5, vcc
	v_or_b32_e32 v5, v15, v5
	s_branch .LBB70_40
.LBB70_47:
	s_or_b64 exec, exec, s[6:7]
.LBB70_48:
	s_or_b64 exec, exec, s[2:3]
	v_and_b32_e32 v1, 0x3c0, v0
	v_cmp_eq_u32_e32 vcc, 64, v1
	s_barrier
	s_and_saveexec_b64 s[0:1], vcc
	s_cbranch_execz .LBB70_50
; %bb.49:
	v_mov_b32_e32 v1, 0x190
	v_lshl_add_u32 v1, v18, 2, v1
	ds_write2st64_b32 v1, v6, v7 offset1:1
	ds_write_b32 v1, v19 offset:512
.LBB70_50:
	s_or_b64 exec, exec, s[0:1]
	v_cmp_gt_u32_e32 vcc, 64, v0
	s_waitcnt lgkmcnt(0)
	s_barrier
	s_and_saveexec_b64 s[0:1], vcc
	s_cbranch_execz .LBB70_52
; %bb.51:
	v_mov_b32_e32 v1, 0x190
	v_lshl_add_u32 v2, v0, 2, v1
	ds_read2st64_b32 v[0:1], v2 offset1:1
	ds_read_b32 v2, v2 offset:512
	s_waitcnt lgkmcnt(1)
	v_pk_add_f32 v[6:7], v[6:7], v[0:1]
	s_waitcnt lgkmcnt(0)
	v_add_f32_e32 v19, v19, v2
.LBB70_52:
	s_or_b64 exec, exec, s[0:1]
	s_barrier
	s_and_saveexec_b64 s[0:1], vcc
	s_cbranch_execz .LBB70_54
; %bb.53:
	s_mul_i32 s0, s10, s11
	s_mul_i32 s0, s0, s5
	s_mulk_i32 s0, 0xc0
	s_ashr_i32 s1, s0, 31
	s_lshl_b64 s[0:1], s[0:1], 1
	s_add_u32 s2, s18, s0
	s_mul_i32 s0, s11, s16
	s_addc_u32 s3, s19, s1
	s_ashr_i32 s1, s0, 31
	s_lshl_b64 s[0:1], s[0:1], 1
	s_add_u32 s2, s2, s0
	s_mul_i32 s0, s4, 0xc0
	s_addc_u32 s3, s3, s1
	s_ashr_i32 s1, s0, 31
	s_lshl_b64 s[0:1], s[0:1], 1
	s_add_u32 s0, s2, s0
	s_addc_u32 s1, s3, s1
	;;#ASMSTART
	v_cvt_f16_f32 v0, v6;

	;;#ASMEND
	global_store_short v16, v0, s[0:1]
	;;#ASMSTART
	v_cvt_f16_f32 v0, v7;

	;;#ASMEND
	global_store_short v16, v0, s[0:1] offset:128
	;;#ASMSTART
	v_cvt_f16_f32 v0, v19;

	;;#ASMEND
	global_store_short v16, v0, s[0:1] offset:256
.LBB70_54:
	s_endpgm
	.section	.rodata,"a",@progbits
	.p2align	6, 0x0
	.amdhsa_kernel _ZN4vllm25paged_attention_v1_kernelIttLi192ELi8ELi128ELNS_18Fp8KVCacheDataTypeE0ELb0EEEvPT_PKS2_PKT0_S8_ifPKiSA_iPKfiiiSC_SC_iiiii
		.amdhsa_group_segment_fixed_size 400
		.amdhsa_private_segment_fixed_size 0
		.amdhsa_kernarg_size 384
		.amdhsa_user_sgpr_count 2
		.amdhsa_user_sgpr_dispatch_ptr 0
		.amdhsa_user_sgpr_queue_ptr 0
		.amdhsa_user_sgpr_kernarg_segment_ptr 1
		.amdhsa_user_sgpr_dispatch_id 0
		.amdhsa_user_sgpr_kernarg_preload_length 0
		.amdhsa_user_sgpr_kernarg_preload_offset 0
		.amdhsa_user_sgpr_private_segment_size 0
		.amdhsa_uses_dynamic_stack 0
		.amdhsa_enable_private_segment 0
		.amdhsa_system_sgpr_workgroup_id_x 1
		.amdhsa_system_sgpr_workgroup_id_y 1
		.amdhsa_system_sgpr_workgroup_id_z 1
		.amdhsa_system_sgpr_workgroup_info 0
		.amdhsa_system_vgpr_workitem_id 0
		.amdhsa_next_free_vgpr 63
		.amdhsa_next_free_sgpr 34
		.amdhsa_accum_offset 64
		.amdhsa_reserve_vcc 1
		.amdhsa_float_round_mode_32 0
		.amdhsa_float_round_mode_16_64 0
		.amdhsa_float_denorm_mode_32 3
		.amdhsa_float_denorm_mode_16_64 3
		.amdhsa_dx10_clamp 1
		.amdhsa_ieee_mode 1
		.amdhsa_fp16_overflow 0
		.amdhsa_tg_split 0
		.amdhsa_exception_fp_ieee_invalid_op 0
		.amdhsa_exception_fp_denorm_src 0
		.amdhsa_exception_fp_ieee_div_zero 0
		.amdhsa_exception_fp_ieee_overflow 0
		.amdhsa_exception_fp_ieee_underflow 0
		.amdhsa_exception_fp_ieee_inexact 0
		.amdhsa_exception_int_div_zero 0
	.end_amdhsa_kernel
	.section	.text._ZN4vllm25paged_attention_v1_kernelIttLi192ELi8ELi128ELNS_18Fp8KVCacheDataTypeE0ELb0EEEvPT_PKS2_PKT0_S8_ifPKiSA_iPKfiiiSC_SC_iiiii,"axG",@progbits,_ZN4vllm25paged_attention_v1_kernelIttLi192ELi8ELi128ELNS_18Fp8KVCacheDataTypeE0ELb0EEEvPT_PKS2_PKT0_S8_ifPKiSA_iPKfiiiSC_SC_iiiii,comdat
.Lfunc_end70:
	.size	_ZN4vllm25paged_attention_v1_kernelIttLi192ELi8ELi128ELNS_18Fp8KVCacheDataTypeE0ELb0EEEvPT_PKS2_PKT0_S8_ifPKiSA_iPKfiiiSC_SC_iiiii, .Lfunc_end70-_ZN4vllm25paged_attention_v1_kernelIttLi192ELi8ELi128ELNS_18Fp8KVCacheDataTypeE0ELb0EEEvPT_PKS2_PKT0_S8_ifPKiSA_iPKfiiiSC_SC_iiiii
                                        ; -- End function
	.set _ZN4vllm25paged_attention_v1_kernelIttLi192ELi8ELi128ELNS_18Fp8KVCacheDataTypeE0ELb0EEEvPT_PKS2_PKT0_S8_ifPKiSA_iPKfiiiSC_SC_iiiii.num_vgpr, 63
	.set _ZN4vllm25paged_attention_v1_kernelIttLi192ELi8ELi128ELNS_18Fp8KVCacheDataTypeE0ELb0EEEvPT_PKS2_PKT0_S8_ifPKiSA_iPKfiiiSC_SC_iiiii.num_agpr, 0
	.set _ZN4vllm25paged_attention_v1_kernelIttLi192ELi8ELi128ELNS_18Fp8KVCacheDataTypeE0ELb0EEEvPT_PKS2_PKT0_S8_ifPKiSA_iPKfiiiSC_SC_iiiii.numbered_sgpr, 34
	.set _ZN4vllm25paged_attention_v1_kernelIttLi192ELi8ELi128ELNS_18Fp8KVCacheDataTypeE0ELb0EEEvPT_PKS2_PKT0_S8_ifPKiSA_iPKfiiiSC_SC_iiiii.num_named_barrier, 0
	.set _ZN4vllm25paged_attention_v1_kernelIttLi192ELi8ELi128ELNS_18Fp8KVCacheDataTypeE0ELb0EEEvPT_PKS2_PKT0_S8_ifPKiSA_iPKfiiiSC_SC_iiiii.private_seg_size, 0
	.set _ZN4vllm25paged_attention_v1_kernelIttLi192ELi8ELi128ELNS_18Fp8KVCacheDataTypeE0ELb0EEEvPT_PKS2_PKT0_S8_ifPKiSA_iPKfiiiSC_SC_iiiii.uses_vcc, 1
	.set _ZN4vllm25paged_attention_v1_kernelIttLi192ELi8ELi128ELNS_18Fp8KVCacheDataTypeE0ELb0EEEvPT_PKS2_PKT0_S8_ifPKiSA_iPKfiiiSC_SC_iiiii.uses_flat_scratch, 0
	.set _ZN4vllm25paged_attention_v1_kernelIttLi192ELi8ELi128ELNS_18Fp8KVCacheDataTypeE0ELb0EEEvPT_PKS2_PKT0_S8_ifPKiSA_iPKfiiiSC_SC_iiiii.has_dyn_sized_stack, 0
	.set _ZN4vllm25paged_attention_v1_kernelIttLi192ELi8ELi128ELNS_18Fp8KVCacheDataTypeE0ELb0EEEvPT_PKS2_PKT0_S8_ifPKiSA_iPKfiiiSC_SC_iiiii.has_recursion, 0
	.set _ZN4vllm25paged_attention_v1_kernelIttLi192ELi8ELi128ELNS_18Fp8KVCacheDataTypeE0ELb0EEEvPT_PKS2_PKT0_S8_ifPKiSA_iPKfiiiSC_SC_iiiii.has_indirect_call, 0
	.section	.AMDGPU.csdata,"",@progbits
; Kernel info:
; codeLenInByte = 5696
; TotalNumSgprs: 40
; NumVgprs: 63
; NumAgprs: 0
; TotalNumVgprs: 63
; ScratchSize: 0
; MemoryBound: 0
; FloatMode: 240
; IeeeMode: 1
; LDSByteSize: 400 bytes/workgroup (compile time only)
; SGPRBlocks: 4
; VGPRBlocks: 7
; NumSGPRsForWavesPerEU: 40
; NumVGPRsForWavesPerEU: 63
; AccumOffset: 64
; Occupancy: 8
; WaveLimiterHint : 1
; COMPUTE_PGM_RSRC2:SCRATCH_EN: 0
; COMPUTE_PGM_RSRC2:USER_SGPR: 2
; COMPUTE_PGM_RSRC2:TRAP_HANDLER: 0
; COMPUTE_PGM_RSRC2:TGID_X_EN: 1
; COMPUTE_PGM_RSRC2:TGID_Y_EN: 1
; COMPUTE_PGM_RSRC2:TGID_Z_EN: 1
; COMPUTE_PGM_RSRC2:TIDIG_COMP_CNT: 0
; COMPUTE_PGM_RSRC3_GFX90A:ACCUM_OFFSET: 15
; COMPUTE_PGM_RSRC3_GFX90A:TG_SPLIT: 0
	.section	.text._ZN4vllm25paged_attention_v1_kernelIttLi256ELi8ELi128ELNS_18Fp8KVCacheDataTypeE0ELb0EEEvPT_PKS2_PKT0_S8_ifPKiSA_iPKfiiiSC_SC_iiiii,"axG",@progbits,_ZN4vllm25paged_attention_v1_kernelIttLi256ELi8ELi128ELNS_18Fp8KVCacheDataTypeE0ELb0EEEvPT_PKS2_PKT0_S8_ifPKiSA_iPKfiiiSC_SC_iiiii,comdat
	.protected	_ZN4vllm25paged_attention_v1_kernelIttLi256ELi8ELi128ELNS_18Fp8KVCacheDataTypeE0ELb0EEEvPT_PKS2_PKT0_S8_ifPKiSA_iPKfiiiSC_SC_iiiii ; -- Begin function _ZN4vllm25paged_attention_v1_kernelIttLi256ELi8ELi128ELNS_18Fp8KVCacheDataTypeE0ELb0EEEvPT_PKS2_PKT0_S8_ifPKiSA_iPKfiiiSC_SC_iiiii
	.globl	_ZN4vllm25paged_attention_v1_kernelIttLi256ELi8ELi128ELNS_18Fp8KVCacheDataTypeE0ELb0EEEvPT_PKS2_PKT0_S8_ifPKiSA_iPKfiiiSC_SC_iiiii
	.p2align	8
	.type	_ZN4vllm25paged_attention_v1_kernelIttLi256ELi8ELi128ELNS_18Fp8KVCacheDataTypeE0ELb0EEEvPT_PKS2_PKT0_S8_ifPKiSA_iPKfiiiSC_SC_iiiii,@function
_ZN4vllm25paged_attention_v1_kernelIttLi256ELi8ELi128ELNS_18Fp8KVCacheDataTypeE0ELb0EEEvPT_PKS2_PKT0_S8_ifPKiSA_iPKfiiiSC_SC_iiiii: ; @_ZN4vllm25paged_attention_v1_kernelIttLi256ELi8ELi128ELNS_18Fp8KVCacheDataTypeE0ELb0EEEvPT_PKS2_PKT0_S8_ifPKiSA_iPKfiiiSC_SC_iiiii
; %bb.0:
	s_load_dword s5, s[0:1], 0x80
	s_load_dwordx2 s[6:7], s[0:1], 0x30
	s_load_dwordx2 s[8:9], s[0:1], 0x20
	s_mov_b32 s10, s3
	s_ashr_i32 s11, s3, 31
	s_lshl_b64 s[12:13], s[10:11], 2
	s_waitcnt lgkmcnt(0)
	s_add_u32 s6, s6, s12
	s_addc_u32 s7, s7, s13
	s_abs_i32 s3, s8
	v_cvt_f32_u32_e32 v1, s3
	s_sub_i32 s12, 0, s3
	s_abs_i32 s11, s5
	s_xor_b32 s8, s5, s8
	v_rcp_iflag_f32_e32 v1, v1
	s_ashr_i32 s8, s8, 31
	v_mul_f32_e32 v1, 0x4f7ffffe, v1
	v_cvt_u32_f32_e32 v1, v1
	s_nop 0
	v_readfirstlane_b32 s13, v1
	s_mul_i32 s12, s12, s13
	s_mul_hi_u32 s12, s13, s12
	s_add_i32 s13, s13, s12
	s_mul_hi_u32 s12, s11, s13
	s_mul_i32 s13, s12, s3
	s_sub_i32 s11, s11, s13
	s_add_i32 s13, s12, 1
	s_sub_i32 s14, s11, s3
	s_cmp_ge_u32 s11, s3
	s_cselect_b32 s12, s13, s12
	s_cselect_b32 s11, s14, s11
	s_add_i32 s13, s12, 1
	s_cmp_ge_u32 s11, s3
	s_cselect_b32 s3, s13, s12
	s_xor_b32 s3, s3, s8
	s_sub_i32 s11, s3, s8
	s_abs_i32 s18, s11
	v_cvt_f32_u32_e32 v1, s18
	s_load_dwordx2 s[12:13], s[0:1], 0x40
	s_sub_i32 s3, 0, s18
	s_abs_i32 s19, s2
	v_rcp_iflag_f32_e32 v1, v1
	s_mov_b32 s8, 0
	v_mul_f32_e32 v1, 0x4f7ffffe, v1
	v_cvt_u32_f32_e32 v1, v1
	s_nop 0
	v_readfirstlane_b32 s14, v1
	s_mul_i32 s3, s3, s14
	s_mul_hi_u32 s3, s14, s3
	s_add_i32 s14, s14, s3
	s_waitcnt lgkmcnt(0)
	s_cmp_eq_u64 s[12:13], 0
	s_mul_hi_u32 s22, s19, s14
	s_cbranch_scc1 .LBB71_2
; %bb.1:
	s_ashr_i32 s3, s2, 31
	s_lshl_b64 s[14:15], s[2:3], 2
	s_add_u32 s12, s12, s14
	s_addc_u32 s13, s13, s15
	s_load_dword s8, s[12:13], 0x0
.LBB71_2:
	s_load_dword s33, s[6:7], 0x0
	s_ashr_i32 s24, s11, 31
	s_load_dword s11, s[0:1], 0x88
	s_load_dwordx4 s[12:15], s[0:1], 0x48
	s_ashr_i32 s23, s2, 31
	s_lshl_b32 s16, s2, 8
	s_movk_i32 s2, 0x100
	v_and_b32_e32 v4, 7, v0
	v_cmp_gt_u32_e32 vcc, s2, v0
	v_lshlrev_b32_e32 v19, 1, v0
	s_and_saveexec_b64 s[2:3], vcc
	s_cbranch_execz .LBB71_5
; %bb.3:
	s_load_dwordx2 s[6:7], s[0:1], 0x8
	s_waitcnt lgkmcnt(0)
	s_mul_i32 s20, s12, s10
	s_ashr_i32 s21, s20, 31
	s_lshl_b64 s[20:21], s[20:21], 1
	v_lshrrev_b32_e32 v1, 3, v0
	s_add_u32 s12, s6, s20
	s_addc_u32 s15, s7, s21
	s_ashr_i32 s17, s16, 31
	s_lshl_b64 s[6:7], s[16:17], 1
	s_add_u32 s6, s12, s6
	s_addc_u32 s7, s15, s7
	global_load_ushort v3, v19, s[6:7]
	s_movk_i32 s12, 0x80
	v_lshlrev_b32_e32 v2, 1, v1
	v_lshl_add_u32 v2, v4, 6, v2
	v_cmp_gt_u32_e32 vcc, s12, v0
	s_waitcnt vmcnt(0)
	ds_write_b16 v2, v3
	s_and_b64 exec, exec, vcc
	s_cbranch_execz .LBB71_5
; %bb.4:
	v_lshlrev_b32_e32 v1, 4, v1
	v_lshlrev_b32_e32 v3, 1, v4
	s_movk_i32 s12, 0x100
	v_or3_b32 v1, v1, v3, s12
	global_load_ushort v1, v1, s[6:7]
	s_waitcnt vmcnt(0)
	ds_write_b16 v2, v1 offset:32
.LBB71_5:
	s_or_b64 exec, exec, s[2:3]
	s_waitcnt lgkmcnt(0)
	s_add_i32 s3, s33, 7
	s_ashr_i32 s6, s3, 31
	s_lshr_b32 s6, s6, 29
	s_add_i32 s3, s3, s6
	s_mul_i32 s6, s22, s18
	s_sub_i32 s6, s19, s6
	s_ashr_i32 s12, s3, 3
	s_xor_b32 s3, s23, s24
	s_add_i32 s7, s22, 1
	s_sub_i32 s15, s6, s18
	s_load_dwordx2 s[20:21], s[0:1], 0x28
	s_load_dword s2, s[0:1], 0x38
	s_cmp_ge_u32 s6, s18
	s_cselect_b32 s7, s7, s22
	s_cselect_b32 s6, s15, s6
	s_add_i32 s15, s7, 1
	s_cmp_ge_u32 s6, s18
	s_cselect_b32 s6, s15, s7
	v_lshrrev_b32_e32 v20, 6, v0
	s_xor_b32 s6, s6, s3
	s_waitcnt lgkmcnt(0)
	s_mul_i32 s22, s2, s10
	s_sub_i32 s15, s6, s3
	s_ashr_i32 s23, s22, 31
	v_cmp_gt_i32_e64 s[6:7], s12, v20
	v_cmp_le_i32_e32 vcc, s12, v20
	v_mbcnt_lo_u32_b32 v13, -1, 0
	s_barrier
                                        ; implicit-def: $vgpr6
                                        ; implicit-def: $vgpr8
                                        ; implicit-def: $vgpr7
	s_and_saveexec_b64 s[2:3], vcc
	s_xor_b64 s[2:3], exec, s[2:3]
; %bb.6:
	v_mbcnt_hi_u32_b32 v6, -1, v13
	v_and_b32_e32 v8, 64, v6
	v_add_u32_e32 v7, 64, v8
                                        ; implicit-def: $vgpr4
                                        ; implicit-def: $vgpr13
; %bb.7:
	s_or_saveexec_b64 s[26:27], s[2:3]
	s_load_dwordx2 s[18:19], s[0:1], 0x0
	s_load_dwordx2 s[24:25], s[0:1], 0x18
	v_mov_b32_e32 v9, 0xff7fffff
	s_mul_i32 s14, s15, s14
	v_lshrrev_b32_e32 v1, 4, v0
	s_xor_b64 exec, exec, s[26:27]
	s_cbranch_execz .LBB71_13
; %bb.8:
	s_load_dwordx2 s[0:1], s[0:1], 0x10
	s_ashr_i32 s15, s14, 31
	s_lshl_b64 s[2:3], s[14:15], 1
	v_bfe_u32 v5, v0, 3, 3
	v_lshlrev_b32_e32 v6, 4, v5
	s_waitcnt lgkmcnt(0)
	s_add_u32 s0, s0, s2
	s_addc_u32 s1, s1, s3
	v_mov_b32_e32 v7, 0
	v_lshl_add_u64 v[2:3], s[0:1], 0, v[6:7]
	s_sub_i32 s15, 1, s33
	s_lshl_b64 s[0:1], s[22:23], 2
	v_lshlrev_b32_e32 v6, 1, v4
	v_lshlrev_b32_e32 v10, 6, v4
	v_cmp_eq_u32_e32 vcc, 0, v4
	v_lshlrev_b32_e32 v4, 2, v5
	s_add_u32 s0, s20, s0
	v_lshl_add_u64 v[2:3], v[2:3], 0, v[6:7]
	v_lshl_or_b32 v4, v20, 5, v4
	v_and_b32_e32 v6, 60, v1
	s_addc_u32 s1, s21, s1
	v_lshl_or_b32 v11, v20, 3, v5
	v_add_u32_e32 v12, 0x210, v4
	v_lshl_add_u64 v[4:5], s[0:1], 0, v[6:7]
	v_mbcnt_hi_u32_b32 v6, -1, v13
	v_and_b32_e32 v8, 64, v6
	s_mov_b32 s17, s13
	v_cmp_neq_f32_e64 s[2:3], s8, 0
	v_mov_b32_e32 v9, 0xff7fffff
	s_mov_b64 s[28:29], 0
	v_add_u32_e32 v7, 64, v8
	v_xor_b32_e32 v13, 4, v6
	v_xor_b32_e32 v14, 2, v6
	;; [unrolled: 1-line block ×3, first 2 shown]
	v_mov_b32_e32 v16, v20
	s_branch .LBB71_10
.LBB71_9:                               ;   in Loop: Header=BB71_10 Depth=1
	s_or_b64 exec, exec, s[30:31]
	v_add_u32_e32 v16, 2, v16
	v_cmp_le_i32_e64 s[0:1], s12, v16
	v_add_u32_e32 v11, 16, v11
	v_add_u32_e32 v12, 64, v12
	s_or_b64 s[28:29], s[0:1], s[28:29]
	v_lshl_add_u64 v[4:5], v[4:5], 0, 8
	s_andn2_b64 exec, exec, s[28:29]
	s_cbranch_execz .LBB71_12
.LBB71_10:                              ; =>This Inner Loop Header: Depth=1
	global_load_dword v17, v[4:5], off
	s_waitcnt vmcnt(0)
	v_mad_i64_i32 v[22:23], s[0:1], v17, s17, 0
	v_lshl_add_u64 v[32:33], v[22:23], 1, v[2:3]
	global_load_ushort v34, v[32:33], off
	global_load_ushort v35, v[32:33], off offset:128
	global_load_ushort v37, v[32:33], off offset:256
	;; [unrolled: 1-line block ×7, first 2 shown]
	ds_read_u16 v36, v10
	global_load_ushort v49, v[32:33], off offset:1024
	global_load_ushort v51, v[32:33], off offset:1152
	;; [unrolled: 1-line block ×22, first 2 shown]
	s_waitcnt lgkmcnt(1)
	global_load_ushort v18, v[32:33], off offset:3840
	global_load_ushort v17, v[32:33], off offset:3968
	s_waitcnt lgkmcnt(0)
	;;#ASMSTART
	v_cvt_f32_f16 v32, v36;
	;;#ASMEND
	v_cmp_lt_i32_e64 s[0:1], v13, v7
	s_waitcnt vmcnt(31)
	;;#ASMSTART
	v_cvt_f32_f16 v33, v34;
	;;#ASMEND
	ds_read_u16 v34, v10 offset:2
	s_waitcnt lgkmcnt(0)
	;;#ASMSTART
	v_cvt_f32_f16 v34, v34;
	;;#ASMEND
	s_waitcnt vmcnt(30)
	;;#ASMSTART
	v_cvt_f32_f16 v35, v35;
	;;#ASMEND
	ds_read_u16 v36, v10 offset:4
	v_mul_f32_e32 v34, v34, v35
	v_fmac_f32_e32 v34, v32, v33
	s_waitcnt lgkmcnt(0)
	;;#ASMSTART
	v_cvt_f32_f16 v36, v36;
	;;#ASMEND
	s_waitcnt vmcnt(29)
	;;#ASMSTART
	v_cvt_f32_f16 v37, v37;
	;;#ASMEND
	ds_read_u16 v38, v10 offset:6
	v_fmac_f32_e32 v34, v36, v37
	s_waitcnt lgkmcnt(0)
	;;#ASMSTART
	v_cvt_f32_f16 v38, v38;
	;;#ASMEND
	s_waitcnt vmcnt(28)
	;;#ASMSTART
	v_cvt_f32_f16 v39, v39;
	;;#ASMEND
	ds_read_u16 v40, v10 offset:8
	;; [unrolled: 10-line block ×27, first 2 shown]
	v_fmac_f32_e32 v34, v33, v22
	s_waitcnt lgkmcnt(0)
	;;#ASMSTART
	v_cvt_f32_f16 v28, v36;
	;;#ASMEND
	s_waitcnt vmcnt(2)
	;;#ASMSTART
	v_cvt_f32_f16 v21, v21;
	;;#ASMEND
	v_cndmask_b32_e64 v49, v6, v13, s[0:1]
	v_fmac_f32_e32 v34, v28, v21
	ds_read_u16 v29, v10 offset:60
	s_waitcnt lgkmcnt(0)
	;;#ASMSTART
	v_cvt_f32_f16 v24, v29;
	;;#ASMEND
	s_waitcnt vmcnt(1)
	;;#ASMSTART
	v_cvt_f32_f16 v18, v18;
	;;#ASMEND
	v_lshlrev_b32_e32 v49, 2, v49
	v_fmac_f32_e32 v34, v24, v18
	ds_read_u16 v25, v10 offset:62
	s_waitcnt lgkmcnt(0)
	;;#ASMSTART
	v_cvt_f32_f16 v18, v25;
	;;#ASMEND
	s_waitcnt vmcnt(0)
	;;#ASMSTART
	v_cvt_f32_f16 v17, v17;
	;;#ASMEND
	v_cmp_lt_i32_e64 s[0:1], v14, v7
	v_fmac_f32_e32 v34, v18, v17
	ds_bpermute_b32 v17, v49, v34
	v_cndmask_b32_e64 v18, v6, v14, s[0:1]
	v_lshlrev_b32_e32 v18, 2, v18
	v_cmp_lt_i32_e64 s[0:1], v15, v7
	s_waitcnt lgkmcnt(0)
	v_add_f32_e32 v17, v34, v17
	ds_bpermute_b32 v18, v18, v17
	v_cndmask_b32_e64 v21, v6, v15, s[0:1]
	s_waitcnt lgkmcnt(0)
	v_add_f32_e32 v17, v17, v18
	v_lshlrev_b32_e32 v18, 2, v21
	ds_bpermute_b32 v18, v18, v17
	s_and_saveexec_b64 s[30:31], vcc
	s_cbranch_execz .LBB71_9
; %bb.11:                               ;   in Loop: Header=BB71_10 Depth=1
	v_add_u32_e32 v21, s15, v11
	v_cvt_f32_i32_e32 v21, v21
	s_waitcnt lgkmcnt(0)
	v_add_f32_e32 v17, v17, v18
	v_cmp_gt_i32_e64 s[0:1], s33, v11
	v_max_f32_e32 v18, v9, v9
	v_mul_f32_e32 v21, s8, v21
	v_cndmask_b32_e64 v21, 0, v21, s[2:3]
	v_fmac_f32_e32 v21, s9, v17
	v_cndmask_b32_e64 v17, 0, v21, s[0:1]
	ds_write_b32 v12, v17
	v_max_f32_e32 v17, v18, v21
	v_cndmask_b32_e64 v9, v9, v17, s[0:1]
	s_branch .LBB71_9
.LBB71_12:
	s_or_b64 exec, exec, s[28:29]
.LBB71_13:
	s_or_b64 exec, exec, s[26:27]
	v_xor_b32_e32 v2, 32, v6
	v_cmp_lt_i32_e32 vcc, v2, v7
	v_xor_b32_e32 v5, 16, v6
	v_max_f32_e32 v4, v9, v9
	v_cndmask_b32_e32 v2, v6, v2, vcc
	v_lshlrev_b32_e32 v3, 2, v2
	ds_bpermute_b32 v2, v3, v9
	v_cmp_lt_i32_e32 vcc, v5, v7
	v_xor_b32_e32 v9, 8, v6
	v_and_b32_e32 v21, 63, v0
	s_waitcnt lgkmcnt(0)
	v_max_f32_e32 v2, v2, v2
	v_max_f32_e32 v2, v4, v2
	v_cndmask_b32_e32 v4, v6, v5, vcc
	v_lshlrev_b32_e32 v5, 2, v4
	ds_bpermute_b32 v4, v5, v2
	v_cmp_lt_i32_e32 vcc, v9, v7
	s_waitcnt lgkmcnt(0)
	v_max_f32_e32 v4, v4, v4
	v_max_f32_e32 v4, v2, v4
	v_cndmask_b32_e32 v2, v6, v9, vcc
	v_lshlrev_b32_e32 v10, 2, v2
	ds_bpermute_b32 v9, v10, v4
	v_cmp_eq_u32_e32 vcc, 0, v21
	v_lshlrev_b32_e32 v2, 2, v20
	s_and_saveexec_b64 s[0:1], vcc
	s_cbranch_execz .LBB71_15
; %bb.14:
	s_waitcnt lgkmcnt(0)
	v_max_f32_e32 v9, v9, v9
	v_max_f32_e32 v4, v4, v4
	;; [unrolled: 1-line block ×3, first 2 shown]
	ds_write_b32 v2, v4 offset:512
.LBB71_15:
	s_or_b64 exec, exec, s[0:1]
	v_cmp_gt_u32_e64 s[0:1], 2, v21
	v_mov_b32_e32 v11, 0xff7fffff
	v_lshlrev_b32_e32 v4, 2, v21
	s_waitcnt lgkmcnt(0)
	s_barrier
	s_and_saveexec_b64 s[2:3], s[0:1]
; %bb.16:
	ds_read_b32 v11, v4 offset:512
; %bb.17:
	s_or_b64 exec, exec, s[2:3]
	v_xor_b32_e32 v9, 1, v6
	v_cmp_lt_i32_e64 s[2:3], v9, v7
	v_lshlrev_b32_e32 v8, 2, v8
	s_nop 0
	v_cndmask_b32_e64 v9, v6, v9, s[2:3]
	v_lshlrev_b32_e32 v9, 2, v9
	s_waitcnt lgkmcnt(0)
	ds_bpermute_b32 v12, v9, v11
	v_max_f32_e32 v11, v11, v11
	s_lshl_b32 s2, s12, 3
	s_min_i32 s15, s2, s33
	v_cmp_gt_i32_e64 s[2:3], s15, v0
	s_waitcnt lgkmcnt(0)
	v_max_f32_e32 v12, v12, v12
	v_max_f32_e32 v11, v11, v12
	ds_bpermute_b32 v11, v8, v11
	v_mov_b32_e32 v8, 0
	s_and_saveexec_b64 s[26:27], s[2:3]
	s_cbranch_execz .LBB71_21
; %bb.18:
	v_mov_b32_e32 v8, 0x210
	v_lshl_add_u32 v12, v0, 2, v8
	v_mov_b32_e32 v8, 0
	s_mov_b64 s[28:29], 0
	v_mov_b32_e32 v13, v0
.LBB71_19:                              ; =>This Inner Loop Header: Depth=1
	ds_read_b32 v14, v12
	v_add_u32_e32 v13, 0x80, v13
	v_cmp_le_i32_e64 s[8:9], s15, v13
	s_or_b64 s[28:29], s[8:9], s[28:29]
	s_waitcnt lgkmcnt(0)
	v_sub_f32_e32 v14, v14, v11
	v_mul_f32_e32 v14, 0x3fb8aa3b, v14
	v_exp_f32_e32 v14, v14
	ds_write_b32 v12, v14
	v_add_f32_e32 v8, v8, v14
	v_add_u32_e32 v12, 0x200, v12
	s_andn2_b64 exec, exec, s[28:29]
	s_cbranch_execnz .LBB71_19
; %bb.20:
	s_or_b64 exec, exec, s[28:29]
.LBB71_21:
	s_or_b64 exec, exec, s[26:27]
	ds_bpermute_b32 v3, v3, v8
	s_waitcnt lgkmcnt(0)
	v_add_f32_e32 v3, v8, v3
	ds_bpermute_b32 v5, v5, v3
	v_xor_b32_e32 v8, 4, v6
	v_cmp_lt_i32_e64 s[8:9], v8, v7
	s_waitcnt lgkmcnt(0)
	v_add_f32_e32 v3, v3, v5
	ds_bpermute_b32 v5, v10, v3
	v_cndmask_b32_e64 v8, v6, v8, s[8:9]
	v_lshlrev_b32_e32 v8, 2, v8
	s_waitcnt lgkmcnt(0)
	v_add_f32_e32 v3, v3, v5
	ds_bpermute_b32 v5, v8, v3
	v_xor_b32_e32 v8, 2, v6
	v_cmp_lt_i32_e64 s[8:9], v8, v7
	s_waitcnt lgkmcnt(0)
	v_add_f32_e32 v3, v3, v5
	v_cndmask_b32_e64 v7, v6, v8, s[8:9]
	v_lshlrev_b32_e32 v5, 2, v7
	ds_bpermute_b32 v5, v5, v3
	s_waitcnt lgkmcnt(0)
	v_add_f32_e32 v3, v3, v5
	ds_bpermute_b32 v5, v9, v3
	s_waitcnt lgkmcnt(0)
	v_add_f32_e32 v3, v3, v5
	s_and_saveexec_b64 s[8:9], vcc
; %bb.22:
	ds_write_b32 v2, v3 offset:520
; %bb.23:
	s_or_b64 exec, exec, s[8:9]
	s_waitcnt lgkmcnt(0)
	s_barrier
	s_and_saveexec_b64 s[8:9], s[0:1]
; %bb.24:
	ds_read_b32 v3, v4 offset:520
; %bb.25:
	s_or_b64 exec, exec, s[8:9]
	s_waitcnt lgkmcnt(0)
	ds_bpermute_b32 v2, v9, v3
	v_lshlrev_b32_e32 v4, 2, v6
	s_waitcnt lgkmcnt(0)
	v_add_f32_e32 v2, v3, v2
	v_and_b32_e32 v3, 0xffffff00, v4
	ds_bpermute_b32 v2, v3, v2
	s_and_saveexec_b64 s[0:1], s[2:3]
	s_cbranch_execz .LBB71_38
; %bb.26:
	s_waitcnt lgkmcnt(0)
	v_add_f32_e32 v2, 0x358637bd, v2
	v_div_scale_f32 v3, s[2:3], v2, v2, 1.0
	v_rcp_f32_e32 v4, v3
	v_div_scale_f32 v5, vcc, 1.0, v2, 1.0
	s_movk_i32 s2, 0x7f
	v_fma_f32 v6, -v3, v4, 1.0
	v_fmac_f32_e32 v4, v6, v4
	v_mul_f32_e32 v6, v5, v4
	v_fma_f32 v7, -v3, v6, v5
	v_fmac_f32_e32 v6, v7, v4
	v_fma_f32 v3, -v3, v6, v5
	v_div_fmas_f32 v3, v3, v4, v6
	v_xad_u32 v4, v0, -1, s15
	v_div_fixup_f32 v2, v3, v2, 1.0
	v_cmp_lt_u32_e32 vcc, s2, v4
	s_mov_b64 s[8:9], -1
	v_mov_b32_e32 v3, v0
	s_and_saveexec_b64 s[2:3], vcc
	s_cbranch_execz .LBB71_35
; %bb.27:
	v_lshrrev_b32_e32 v4, 7, v4
	v_add_u32_e32 v6, -1, v4
	v_lshrrev_b32_e32 v5, 1, v6
	v_mov_b32_e32 v3, v2
	v_add_u32_e32 v5, 1, v5
	v_cmp_lt_u32_e32 vcc, 13, v6
	v_mov_b32_e32 v8, 0
	s_and_saveexec_b64 s[8:9], vcc
	s_cbranch_execz .LBB71_31
; %bb.28:
	v_mov_b32_e32 v7, 0x210
	v_and_b32_e32 v6, -8, v5
	v_lshl_add_u32 v7, v0, 2, v7
	s_mov_b32 s17, 0
	s_mov_b64 s[26:27], 0
.LBB71_29:                              ; =>This Inner Loop Header: Depth=1
	ds_read2st64_b32 v[8:9], v7 offset1:2
	ds_read2st64_b32 v[10:11], v7 offset0:4 offset1:6
	ds_read2st64_b32 v[12:13], v7 offset0:8 offset1:10
	;; [unrolled: 1-line block ×3, first 2 shown]
	v_add_u32_e32 v6, -8, v6
	s_waitcnt lgkmcnt(3)
	v_pk_mul_f32 v[8:9], v[2:3], v[8:9]
	s_waitcnt lgkmcnt(2)
	v_pk_mul_f32 v[10:11], v[2:3], v[10:11]
	ds_write2st64_b32 v7, v8, v9 offset1:2
	ds_write2st64_b32 v7, v10, v11 offset0:4 offset1:6
	ds_read2st64_b32 v[10:11], v7 offset0:16 offset1:18
	s_waitcnt lgkmcnt(4)
	v_pk_mul_f32 v[8:9], v[2:3], v[12:13]
	ds_write2st64_b32 v7, v8, v9 offset0:8 offset1:10
	s_waitcnt lgkmcnt(4)
	v_pk_mul_f32 v[8:9], v[2:3], v[14:15]
	ds_write2st64_b32 v7, v8, v9 offset0:12 offset1:14
	ds_read2st64_b32 v[8:9], v7 offset0:20 offset1:22
	s_waitcnt lgkmcnt(3)
	v_pk_mul_f32 v[10:11], v[2:3], v[10:11]
	ds_read2st64_b32 v[12:13], v7 offset0:24 offset1:26
	ds_write2st64_b32 v7, v10, v11 offset0:16 offset1:18
	ds_read2st64_b32 v[10:11], v7 offset0:28 offset1:30
	s_waitcnt lgkmcnt(3)
	v_pk_mul_f32 v[8:9], v[2:3], v[8:9]
	ds_write2st64_b32 v7, v8, v9 offset0:20 offset1:22
	s_waitcnt lgkmcnt(3)
	v_pk_mul_f32 v[8:9], v[2:3], v[12:13]
	ds_write2st64_b32 v7, v8, v9 offset0:24 offset1:26
	s_waitcnt lgkmcnt(2)
	v_pk_mul_f32 v[8:9], v[2:3], v[10:11]
	s_add_i32 s17, s17, 16
	v_cmp_eq_u32_e32 vcc, 0, v6
	ds_write2st64_b32 v7, v8, v9 offset0:28 offset1:30
	v_add_u32_e32 v7, 0x2000, v7
	s_or_b64 s[26:27], vcc, s[26:27]
	v_mov_b32_e32 v8, s17
	s_andn2_b64 exec, exec, s[26:27]
	s_cbranch_execnz .LBB71_29
; %bb.30:
	s_or_b64 exec, exec, s[26:27]
.LBB71_31:
	s_or_b64 exec, exec, s[8:9]
	v_and_b32_e32 v5, 7, v5
	v_cmp_ne_u32_e32 vcc, 0, v5
	s_and_saveexec_b64 s[8:9], vcc
	s_cbranch_execz .LBB71_34
; %bb.32:
	v_lshlrev_b32_e32 v6, 9, v8
	v_lshlrev_b32_e32 v7, 2, v0
	s_movk_i32 s17, 0x210
	v_add3_u32 v6, v6, v7, s17
	s_mov_b64 s[26:27], 0
.LBB71_33:                              ; =>This Inner Loop Header: Depth=1
	ds_read2st64_b32 v[8:9], v6 offset1:2
	v_add_u32_e32 v5, -1, v5
	v_cmp_eq_u32_e32 vcc, 0, v5
	s_or_b64 s[26:27], vcc, s[26:27]
	s_waitcnt lgkmcnt(0)
	v_pk_mul_f32 v[8:9], v[2:3], v[8:9]
	ds_write2st64_b32 v6, v8, v9 offset1:2
	v_add_u32_e32 v6, 0x400, v6
	s_andn2_b64 exec, exec, s[26:27]
	s_cbranch_execnz .LBB71_33
.LBB71_34:
	s_or_b64 exec, exec, s[8:9]
	v_add_u32_e32 v4, 1, v4
	v_and_b32_e32 v5, 0x3fffffe, v4
	v_cmp_ne_u32_e32 vcc, v4, v5
	v_lshl_add_u32 v3, v5, 7, v0
	s_orn2_b64 s[8:9], vcc, exec
.LBB71_35:
	s_or_b64 exec, exec, s[2:3]
	s_and_b64 exec, exec, s[8:9]
	s_cbranch_execz .LBB71_38
; %bb.36:
	v_mov_b32_e32 v4, 0x210
	v_lshl_add_u32 v4, v3, 2, v4
	s_mov_b64 s[2:3], 0
.LBB71_37:                              ; =>This Inner Loop Header: Depth=1
	ds_read_b32 v5, v4
	v_add_u32_e32 v3, 0x80, v3
	v_cmp_le_i32_e32 vcc, s15, v3
	s_or_b64 s[2:3], vcc, s[2:3]
	s_waitcnt lgkmcnt(0)
	v_mul_f32_e32 v5, v2, v5
	ds_write_b32 v4, v5
	v_add_u32_e32 v4, 0x200, v4
	s_andn2_b64 exec, exec, s[2:3]
	s_cbranch_execnz .LBB71_37
.LBB71_38:
	s_or_b64 exec, exec, s[0:1]
	v_mov_b32_e32 v6, 0
	v_mov_b32_e32 v7, v6
	v_mov_b64_e32 v[8:9], v[6:7]
	s_waitcnt lgkmcnt(0)
	s_barrier
	s_and_saveexec_b64 s[2:3], s[6:7]
	s_cbranch_execz .LBB71_50
; %bb.39:
	s_ashr_i32 s15, s14, 31
	s_lshl_b64 s[0:1], s[14:15], 1
	s_add_u32 s0, s24, s0
	s_addc_u32 s1, s25, s1
	v_lshlrev_b32_e32 v2, 4, v21
	v_mov_b32_e32 v3, v6
	s_add_i32 s14, s12, -1
	v_lshl_add_u64 v[10:11], s[0:1], 0, v[2:3]
	s_lshl_b64 s[0:1], s[22:23], 2
	v_mov_b32_e32 v2, 0x210
	s_add_u32 s0, s20, s0
	v_lshl_add_u32 v22, v20, 5, v2
	v_and_b32_e32 v2, 60, v1
	s_addc_u32 s1, s21, s1
	s_mov_b32 s15, s33
	v_lshlrev_b32_e32 v7, 3, v20
	v_lshl_add_u64 v[14:15], s[0:1], 0, v[2:3]
	s_mov_b64 s[6:7], 0
	s_mov_b32 s17, 0xffff
	v_mov_b32_e32 v13, 0
	v_mov_b32_e32 v12, 0
	;; [unrolled: 1-line block ×4, first 2 shown]
	s_branch .LBB71_41
.LBB71_40:                              ;   in Loop: Header=BB71_41 Depth=1
	s_or_b64 exec, exec, s[8:9]
	v_lshlrev_b32_e32 v16, 16, v16
	v_lshlrev_b32_e32 v1, 16, v1
	v_and_or_b32 v2, v2, s17, v16
	v_and_or_b32 v1, v3, s17, v1
	v_lshlrev_b32_e32 v3, 16, v17
	v_and_or_b32 v3, v4, s17, v3
	;;#ASMSTART
	v_pk_mul_f16 v2, v30, v2;

	;;#ASMEND
	;;#ASMSTART
	v_pk_mul_f16 v1, v31, v1;

	;;#ASMEND
	;; [unrolled: 4-line block ×4, first 2 shown]
	v_add_f32_e32 v18, v18, v38
	;;#ASMSTART
	v_pk_add_f16 v1, v2, v1;

	;;#ASMEND
	v_add_f32_e32 v12, v12, v18
	;;#ASMSTART
	v_pk_add_f16 v1, v1, v3;

	;;#ASMEND
	;; [unrolled: 5-line block ×3, first 2 shown]
	v_add_u32_e32 v20, 2, v20
	v_lshrrev_b32_e32 v2, 16, v1
	v_and_b32_e32 v1, 0xffff, v1
	;;#ASMSTART
	v_cvt_f32_f16 v1, v1;
	;;#ASMEND
	v_add_f32_e32 v9, v9, v18
	v_add_f32_e32 v18, v34, v35
	;;#ASMSTART
	v_cvt_f32_f16 v2, v2;
	;;#ASMEND
	v_cmp_le_i32_e32 vcc, s12, v20
	v_add_f32_e32 v1, v1, v2
	v_add_f32_e32 v8, v8, v18
	;; [unrolled: 1-line block ×3, first 2 shown]
	v_add_u32_e32 v7, 16, v7
	v_add_u32_e32 v22, 64, v22
	s_or_b64 s[6:7], vcc, s[6:7]
	v_lshl_add_u64 v[14:15], v[14:15], 0, 8
	s_andn2_b64 exec, exec, s[6:7]
	s_cbranch_execz .LBB71_49
.LBB71_41:                              ; =>This Inner Loop Header: Depth=1
	global_load_dword v1, v[14:15], off
	ds_read2_b64 v[2:5], v22 offset1:1
	ds_read2_b64 v[24:27], v22 offset0:2 offset1:3
	v_add_u32_e32 v23, 7, v7
	v_or_b32_e32 v28, 3, v7
	s_waitcnt lgkmcnt(1)
	;;#ASMSTART
	v_cvt_f16_f32 v30, v2;

	;;#ASMEND
	;;#ASMSTART
	v_cvt_f16_f32 v31, v3;

	;;#ASMEND
	;; [unrolled: 4-line block ×4, first 2 shown]
	s_waitcnt lgkmcnt(0)
	;;#ASMSTART
	v_cvt_f16_f32 v34, v24;

	;;#ASMEND
	;;#ASMSTART
	v_cvt_f16_f32 v35, v25;

	;;#ASMEND
	;; [unrolled: 4-line block ×4, first 2 shown]
	v_add_u32_e32 v27, 2, v7
	v_add_u32_e32 v26, 4, v7
	;; [unrolled: 1-line block ×4, first 2 shown]
	v_or_b32_e32 v29, 1, v7
	s_waitcnt vmcnt(0)
	v_mad_i64_i32 v[2:3], s[0:1], v1, s13, 0
	v_lshl_add_u64 v[16:17], v[2:3], 1, v[10:11]
	global_load_dwordx4 v[2:5], v[16:17], off
	v_cmp_eq_u32_e64 s[0:1], s14, v20
	s_waitcnt vmcnt(0)
	v_lshrrev_b32_e32 v1, 16, v3
	v_lshrrev_b32_e32 v18, 16, v2
	v_lshrrev_b32_e32 v38, 16, v4
	s_and_saveexec_b64 s[8:9], s[0:1]
	s_cbranch_execz .LBB71_43
; %bb.42:                               ;   in Loop: Header=BB71_41 Depth=1
	v_cmp_gt_i32_e32 vcc, s33, v7
	s_nop 1
	v_cndmask_b32_e32 v2, 0, v2, vcc
	v_cmp_gt_i32_e32 vcc, s33, v27
	s_nop 1
	v_cndmask_b32_e32 v3, 0, v3, vcc
	;; [unrolled: 3-line block ×6, first 2 shown]
	v_cmp_gt_i32_e32 vcc, s33, v24
	s_nop 1
	v_cndmask_b32_sdwa v39, v6, v5, vcc dst_sel:DWORD dst_unused:UNUSED_PAD src0_sel:DWORD src1_sel:WORD_0
	v_and_b32_e32 v5, 0xffff0000, v5
	v_cmp_gt_i32_e32 vcc, s33, v23
	s_nop 1
	v_cndmask_b32_e32 v5, 0, v5, vcc
	v_or_b32_e32 v5, v39, v5
.LBB71_43:                              ;   in Loop: Header=BB71_41 Depth=1
	s_or_b64 exec, exec, s[8:9]
	v_and_b32_e32 v30, 0xffff, v30
	v_lshlrev_b32_e32 v18, 16, v18
	v_lshlrev_b32_e32 v1, 16, v1
	v_lshl_or_b32 v30, v31, 16, v30
	v_and_b32_e32 v31, 0xffff, v32
	v_and_or_b32 v2, v2, s17, v18
	v_and_or_b32 v1, v3, s17, v1
	v_lshlrev_b32_e32 v3, 16, v38
	v_lshl_or_b32 v31, v33, 16, v31
	v_and_b32_e32 v32, 0xffff, v34
	v_and_b32_e32 v33, 0xffff, v36
	v_and_or_b32 v3, v4, s17, v3
	;;#ASMSTART
	v_pk_mul_f16 v2, v30, v2;

	;;#ASMEND
	;;#ASMSTART
	v_pk_mul_f16 v1, v31, v1;

	;;#ASMEND
	v_lshl_or_b32 v32, v35, 16, v32
	v_lshl_or_b32 v33, v37, 16, v33
	;;#ASMSTART
	v_pk_mul_f16 v3, v32, v3;

	;;#ASMEND
	;;#ASMSTART
	v_pk_mul_f16 v4, v33, v5;

	;;#ASMEND
	;;#ASMSTART
	v_pk_add_f16 v1, v2, v1;

	;;#ASMEND
	s_nop 0
	;;#ASMSTART
	v_pk_add_f16 v1, v1, v3;

	;;#ASMEND
	s_nop 0
	;; [unrolled: 5-line block ×3, first 2 shown]
	v_lshrrev_b32_e32 v2, 16, v1
	v_and_b32_e32 v1, 0xffff, v1
	;;#ASMSTART
	v_cvt_f32_f16 v34, v1;
	;;#ASMEND
	;;#ASMSTART
	v_cvt_f32_f16 v35, v2;
	;;#ASMEND
	global_load_dwordx4 v[2:5], v[16:17], off offset:1024
	s_waitcnt vmcnt(0)
	v_lshrrev_b32_e32 v1, 16, v3
	v_lshrrev_b32_e32 v18, 16, v2
	;; [unrolled: 1-line block ×3, first 2 shown]
	s_and_saveexec_b64 s[8:9], s[0:1]
	s_cbranch_execz .LBB71_45
; %bb.44:                               ;   in Loop: Header=BB71_41 Depth=1
	v_cmp_gt_i32_e32 vcc, s33, v7
	s_nop 1
	v_cndmask_b32_e32 v2, 0, v2, vcc
	v_cmp_gt_i32_e32 vcc, s33, v27
	s_nop 1
	v_cndmask_b32_e32 v3, 0, v3, vcc
	;; [unrolled: 3-line block ×6, first 2 shown]
	v_cmp_gt_i32_e32 vcc, s33, v24
	s_nop 1
	v_cndmask_b32_sdwa v37, v6, v5, vcc dst_sel:DWORD dst_unused:UNUSED_PAD src0_sel:DWORD src1_sel:WORD_0
	v_and_b32_e32 v5, 0xffff0000, v5
	v_cmp_gt_i32_e32 vcc, s33, v23
	s_nop 1
	v_cndmask_b32_e32 v5, 0, v5, vcc
	v_or_b32_e32 v5, v37, v5
.LBB71_45:                              ;   in Loop: Header=BB71_41 Depth=1
	s_or_b64 exec, exec, s[8:9]
	v_lshlrev_b32_e32 v18, 16, v18
	v_lshlrev_b32_e32 v1, 16, v1
	v_and_or_b32 v2, v2, s17, v18
	v_and_or_b32 v1, v3, s17, v1
	v_lshlrev_b32_e32 v3, 16, v36
	v_and_or_b32 v3, v4, s17, v3
	;;#ASMSTART
	v_pk_mul_f16 v2, v30, v2;

	;;#ASMEND
	;;#ASMSTART
	v_pk_mul_f16 v1, v31, v1;

	;;#ASMEND
	;; [unrolled: 4-line block ×4, first 2 shown]
	s_nop 0
	;;#ASMSTART
	v_pk_add_f16 v1, v2, v1;

	;;#ASMEND
	s_nop 0
	;;#ASMSTART
	v_pk_add_f16 v1, v1, v3;

	;;#ASMEND
	;; [unrolled: 5-line block ×3, first 2 shown]
	s_nop 0
	v_lshrrev_b32_e32 v2, 16, v1
	v_and_b32_e32 v1, 0xffff, v1
	;;#ASMSTART
	v_cvt_f32_f16 v36, v1;
	;;#ASMEND
	;;#ASMSTART
	v_cvt_f32_f16 v37, v2;
	;;#ASMEND
	global_load_dwordx4 v[2:5], v[16:17], off offset:2048
	s_waitcnt vmcnt(0)
	v_lshrrev_b32_e32 v1, 16, v3
	v_lshrrev_b32_e32 v18, 16, v2
	;; [unrolled: 1-line block ×3, first 2 shown]
	s_and_saveexec_b64 s[8:9], s[0:1]
	s_cbranch_execz .LBB71_47
; %bb.46:                               ;   in Loop: Header=BB71_41 Depth=1
	v_cmp_gt_i32_e32 vcc, s33, v7
	s_nop 1
	v_cndmask_b32_e32 v2, 0, v2, vcc
	v_cmp_gt_i32_e32 vcc, s33, v27
	s_nop 1
	v_cndmask_b32_e32 v3, 0, v3, vcc
	v_cmp_gt_i32_e32 vcc, s15, v28
	s_nop 1
	v_cndmask_b32_e32 v1, 0, v1, vcc
	v_cmp_gt_i32_e32 vcc, s33, v29
	s_nop 1
	v_cndmask_b32_e32 v18, 0, v18, vcc
	v_cmp_gt_i32_e32 vcc, s33, v26
	s_nop 1
	v_cndmask_b32_e32 v4, 0, v4, vcc
	v_cmp_gt_i32_e32 vcc, s33, v25
	s_nop 1
	v_cndmask_b32_e32 v38, 0, v38, vcc
	v_cmp_gt_i32_e32 vcc, s33, v24
	s_nop 1
	v_cndmask_b32_sdwa v39, v6, v5, vcc dst_sel:DWORD dst_unused:UNUSED_PAD src0_sel:DWORD src1_sel:WORD_0
	v_and_b32_e32 v5, 0xffff0000, v5
	v_cmp_gt_i32_e32 vcc, s33, v23
	s_nop 1
	v_cndmask_b32_e32 v5, 0, v5, vcc
	v_or_b32_e32 v5, v39, v5
.LBB71_47:                              ;   in Loop: Header=BB71_41 Depth=1
	s_or_b64 exec, exec, s[8:9]
	v_lshlrev_b32_e32 v18, 16, v18
	v_lshlrev_b32_e32 v1, 16, v1
	v_and_or_b32 v2, v2, s17, v18
	v_and_or_b32 v1, v3, s17, v1
	v_lshlrev_b32_e32 v3, 16, v38
	v_and_or_b32 v3, v4, s17, v3
	;;#ASMSTART
	v_pk_mul_f16 v2, v30, v2;

	;;#ASMEND
	;;#ASMSTART
	v_pk_mul_f16 v1, v31, v1;

	;;#ASMEND
	;; [unrolled: 4-line block ×4, first 2 shown]
	s_nop 0
	;;#ASMSTART
	v_pk_add_f16 v1, v2, v1;

	;;#ASMEND
	s_nop 0
	;;#ASMSTART
	v_pk_add_f16 v1, v1, v3;

	;;#ASMEND
	;; [unrolled: 5-line block ×3, first 2 shown]
	s_nop 0
	v_lshrrev_b32_e32 v2, 16, v1
	v_and_b32_e32 v1, 0xffff, v1
	;;#ASMSTART
	v_cvt_f32_f16 v18, v1;
	;;#ASMEND
	;;#ASMSTART
	v_cvt_f32_f16 v38, v2;
	;;#ASMEND
	global_load_dwordx4 v[2:5], v[16:17], off offset:3072
	s_waitcnt vmcnt(0)
	v_lshrrev_b32_e32 v1, 16, v3
	v_lshrrev_b32_e32 v16, 16, v2
	;; [unrolled: 1-line block ×3, first 2 shown]
	s_and_saveexec_b64 s[8:9], s[0:1]
	s_cbranch_execz .LBB71_40
; %bb.48:                               ;   in Loop: Header=BB71_41 Depth=1
	v_cmp_gt_i32_e32 vcc, s33, v7
	s_nop 1
	v_cndmask_b32_e32 v2, 0, v2, vcc
	v_cmp_gt_i32_e32 vcc, s33, v27
	s_nop 1
	v_cndmask_b32_e32 v3, 0, v3, vcc
	;; [unrolled: 3-line block ×6, first 2 shown]
	v_cmp_gt_i32_e32 vcc, s33, v24
	s_nop 1
	v_cndmask_b32_sdwa v24, v6, v5, vcc dst_sel:DWORD dst_unused:UNUSED_PAD src0_sel:DWORD src1_sel:WORD_0
	v_and_b32_e32 v5, 0xffff0000, v5
	v_cmp_gt_i32_e32 vcc, s33, v23
	s_nop 1
	v_cndmask_b32_e32 v5, 0, v5, vcc
	v_or_b32_e32 v5, v24, v5
	s_branch .LBB71_40
.LBB71_49:
	s_or_b64 exec, exec, s[6:7]
	v_mov_b64_e32 v[6:7], v[12:13]
.LBB71_50:
	s_or_b64 exec, exec, s[2:3]
	v_and_b32_e32 v1, 0x3c0, v0
	v_cmp_eq_u32_e32 vcc, 64, v1
	s_barrier
	s_and_saveexec_b64 s[0:1], vcc
	s_cbranch_execz .LBB71_52
; %bb.51:
	v_mov_b32_e32 v1, 0x210
	v_lshl_add_u32 v1, v21, 2, v1
	ds_write2st64_b32 v1, v8, v9 offset1:1
	ds_write2st64_b32 v1, v6, v7 offset0:2 offset1:3
.LBB71_52:
	s_or_b64 exec, exec, s[0:1]
	v_cmp_gt_u32_e32 vcc, 64, v0
	s_waitcnt lgkmcnt(0)
	s_barrier
	s_and_saveexec_b64 s[0:1], vcc
	s_cbranch_execz .LBB71_54
; %bb.53:
	v_mov_b32_e32 v1, 0x210
	v_lshl_add_u32 v2, v0, 2, v1
	ds_read2st64_b32 v[0:1], v2 offset1:1
	ds_read2st64_b32 v[2:3], v2 offset0:2 offset1:3
	s_waitcnt lgkmcnt(1)
	v_pk_add_f32 v[8:9], v[8:9], v[0:1]
	s_waitcnt lgkmcnt(0)
	v_pk_add_f32 v[6:7], v[6:7], v[2:3]
.LBB71_54:
	s_or_b64 exec, exec, s[0:1]
	s_barrier
	s_and_saveexec_b64 s[0:1], vcc
	s_cbranch_execz .LBB71_56
; %bb.55:
	s_mul_i32 s0, s10, s11
	s_mul_i32 s0, s0, s5
	s_lshl_b32 s0, s0, 8
	s_ashr_i32 s1, s0, 31
	s_lshl_b64 s[0:1], s[0:1], 1
	s_add_u32 s2, s18, s0
	s_mul_i32 s0, s11, s16
	s_addc_u32 s3, s19, s1
	s_ashr_i32 s1, s0, 31
	s_lshl_b64 s[0:1], s[0:1], 1
	s_add_u32 s2, s2, s0
	s_addc_u32 s3, s3, s1
	s_lshl_b32 s0, s4, 8
	s_ashr_i32 s1, s0, 31
	s_lshl_b64 s[0:1], s[0:1], 1
	s_add_u32 s0, s2, s0
	s_addc_u32 s1, s3, s1
	;;#ASMSTART
	v_cvt_f16_f32 v0, v8;

	;;#ASMEND
	global_store_short v19, v0, s[0:1]
	;;#ASMSTART
	v_cvt_f16_f32 v0, v9;

	;;#ASMEND
	global_store_short v19, v0, s[0:1] offset:128
	;;#ASMSTART
	v_cvt_f16_f32 v0, v6;

	;;#ASMEND
	global_store_short v19, v0, s[0:1] offset:256
	;; [unrolled: 5-line block ×3, first 2 shown]
.LBB71_56:
	s_endpgm
	.section	.rodata,"a",@progbits
	.p2align	6, 0x0
	.amdhsa_kernel _ZN4vllm25paged_attention_v1_kernelIttLi256ELi8ELi128ELNS_18Fp8KVCacheDataTypeE0ELb0EEEvPT_PKS2_PKT0_S8_ifPKiSA_iPKfiiiSC_SC_iiiii
		.amdhsa_group_segment_fixed_size 528
		.amdhsa_private_segment_fixed_size 0
		.amdhsa_kernarg_size 384
		.amdhsa_user_sgpr_count 2
		.amdhsa_user_sgpr_dispatch_ptr 0
		.amdhsa_user_sgpr_queue_ptr 0
		.amdhsa_user_sgpr_kernarg_segment_ptr 1
		.amdhsa_user_sgpr_dispatch_id 0
		.amdhsa_user_sgpr_kernarg_preload_length 0
		.amdhsa_user_sgpr_kernarg_preload_offset 0
		.amdhsa_user_sgpr_private_segment_size 0
		.amdhsa_uses_dynamic_stack 0
		.amdhsa_enable_private_segment 0
		.amdhsa_system_sgpr_workgroup_id_x 1
		.amdhsa_system_sgpr_workgroup_id_y 1
		.amdhsa_system_sgpr_workgroup_id_z 1
		.amdhsa_system_sgpr_workgroup_info 0
		.amdhsa_system_vgpr_workitem_id 0
		.amdhsa_next_free_vgpr 62
		.amdhsa_next_free_sgpr 34
		.amdhsa_accum_offset 64
		.amdhsa_reserve_vcc 1
		.amdhsa_float_round_mode_32 0
		.amdhsa_float_round_mode_16_64 0
		.amdhsa_float_denorm_mode_32 3
		.amdhsa_float_denorm_mode_16_64 3
		.amdhsa_dx10_clamp 1
		.amdhsa_ieee_mode 1
		.amdhsa_fp16_overflow 0
		.amdhsa_tg_split 0
		.amdhsa_exception_fp_ieee_invalid_op 0
		.amdhsa_exception_fp_denorm_src 0
		.amdhsa_exception_fp_ieee_div_zero 0
		.amdhsa_exception_fp_ieee_overflow 0
		.amdhsa_exception_fp_ieee_underflow 0
		.amdhsa_exception_fp_ieee_inexact 0
		.amdhsa_exception_int_div_zero 0
	.end_amdhsa_kernel
	.section	.text._ZN4vllm25paged_attention_v1_kernelIttLi256ELi8ELi128ELNS_18Fp8KVCacheDataTypeE0ELb0EEEvPT_PKS2_PKT0_S8_ifPKiSA_iPKfiiiSC_SC_iiiii,"axG",@progbits,_ZN4vllm25paged_attention_v1_kernelIttLi256ELi8ELi128ELNS_18Fp8KVCacheDataTypeE0ELb0EEEvPT_PKS2_PKT0_S8_ifPKiSA_iPKfiiiSC_SC_iiiii,comdat
.Lfunc_end71:
	.size	_ZN4vllm25paged_attention_v1_kernelIttLi256ELi8ELi128ELNS_18Fp8KVCacheDataTypeE0ELb0EEEvPT_PKS2_PKT0_S8_ifPKiSA_iPKfiiiSC_SC_iiiii, .Lfunc_end71-_ZN4vllm25paged_attention_v1_kernelIttLi256ELi8ELi128ELNS_18Fp8KVCacheDataTypeE0ELb0EEEvPT_PKS2_PKT0_S8_ifPKiSA_iPKfiiiSC_SC_iiiii
                                        ; -- End function
	.set _ZN4vllm25paged_attention_v1_kernelIttLi256ELi8ELi128ELNS_18Fp8KVCacheDataTypeE0ELb0EEEvPT_PKS2_PKT0_S8_ifPKiSA_iPKfiiiSC_SC_iiiii.num_vgpr, 62
	.set _ZN4vllm25paged_attention_v1_kernelIttLi256ELi8ELi128ELNS_18Fp8KVCacheDataTypeE0ELb0EEEvPT_PKS2_PKT0_S8_ifPKiSA_iPKfiiiSC_SC_iiiii.num_agpr, 0
	.set _ZN4vllm25paged_attention_v1_kernelIttLi256ELi8ELi128ELNS_18Fp8KVCacheDataTypeE0ELb0EEEvPT_PKS2_PKT0_S8_ifPKiSA_iPKfiiiSC_SC_iiiii.numbered_sgpr, 34
	.set _ZN4vllm25paged_attention_v1_kernelIttLi256ELi8ELi128ELNS_18Fp8KVCacheDataTypeE0ELb0EEEvPT_PKS2_PKT0_S8_ifPKiSA_iPKfiiiSC_SC_iiiii.num_named_barrier, 0
	.set _ZN4vllm25paged_attention_v1_kernelIttLi256ELi8ELi128ELNS_18Fp8KVCacheDataTypeE0ELb0EEEvPT_PKS2_PKT0_S8_ifPKiSA_iPKfiiiSC_SC_iiiii.private_seg_size, 0
	.set _ZN4vllm25paged_attention_v1_kernelIttLi256ELi8ELi128ELNS_18Fp8KVCacheDataTypeE0ELb0EEEvPT_PKS2_PKT0_S8_ifPKiSA_iPKfiiiSC_SC_iiiii.uses_vcc, 1
	.set _ZN4vllm25paged_attention_v1_kernelIttLi256ELi8ELi128ELNS_18Fp8KVCacheDataTypeE0ELb0EEEvPT_PKS2_PKT0_S8_ifPKiSA_iPKfiiiSC_SC_iiiii.uses_flat_scratch, 0
	.set _ZN4vllm25paged_attention_v1_kernelIttLi256ELi8ELi128ELNS_18Fp8KVCacheDataTypeE0ELb0EEEvPT_PKS2_PKT0_S8_ifPKiSA_iPKfiiiSC_SC_iiiii.has_dyn_sized_stack, 0
	.set _ZN4vllm25paged_attention_v1_kernelIttLi256ELi8ELi128ELNS_18Fp8KVCacheDataTypeE0ELb0EEEvPT_PKS2_PKT0_S8_ifPKiSA_iPKfiiiSC_SC_iiiii.has_recursion, 0
	.set _ZN4vllm25paged_attention_v1_kernelIttLi256ELi8ELi128ELNS_18Fp8KVCacheDataTypeE0ELb0EEEvPT_PKS2_PKT0_S8_ifPKiSA_iPKfiiiSC_SC_iiiii.has_indirect_call, 0
	.section	.AMDGPU.csdata,"",@progbits
; Kernel info:
; codeLenInByte = 6576
; TotalNumSgprs: 40
; NumVgprs: 62
; NumAgprs: 0
; TotalNumVgprs: 62
; ScratchSize: 0
; MemoryBound: 0
; FloatMode: 240
; IeeeMode: 1
; LDSByteSize: 528 bytes/workgroup (compile time only)
; SGPRBlocks: 4
; VGPRBlocks: 7
; NumSGPRsForWavesPerEU: 40
; NumVGPRsForWavesPerEU: 62
; AccumOffset: 64
; Occupancy: 8
; WaveLimiterHint : 1
; COMPUTE_PGM_RSRC2:SCRATCH_EN: 0
; COMPUTE_PGM_RSRC2:USER_SGPR: 2
; COMPUTE_PGM_RSRC2:TRAP_HANDLER: 0
; COMPUTE_PGM_RSRC2:TGID_X_EN: 1
; COMPUTE_PGM_RSRC2:TGID_Y_EN: 1
; COMPUTE_PGM_RSRC2:TGID_Z_EN: 1
; COMPUTE_PGM_RSRC2:TIDIG_COMP_CNT: 0
; COMPUTE_PGM_RSRC3_GFX90A:ACCUM_OFFSET: 15
; COMPUTE_PGM_RSRC3_GFX90A:TG_SPLIT: 0
	.section	.text._ZN4vllm25paged_attention_v1_kernelIttLi32ELi16ELi128ELNS_18Fp8KVCacheDataTypeE0ELb1EEEvPT_PKS2_PKT0_S8_ifPKiSA_iPKfiiiSC_SC_iiiii,"axG",@progbits,_ZN4vllm25paged_attention_v1_kernelIttLi32ELi16ELi128ELNS_18Fp8KVCacheDataTypeE0ELb1EEEvPT_PKS2_PKT0_S8_ifPKiSA_iPKfiiiSC_SC_iiiii,comdat
	.protected	_ZN4vllm25paged_attention_v1_kernelIttLi32ELi16ELi128ELNS_18Fp8KVCacheDataTypeE0ELb1EEEvPT_PKS2_PKT0_S8_ifPKiSA_iPKfiiiSC_SC_iiiii ; -- Begin function _ZN4vllm25paged_attention_v1_kernelIttLi32ELi16ELi128ELNS_18Fp8KVCacheDataTypeE0ELb1EEEvPT_PKS2_PKT0_S8_ifPKiSA_iPKfiiiSC_SC_iiiii
	.globl	_ZN4vllm25paged_attention_v1_kernelIttLi32ELi16ELi128ELNS_18Fp8KVCacheDataTypeE0ELb1EEEvPT_PKS2_PKT0_S8_ifPKiSA_iPKfiiiSC_SC_iiiii
	.p2align	8
	.type	_ZN4vllm25paged_attention_v1_kernelIttLi32ELi16ELi128ELNS_18Fp8KVCacheDataTypeE0ELb1EEEvPT_PKS2_PKT0_S8_ifPKiSA_iPKfiiiSC_SC_iiiii,@function
_ZN4vllm25paged_attention_v1_kernelIttLi32ELi16ELi128ELNS_18Fp8KVCacheDataTypeE0ELb1EEEvPT_PKS2_PKT0_S8_ifPKiSA_iPKfiiiSC_SC_iiiii: ; @_ZN4vllm25paged_attention_v1_kernelIttLi32ELi16ELi128ELNS_18Fp8KVCacheDataTypeE0ELb1EEEvPT_PKS2_PKT0_S8_ifPKiSA_iPKfiiiSC_SC_iiiii
; %bb.0:
	s_load_dword s5, s[0:1], 0x80
	s_load_dwordx2 s[6:7], s[0:1], 0x30
	s_load_dwordx2 s[30:31], s[0:1], 0x20
	s_mov_b32 s10, s3
	s_ashr_i32 s11, s3, 31
	s_lshl_b64 s[8:9], s[10:11], 2
	s_waitcnt lgkmcnt(0)
	s_add_u32 s6, s6, s8
	s_addc_u32 s7, s7, s9
	s_abs_i32 s3, s30
	v_cvt_f32_u32_e32 v1, s3
	s_sub_i32 s11, 0, s3
	s_abs_i32 s9, s5
	s_xor_b32 s8, s5, s30
	v_rcp_iflag_f32_e32 v1, v1
	s_ashr_i32 s8, s8, 31
	s_mov_b32 s42, 0
	v_mul_f32_e32 v1, 0x4f7ffffe, v1
	v_cvt_u32_f32_e32 v1, v1
	s_nop 0
	v_readfirstlane_b32 s12, v1
	s_mul_i32 s11, s11, s12
	s_mul_hi_u32 s11, s12, s11
	s_add_i32 s12, s12, s11
	s_mul_hi_u32 s11, s9, s12
	s_mul_i32 s12, s11, s3
	s_sub_i32 s9, s9, s12
	s_add_i32 s12, s11, 1
	s_sub_i32 s13, s9, s3
	s_cmp_ge_u32 s9, s3
	s_cselect_b32 s11, s12, s11
	s_cselect_b32 s9, s13, s9
	s_add_i32 s12, s11, 1
	s_cmp_ge_u32 s9, s3
	s_cselect_b32 s3, s12, s11
	s_xor_b32 s3, s3, s8
	s_sub_i32 s16, s3, s8
	s_abs_i32 s22, s16
	v_cvt_f32_u32_e32 v1, s22
	s_load_dwordx2 s[8:9], s[0:1], 0x40
	s_sub_i32 s3, 0, s22
	s_abs_i32 s23, s2
	v_rcp_iflag_f32_e32 v1, v1
	s_nop 0
	v_mul_f32_e32 v1, 0x4f7ffffe, v1
	v_cvt_u32_f32_e32 v1, v1
	s_nop 0
	v_readfirstlane_b32 s11, v1
	s_mul_i32 s3, s3, s11
	s_mul_hi_u32 s3, s11, s3
	s_add_i32 s11, s11, s3
	s_waitcnt lgkmcnt(0)
	s_cmp_eq_u64 s[8:9], 0
	s_mul_hi_u32 s24, s23, s11
	s_cbranch_scc1 .LBB72_2
; %bb.1:
	s_ashr_i32 s3, s2, 31
	s_lshl_b64 s[12:13], s[2:3], 2
	s_add_u32 s8, s8, s12
	s_addc_u32 s9, s9, s13
	s_load_dword s42, s[8:9], 0x0
.LBB72_2:
	s_load_dword s11, s[6:7], 0x0
	s_load_dwordx4 s[12:15], s[0:1], 0x48
	s_ashr_i32 s3, s2, 31
	s_ashr_i32 s9, s16, 31
	v_and_b32_e32 v4, 3, v0
	s_lshl_b32 s20, s2, 5
	v_cmp_gt_u32_e32 vcc, 16, v0
	s_and_saveexec_b64 s[6:7], vcc
	s_cbranch_execz .LBB72_4
; %bb.3:
	s_load_dwordx2 s[16:17], s[0:1], 0x8
	s_waitcnt lgkmcnt(0)
	s_mul_i32 s18, s12, s10
	s_ashr_i32 s19, s18, 31
	s_lshl_b64 s[18:19], s[18:19], 1
	v_lshlrev_b32_e32 v1, 2, v0
	s_add_u32 s8, s16, s18
	s_addc_u32 s12, s17, s19
	s_ashr_i32 s21, s20, 31
	s_lshl_b64 s[16:17], s[20:21], 1
	s_add_u32 s16, s8, s16
	s_addc_u32 s17, s12, s17
	global_load_dword v1, v1, s[16:17]
	v_and_b32_e32 v2, 0x3fc, v0
	v_lshl_add_u32 v2, v4, 4, v2
	s_waitcnt vmcnt(0)
	ds_write_b32 v2, v1
.LBB72_4:
	s_or_b64 exec, exec, s[6:7]
	s_mul_i32 s6, s24, s22
	s_sub_i32 s6, s23, s6
	s_xor_b32 s3, s3, s9
	s_add_i32 s7, s24, 1
	s_sub_i32 s9, s6, s22
	s_load_dwordx4 s[16:19], s[0:1], 0x68
	s_load_dword s8, s[0:1], 0x78
	s_cmp_ge_u32 s6, s22
	s_cselect_b32 s7, s7, s24
	s_cselect_b32 s6, s9, s6
	s_add_i32 s9, s7, 1
	s_cmp_ge_u32 s6, s22
	s_cselect_b32 s6, s9, s7
	s_waitcnt lgkmcnt(0)
	s_abs_i32 s21, s19
	v_cvt_f32_u32_e32 v1, s21
	s_xor_b32 s6, s6, s3
	s_sub_i32 s3, s6, s3
	s_sub_i32 s6, 0, s21
	v_rcp_iflag_f32_e32 v1, v1
	s_add_i32 s12, s11, -1
	s_abs_i32 s9, s12
	v_mul_f32_e32 v1, 0x4f7ffffe, v1
	v_cvt_u32_f32_e32 v1, v1
	s_barrier
	v_readfirstlane_b32 s33, v1
	s_mul_i32 s6, s6, s33
	s_mul_hi_u32 s6, s33, s6
	s_add_i32 s33, s33, s6
	s_cmp_lt_i32 s8, 0
	s_mul_hi_u32 s15, s9, s33
	s_cbranch_scc0 .LBB72_6
; %bb.5:
	s_mul_i32 s6, s16, s30
	s_add_i32 s6, s3, s6
	s_mul_i32 s6, s6, s8
	s_sub_i32 s40, 1, s6
	s_mov_b64 s[6:7], 0
	s_branch .LBB72_7
.LBB72_6:
	s_mov_b64 s[6:7], -1
                                        ; implicit-def: $sgpr40
.LBB72_7:
	s_load_dwordx2 s[24:25], s[0:1], 0x28
	s_ashr_i32 s26, s12, 31
	s_andn2_b64 vcc, exec, s[6:7]
	s_ashr_i32 s19, s19, 31
	s_cbranch_vccnz .LBB72_9
; %bb.8:
	s_mul_i32 s6, s5, s16
	s_add_i32 s2, s6, s2
	s_mul_i32 s2, s2, s8
	s_add_i32 s40, s2, 1
.LBB72_9:
	s_load_dword s2, s[0:1], 0x38
	s_load_dwordx2 s[22:23], s[0:1], 0x0
	s_load_dwordx2 s[28:29], s[0:1], 0x18
	s_load_dword s12, s[0:1], 0x88
	s_xor_b32 s6, s26, s19
	s_waitcnt lgkmcnt(0)
	s_mul_i32 s26, s2, s10
	s_mul_i32 s2, s15, s21
	s_sub_i32 s2, s9, s2
	s_ashr_i32 s27, s26, 31
	s_add_i32 s7, s15, 1
	s_sub_i32 s8, s2, s21
	s_cmp_ge_u32 s2, s21
	s_cselect_b32 s7, s7, s15
	s_cselect_b32 s2, s8, s2
	s_add_i32 s8, s7, 1
	s_cmp_ge_u32 s2, s21
	s_cselect_b32 s2, s8, s7
	s_xor_b32 s2, s2, s6
	s_sub_i32 s41, s2, s6
	s_add_i32 s2, s11, 15
	s_ashr_i32 s6, s2, 31
	s_lshr_b32 s6, s6, 28
	s_add_i32 s2, s2, s6
	s_ashr_i32 s16, s2, 4
	v_lshrrev_b32_e32 v12, 6, v0
	v_cmp_gt_i32_e64 s[6:7], s16, v12
	v_mov_b32_e32 v9, 0xff7fffff
	s_mul_i32 s14, s3, s14
	v_lshrrev_b32_e32 v1, 4, v0
	v_lshlrev_b32_e32 v13, 4, v12
	v_mbcnt_lo_u32_b32 v6, -1, 0
	s_and_saveexec_b64 s[34:35], s[6:7]
	s_cbranch_execz .LBB72_21
; %bb.10:
	s_load_dwordx2 s[0:1], s[0:1], 0x10
	s_ashr_i32 s15, s14, 31
	s_sub_i32 s30, s41, s17
	s_lshl_b64 s[2:3], s[14:15], 1
	v_bfe_u32 v7, v0, 2, 4
	s_waitcnt lgkmcnt(0)
	s_add_u32 s0, s0, s2
	s_addc_u32 s1, s1, s3
	s_abs_i32 s15, s18
	v_cvt_f32_u32_e32 v5, s15
	v_lshlrev_b32_e32 v14, 4, v7
	v_mov_b32_e32 v15, 0
	v_lshl_add_u64 v[2:3], s[0:1], 0, v[14:15]
	v_rcp_iflag_f32_e32 v5, v5
	v_lshlrev_b32_e32 v8, 2, v0
	s_sub_i32 s0, 0, s15
	v_cmp_eq_u32_e32 vcc, 0, v4
	v_mul_f32_e32 v5, 0x4f7ffffe, v5
	v_cvt_u32_f32_e32 v5, v5
	v_and_b32_e32 v14, 12, v8
	v_lshlrev_b32_e32 v8, 4, v4
	v_lshl_add_u64 v[2:3], v[2:3], 0, v[14:15]
	v_mul_lo_u32 v4, s0, v5
	s_lshl_b64 s[0:1], s[26:27], 2
	s_add_u32 s0, s24, s0
	v_mul_hi_u32 v4, v5, v4
	v_and_b32_e32 v14, 60, v1
	s_addc_u32 s1, s25, s1
	v_subrev_u32_e32 v9, s11, v7
	v_add_u32_e32 v10, v5, v4
	v_lshl_add_u64 v[4:5], s[0:1], 0, v[14:15]
	v_add_u32_e32 v14, 1, v9
	v_lshlrev_b32_e32 v9, 2, v7
	v_lshl_or_b32 v9, v12, 6, v9
	v_mbcnt_hi_u32_b32 v17, -1, v6
	v_add_u32_e32 v15, 0x50, v9
	v_and_b32_e32 v9, 64, v17
	s_mov_b32 s43, s13
	v_cmp_neq_f32_e64 s[2:3], s42, 0
	v_lshlrev_b32_e32 v11, 4, v12
	v_mov_b32_e32 v16, 0xff7fffff
	s_mov_b64 s[36:37], 0
	v_add_u32_e32 v18, 64, v9
	v_xor_b32_e32 v19, 2, v17
	v_xor_b32_e32 v20, 1, v17
	v_mov_b32_e32 v9, 0xff7fffff
	v_mov_b32_e32 v21, v12
	s_branch .LBB72_13
.LBB72_11:                              ;   in Loop: Header=BB72_13 Depth=1
	s_or_b64 exec, exec, s[38:39]
.LBB72_12:                              ;   in Loop: Header=BB72_13 Depth=1
	s_or_b64 exec, exec, s[8:9]
	v_add_u32_e32 v21, 2, v21
	v_cmp_le_i32_e64 s[0:1], s16, v21
	v_lshl_add_u64 v[4:5], v[4:5], 0, 8
	v_add_u32_e32 v11, 32, v11
	s_or_b64 s[36:37], s[0:1], s[36:37]
	v_add_u32_e32 v15, 0x80, v15
	s_andn2_b64 exec, exec, s[36:37]
	s_cbranch_execz .LBB72_20
.LBB72_13:                              ; =>This Inner Loop Header: Depth=1
	v_mul_hi_u32 v22, v11, s33
	s_waitcnt lgkmcnt(0)
	v_mul_lo_u32 v23, v22, s21
	v_sub_u32_e32 v23, v11, v23
	v_add_u32_e32 v24, 1, v22
	v_cmp_le_u32_e64 s[0:1], s21, v23
	s_nop 1
	v_cndmask_b32_e64 v22, v22, v24, s[0:1]
	v_subrev_u32_e32 v24, s21, v23
	v_cndmask_b32_e64 v23, v23, v24, s[0:1]
	v_add_u32_e32 v24, 1, v22
	v_cmp_le_u32_e64 s[0:1], s21, v23
	s_nop 1
	v_cndmask_b32_e64 v22, v22, v24, s[0:1]
	v_xor_b32_e32 v22, s19, v22
	v_subrev_u32_e32 v22, s19, v22
	v_add_u32_e32 v23, s40, v22
	v_sub_u32_e32 v25, 0, v23
	v_ashrrev_i32_e32 v24, 31, v23
	v_max_i32_e32 v23, v23, v25
	v_mul_hi_u32 v25, v23, v10
	v_mul_lo_u32 v25, v25, s15
	v_sub_u32_e32 v23, v23, v25
	v_subrev_u32_e32 v25, s15, v23
	v_cmp_le_u32_e64 s[0:1], s15, v23
	v_cmp_ge_i32_e64 s[8:9], s30, v22
	s_nop 0
	v_cndmask_b32_e64 v23, v23, v25, s[0:1]
	v_subrev_u32_e32 v25, s15, v23
	v_cmp_le_u32_e64 s[0:1], s15, v23
	s_nop 1
	v_cndmask_b32_e64 v23, v23, v25, s[0:1]
	v_xor_b32_e32 v23, v23, v24
	v_sub_u32_e32 v23, v23, v24
	v_cmp_ne_u32_e64 s[0:1], 0, v23
	s_and_b64 s[0:1], s[0:1], s[8:9]
	s_and_saveexec_b64 s[8:9], s[0:1]
	s_xor_b64 s[0:1], exec, s[8:9]
	s_cbranch_execz .LBB72_17
; %bb.14:                               ;   in Loop: Header=BB72_13 Depth=1
	s_and_saveexec_b64 s[8:9], vcc
; %bb.15:                               ;   in Loop: Header=BB72_13 Depth=1
	ds_write_b32 v15, v16
; %bb.16:                               ;   in Loop: Header=BB72_13 Depth=1
	s_or_b64 exec, exec, s[8:9]
.LBB72_17:                              ;   in Loop: Header=BB72_13 Depth=1
	s_andn2_saveexec_b64 s[8:9], s[0:1]
	s_cbranch_execz .LBB72_12
; %bb.18:                               ;   in Loop: Header=BB72_13 Depth=1
	global_load_dword v22, v[4:5], off
	s_waitcnt vmcnt(0)
	v_mad_i64_i32 v[22:23], s[0:1], v22, s43, 0
	v_lshl_add_u64 v[22:23], v[22:23], 1, v[2:3]
	global_load_dword v24, v[22:23], off
	global_load_dword v25, v[22:23], off offset:256
	global_load_dword v26, v[22:23], off offset:512
	;; [unrolled: 1-line block ×3, first 2 shown]
	ds_read_b32 v22, v8
	v_cmp_lt_i32_e64 s[0:1], v19, v18
	s_waitcnt lgkmcnt(0)
	v_lshrrev_b32_e32 v28, 16, v22
	v_and_b32_e32 v22, 0xffff, v22
	;;#ASMSTART
	v_cvt_f32_f16 v22, v22;
	;;#ASMEND
	;;#ASMSTART
	v_cvt_f32_f16 v28, v28;
	;;#ASMEND
	v_cndmask_b32_e64 v23, v17, v19, s[0:1]
	v_lshlrev_b32_e32 v23, 2, v23
	v_cmp_lt_i32_e64 s[0:1], v20, v18
	s_waitcnt vmcnt(3)
	v_lshrrev_b32_e32 v29, 16, v24
	v_and_b32_e32 v24, 0xffff, v24
	;;#ASMSTART
	v_cvt_f32_f16 v24, v24;
	;;#ASMEND
	;;#ASMSTART
	v_cvt_f32_f16 v29, v29;
	;;#ASMEND
	ds_read_b32 v30, v8 offset:4
	s_waitcnt vmcnt(2)
	v_lshrrev_b32_e32 v31, 16, v25
	v_and_b32_e32 v32, 0xffff, v25
	s_waitcnt vmcnt(1)
	v_lshrrev_b32_e32 v33, 16, v26
	v_and_b32_e32 v34, 0xffff, v26
	s_waitcnt lgkmcnt(0)
	v_lshrrev_b32_e32 v26, 16, v30
	v_and_b32_e32 v25, 0xffff, v30
	;;#ASMSTART
	v_cvt_f32_f16 v25, v25;
	;;#ASMEND
	;;#ASMSTART
	v_cvt_f32_f16 v26, v26;
	;;#ASMEND
	;; [unrolled: 3-line block ×4, first 2 shown]
	ds_read_b32 v32, v8 offset:8
	s_waitcnt vmcnt(0)
	v_lshrrev_b32_e32 v35, 16, v27
	v_and_b32_e32 v36, 0xffff, v27
	v_mul_f32_e32 v25, v25, v30
	v_mul_f32_e32 v26, v26, v31
	s_waitcnt lgkmcnt(0)
	v_lshrrev_b32_e32 v30, 16, v32
	v_and_b32_e32 v27, 0xffff, v32
	;;#ASMSTART
	v_cvt_f32_f16 v27, v27;
	;;#ASMEND
	;;#ASMSTART
	v_cvt_f32_f16 v30, v30;
	;;#ASMEND
	;; [unrolled: 3-line block ×4, first 2 shown]
	ds_read_b32 v33, v8 offset:12
	v_fmac_f32_e32 v25, v22, v24
	v_fmac_f32_e32 v26, v28, v29
	;; [unrolled: 1-line block ×4, first 2 shown]
	s_waitcnt lgkmcnt(0)
	v_lshrrev_b32_e32 v24, 16, v33
	v_and_b32_e32 v22, 0xffff, v33
	;;#ASMSTART
	v_cvt_f32_f16 v22, v22;
	;;#ASMEND
	;;#ASMSTART
	v_cvt_f32_f16 v24, v24;
	;;#ASMEND
	;; [unrolled: 3-line block ×4, first 2 shown]
	s_nop 0
	v_fmac_f32_e32 v25, v22, v27
	v_fmac_f32_e32 v26, v24, v28
	v_add_f32_e32 v22, v25, v26
	ds_bpermute_b32 v23, v23, v22
	v_cndmask_b32_e64 v24, v17, v20, s[0:1]
	s_waitcnt lgkmcnt(0)
	v_add_f32_e32 v22, v22, v23
	v_lshlrev_b32_e32 v23, 2, v24
	ds_bpermute_b32 v23, v23, v22
	s_and_saveexec_b64 s[38:39], vcc
	s_cbranch_execz .LBB72_11
; %bb.19:                               ;   in Loop: Header=BB72_13 Depth=1
	v_add_u32_e32 v24, v14, v11
	v_cvt_f32_i32_e32 v24, v24
	s_waitcnt lgkmcnt(0)
	v_add_f32_e32 v22, v22, v23
	v_add_u32_e32 v25, v7, v11
	v_cmp_gt_i32_e64 s[0:1], s11, v25
	v_mul_f32_e32 v23, s42, v24
	v_cndmask_b32_e64 v23, 0, v23, s[2:3]
	v_fmac_f32_e32 v23, s31, v22
	v_cndmask_b32_e64 v22, 0, v23, s[0:1]
	ds_write_b32 v15, v22
	v_max_f32_e32 v22, v9, v9
	v_max_f32_e32 v22, v22, v23
	v_cndmask_b32_e64 v9, v9, v22, s[0:1]
	s_branch .LBB72_11
.LBB72_20:
	s_or_b64 exec, exec, s[36:37]
.LBB72_21:
	s_or_b64 exec, exec, s[34:35]
	v_mbcnt_hi_u32_b32 v2, -1, v6
	v_and_b32_e32 v10, 64, v2
	v_add_u32_e32 v3, 64, v10
	v_xor_b32_e32 v4, 32, v2
	v_cmp_lt_i32_e32 vcc, v4, v3
	v_xor_b32_e32 v7, 16, v2
	v_max_f32_e32 v6, v9, v9
	v_cndmask_b32_e32 v4, v2, v4, vcc
	v_lshlrev_b32_e32 v4, 2, v4
	ds_bpermute_b32 v5, v4, v9
	v_cmp_lt_i32_e32 vcc, v7, v3
	v_xor_b32_e32 v8, 8, v2
	v_xor_b32_e32 v9, 4, v2
	v_and_b32_e32 v14, 63, v0
	s_waitcnt lgkmcnt(0)
	v_max_f32_e32 v5, v5, v5
	v_max_f32_e32 v6, v6, v5
	v_cndmask_b32_e32 v5, v2, v7, vcc
	v_lshlrev_b32_e32 v5, 2, v5
	ds_bpermute_b32 v7, v5, v6
	v_cmp_lt_i32_e32 vcc, v8, v3
	s_waitcnt lgkmcnt(0)
	v_max_f32_e32 v7, v7, v7
	v_max_f32_e32 v6, v6, v7
	v_cndmask_b32_e32 v7, v2, v8, vcc
	v_lshlrev_b32_e32 v8, 2, v7
	ds_bpermute_b32 v7, v8, v6
	v_cmp_lt_i32_e32 vcc, v9, v3
	s_waitcnt lgkmcnt(0)
	v_max_f32_e32 v7, v7, v7
	v_max_f32_e32 v7, v6, v7
	v_cndmask_b32_e32 v6, v2, v9, vcc
	v_lshlrev_b32_e32 v9, 2, v6
	ds_bpermute_b32 v11, v9, v7
	v_cmp_eq_u32_e32 vcc, 0, v14
	v_lshlrev_b32_e32 v6, 2, v12
	s_and_saveexec_b64 s[0:1], vcc
	s_cbranch_execz .LBB72_23
; %bb.22:
	s_waitcnt lgkmcnt(0)
	v_max_f32_e32 v11, v11, v11
	v_max_f32_e32 v7, v7, v7
	;; [unrolled: 1-line block ×3, first 2 shown]
	ds_write_b32 v6, v7 offset:64
.LBB72_23:
	s_or_b64 exec, exec, s[0:1]
	v_cmp_gt_u32_e64 s[0:1], 2, v14
	s_waitcnt lgkmcnt(0)
	v_mov_b32_e32 v11, 0xff7fffff
	v_lshlrev_b32_e32 v7, 2, v14
	s_barrier
	s_and_saveexec_b64 s[2:3], s[0:1]
; %bb.24:
	ds_read_b32 v11, v7 offset:64
; %bb.25:
	s_or_b64 exec, exec, s[2:3]
	v_xor_b32_e32 v15, 1, v2
	v_cmp_lt_i32_e64 s[2:3], v15, v3
	v_lshlrev_b32_e32 v10, 2, v10
	s_nop 0
	v_cndmask_b32_e64 v15, v2, v15, s[2:3]
	v_lshlrev_b32_e32 v15, 2, v15
	s_waitcnt lgkmcnt(0)
	ds_bpermute_b32 v16, v15, v11
	v_max_f32_e32 v11, v11, v11
	s_lshl_b32 s2, s16, 4
	s_min_i32 s15, s2, s11
	v_cmp_gt_i32_e64 s[2:3], s15, v0
	s_waitcnt lgkmcnt(0)
	v_max_f32_e32 v16, v16, v16
	v_max_f32_e32 v11, v11, v16
	ds_bpermute_b32 v11, v10, v11
	v_mov_b32_e32 v10, 0
	s_and_saveexec_b64 s[30:31], s[2:3]
	s_cbranch_execz .LBB72_29
; %bb.26:
	v_mov_b32_e32 v10, 0x50
	v_lshl_add_u32 v16, v0, 2, v10
	v_mov_b32_e32 v10, 0
	s_mov_b64 s[34:35], 0
	v_mov_b32_e32 v17, v0
.LBB72_27:                              ; =>This Inner Loop Header: Depth=1
	ds_read_b32 v18, v16
	v_add_u32_e32 v17, 0x80, v17
	v_cmp_le_i32_e64 s[8:9], s15, v17
	s_or_b64 s[34:35], s[8:9], s[34:35]
	s_waitcnt lgkmcnt(0)
	v_sub_f32_e32 v18, v18, v11
	v_mul_f32_e32 v18, 0x3fb8aa3b, v18
	v_exp_f32_e32 v18, v18
	ds_write_b32 v16, v18
	v_add_f32_e32 v10, v10, v18
	v_add_u32_e32 v16, 0x200, v16
	s_andn2_b64 exec, exec, s[34:35]
	s_cbranch_execnz .LBB72_27
; %bb.28:
	s_or_b64 exec, exec, s[34:35]
.LBB72_29:
	s_or_b64 exec, exec, s[30:31]
	ds_bpermute_b32 v4, v4, v10
	s_waitcnt lgkmcnt(0)
	v_add_f32_e32 v4, v10, v4
	ds_bpermute_b32 v5, v5, v4
	s_waitcnt lgkmcnt(0)
	v_add_f32_e32 v4, v4, v5
	ds_bpermute_b32 v5, v8, v4
	v_xor_b32_e32 v8, 2, v2
	v_cmp_lt_i32_e64 s[8:9], v8, v3
	s_waitcnt lgkmcnt(0)
	v_add_f32_e32 v4, v4, v5
	ds_bpermute_b32 v5, v9, v4
	v_cndmask_b32_e64 v3, v2, v8, s[8:9]
	v_lshlrev_b32_e32 v3, 2, v3
	s_waitcnt lgkmcnt(0)
	v_add_f32_e32 v4, v4, v5
	ds_bpermute_b32 v3, v3, v4
	s_waitcnt lgkmcnt(0)
	v_add_f32_e32 v3, v4, v3
	ds_bpermute_b32 v4, v15, v3
	s_waitcnt lgkmcnt(0)
	v_add_f32_e32 v3, v3, v4
	s_and_saveexec_b64 s[8:9], vcc
; %bb.30:
	ds_write_b32 v6, v3 offset:72
; %bb.31:
	s_or_b64 exec, exec, s[8:9]
	s_waitcnt lgkmcnt(0)
	s_barrier
	s_and_saveexec_b64 s[8:9], s[0:1]
; %bb.32:
	ds_read_b32 v3, v7 offset:72
; %bb.33:
	s_or_b64 exec, exec, s[8:9]
	s_waitcnt lgkmcnt(0)
	ds_bpermute_b32 v4, v15, v3
	v_lshlrev_b32_e32 v2, 2, v2
	v_and_b32_e32 v2, 0x100, v2
	s_waitcnt lgkmcnt(0)
	v_add_f32_e32 v3, v3, v4
	ds_bpermute_b32 v2, v2, v3
	s_and_saveexec_b64 s[0:1], s[2:3]
	s_cbranch_execz .LBB72_46
; %bb.34:
	s_waitcnt lgkmcnt(0)
	v_add_f32_e32 v2, 0x358637bd, v2
	v_div_scale_f32 v3, s[2:3], v2, v2, 1.0
	v_rcp_f32_e32 v4, v3
	v_div_scale_f32 v5, vcc, 1.0, v2, 1.0
	s_movk_i32 s2, 0x7f
	v_fma_f32 v6, -v3, v4, 1.0
	v_fmac_f32_e32 v4, v6, v4
	v_mul_f32_e32 v6, v5, v4
	v_fma_f32 v7, -v3, v6, v5
	v_fmac_f32_e32 v6, v7, v4
	v_fma_f32 v3, -v3, v6, v5
	v_div_fmas_f32 v3, v3, v4, v6
	v_xad_u32 v4, v0, -1, s15
	v_div_fixup_f32 v2, v3, v2, 1.0
	v_cmp_lt_u32_e32 vcc, s2, v4
	s_mov_b64 s[8:9], -1
	v_mov_b32_e32 v3, v0
	s_and_saveexec_b64 s[2:3], vcc
	s_cbranch_execz .LBB72_43
; %bb.35:
	v_lshrrev_b32_e32 v4, 7, v4
	v_add_u32_e32 v6, -1, v4
	v_lshrrev_b32_e32 v5, 1, v6
	v_mov_b32_e32 v3, v2
	v_add_u32_e32 v5, 1, v5
	v_cmp_lt_u32_e32 vcc, 13, v6
	v_mov_b32_e32 v8, 0
	s_and_saveexec_b64 s[8:9], vcc
	s_cbranch_execz .LBB72_39
; %bb.36:
	v_mov_b32_e32 v7, 0x50
	v_and_b32_e32 v6, -8, v5
	v_lshl_add_u32 v7, v0, 2, v7
	s_mov_b32 s34, 0
	s_mov_b64 s[30:31], 0
.LBB72_37:                              ; =>This Inner Loop Header: Depth=1
	ds_read2st64_b32 v[8:9], v7 offset1:2
	ds_read2st64_b32 v[10:11], v7 offset0:4 offset1:6
	ds_read2st64_b32 v[16:17], v7 offset0:8 offset1:10
	;; [unrolled: 1-line block ×3, first 2 shown]
	v_add_u32_e32 v6, -8, v6
	s_waitcnt lgkmcnt(3)
	v_pk_mul_f32 v[8:9], v[2:3], v[8:9]
	s_waitcnt lgkmcnt(2)
	v_pk_mul_f32 v[10:11], v[2:3], v[10:11]
	ds_write2st64_b32 v7, v8, v9 offset1:2
	ds_write2st64_b32 v7, v10, v11 offset0:4 offset1:6
	ds_read2st64_b32 v[10:11], v7 offset0:16 offset1:18
	s_waitcnt lgkmcnt(4)
	v_pk_mul_f32 v[8:9], v[2:3], v[16:17]
	ds_write2st64_b32 v7, v8, v9 offset0:8 offset1:10
	s_waitcnt lgkmcnt(4)
	v_pk_mul_f32 v[8:9], v[2:3], v[18:19]
	ds_write2st64_b32 v7, v8, v9 offset0:12 offset1:14
	ds_read2st64_b32 v[8:9], v7 offset0:20 offset1:22
	s_waitcnt lgkmcnt(3)
	v_pk_mul_f32 v[10:11], v[2:3], v[10:11]
	ds_read2st64_b32 v[16:17], v7 offset0:24 offset1:26
	ds_write2st64_b32 v7, v10, v11 offset0:16 offset1:18
	ds_read2st64_b32 v[10:11], v7 offset0:28 offset1:30
	s_waitcnt lgkmcnt(3)
	v_pk_mul_f32 v[8:9], v[2:3], v[8:9]
	ds_write2st64_b32 v7, v8, v9 offset0:20 offset1:22
	s_waitcnt lgkmcnt(3)
	v_pk_mul_f32 v[8:9], v[2:3], v[16:17]
	ds_write2st64_b32 v7, v8, v9 offset0:24 offset1:26
	s_waitcnt lgkmcnt(2)
	v_pk_mul_f32 v[8:9], v[2:3], v[10:11]
	s_add_i32 s34, s34, 16
	v_cmp_eq_u32_e32 vcc, 0, v6
	ds_write2st64_b32 v7, v8, v9 offset0:28 offset1:30
	v_add_u32_e32 v7, 0x2000, v7
	s_or_b64 s[30:31], vcc, s[30:31]
	v_mov_b32_e32 v8, s34
	s_andn2_b64 exec, exec, s[30:31]
	s_cbranch_execnz .LBB72_37
; %bb.38:
	s_or_b64 exec, exec, s[30:31]
.LBB72_39:
	s_or_b64 exec, exec, s[8:9]
	v_and_b32_e32 v5, 7, v5
	v_cmp_ne_u32_e32 vcc, 0, v5
	s_and_saveexec_b64 s[8:9], vcc
	s_cbranch_execz .LBB72_42
; %bb.40:
	v_lshlrev_b32_e32 v6, 9, v8
	v_lshlrev_b32_e32 v7, 2, v0
	s_movk_i32 s30, 0x50
	v_add3_u32 v6, v6, v7, s30
	s_mov_b64 s[30:31], 0
.LBB72_41:                              ; =>This Inner Loop Header: Depth=1
	ds_read2st64_b32 v[8:9], v6 offset1:2
	v_add_u32_e32 v5, -1, v5
	v_cmp_eq_u32_e32 vcc, 0, v5
	s_or_b64 s[30:31], vcc, s[30:31]
	s_waitcnt lgkmcnt(0)
	v_pk_mul_f32 v[8:9], v[2:3], v[8:9]
	ds_write2st64_b32 v6, v8, v9 offset1:2
	v_add_u32_e32 v6, 0x400, v6
	s_andn2_b64 exec, exec, s[30:31]
	s_cbranch_execnz .LBB72_41
.LBB72_42:
	s_or_b64 exec, exec, s[8:9]
	v_add_u32_e32 v4, 1, v4
	v_and_b32_e32 v5, 0x3fffffe, v4
	v_cmp_ne_u32_e32 vcc, v4, v5
	v_lshl_add_u32 v3, v5, 7, v0
	s_orn2_b64 s[8:9], vcc, exec
.LBB72_43:
	s_or_b64 exec, exec, s[2:3]
	s_and_b64 exec, exec, s[8:9]
	s_cbranch_execz .LBB72_46
; %bb.44:
	v_mov_b32_e32 v4, 0x50
	v_lshl_add_u32 v4, v3, 2, v4
	s_mov_b64 s[2:3], 0
.LBB72_45:                              ; =>This Inner Loop Header: Depth=1
	ds_read_b32 v5, v4
	v_add_u32_e32 v3, 0x80, v3
	v_cmp_le_i32_e32 vcc, s15, v3
	s_or_b64 s[2:3], vcc, s[2:3]
	s_waitcnt lgkmcnt(0)
	v_mul_f32_e32 v5, v2, v5
	ds_write_b32 v4, v5
	v_add_u32_e32 v4, 0x200, v4
	s_andn2_b64 exec, exec, s[2:3]
	s_cbranch_execnz .LBB72_45
.LBB72_46:
	s_or_b64 exec, exec, s[0:1]
	v_mov_b32_e32 v17, 0
	s_waitcnt lgkmcnt(0)
	s_barrier
	s_and_saveexec_b64 s[2:3], s[6:7]
	s_cbranch_execz .LBB72_54
; %bb.47:
	s_ashr_i32 s15, s14, 31
	s_sub_i32 s17, s41, s17
	s_lshl_b64 s[0:1], s[14:15], 1
	s_add_u32 s0, s28, s0
	s_addc_u32 s1, s29, s1
	s_abs_i32 s14, s18
	v_cvt_f32_u32_e32 v3, s14
	v_lshlrev_b32_e32 v2, 3, v0
	v_and_b32_e32 v16, 8, v2
	v_lshlrev_b32_e32 v2, 4, v0
	v_rcp_iflag_f32_e32 v3, v3
	v_and_b32_e32 v6, 0x3f0, v2
	v_mov_b32_e32 v7, 0
	v_lshl_add_u64 v[8:9], s[0:1], 0, v[6:7]
	v_mul_f32_e32 v2, 0x4f7ffffe, v3
	v_cvt_u32_f32_e32 v2, v2
	s_sub_i32 s0, 0, s14
	s_add_i32 s15, s16, -1
	v_and_b32_e32 v6, 60, v1
	v_mul_lo_u32 v3, s0, v2
	s_lshl_b64 s[0:1], s[26:27], 2
	v_and_b32_e32 v1, 1, v0
	s_add_u32 s0, s24, s0
	v_lshlrev_b32_e32 v1, 5, v1
	v_mul_hi_u32 v3, v2, v3
	s_addc_u32 s1, s25, s1
	v_lshl_or_b32 v1, v12, 6, v1
	s_mov_b32 s18, s11
	v_add_u32_e32 v18, v2, v3
	v_lshl_add_u64 v[10:11], s[0:1], 0, v[6:7]
	v_add_u32_e32 v19, 0x50, v1
	s_mov_b64 s[6:7], 0
	s_mov_b32 s24, 0xffff
	v_mov_b32_e32 v17, 0
	s_branch .LBB72_50
.LBB72_48:                              ;   in Loop: Header=BB72_50 Depth=1
	s_or_b64 exec, exec, s[8:9]
	v_and_b32_e32 v20, 0xffff, v20
	v_lshlrev_b32_e32 v6, 16, v6
	v_lshlrev_b32_e32 v1, 16, v1
	v_lshl_or_b32 v20, v21, 16, v20
	v_and_b32_e32 v21, 0xffff, v22
	v_and_or_b32 v2, v2, s24, v6
	v_and_or_b32 v1, v3, s24, v1
	v_lshlrev_b32_e32 v3, 16, v28
	v_lshl_or_b32 v21, v23, 16, v21
	v_and_b32_e32 v22, 0xffff, v24
	v_and_b32_e32 v23, 0xffff, v26
	v_and_or_b32 v3, v4, s24, v3
	;;#ASMSTART
	v_pk_mul_f16 v2, v20, v2;

	;;#ASMEND
	;;#ASMSTART
	v_pk_mul_f16 v1, v21, v1;

	;;#ASMEND
	v_lshl_or_b32 v22, v25, 16, v22
	v_lshl_or_b32 v23, v27, 16, v23
	;;#ASMSTART
	v_pk_mul_f16 v3, v22, v3;

	;;#ASMEND
	;;#ASMSTART
	v_pk_mul_f16 v4, v23, v5;

	;;#ASMEND
	;;#ASMSTART
	v_pk_add_f16 v1, v2, v1;

	;;#ASMEND
	s_nop 0
	;;#ASMSTART
	v_pk_add_f16 v1, v1, v3;

	;;#ASMEND
	s_nop 0
	;;#ASMSTART
	v_pk_add_f16 v1, v1, v4;

	;;#ASMEND
	s_nop 0
	v_lshrrev_b32_e32 v2, 16, v1
	v_and_b32_e32 v1, 0xffff, v1
	;;#ASMSTART
	v_cvt_f32_f16 v1, v1;
	;;#ASMEND
	;;#ASMSTART
	v_cvt_f32_f16 v2, v2;
	;;#ASMEND
	s_nop 0
	v_add_f32_e32 v1, v1, v2
	v_add_f32_e32 v17, v17, v1
.LBB72_49:                              ;   in Loop: Header=BB72_50 Depth=1
	s_or_b64 exec, exec, s[0:1]
	v_add_u32_e32 v12, 2, v12
	v_cmp_le_i32_e32 vcc, s16, v12
	v_lshl_add_u64 v[10:11], v[10:11], 0, 8
	v_add_u32_e32 v13, 32, v13
	s_or_b64 s[6:7], vcc, s[6:7]
	v_add_u32_e32 v19, 0x80, v19
	s_andn2_b64 exec, exec, s[6:7]
	s_cbranch_execz .LBB72_53
.LBB72_50:                              ; =>This Inner Loop Header: Depth=1
	v_mul_hi_u32 v1, v13, s33
	v_mul_lo_u32 v2, v1, s21
	v_sub_u32_e32 v2, v13, v2
	v_add_u32_e32 v3, 1, v1
	v_cmp_le_u32_e32 vcc, s21, v2
	s_nop 1
	v_cndmask_b32_e32 v1, v1, v3, vcc
	v_subrev_u32_e32 v3, s21, v2
	v_cndmask_b32_e32 v2, v2, v3, vcc
	v_add_u32_e32 v3, 1, v1
	v_cmp_le_u32_e32 vcc, s21, v2
	s_nop 1
	v_cndmask_b32_e32 v1, v1, v3, vcc
	v_xor_b32_e32 v1, s19, v1
	v_subrev_u32_e32 v1, s19, v1
	v_add_u32_e32 v2, s40, v1
	v_sub_u32_e32 v4, 0, v2
	v_ashrrev_i32_e32 v3, 31, v2
	v_max_i32_e32 v2, v2, v4
	v_mul_hi_u32 v4, v2, v18
	v_mul_lo_u32 v4, v4, s14
	v_sub_u32_e32 v2, v2, v4
	v_subrev_u32_e32 v4, s14, v2
	v_cmp_le_u32_e32 vcc, s14, v2
	v_cmp_lt_i32_e64 s[0:1], s17, v1
	s_nop 0
	v_cndmask_b32_e32 v2, v2, v4, vcc
	v_subrev_u32_e32 v4, s14, v2
	v_cmp_le_u32_e32 vcc, s14, v2
	s_nop 1
	v_cndmask_b32_e32 v2, v2, v4, vcc
	v_xor_b32_e32 v2, v2, v3
	v_sub_u32_e32 v2, v2, v3
	v_cmp_eq_u32_e32 vcc, 0, v2
	s_or_b64 s[8:9], vcc, s[0:1]
	s_and_saveexec_b64 s[0:1], s[8:9]
	s_cbranch_execz .LBB72_49
; %bb.51:                               ;   in Loop: Header=BB72_50 Depth=1
	global_load_dword v1, v[10:11], off
	ds_read2_b64 v[2:5], v19 offset1:1
	ds_read2_b64 v[24:27], v19 offset0:2 offset1:3
	v_cmp_eq_u32_e32 vcc, s15, v12
	s_waitcnt lgkmcnt(1)
	;;#ASMSTART
	v_cvt_f16_f32 v20, v2;

	;;#ASMEND
	;;#ASMSTART
	v_cvt_f16_f32 v21, v3;

	;;#ASMEND
	;; [unrolled: 4-line block ×4, first 2 shown]
	s_waitcnt lgkmcnt(0)
	;;#ASMSTART
	v_cvt_f16_f32 v24, v24;

	;;#ASMEND
	;;#ASMSTART
	v_cvt_f16_f32 v25, v25;

	;;#ASMEND
	;; [unrolled: 4-line block ×4, first 2 shown]
	s_waitcnt vmcnt(0)
	v_mad_i64_i32 v[2:3], s[8:9], v1, s13, 0
	v_lshl_add_u64 v[2:3], v[2:3], 1, v[8:9]
	global_load_dwordx4 v[2:5], v[2:3], off
	s_waitcnt vmcnt(0)
	v_lshrrev_b32_e32 v1, 16, v3
	v_lshrrev_b32_e32 v6, 16, v2
	;; [unrolled: 1-line block ×3, first 2 shown]
	s_and_saveexec_b64 s[8:9], vcc
	s_cbranch_execz .LBB72_48
; %bb.52:                               ;   in Loop: Header=BB72_50 Depth=1
	v_add_u32_e32 v29, v16, v13
	v_cmp_gt_i32_e32 vcc, s11, v29
	v_add_u32_e32 v32, 2, v29
	v_or_b32_e32 v30, 3, v29
	v_cndmask_b32_e32 v2, 0, v2, vcc
	v_cmp_gt_i32_e32 vcc, s11, v32
	v_or_b32_e32 v31, 1, v29
	s_nop 0
	v_cndmask_b32_e32 v3, 0, v3, vcc
	v_cmp_gt_i32_e32 vcc, s18, v30
	v_add_u32_e32 v30, 4, v29
	s_nop 0
	v_cndmask_b32_e32 v1, 0, v1, vcc
	v_cmp_gt_i32_e32 vcc, s11, v31
	s_nop 1
	v_cndmask_b32_e32 v6, 0, v6, vcc
	v_cmp_gt_i32_e32 vcc, s11, v30
	v_add_u32_e32 v30, 5, v29
	s_nop 0
	v_cndmask_b32_e32 v4, 0, v4, vcc
	v_cmp_gt_i32_e32 vcc, s11, v30
	v_add_u32_e32 v30, 6, v29
	v_add_u32_e32 v29, 7, v29
	v_cndmask_b32_e32 v28, 0, v28, vcc
	v_cmp_gt_i32_e32 vcc, s11, v30
	s_nop 1
	v_cndmask_b32_sdwa v30, v7, v5, vcc dst_sel:DWORD dst_unused:UNUSED_PAD src0_sel:DWORD src1_sel:WORD_0
	v_and_b32_e32 v5, 0xffff0000, v5
	v_cmp_gt_i32_e32 vcc, s11, v29
	s_nop 1
	v_cndmask_b32_e32 v5, 0, v5, vcc
	v_or_b32_e32 v5, v30, v5
	s_branch .LBB72_48
.LBB72_53:
	s_or_b64 exec, exec, s[6:7]
.LBB72_54:
	s_or_b64 exec, exec, s[2:3]
	ds_bpermute_b32 v1, v15, v17
	v_and_b32_e32 v2, 0x3c1, v0
	v_cmp_eq_u32_e32 vcc, 64, v2
	s_waitcnt lgkmcnt(0)
	s_barrier
	v_add_f32_e32 v1, v17, v1
	s_and_saveexec_b64 s[0:1], vcc
; %bb.55:
	v_mov_b32_e32 v3, 0x50
	v_lshl_add_u32 v3, v14, 1, v3
	ds_write_b32 v3, v1
; %bb.56:
	s_or_b64 exec, exec, s[0:1]
	v_lshrrev_b32_e32 v0, 1, v0
	v_cmp_eq_u32_e32 vcc, 0, v2
	s_waitcnt lgkmcnt(0)
	s_barrier
	s_and_saveexec_b64 s[0:1], vcc
	s_cbranch_execz .LBB72_58
; %bb.57:
	v_mov_b32_e32 v2, 0x50
	v_lshl_add_u32 v2, v0, 2, v2
	ds_read_b32 v2, v2
	s_waitcnt lgkmcnt(0)
	v_add_f32_e32 v1, v1, v2
.LBB72_58:
	s_or_b64 exec, exec, s[0:1]
	s_barrier
	s_and_saveexec_b64 s[0:1], vcc
	s_cbranch_execz .LBB72_60
; %bb.59:
	s_mul_i32 s0, s10, s12
	s_mul_i32 s0, s0, s5
	s_lshl_b32 s0, s0, 5
	s_ashr_i32 s1, s0, 31
	s_lshl_b64 s[0:1], s[0:1], 1
	s_add_u32 s2, s22, s0
	s_mul_i32 s0, s12, s20
	s_addc_u32 s3, s23, s1
	s_ashr_i32 s1, s0, 31
	s_lshl_b64 s[0:1], s[0:1], 1
	s_add_u32 s2, s2, s0
	s_addc_u32 s3, s3, s1
	s_lshl_b32 s0, s4, 5
	s_ashr_i32 s1, s0, 31
	s_lshl_b64 s[0:1], s[0:1], 1
	s_add_u32 s0, s2, s0
	s_addc_u32 s1, s3, s1
	v_lshlrev_b32_e32 v0, 1, v0
	;;#ASMSTART
	v_cvt_f16_f32 v1, v1;

	;;#ASMEND
	global_store_short v0, v1, s[0:1]
.LBB72_60:
	s_endpgm
	.section	.rodata,"a",@progbits
	.p2align	6, 0x0
	.amdhsa_kernel _ZN4vllm25paged_attention_v1_kernelIttLi32ELi16ELi128ELNS_18Fp8KVCacheDataTypeE0ELb1EEEvPT_PKS2_PKT0_S8_ifPKiSA_iPKfiiiSC_SC_iiiii
		.amdhsa_group_segment_fixed_size 80
		.amdhsa_private_segment_fixed_size 0
		.amdhsa_kernarg_size 384
		.amdhsa_user_sgpr_count 2
		.amdhsa_user_sgpr_dispatch_ptr 0
		.amdhsa_user_sgpr_queue_ptr 0
		.amdhsa_user_sgpr_kernarg_segment_ptr 1
		.amdhsa_user_sgpr_dispatch_id 0
		.amdhsa_user_sgpr_kernarg_preload_length 0
		.amdhsa_user_sgpr_kernarg_preload_offset 0
		.amdhsa_user_sgpr_private_segment_size 0
		.amdhsa_uses_dynamic_stack 0
		.amdhsa_enable_private_segment 0
		.amdhsa_system_sgpr_workgroup_id_x 1
		.amdhsa_system_sgpr_workgroup_id_y 1
		.amdhsa_system_sgpr_workgroup_id_z 1
		.amdhsa_system_sgpr_workgroup_info 0
		.amdhsa_system_vgpr_workitem_id 0
		.amdhsa_next_free_vgpr 37
		.amdhsa_next_free_sgpr 44
		.amdhsa_accum_offset 40
		.amdhsa_reserve_vcc 1
		.amdhsa_float_round_mode_32 0
		.amdhsa_float_round_mode_16_64 0
		.amdhsa_float_denorm_mode_32 3
		.amdhsa_float_denorm_mode_16_64 3
		.amdhsa_dx10_clamp 1
		.amdhsa_ieee_mode 1
		.amdhsa_fp16_overflow 0
		.amdhsa_tg_split 0
		.amdhsa_exception_fp_ieee_invalid_op 0
		.amdhsa_exception_fp_denorm_src 0
		.amdhsa_exception_fp_ieee_div_zero 0
		.amdhsa_exception_fp_ieee_overflow 0
		.amdhsa_exception_fp_ieee_underflow 0
		.amdhsa_exception_fp_ieee_inexact 0
		.amdhsa_exception_int_div_zero 0
	.end_amdhsa_kernel
	.section	.text._ZN4vllm25paged_attention_v1_kernelIttLi32ELi16ELi128ELNS_18Fp8KVCacheDataTypeE0ELb1EEEvPT_PKS2_PKT0_S8_ifPKiSA_iPKfiiiSC_SC_iiiii,"axG",@progbits,_ZN4vllm25paged_attention_v1_kernelIttLi32ELi16ELi128ELNS_18Fp8KVCacheDataTypeE0ELb1EEEvPT_PKS2_PKT0_S8_ifPKiSA_iPKfiiiSC_SC_iiiii,comdat
.Lfunc_end72:
	.size	_ZN4vllm25paged_attention_v1_kernelIttLi32ELi16ELi128ELNS_18Fp8KVCacheDataTypeE0ELb1EEEvPT_PKS2_PKT0_S8_ifPKiSA_iPKfiiiSC_SC_iiiii, .Lfunc_end72-_ZN4vllm25paged_attention_v1_kernelIttLi32ELi16ELi128ELNS_18Fp8KVCacheDataTypeE0ELb1EEEvPT_PKS2_PKT0_S8_ifPKiSA_iPKfiiiSC_SC_iiiii
                                        ; -- End function
	.set _ZN4vllm25paged_attention_v1_kernelIttLi32ELi16ELi128ELNS_18Fp8KVCacheDataTypeE0ELb1EEEvPT_PKS2_PKT0_S8_ifPKiSA_iPKfiiiSC_SC_iiiii.num_vgpr, 37
	.set _ZN4vllm25paged_attention_v1_kernelIttLi32ELi16ELi128ELNS_18Fp8KVCacheDataTypeE0ELb1EEEvPT_PKS2_PKT0_S8_ifPKiSA_iPKfiiiSC_SC_iiiii.num_agpr, 0
	.set _ZN4vllm25paged_attention_v1_kernelIttLi32ELi16ELi128ELNS_18Fp8KVCacheDataTypeE0ELb1EEEvPT_PKS2_PKT0_S8_ifPKiSA_iPKfiiiSC_SC_iiiii.numbered_sgpr, 44
	.set _ZN4vllm25paged_attention_v1_kernelIttLi32ELi16ELi128ELNS_18Fp8KVCacheDataTypeE0ELb1EEEvPT_PKS2_PKT0_S8_ifPKiSA_iPKfiiiSC_SC_iiiii.num_named_barrier, 0
	.set _ZN4vllm25paged_attention_v1_kernelIttLi32ELi16ELi128ELNS_18Fp8KVCacheDataTypeE0ELb1EEEvPT_PKS2_PKT0_S8_ifPKiSA_iPKfiiiSC_SC_iiiii.private_seg_size, 0
	.set _ZN4vllm25paged_attention_v1_kernelIttLi32ELi16ELi128ELNS_18Fp8KVCacheDataTypeE0ELb1EEEvPT_PKS2_PKT0_S8_ifPKiSA_iPKfiiiSC_SC_iiiii.uses_vcc, 1
	.set _ZN4vllm25paged_attention_v1_kernelIttLi32ELi16ELi128ELNS_18Fp8KVCacheDataTypeE0ELb1EEEvPT_PKS2_PKT0_S8_ifPKiSA_iPKfiiiSC_SC_iiiii.uses_flat_scratch, 0
	.set _ZN4vllm25paged_attention_v1_kernelIttLi32ELi16ELi128ELNS_18Fp8KVCacheDataTypeE0ELb1EEEvPT_PKS2_PKT0_S8_ifPKiSA_iPKfiiiSC_SC_iiiii.has_dyn_sized_stack, 0
	.set _ZN4vllm25paged_attention_v1_kernelIttLi32ELi16ELi128ELNS_18Fp8KVCacheDataTypeE0ELb1EEEvPT_PKS2_PKT0_S8_ifPKiSA_iPKfiiiSC_SC_iiiii.has_recursion, 0
	.set _ZN4vllm25paged_attention_v1_kernelIttLi32ELi16ELi128ELNS_18Fp8KVCacheDataTypeE0ELb1EEEvPT_PKS2_PKT0_S8_ifPKiSA_iPKfiiiSC_SC_iiiii.has_indirect_call, 0
	.section	.AMDGPU.csdata,"",@progbits
; Kernel info:
; codeLenInByte = 4612
; TotalNumSgprs: 50
; NumVgprs: 37
; NumAgprs: 0
; TotalNumVgprs: 37
; ScratchSize: 0
; MemoryBound: 0
; FloatMode: 240
; IeeeMode: 1
; LDSByteSize: 80 bytes/workgroup (compile time only)
; SGPRBlocks: 6
; VGPRBlocks: 4
; NumSGPRsForWavesPerEU: 50
; NumVGPRsForWavesPerEU: 37
; AccumOffset: 40
; Occupancy: 8
; WaveLimiterHint : 1
; COMPUTE_PGM_RSRC2:SCRATCH_EN: 0
; COMPUTE_PGM_RSRC2:USER_SGPR: 2
; COMPUTE_PGM_RSRC2:TRAP_HANDLER: 0
; COMPUTE_PGM_RSRC2:TGID_X_EN: 1
; COMPUTE_PGM_RSRC2:TGID_Y_EN: 1
; COMPUTE_PGM_RSRC2:TGID_Z_EN: 1
; COMPUTE_PGM_RSRC2:TIDIG_COMP_CNT: 0
; COMPUTE_PGM_RSRC3_GFX90A:ACCUM_OFFSET: 9
; COMPUTE_PGM_RSRC3_GFX90A:TG_SPLIT: 0
	.section	.text._ZN4vllm25paged_attention_v1_kernelIttLi64ELi16ELi128ELNS_18Fp8KVCacheDataTypeE0ELb1EEEvPT_PKS2_PKT0_S8_ifPKiSA_iPKfiiiSC_SC_iiiii,"axG",@progbits,_ZN4vllm25paged_attention_v1_kernelIttLi64ELi16ELi128ELNS_18Fp8KVCacheDataTypeE0ELb1EEEvPT_PKS2_PKT0_S8_ifPKiSA_iPKfiiiSC_SC_iiiii,comdat
	.protected	_ZN4vllm25paged_attention_v1_kernelIttLi64ELi16ELi128ELNS_18Fp8KVCacheDataTypeE0ELb1EEEvPT_PKS2_PKT0_S8_ifPKiSA_iPKfiiiSC_SC_iiiii ; -- Begin function _ZN4vllm25paged_attention_v1_kernelIttLi64ELi16ELi128ELNS_18Fp8KVCacheDataTypeE0ELb1EEEvPT_PKS2_PKT0_S8_ifPKiSA_iPKfiiiSC_SC_iiiii
	.globl	_ZN4vllm25paged_attention_v1_kernelIttLi64ELi16ELi128ELNS_18Fp8KVCacheDataTypeE0ELb1EEEvPT_PKS2_PKT0_S8_ifPKiSA_iPKfiiiSC_SC_iiiii
	.p2align	8
	.type	_ZN4vllm25paged_attention_v1_kernelIttLi64ELi16ELi128ELNS_18Fp8KVCacheDataTypeE0ELb1EEEvPT_PKS2_PKT0_S8_ifPKiSA_iPKfiiiSC_SC_iiiii,@function
_ZN4vllm25paged_attention_v1_kernelIttLi64ELi16ELi128ELNS_18Fp8KVCacheDataTypeE0ELb1EEEvPT_PKS2_PKT0_S8_ifPKiSA_iPKfiiiSC_SC_iiiii: ; @_ZN4vllm25paged_attention_v1_kernelIttLi64ELi16ELi128ELNS_18Fp8KVCacheDataTypeE0ELb1EEEvPT_PKS2_PKT0_S8_ifPKiSA_iPKfiiiSC_SC_iiiii
; %bb.0:
	s_load_dword s5, s[0:1], 0x80
	s_load_dwordx2 s[6:7], s[0:1], 0x30
	s_load_dwordx2 s[30:31], s[0:1], 0x20
	s_mov_b32 s10, s3
	s_ashr_i32 s11, s3, 31
	s_lshl_b64 s[8:9], s[10:11], 2
	s_waitcnt lgkmcnt(0)
	s_add_u32 s6, s6, s8
	s_addc_u32 s7, s7, s9
	s_abs_i32 s3, s30
	v_cvt_f32_u32_e32 v1, s3
	s_sub_i32 s11, 0, s3
	s_abs_i32 s9, s5
	s_xor_b32 s8, s5, s30
	v_rcp_iflag_f32_e32 v1, v1
	s_ashr_i32 s8, s8, 31
	s_mov_b32 s42, 0
	v_mul_f32_e32 v1, 0x4f7ffffe, v1
	v_cvt_u32_f32_e32 v1, v1
	s_nop 0
	v_readfirstlane_b32 s12, v1
	s_mul_i32 s11, s11, s12
	s_mul_hi_u32 s11, s12, s11
	s_add_i32 s12, s12, s11
	s_mul_hi_u32 s11, s9, s12
	s_mul_i32 s12, s11, s3
	s_sub_i32 s9, s9, s12
	s_add_i32 s12, s11, 1
	s_sub_i32 s13, s9, s3
	s_cmp_ge_u32 s9, s3
	s_cselect_b32 s11, s12, s11
	s_cselect_b32 s9, s13, s9
	s_add_i32 s12, s11, 1
	s_cmp_ge_u32 s9, s3
	s_cselect_b32 s3, s12, s11
	s_xor_b32 s3, s3, s8
	s_sub_i32 s16, s3, s8
	s_abs_i32 s22, s16
	v_cvt_f32_u32_e32 v1, s22
	s_load_dwordx2 s[8:9], s[0:1], 0x40
	s_sub_i32 s3, 0, s22
	s_abs_i32 s23, s2
	v_rcp_iflag_f32_e32 v1, v1
	s_nop 0
	v_mul_f32_e32 v1, 0x4f7ffffe, v1
	v_cvt_u32_f32_e32 v1, v1
	s_nop 0
	v_readfirstlane_b32 s11, v1
	s_mul_i32 s3, s3, s11
	s_mul_hi_u32 s3, s11, s3
	s_add_i32 s11, s11, s3
	s_waitcnt lgkmcnt(0)
	s_cmp_eq_u64 s[8:9], 0
	s_mul_hi_u32 s24, s23, s11
	s_cbranch_scc1 .LBB73_2
; %bb.1:
	s_ashr_i32 s3, s2, 31
	s_lshl_b64 s[12:13], s[2:3], 2
	s_add_u32 s8, s8, s12
	s_addc_u32 s9, s9, s13
	s_load_dword s42, s[8:9], 0x0
.LBB73_2:
	s_load_dword s11, s[6:7], 0x0
	s_load_dwordx4 s[12:15], s[0:1], 0x48
	s_ashr_i32 s3, s2, 31
	s_ashr_i32 s9, s16, 31
	v_and_b32_e32 v4, 3, v0
	s_lshl_b32 s20, s2, 6
	v_cmp_gt_u32_e32 vcc, 32, v0
	s_and_saveexec_b64 s[6:7], vcc
	s_cbranch_execz .LBB73_4
; %bb.3:
	s_load_dwordx2 s[16:17], s[0:1], 0x8
	s_waitcnt lgkmcnt(0)
	s_mul_i32 s18, s12, s10
	s_ashr_i32 s19, s18, 31
	s_lshl_b64 s[18:19], s[18:19], 1
	v_lshlrev_b32_e32 v1, 2, v0
	s_add_u32 s8, s16, s18
	s_addc_u32 s12, s17, s19
	s_ashr_i32 s21, s20, 31
	s_lshl_b64 s[16:17], s[20:21], 1
	s_add_u32 s16, s8, s16
	s_addc_u32 s17, s12, s17
	global_load_dword v1, v1, s[16:17]
	v_and_b32_e32 v2, 0x3fc, v0
	v_lshl_add_u32 v2, v4, 5, v2
	s_waitcnt vmcnt(0)
	ds_write_b32 v2, v1
.LBB73_4:
	s_or_b64 exec, exec, s[6:7]
	s_mul_i32 s6, s24, s22
	s_sub_i32 s6, s23, s6
	s_xor_b32 s3, s3, s9
	s_add_i32 s7, s24, 1
	s_sub_i32 s9, s6, s22
	s_load_dwordx4 s[16:19], s[0:1], 0x68
	s_load_dword s8, s[0:1], 0x78
	s_cmp_ge_u32 s6, s22
	s_cselect_b32 s7, s7, s24
	s_cselect_b32 s6, s9, s6
	s_add_i32 s9, s7, 1
	s_cmp_ge_u32 s6, s22
	s_cselect_b32 s6, s9, s7
	s_waitcnt lgkmcnt(0)
	s_abs_i32 s21, s19
	v_cvt_f32_u32_e32 v1, s21
	s_xor_b32 s6, s6, s3
	s_sub_i32 s3, s6, s3
	s_sub_i32 s6, 0, s21
	v_rcp_iflag_f32_e32 v1, v1
	s_add_i32 s15, s11, -1
	s_abs_i32 s9, s15
	v_mul_f32_e32 v1, 0x4f7ffffe, v1
	v_cvt_u32_f32_e32 v1, v1
	s_barrier
	v_readfirstlane_b32 s33, v1
	s_mul_i32 s6, s6, s33
	s_mul_hi_u32 s6, s33, s6
	s_add_i32 s33, s33, s6
	s_cmp_lt_i32 s8, 0
	s_mul_hi_u32 s12, s9, s33
	s_cbranch_scc0 .LBB73_6
; %bb.5:
	s_mul_i32 s6, s16, s30
	s_add_i32 s6, s3, s6
	s_mul_i32 s6, s6, s8
	s_sub_i32 s40, 1, s6
	s_mov_b64 s[6:7], 0
	s_branch .LBB73_7
.LBB73_6:
	s_mov_b64 s[6:7], -1
                                        ; implicit-def: $sgpr40
.LBB73_7:
	s_load_dwordx2 s[24:25], s[0:1], 0x28
	s_ashr_i32 s15, s15, 31
	s_andn2_b64 vcc, exec, s[6:7]
	s_ashr_i32 s19, s19, 31
	s_cbranch_vccnz .LBB73_9
; %bb.8:
	s_mul_i32 s6, s5, s16
	s_add_i32 s2, s6, s2
	s_mul_i32 s2, s2, s8
	s_add_i32 s40, s2, 1
.LBB73_9:
	s_load_dword s2, s[0:1], 0x38
	s_load_dwordx2 s[22:23], s[0:1], 0x0
	s_load_dwordx2 s[28:29], s[0:1], 0x18
	s_load_dword s16, s[0:1], 0x88
	s_xor_b32 s6, s15, s19
	s_waitcnt lgkmcnt(0)
	s_mul_i32 s26, s2, s10
	s_mul_i32 s2, s12, s21
	s_sub_i32 s2, s9, s2
	s_ashr_i32 s27, s26, 31
	s_add_i32 s7, s12, 1
	s_sub_i32 s8, s2, s21
	s_cmp_ge_u32 s2, s21
	s_cselect_b32 s7, s7, s12
	s_cselect_b32 s2, s8, s2
	s_add_i32 s8, s7, 1
	s_cmp_ge_u32 s2, s21
	s_cselect_b32 s2, s8, s7
	s_xor_b32 s2, s2, s6
	s_sub_i32 s12, s2, s6
	s_add_i32 s2, s11, 15
	s_ashr_i32 s6, s2, 31
	s_lshr_b32 s6, s6, 28
	s_add_i32 s2, s2, s6
	s_ashr_i32 s41, s2, 4
	v_lshrrev_b32_e32 v16, 6, v0
	v_cmp_gt_i32_e64 s[6:7], s41, v16
	v_mov_b32_e32 v9, 0xff7fffff
	s_mul_i32 s14, s3, s14
	v_lshrrev_b32_e32 v1, 4, v0
	v_lshlrev_b32_e32 v17, 4, v16
	v_mbcnt_lo_u32_b32 v6, -1, 0
	s_and_saveexec_b64 s[34:35], s[6:7]
	s_cbranch_execz .LBB73_21
; %bb.10:
	s_load_dwordx2 s[0:1], s[0:1], 0x10
	s_ashr_i32 s15, s14, 31
	s_sub_i32 s30, s12, s17
	s_lshl_b64 s[2:3], s[14:15], 1
	v_bfe_u32 v7, v0, 2, 4
	s_waitcnt lgkmcnt(0)
	s_add_u32 s0, s0, s2
	s_addc_u32 s1, s1, s3
	s_abs_i32 s15, s18
	v_cvt_f32_u32_e32 v5, s15
	v_lshlrev_b32_e32 v12, 4, v7
	v_mov_b32_e32 v13, 0
	v_lshl_add_u64 v[2:3], s[0:1], 0, v[12:13]
	v_rcp_iflag_f32_e32 v5, v5
	v_lshlrev_b32_e32 v8, 2, v0
	s_sub_i32 s0, 0, s15
	v_cmp_eq_u32_e32 vcc, 0, v4
	v_mul_f32_e32 v5, 0x4f7ffffe, v5
	v_cvt_u32_f32_e32 v5, v5
	v_and_b32_e32 v12, 12, v8
	v_lshlrev_b32_e32 v8, 5, v4
	v_lshl_add_u64 v[2:3], v[2:3], 0, v[12:13]
	v_mul_lo_u32 v4, s0, v5
	s_lshl_b64 s[0:1], s[26:27], 2
	s_add_u32 s0, s24, s0
	v_mul_hi_u32 v4, v5, v4
	v_and_b32_e32 v12, 60, v1
	s_addc_u32 s1, s25, s1
	v_subrev_u32_e32 v9, s11, v7
	v_add_u32_e32 v10, v5, v4
	v_lshl_add_u64 v[4:5], s[0:1], 0, v[12:13]
	v_add_u32_e32 v12, 1, v9
	v_lshlrev_b32_e32 v9, 2, v7
	v_lshl_or_b32 v9, v16, 6, v9
	v_mbcnt_hi_u32_b32 v15, -1, v6
	v_add_u32_e32 v13, 0x90, v9
	v_and_b32_e32 v9, 64, v15
	s_mov_b32 s43, s13
	v_cmp_neq_f32_e64 s[2:3], s42, 0
	v_lshlrev_b32_e32 v11, 4, v16
	v_mov_b32_e32 v14, 0xff7fffff
	s_mov_b64 s[36:37], 0
	v_add_u32_e32 v18, 64, v9
	v_xor_b32_e32 v19, 2, v15
	v_xor_b32_e32 v20, 1, v15
	v_mov_b32_e32 v9, 0xff7fffff
	v_mov_b32_e32 v21, v16
	s_branch .LBB73_13
.LBB73_11:                              ;   in Loop: Header=BB73_13 Depth=1
	s_or_b64 exec, exec, s[38:39]
.LBB73_12:                              ;   in Loop: Header=BB73_13 Depth=1
	s_or_b64 exec, exec, s[8:9]
	v_add_u32_e32 v21, 2, v21
	v_cmp_le_i32_e64 s[0:1], s41, v21
	v_lshl_add_u64 v[4:5], v[4:5], 0, 8
	v_add_u32_e32 v11, 32, v11
	s_or_b64 s[36:37], s[0:1], s[36:37]
	v_add_u32_e32 v13, 0x80, v13
	s_andn2_b64 exec, exec, s[36:37]
	s_cbranch_execz .LBB73_20
.LBB73_13:                              ; =>This Inner Loop Header: Depth=1
	v_mul_hi_u32 v22, v11, s33
	s_waitcnt lgkmcnt(0)
	v_mul_lo_u32 v23, v22, s21
	v_sub_u32_e32 v23, v11, v23
	v_add_u32_e32 v24, 1, v22
	v_cmp_le_u32_e64 s[0:1], s21, v23
	s_nop 1
	v_cndmask_b32_e64 v22, v22, v24, s[0:1]
	v_subrev_u32_e32 v24, s21, v23
	v_cndmask_b32_e64 v23, v23, v24, s[0:1]
	v_add_u32_e32 v24, 1, v22
	v_cmp_le_u32_e64 s[0:1], s21, v23
	s_nop 1
	v_cndmask_b32_e64 v22, v22, v24, s[0:1]
	v_xor_b32_e32 v22, s19, v22
	v_subrev_u32_e32 v22, s19, v22
	v_add_u32_e32 v23, s40, v22
	v_sub_u32_e32 v25, 0, v23
	v_ashrrev_i32_e32 v24, 31, v23
	v_max_i32_e32 v23, v23, v25
	v_mul_hi_u32 v25, v23, v10
	v_mul_lo_u32 v25, v25, s15
	v_sub_u32_e32 v23, v23, v25
	v_subrev_u32_e32 v25, s15, v23
	v_cmp_le_u32_e64 s[0:1], s15, v23
	v_cmp_ge_i32_e64 s[8:9], s30, v22
	s_nop 0
	v_cndmask_b32_e64 v23, v23, v25, s[0:1]
	v_subrev_u32_e32 v25, s15, v23
	v_cmp_le_u32_e64 s[0:1], s15, v23
	s_nop 1
	v_cndmask_b32_e64 v23, v23, v25, s[0:1]
	v_xor_b32_e32 v23, v23, v24
	v_sub_u32_e32 v23, v23, v24
	v_cmp_ne_u32_e64 s[0:1], 0, v23
	s_and_b64 s[0:1], s[0:1], s[8:9]
	s_and_saveexec_b64 s[8:9], s[0:1]
	s_xor_b64 s[0:1], exec, s[8:9]
	s_cbranch_execz .LBB73_17
; %bb.14:                               ;   in Loop: Header=BB73_13 Depth=1
	s_and_saveexec_b64 s[8:9], vcc
; %bb.15:                               ;   in Loop: Header=BB73_13 Depth=1
	ds_write_b32 v13, v14
; %bb.16:                               ;   in Loop: Header=BB73_13 Depth=1
	s_or_b64 exec, exec, s[8:9]
.LBB73_17:                              ;   in Loop: Header=BB73_13 Depth=1
	s_andn2_saveexec_b64 s[8:9], s[0:1]
	s_cbranch_execz .LBB73_12
; %bb.18:                               ;   in Loop: Header=BB73_13 Depth=1
	global_load_dword v22, v[4:5], off
	s_waitcnt vmcnt(0)
	v_mad_i64_i32 v[22:23], s[0:1], v22, s43, 0
	v_lshl_add_u64 v[22:23], v[22:23], 1, v[2:3]
	global_load_dword v24, v[22:23], off
	global_load_dword v25, v[22:23], off offset:256
	global_load_dword v26, v[22:23], off offset:512
	;; [unrolled: 1-line block ×7, first 2 shown]
	ds_read_b32 v22, v8
	v_cmp_lt_i32_e64 s[0:1], v19, v18
	s_waitcnt lgkmcnt(0)
	v_lshrrev_b32_e32 v32, 16, v22
	v_and_b32_e32 v22, 0xffff, v22
	;;#ASMSTART
	v_cvt_f32_f16 v22, v22;
	;;#ASMEND
	;;#ASMSTART
	v_cvt_f32_f16 v32, v32;
	;;#ASMEND
	v_cndmask_b32_e64 v23, v15, v19, s[0:1]
	v_lshlrev_b32_e32 v23, 2, v23
	v_cmp_lt_i32_e64 s[0:1], v20, v18
	s_waitcnt vmcnt(7)
	v_lshrrev_b32_e32 v33, 16, v24
	v_and_b32_e32 v24, 0xffff, v24
	;;#ASMSTART
	v_cvt_f32_f16 v24, v24;
	;;#ASMEND
	;;#ASMSTART
	v_cvt_f32_f16 v33, v33;
	;;#ASMEND
	ds_read_b32 v34, v8 offset:4
	s_waitcnt vmcnt(6)
	v_lshrrev_b32_e32 v35, 16, v25
	v_and_b32_e32 v36, 0xffff, v25
	s_waitcnt vmcnt(5)
	v_lshrrev_b32_e32 v37, 16, v26
	v_and_b32_e32 v38, 0xffff, v26
	s_waitcnt lgkmcnt(0)
	v_lshrrev_b32_e32 v26, 16, v34
	v_and_b32_e32 v25, 0xffff, v34
	;;#ASMSTART
	v_cvt_f32_f16 v25, v25;
	;;#ASMEND
	;;#ASMSTART
	v_cvt_f32_f16 v26, v26;
	;;#ASMEND
	;;#ASMSTART
	v_cvt_f32_f16 v34, v36;
	;;#ASMEND
	;;#ASMSTART
	v_cvt_f32_f16 v35, v35;
	;;#ASMEND
	ds_read_b32 v36, v8 offset:8
	s_waitcnt vmcnt(4)
	v_lshrrev_b32_e32 v39, 16, v27
	v_and_b32_e32 v40, 0xffff, v27
	s_waitcnt vmcnt(3)
	v_lshrrev_b32_e32 v41, 16, v28
	v_and_b32_e32 v42, 0xffff, v28
	s_waitcnt lgkmcnt(0)
	v_lshrrev_b32_e32 v28, 16, v36
	v_and_b32_e32 v27, 0xffff, v36
	;;#ASMSTART
	v_cvt_f32_f16 v27, v27;
	;;#ASMEND
	;;#ASMSTART
	v_cvt_f32_f16 v28, v28;
	;;#ASMEND
	;; [unrolled: 22-line block ×3, first 2 shown]
	;;#ASMSTART
	v_cvt_f32_f16 v38, v40;
	;;#ASMEND
	;;#ASMSTART
	v_cvt_f32_f16 v39, v39;
	;;#ASMEND
	ds_read_b32 v40, v8 offset:16
	s_waitcnt vmcnt(0)
	v_lshrrev_b32_e32 v47, 16, v31
	v_and_b32_e32 v48, 0xffff, v31
	v_mul_f32_e32 v25, v25, v34
	v_mul_f32_e32 v26, v26, v35
	s_waitcnt lgkmcnt(0)
	v_lshrrev_b32_e32 v34, 16, v40
	v_and_b32_e32 v31, 0xffff, v40
	;;#ASMSTART
	v_cvt_f32_f16 v31, v31;
	;;#ASMEND
	;;#ASMSTART
	v_cvt_f32_f16 v34, v34;
	;;#ASMEND
	;;#ASMSTART
	v_cvt_f32_f16 v35, v42;
	;;#ASMEND
	;;#ASMSTART
	v_cvt_f32_f16 v40, v41;
	;;#ASMEND
	ds_read_b32 v41, v8 offset:20
	v_fmac_f32_e32 v25, v22, v24
	v_fmac_f32_e32 v26, v32, v33
	v_fmac_f32_e32 v25, v27, v36
	v_fmac_f32_e32 v26, v28, v37
	s_waitcnt lgkmcnt(0)
	v_lshrrev_b32_e32 v24, 16, v41
	v_and_b32_e32 v22, 0xffff, v41
	;;#ASMSTART
	v_cvt_f32_f16 v22, v22;
	;;#ASMEND
	;;#ASMSTART
	v_cvt_f32_f16 v24, v24;
	;;#ASMEND
	;;#ASMSTART
	v_cvt_f32_f16 v27, v44;
	;;#ASMEND
	;;#ASMSTART
	v_cvt_f32_f16 v28, v43;
	;;#ASMEND
	ds_read_b32 v32, v8 offset:24
	v_fmac_f32_e32 v25, v29, v38
	v_fmac_f32_e32 v26, v30, v39
	v_fmac_f32_e32 v25, v31, v35
	v_fmac_f32_e32 v26, v34, v40
	;; [unrolled: 20-line block ×3, first 2 shown]
	s_waitcnt lgkmcnt(0)
	v_lshrrev_b32_e32 v24, 16, v33
	v_and_b32_e32 v22, 0xffff, v33
	;;#ASMSTART
	v_cvt_f32_f16 v22, v22;
	;;#ASMEND
	;;#ASMSTART
	v_cvt_f32_f16 v24, v24;
	;;#ASMEND
	;; [unrolled: 3-line block ×4, first 2 shown]
	s_nop 0
	v_fmac_f32_e32 v25, v22, v27
	v_fmac_f32_e32 v26, v24, v28
	v_add_f32_e32 v22, v25, v26
	ds_bpermute_b32 v23, v23, v22
	v_cndmask_b32_e64 v24, v15, v20, s[0:1]
	s_waitcnt lgkmcnt(0)
	v_add_f32_e32 v22, v22, v23
	v_lshlrev_b32_e32 v23, 2, v24
	ds_bpermute_b32 v23, v23, v22
	s_and_saveexec_b64 s[38:39], vcc
	s_cbranch_execz .LBB73_11
; %bb.19:                               ;   in Loop: Header=BB73_13 Depth=1
	v_add_u32_e32 v24, v12, v11
	v_cvt_f32_i32_e32 v24, v24
	s_waitcnt lgkmcnt(0)
	v_add_f32_e32 v22, v22, v23
	v_add_u32_e32 v25, v7, v11
	v_cmp_gt_i32_e64 s[0:1], s11, v25
	v_mul_f32_e32 v23, s42, v24
	v_cndmask_b32_e64 v23, 0, v23, s[2:3]
	v_fmac_f32_e32 v23, s31, v22
	v_cndmask_b32_e64 v22, 0, v23, s[0:1]
	ds_write_b32 v13, v22
	v_max_f32_e32 v22, v9, v9
	v_max_f32_e32 v22, v22, v23
	v_cndmask_b32_e64 v9, v9, v22, s[0:1]
	s_branch .LBB73_11
.LBB73_20:
	s_or_b64 exec, exec, s[36:37]
.LBB73_21:
	s_or_b64 exec, exec, s[34:35]
	v_mbcnt_hi_u32_b32 v2, -1, v6
	v_and_b32_e32 v10, 64, v2
	v_add_u32_e32 v3, 64, v10
	v_xor_b32_e32 v4, 32, v2
	v_cmp_lt_i32_e32 vcc, v4, v3
	v_xor_b32_e32 v7, 16, v2
	v_max_f32_e32 v6, v9, v9
	v_cndmask_b32_e32 v4, v2, v4, vcc
	v_lshlrev_b32_e32 v4, 2, v4
	ds_bpermute_b32 v5, v4, v9
	v_cmp_lt_i32_e32 vcc, v7, v3
	v_xor_b32_e32 v8, 8, v2
	v_xor_b32_e32 v9, 4, v2
	v_and_b32_e32 v18, 63, v0
	s_waitcnt lgkmcnt(0)
	v_max_f32_e32 v5, v5, v5
	v_max_f32_e32 v6, v6, v5
	v_cndmask_b32_e32 v5, v2, v7, vcc
	v_lshlrev_b32_e32 v5, 2, v5
	ds_bpermute_b32 v7, v5, v6
	v_cmp_lt_i32_e32 vcc, v8, v3
	s_waitcnt lgkmcnt(0)
	v_max_f32_e32 v7, v7, v7
	v_max_f32_e32 v6, v6, v7
	v_cndmask_b32_e32 v7, v2, v8, vcc
	v_lshlrev_b32_e32 v8, 2, v7
	ds_bpermute_b32 v7, v8, v6
	v_cmp_lt_i32_e32 vcc, v9, v3
	s_waitcnt lgkmcnt(0)
	v_max_f32_e32 v7, v7, v7
	v_max_f32_e32 v7, v6, v7
	v_cndmask_b32_e32 v6, v2, v9, vcc
	v_lshlrev_b32_e32 v9, 2, v6
	ds_bpermute_b32 v11, v9, v7
	v_cmp_eq_u32_e32 vcc, 0, v18
	v_lshlrev_b32_e32 v6, 2, v16
	s_and_saveexec_b64 s[0:1], vcc
	s_cbranch_execz .LBB73_23
; %bb.22:
	s_waitcnt lgkmcnt(0)
	v_max_f32_e32 v11, v11, v11
	v_max_f32_e32 v7, v7, v7
	v_max_f32_e32 v7, v7, v11
	ds_write_b32 v6, v7 offset:128
.LBB73_23:
	s_or_b64 exec, exec, s[0:1]
	v_cmp_gt_u32_e64 s[0:1], 2, v18
	s_waitcnt lgkmcnt(0)
	v_mov_b32_e32 v11, 0xff7fffff
	v_lshlrev_b32_e32 v7, 2, v18
	s_barrier
	s_and_saveexec_b64 s[2:3], s[0:1]
; %bb.24:
	ds_read_b32 v11, v7 offset:128
; %bb.25:
	s_or_b64 exec, exec, s[2:3]
	v_xor_b32_e32 v12, 1, v2
	v_cmp_lt_i32_e64 s[2:3], v12, v3
	v_lshlrev_b32_e32 v10, 2, v10
	s_nop 0
	v_cndmask_b32_e64 v12, v2, v12, s[2:3]
	v_lshlrev_b32_e32 v19, 2, v12
	s_waitcnt lgkmcnt(0)
	ds_bpermute_b32 v12, v19, v11
	v_max_f32_e32 v11, v11, v11
	s_lshl_b32 s2, s41, 4
	s_min_i32 s15, s2, s11
	v_cmp_gt_i32_e64 s[2:3], s15, v0
	s_waitcnt lgkmcnt(0)
	v_max_f32_e32 v12, v12, v12
	v_max_f32_e32 v11, v11, v12
	ds_bpermute_b32 v11, v10, v11
	v_mov_b32_e32 v10, 0
	s_and_saveexec_b64 s[30:31], s[2:3]
	s_cbranch_execz .LBB73_29
; %bb.26:
	v_mov_b32_e32 v10, 0x90
	v_lshl_add_u32 v12, v0, 2, v10
	v_mov_b32_e32 v10, 0
	s_mov_b64 s[34:35], 0
	v_mov_b32_e32 v13, v0
.LBB73_27:                              ; =>This Inner Loop Header: Depth=1
	ds_read_b32 v14, v12
	v_add_u32_e32 v13, 0x80, v13
	v_cmp_le_i32_e64 s[8:9], s15, v13
	s_or_b64 s[34:35], s[8:9], s[34:35]
	s_waitcnt lgkmcnt(0)
	v_sub_f32_e32 v14, v14, v11
	v_mul_f32_e32 v14, 0x3fb8aa3b, v14
	v_exp_f32_e32 v14, v14
	ds_write_b32 v12, v14
	v_add_f32_e32 v10, v10, v14
	v_add_u32_e32 v12, 0x200, v12
	s_andn2_b64 exec, exec, s[34:35]
	s_cbranch_execnz .LBB73_27
; %bb.28:
	s_or_b64 exec, exec, s[34:35]
.LBB73_29:
	s_or_b64 exec, exec, s[30:31]
	ds_bpermute_b32 v4, v4, v10
	s_waitcnt lgkmcnt(0)
	v_add_f32_e32 v4, v10, v4
	ds_bpermute_b32 v5, v5, v4
	s_waitcnt lgkmcnt(0)
	v_add_f32_e32 v4, v4, v5
	ds_bpermute_b32 v5, v8, v4
	v_xor_b32_e32 v8, 2, v2
	v_cmp_lt_i32_e64 s[8:9], v8, v3
	s_waitcnt lgkmcnt(0)
	v_add_f32_e32 v4, v4, v5
	ds_bpermute_b32 v5, v9, v4
	v_cndmask_b32_e64 v3, v2, v8, s[8:9]
	v_lshlrev_b32_e32 v3, 2, v3
	s_waitcnt lgkmcnt(0)
	v_add_f32_e32 v4, v4, v5
	ds_bpermute_b32 v3, v3, v4
	s_waitcnt lgkmcnt(0)
	v_add_f32_e32 v3, v4, v3
	ds_bpermute_b32 v4, v19, v3
	s_waitcnt lgkmcnt(0)
	v_add_f32_e32 v3, v3, v4
	s_and_saveexec_b64 s[8:9], vcc
; %bb.30:
	ds_write_b32 v6, v3 offset:136
; %bb.31:
	s_or_b64 exec, exec, s[8:9]
	s_waitcnt lgkmcnt(0)
	s_barrier
	s_and_saveexec_b64 s[8:9], s[0:1]
; %bb.32:
	ds_read_b32 v3, v7 offset:136
; %bb.33:
	s_or_b64 exec, exec, s[8:9]
	s_waitcnt lgkmcnt(0)
	ds_bpermute_b32 v4, v19, v3
	v_lshlrev_b32_e32 v2, 2, v2
	v_and_b32_e32 v2, 0x100, v2
	s_waitcnt lgkmcnt(0)
	v_add_f32_e32 v3, v3, v4
	ds_bpermute_b32 v2, v2, v3
	s_and_saveexec_b64 s[0:1], s[2:3]
	s_cbranch_execz .LBB73_46
; %bb.34:
	s_waitcnt lgkmcnt(0)
	v_add_f32_e32 v2, 0x358637bd, v2
	v_div_scale_f32 v3, s[2:3], v2, v2, 1.0
	v_rcp_f32_e32 v4, v3
	v_div_scale_f32 v5, vcc, 1.0, v2, 1.0
	s_movk_i32 s2, 0x7f
	v_fma_f32 v6, -v3, v4, 1.0
	v_fmac_f32_e32 v4, v6, v4
	v_mul_f32_e32 v6, v5, v4
	v_fma_f32 v7, -v3, v6, v5
	v_fmac_f32_e32 v6, v7, v4
	v_fma_f32 v3, -v3, v6, v5
	v_div_fmas_f32 v3, v3, v4, v6
	v_xad_u32 v4, v0, -1, s15
	v_div_fixup_f32 v2, v3, v2, 1.0
	v_cmp_lt_u32_e32 vcc, s2, v4
	s_mov_b64 s[8:9], -1
	v_mov_b32_e32 v3, v0
	s_and_saveexec_b64 s[2:3], vcc
	s_cbranch_execz .LBB73_43
; %bb.35:
	v_lshrrev_b32_e32 v4, 7, v4
	v_add_u32_e32 v6, -1, v4
	v_lshrrev_b32_e32 v5, 1, v6
	v_mov_b32_e32 v3, v2
	v_add_u32_e32 v5, 1, v5
	v_cmp_lt_u32_e32 vcc, 13, v6
	v_mov_b32_e32 v8, 0
	s_and_saveexec_b64 s[8:9], vcc
	s_cbranch_execz .LBB73_39
; %bb.36:
	v_mov_b32_e32 v7, 0x90
	v_and_b32_e32 v6, -8, v5
	v_lshl_add_u32 v7, v0, 2, v7
	s_mov_b32 s34, 0
	s_mov_b64 s[30:31], 0
.LBB73_37:                              ; =>This Inner Loop Header: Depth=1
	ds_read2st64_b32 v[8:9], v7 offset1:2
	ds_read2st64_b32 v[10:11], v7 offset0:4 offset1:6
	ds_read2st64_b32 v[12:13], v7 offset0:8 offset1:10
	;; [unrolled: 1-line block ×3, first 2 shown]
	v_add_u32_e32 v6, -8, v6
	s_waitcnt lgkmcnt(3)
	v_pk_mul_f32 v[8:9], v[2:3], v[8:9]
	s_waitcnt lgkmcnt(2)
	v_pk_mul_f32 v[10:11], v[2:3], v[10:11]
	ds_write2st64_b32 v7, v8, v9 offset1:2
	ds_write2st64_b32 v7, v10, v11 offset0:4 offset1:6
	ds_read2st64_b32 v[10:11], v7 offset0:16 offset1:18
	s_waitcnt lgkmcnt(4)
	v_pk_mul_f32 v[8:9], v[2:3], v[12:13]
	ds_write2st64_b32 v7, v8, v9 offset0:8 offset1:10
	s_waitcnt lgkmcnt(4)
	v_pk_mul_f32 v[8:9], v[2:3], v[14:15]
	ds_write2st64_b32 v7, v8, v9 offset0:12 offset1:14
	ds_read2st64_b32 v[8:9], v7 offset0:20 offset1:22
	s_waitcnt lgkmcnt(3)
	v_pk_mul_f32 v[10:11], v[2:3], v[10:11]
	ds_read2st64_b32 v[12:13], v7 offset0:24 offset1:26
	ds_write2st64_b32 v7, v10, v11 offset0:16 offset1:18
	ds_read2st64_b32 v[10:11], v7 offset0:28 offset1:30
	s_waitcnt lgkmcnt(3)
	v_pk_mul_f32 v[8:9], v[2:3], v[8:9]
	ds_write2st64_b32 v7, v8, v9 offset0:20 offset1:22
	s_waitcnt lgkmcnt(3)
	v_pk_mul_f32 v[8:9], v[2:3], v[12:13]
	ds_write2st64_b32 v7, v8, v9 offset0:24 offset1:26
	s_waitcnt lgkmcnt(2)
	v_pk_mul_f32 v[8:9], v[2:3], v[10:11]
	s_add_i32 s34, s34, 16
	v_cmp_eq_u32_e32 vcc, 0, v6
	ds_write2st64_b32 v7, v8, v9 offset0:28 offset1:30
	v_add_u32_e32 v7, 0x2000, v7
	s_or_b64 s[30:31], vcc, s[30:31]
	v_mov_b32_e32 v8, s34
	s_andn2_b64 exec, exec, s[30:31]
	s_cbranch_execnz .LBB73_37
; %bb.38:
	s_or_b64 exec, exec, s[30:31]
.LBB73_39:
	s_or_b64 exec, exec, s[8:9]
	v_and_b32_e32 v5, 7, v5
	v_cmp_ne_u32_e32 vcc, 0, v5
	s_and_saveexec_b64 s[8:9], vcc
	s_cbranch_execz .LBB73_42
; %bb.40:
	v_lshlrev_b32_e32 v6, 9, v8
	v_lshlrev_b32_e32 v7, 2, v0
	s_movk_i32 s30, 0x90
	v_add3_u32 v6, v6, v7, s30
	s_mov_b64 s[30:31], 0
.LBB73_41:                              ; =>This Inner Loop Header: Depth=1
	ds_read2st64_b32 v[8:9], v6 offset1:2
	v_add_u32_e32 v5, -1, v5
	v_cmp_eq_u32_e32 vcc, 0, v5
	s_or_b64 s[30:31], vcc, s[30:31]
	s_waitcnt lgkmcnt(0)
	v_pk_mul_f32 v[8:9], v[2:3], v[8:9]
	ds_write2st64_b32 v6, v8, v9 offset1:2
	v_add_u32_e32 v6, 0x400, v6
	s_andn2_b64 exec, exec, s[30:31]
	s_cbranch_execnz .LBB73_41
.LBB73_42:
	s_or_b64 exec, exec, s[8:9]
	v_add_u32_e32 v4, 1, v4
	v_and_b32_e32 v5, 0x3fffffe, v4
	v_cmp_ne_u32_e32 vcc, v4, v5
	v_lshl_add_u32 v3, v5, 7, v0
	s_orn2_b64 s[8:9], vcc, exec
.LBB73_43:
	s_or_b64 exec, exec, s[2:3]
	s_and_b64 exec, exec, s[8:9]
	s_cbranch_execz .LBB73_46
; %bb.44:
	v_mov_b32_e32 v4, 0x90
	v_lshl_add_u32 v4, v3, 2, v4
	s_mov_b64 s[2:3], 0
.LBB73_45:                              ; =>This Inner Loop Header: Depth=1
	ds_read_b32 v5, v4
	v_add_u32_e32 v3, 0x80, v3
	v_cmp_le_i32_e32 vcc, s15, v3
	s_or_b64 s[2:3], vcc, s[2:3]
	s_waitcnt lgkmcnt(0)
	v_mul_f32_e32 v5, v2, v5
	ds_write_b32 v4, v5
	v_add_u32_e32 v4, 0x200, v4
	s_andn2_b64 exec, exec, s[2:3]
	s_cbranch_execnz .LBB73_45
.LBB73_46:
	s_or_b64 exec, exec, s[0:1]
	v_mov_b32_e32 v7, 0
	v_and_b32_e32 v20, 1, v0
	v_mov_b32_e32 v6, 0
	s_waitcnt lgkmcnt(0)
	s_barrier
	s_and_saveexec_b64 s[2:3], s[6:7]
	s_cbranch_execz .LBB73_56
; %bb.47:
	s_ashr_i32 s15, s14, 31
	s_sub_i32 s17, s12, s17
	s_lshl_b64 s[0:1], s[14:15], 1
	s_add_u32 s0, s28, s0
	s_addc_u32 s1, s29, s1
	s_abs_i32 s14, s18
	v_cvt_f32_u32_e32 v3, s14
	v_lshlrev_b32_e32 v2, 3, v0
	v_and_b32_e32 v21, 8, v2
	v_mov_b32_e32 v9, 0
	v_rcp_iflag_f32_e32 v2, v3
	v_lshlrev_b32_e32 v3, 4, v0
	v_and_b32_e32 v8, 0x3f0, v3
	v_lshl_add_u64 v[10:11], s[0:1], 0, v[8:9]
	v_mul_f32_e32 v2, 0x4f7ffffe, v2
	v_cvt_u32_f32_e32 v2, v2
	s_sub_i32 s0, 0, s14
	s_add_i32 s18, s41, -1
	v_and_b32_e32 v8, 60, v1
	v_mul_lo_u32 v3, s0, v2
	s_lshl_b64 s[0:1], s[26:27], 2
	s_add_u32 s0, s24, s0
	v_lshlrev_b32_e32 v1, 5, v20
	v_mul_hi_u32 v3, v2, v3
	s_addc_u32 s1, s25, s1
	v_lshl_or_b32 v1, v16, 6, v1
	s_mov_b32 s15, s13
	s_mov_b32 s28, s11
	v_add_u32_e32 v22, v2, v3
	v_lshl_add_u64 v[12:13], s[0:1], 0, v[8:9]
	v_add_u32_e32 v23, 0x90, v1
	s_mov_b64 s[6:7], 0
	s_mov_b32 s24, 0xffff
	v_mov_b32_e32 v6, 0
	v_mov_b32_e32 v7, 0
	s_branch .LBB73_50
.LBB73_48:                              ;   in Loop: Header=BB73_50 Depth=1
	s_or_b64 exec, exec, s[12:13]
	v_lshlrev_b32_e32 v8, 16, v8
	v_lshlrev_b32_e32 v1, 16, v1
	v_and_or_b32 v2, v2, s24, v8
	v_and_or_b32 v1, v3, s24, v1
	v_lshlrev_b32_e32 v3, 16, v14
	v_and_or_b32 v3, v4, s24, v3
	;;#ASMSTART
	v_pk_mul_f16 v2, v33, v2;

	;;#ASMEND
	;;#ASMSTART
	v_pk_mul_f16 v1, v34, v1;

	;;#ASMEND
	;; [unrolled: 4-line block ×4, first 2 shown]
	v_add_f32_e32 v15, v36, v37
	;;#ASMSTART
	v_pk_add_f16 v1, v2, v1;

	;;#ASMEND
	v_add_f32_e32 v6, v6, v15
	;;#ASMSTART
	v_pk_add_f16 v1, v1, v3;

	;;#ASMEND
	s_nop 0
	;;#ASMSTART
	v_pk_add_f16 v1, v1, v4;

	;;#ASMEND
	s_nop 0
	v_lshrrev_b32_e32 v2, 16, v1
	v_and_b32_e32 v1, 0xffff, v1
	;;#ASMSTART
	v_cvt_f32_f16 v1, v1;
	;;#ASMEND
	;;#ASMSTART
	v_cvt_f32_f16 v2, v2;
	;;#ASMEND
	s_nop 0
	v_add_f32_e32 v1, v1, v2
	v_add_f32_e32 v7, v7, v1
.LBB73_49:                              ;   in Loop: Header=BB73_50 Depth=1
	s_or_b64 exec, exec, s[8:9]
	v_add_u32_e32 v16, 2, v16
	v_cmp_le_i32_e32 vcc, s41, v16
	v_lshl_add_u64 v[12:13], v[12:13], 0, 8
	v_add_u32_e32 v17, 32, v17
	s_or_b64 s[6:7], vcc, s[6:7]
	v_add_u32_e32 v23, 0x80, v23
	s_andn2_b64 exec, exec, s[6:7]
	s_cbranch_execz .LBB73_55
.LBB73_50:                              ; =>This Inner Loop Header: Depth=1
	v_mul_hi_u32 v1, v17, s33
	v_mul_lo_u32 v2, v1, s21
	v_sub_u32_e32 v2, v17, v2
	v_add_u32_e32 v3, 1, v1
	v_cmp_le_u32_e32 vcc, s21, v2
	s_nop 1
	v_cndmask_b32_e32 v1, v1, v3, vcc
	v_subrev_u32_e32 v3, s21, v2
	v_cndmask_b32_e32 v2, v2, v3, vcc
	v_add_u32_e32 v3, 1, v1
	v_cmp_le_u32_e32 vcc, s21, v2
	s_nop 1
	v_cndmask_b32_e32 v1, v1, v3, vcc
	v_xor_b32_e32 v1, s19, v1
	v_subrev_u32_e32 v1, s19, v1
	v_add_u32_e32 v2, s40, v1
	v_sub_u32_e32 v4, 0, v2
	v_ashrrev_i32_e32 v3, 31, v2
	v_max_i32_e32 v2, v2, v4
	v_mul_hi_u32 v4, v2, v22
	v_mul_lo_u32 v4, v4, s14
	v_sub_u32_e32 v2, v2, v4
	v_subrev_u32_e32 v4, s14, v2
	v_cmp_le_u32_e32 vcc, s14, v2
	v_cmp_lt_i32_e64 s[0:1], s17, v1
	s_nop 0
	v_cndmask_b32_e32 v2, v2, v4, vcc
	v_subrev_u32_e32 v4, s14, v2
	v_cmp_le_u32_e32 vcc, s14, v2
	s_nop 1
	v_cndmask_b32_e32 v2, v2, v4, vcc
	v_xor_b32_e32 v2, v2, v3
	v_sub_u32_e32 v2, v2, v3
	v_cmp_eq_u32_e32 vcc, 0, v2
	s_or_b64 s[0:1], vcc, s[0:1]
	s_and_saveexec_b64 s[8:9], s[0:1]
	s_cbranch_execz .LBB73_49
; %bb.51:                               ;   in Loop: Header=BB73_50 Depth=1
	global_load_dword v1, v[12:13], off
	ds_read2_b64 v[2:5], v23 offset1:1
	ds_read2_b64 v[24:27], v23 offset0:2 offset1:3
	s_waitcnt lgkmcnt(1)
	;;#ASMSTART
	v_cvt_f16_f32 v32, v2;

	;;#ASMEND
	;;#ASMSTART
	v_cvt_f16_f32 v33, v3;

	;;#ASMEND
	;; [unrolled: 4-line block ×4, first 2 shown]
	s_waitcnt lgkmcnt(0)
	;;#ASMSTART
	v_cvt_f16_f32 v36, v24;

	;;#ASMEND
	;;#ASMSTART
	v_cvt_f16_f32 v37, v25;

	;;#ASMEND
	;; [unrolled: 4-line block ×4, first 2 shown]
	v_add_u32_e32 v27, v21, v17
	v_add_u32_e32 v29, 2, v27
	;; [unrolled: 1-line block ×6, first 2 shown]
	v_or_b32_e32 v30, 3, v27
	v_or_b32_e32 v31, 1, v27
	s_waitcnt vmcnt(0)
	v_mad_i64_i32 v[2:3], s[0:1], v1, s15, 0
	v_lshl_add_u64 v[14:15], v[2:3], 1, v[10:11]
	global_load_dwordx4 v[2:5], v[14:15], off
	v_cmp_eq_u32_e64 s[0:1], s18, v16
	s_waitcnt vmcnt(0)
	v_lshrrev_b32_e32 v1, 16, v3
	v_lshrrev_b32_e32 v8, 16, v2
	;; [unrolled: 1-line block ×3, first 2 shown]
	s_and_saveexec_b64 s[12:13], s[0:1]
	s_cbranch_execz .LBB73_53
; %bb.52:                               ;   in Loop: Header=BB73_50 Depth=1
	v_cmp_gt_i32_e32 vcc, s11, v27
	s_nop 1
	v_cndmask_b32_e32 v2, 0, v2, vcc
	v_cmp_gt_i32_e32 vcc, s11, v29
	s_nop 1
	v_cndmask_b32_e32 v3, 0, v3, vcc
	;; [unrolled: 3-line block ×6, first 2 shown]
	v_cmp_gt_i32_e32 vcc, s11, v25
	s_nop 1
	v_cndmask_b32_sdwa v41, v9, v5, vcc dst_sel:DWORD dst_unused:UNUSED_PAD src0_sel:DWORD src1_sel:WORD_0
	v_and_b32_e32 v5, 0xffff0000, v5
	v_cmp_gt_i32_e32 vcc, s11, v24
	s_nop 1
	v_cndmask_b32_e32 v5, 0, v5, vcc
	v_or_b32_e32 v5, v41, v5
.LBB73_53:                              ;   in Loop: Header=BB73_50 Depth=1
	s_or_b64 exec, exec, s[12:13]
	v_and_b32_e32 v32, 0xffff, v32
	v_lshl_or_b32 v33, v33, 16, v32
	v_and_b32_e32 v32, 0xffff, v34
	v_lshlrev_b32_e32 v8, 16, v8
	v_lshlrev_b32_e32 v1, 16, v1
	v_lshl_or_b32 v34, v35, 16, v32
	v_and_b32_e32 v32, 0xffff, v36
	v_and_or_b32 v2, v2, s24, v8
	v_and_or_b32 v1, v3, s24, v1
	v_lshlrev_b32_e32 v3, 16, v40
	v_lshl_or_b32 v35, v37, 16, v32
	v_and_b32_e32 v32, 0xffff, v38
	v_and_or_b32 v3, v4, s24, v3
	;;#ASMSTART
	v_pk_mul_f16 v2, v33, v2;

	;;#ASMEND
	;;#ASMSTART
	v_pk_mul_f16 v1, v34, v1;

	;;#ASMEND
	v_lshl_or_b32 v32, v39, 16, v32
	;;#ASMSTART
	v_pk_mul_f16 v3, v35, v3;

	;;#ASMEND
	;;#ASMSTART
	v_pk_mul_f16 v4, v32, v5;

	;;#ASMEND
	;;#ASMSTART
	v_pk_add_f16 v1, v2, v1;

	;;#ASMEND
	s_nop 0
	;;#ASMSTART
	v_pk_add_f16 v1, v1, v3;

	;;#ASMEND
	s_nop 0
	;; [unrolled: 5-line block ×3, first 2 shown]
	v_lshrrev_b32_e32 v2, 16, v1
	v_and_b32_e32 v1, 0xffff, v1
	;;#ASMSTART
	v_cvt_f32_f16 v36, v1;
	;;#ASMEND
	;;#ASMSTART
	v_cvt_f32_f16 v37, v2;
	;;#ASMEND
	global_load_dwordx4 v[2:5], v[14:15], off offset:1024
	s_waitcnt vmcnt(0)
	v_lshrrev_b32_e32 v1, 16, v3
	v_lshrrev_b32_e32 v8, 16, v2
	;; [unrolled: 1-line block ×3, first 2 shown]
	s_and_saveexec_b64 s[12:13], s[0:1]
	s_cbranch_execz .LBB73_48
; %bb.54:                               ;   in Loop: Header=BB73_50 Depth=1
	v_cmp_gt_i32_e32 vcc, s11, v27
	s_nop 1
	v_cndmask_b32_e32 v2, 0, v2, vcc
	v_cmp_gt_i32_e32 vcc, s11, v29
	s_nop 1
	v_cndmask_b32_e32 v3, 0, v3, vcc
	;; [unrolled: 3-line block ×6, first 2 shown]
	v_cmp_gt_i32_e32 vcc, s11, v25
	s_nop 1
	v_cndmask_b32_sdwa v15, v9, v5, vcc dst_sel:DWORD dst_unused:UNUSED_PAD src0_sel:DWORD src1_sel:WORD_0
	v_and_b32_e32 v5, 0xffff0000, v5
	v_cmp_gt_i32_e32 vcc, s11, v24
	s_nop 1
	v_cndmask_b32_e32 v5, 0, v5, vcc
	v_or_b32_e32 v5, v15, v5
	s_branch .LBB73_48
.LBB73_55:
	s_or_b64 exec, exec, s[6:7]
.LBB73_56:
	s_or_b64 exec, exec, s[2:3]
	ds_bpermute_b32 v2, v19, v6
	ds_bpermute_b32 v3, v19, v7
	v_and_b32_e32 v1, 0x3c1, v0
	v_cmp_eq_u32_e32 vcc, 64, v1
	s_waitcnt lgkmcnt(0)
	s_barrier
	v_pk_add_f32 v[2:3], v[6:7], v[2:3]
	s_and_saveexec_b64 s[0:1], vcc
; %bb.57:
	v_mov_b32_e32 v4, 0x90
	v_lshl_add_u32 v4, v18, 1, v4
	ds_write2_b32 v4, v2, v3 offset1:32
; %bb.58:
	s_or_b64 exec, exec, s[0:1]
	v_cmp_gt_u32_e32 vcc, 64, v0
	v_lshrrev_b32_e32 v0, 1, v0
	s_waitcnt lgkmcnt(0)
	s_barrier
	s_and_saveexec_b64 s[0:1], vcc
	s_cbranch_execz .LBB73_64
; %bb.59:
	v_mov_b32_e32 v4, 0x90
	v_cmp_eq_u32_e32 vcc, 0, v20
	v_lshl_add_u32 v4, v0, 2, v4
	s_and_saveexec_b64 s[2:3], vcc
	s_cbranch_execz .LBB73_61
; %bb.60:
	ds_read_b32 v5, v4
	s_waitcnt lgkmcnt(0)
	v_add_f32_e32 v2, v2, v5
.LBB73_61:
	s_or_b64 exec, exec, s[2:3]
	s_and_saveexec_b64 s[2:3], vcc
	s_cbranch_execz .LBB73_63
; %bb.62:
	ds_read_b32 v4, v4 offset:128
	s_waitcnt lgkmcnt(0)
	v_add_f32_e32 v3, v3, v4
.LBB73_63:
	s_or_b64 exec, exec, s[2:3]
.LBB73_64:
	s_or_b64 exec, exec, s[0:1]
	v_cmp_eq_u32_e32 vcc, 0, v1
	s_barrier
	s_and_saveexec_b64 s[0:1], vcc
	s_cbranch_execz .LBB73_66
; %bb.65:
	s_mul_i32 s0, s10, s16
	s_mul_i32 s0, s0, s5
	s_lshl_b32 s0, s0, 6
	s_ashr_i32 s1, s0, 31
	s_lshl_b64 s[0:1], s[0:1], 1
	s_add_u32 s2, s22, s0
	s_mul_i32 s0, s16, s20
	s_addc_u32 s3, s23, s1
	s_ashr_i32 s1, s0, 31
	s_lshl_b64 s[0:1], s[0:1], 1
	s_add_u32 s2, s2, s0
	s_addc_u32 s3, s3, s1
	s_lshl_b32 s0, s4, 6
	s_ashr_i32 s1, s0, 31
	s_lshl_b64 s[0:1], s[0:1], 1
	s_add_u32 s0, s2, s0
	s_addc_u32 s1, s3, s1
	v_lshlrev_b32_e32 v0, 1, v0
	;;#ASMSTART
	v_cvt_f16_f32 v1, v2;

	;;#ASMEND
	global_store_short v0, v1, s[0:1]
	;;#ASMSTART
	v_cvt_f16_f32 v1, v3;

	;;#ASMEND
	global_store_short v0, v1, s[0:1] offset:64
.LBB73_66:
	s_endpgm
	.section	.rodata,"a",@progbits
	.p2align	6, 0x0
	.amdhsa_kernel _ZN4vllm25paged_attention_v1_kernelIttLi64ELi16ELi128ELNS_18Fp8KVCacheDataTypeE0ELb1EEEvPT_PKS2_PKT0_S8_ifPKiSA_iPKfiiiSC_SC_iiiii
		.amdhsa_group_segment_fixed_size 144
		.amdhsa_private_segment_fixed_size 0
		.amdhsa_kernarg_size 384
		.amdhsa_user_sgpr_count 2
		.amdhsa_user_sgpr_dispatch_ptr 0
		.amdhsa_user_sgpr_queue_ptr 0
		.amdhsa_user_sgpr_kernarg_segment_ptr 1
		.amdhsa_user_sgpr_dispatch_id 0
		.amdhsa_user_sgpr_kernarg_preload_length 0
		.amdhsa_user_sgpr_kernarg_preload_offset 0
		.amdhsa_user_sgpr_private_segment_size 0
		.amdhsa_uses_dynamic_stack 0
		.amdhsa_enable_private_segment 0
		.amdhsa_system_sgpr_workgroup_id_x 1
		.amdhsa_system_sgpr_workgroup_id_y 1
		.amdhsa_system_sgpr_workgroup_id_z 1
		.amdhsa_system_sgpr_workgroup_info 0
		.amdhsa_system_vgpr_workitem_id 0
		.amdhsa_next_free_vgpr 49
		.amdhsa_next_free_sgpr 44
		.amdhsa_accum_offset 52
		.amdhsa_reserve_vcc 1
		.amdhsa_float_round_mode_32 0
		.amdhsa_float_round_mode_16_64 0
		.amdhsa_float_denorm_mode_32 3
		.amdhsa_float_denorm_mode_16_64 3
		.amdhsa_dx10_clamp 1
		.amdhsa_ieee_mode 1
		.amdhsa_fp16_overflow 0
		.amdhsa_tg_split 0
		.amdhsa_exception_fp_ieee_invalid_op 0
		.amdhsa_exception_fp_denorm_src 0
		.amdhsa_exception_fp_ieee_div_zero 0
		.amdhsa_exception_fp_ieee_overflow 0
		.amdhsa_exception_fp_ieee_underflow 0
		.amdhsa_exception_fp_ieee_inexact 0
		.amdhsa_exception_int_div_zero 0
	.end_amdhsa_kernel
	.section	.text._ZN4vllm25paged_attention_v1_kernelIttLi64ELi16ELi128ELNS_18Fp8KVCacheDataTypeE0ELb1EEEvPT_PKS2_PKT0_S8_ifPKiSA_iPKfiiiSC_SC_iiiii,"axG",@progbits,_ZN4vllm25paged_attention_v1_kernelIttLi64ELi16ELi128ELNS_18Fp8KVCacheDataTypeE0ELb1EEEvPT_PKS2_PKT0_S8_ifPKiSA_iPKfiiiSC_SC_iiiii,comdat
.Lfunc_end73:
	.size	_ZN4vllm25paged_attention_v1_kernelIttLi64ELi16ELi128ELNS_18Fp8KVCacheDataTypeE0ELb1EEEvPT_PKS2_PKT0_S8_ifPKiSA_iPKfiiiSC_SC_iiiii, .Lfunc_end73-_ZN4vllm25paged_attention_v1_kernelIttLi64ELi16ELi128ELNS_18Fp8KVCacheDataTypeE0ELb1EEEvPT_PKS2_PKT0_S8_ifPKiSA_iPKfiiiSC_SC_iiiii
                                        ; -- End function
	.set _ZN4vllm25paged_attention_v1_kernelIttLi64ELi16ELi128ELNS_18Fp8KVCacheDataTypeE0ELb1EEEvPT_PKS2_PKT0_S8_ifPKiSA_iPKfiiiSC_SC_iiiii.num_vgpr, 49
	.set _ZN4vllm25paged_attention_v1_kernelIttLi64ELi16ELi128ELNS_18Fp8KVCacheDataTypeE0ELb1EEEvPT_PKS2_PKT0_S8_ifPKiSA_iPKfiiiSC_SC_iiiii.num_agpr, 0
	.set _ZN4vllm25paged_attention_v1_kernelIttLi64ELi16ELi128ELNS_18Fp8KVCacheDataTypeE0ELb1EEEvPT_PKS2_PKT0_S8_ifPKiSA_iPKfiiiSC_SC_iiiii.numbered_sgpr, 44
	.set _ZN4vllm25paged_attention_v1_kernelIttLi64ELi16ELi128ELNS_18Fp8KVCacheDataTypeE0ELb1EEEvPT_PKS2_PKT0_S8_ifPKiSA_iPKfiiiSC_SC_iiiii.num_named_barrier, 0
	.set _ZN4vllm25paged_attention_v1_kernelIttLi64ELi16ELi128ELNS_18Fp8KVCacheDataTypeE0ELb1EEEvPT_PKS2_PKT0_S8_ifPKiSA_iPKfiiiSC_SC_iiiii.private_seg_size, 0
	.set _ZN4vllm25paged_attention_v1_kernelIttLi64ELi16ELi128ELNS_18Fp8KVCacheDataTypeE0ELb1EEEvPT_PKS2_PKT0_S8_ifPKiSA_iPKfiiiSC_SC_iiiii.uses_vcc, 1
	.set _ZN4vllm25paged_attention_v1_kernelIttLi64ELi16ELi128ELNS_18Fp8KVCacheDataTypeE0ELb1EEEvPT_PKS2_PKT0_S8_ifPKiSA_iPKfiiiSC_SC_iiiii.uses_flat_scratch, 0
	.set _ZN4vllm25paged_attention_v1_kernelIttLi64ELi16ELi128ELNS_18Fp8KVCacheDataTypeE0ELb1EEEvPT_PKS2_PKT0_S8_ifPKiSA_iPKfiiiSC_SC_iiiii.has_dyn_sized_stack, 0
	.set _ZN4vllm25paged_attention_v1_kernelIttLi64ELi16ELi128ELNS_18Fp8KVCacheDataTypeE0ELb1EEEvPT_PKS2_PKT0_S8_ifPKiSA_iPKfiiiSC_SC_iiiii.has_recursion, 0
	.set _ZN4vllm25paged_attention_v1_kernelIttLi64ELi16ELi128ELNS_18Fp8KVCacheDataTypeE0ELb1EEEvPT_PKS2_PKT0_S8_ifPKiSA_iPKfiiiSC_SC_iiiii.has_indirect_call, 0
	.section	.AMDGPU.csdata,"",@progbits
; Kernel info:
; codeLenInByte = 5556
; TotalNumSgprs: 50
; NumVgprs: 49
; NumAgprs: 0
; TotalNumVgprs: 49
; ScratchSize: 0
; MemoryBound: 0
; FloatMode: 240
; IeeeMode: 1
; LDSByteSize: 144 bytes/workgroup (compile time only)
; SGPRBlocks: 6
; VGPRBlocks: 6
; NumSGPRsForWavesPerEU: 50
; NumVGPRsForWavesPerEU: 49
; AccumOffset: 52
; Occupancy: 8
; WaveLimiterHint : 1
; COMPUTE_PGM_RSRC2:SCRATCH_EN: 0
; COMPUTE_PGM_RSRC2:USER_SGPR: 2
; COMPUTE_PGM_RSRC2:TRAP_HANDLER: 0
; COMPUTE_PGM_RSRC2:TGID_X_EN: 1
; COMPUTE_PGM_RSRC2:TGID_Y_EN: 1
; COMPUTE_PGM_RSRC2:TGID_Z_EN: 1
; COMPUTE_PGM_RSRC2:TIDIG_COMP_CNT: 0
; COMPUTE_PGM_RSRC3_GFX90A:ACCUM_OFFSET: 12
; COMPUTE_PGM_RSRC3_GFX90A:TG_SPLIT: 0
	.section	.text._ZN4vllm25paged_attention_v1_kernelIttLi80ELi16ELi128ELNS_18Fp8KVCacheDataTypeE0ELb1EEEvPT_PKS2_PKT0_S8_ifPKiSA_iPKfiiiSC_SC_iiiii,"axG",@progbits,_ZN4vllm25paged_attention_v1_kernelIttLi80ELi16ELi128ELNS_18Fp8KVCacheDataTypeE0ELb1EEEvPT_PKS2_PKT0_S8_ifPKiSA_iPKfiiiSC_SC_iiiii,comdat
	.protected	_ZN4vllm25paged_attention_v1_kernelIttLi80ELi16ELi128ELNS_18Fp8KVCacheDataTypeE0ELb1EEEvPT_PKS2_PKT0_S8_ifPKiSA_iPKfiiiSC_SC_iiiii ; -- Begin function _ZN4vllm25paged_attention_v1_kernelIttLi80ELi16ELi128ELNS_18Fp8KVCacheDataTypeE0ELb1EEEvPT_PKS2_PKT0_S8_ifPKiSA_iPKfiiiSC_SC_iiiii
	.globl	_ZN4vllm25paged_attention_v1_kernelIttLi80ELi16ELi128ELNS_18Fp8KVCacheDataTypeE0ELb1EEEvPT_PKS2_PKT0_S8_ifPKiSA_iPKfiiiSC_SC_iiiii
	.p2align	8
	.type	_ZN4vllm25paged_attention_v1_kernelIttLi80ELi16ELi128ELNS_18Fp8KVCacheDataTypeE0ELb1EEEvPT_PKS2_PKT0_S8_ifPKiSA_iPKfiiiSC_SC_iiiii,@function
_ZN4vllm25paged_attention_v1_kernelIttLi80ELi16ELi128ELNS_18Fp8KVCacheDataTypeE0ELb1EEEvPT_PKS2_PKT0_S8_ifPKiSA_iPKfiiiSC_SC_iiiii: ; @_ZN4vllm25paged_attention_v1_kernelIttLi80ELi16ELi128ELNS_18Fp8KVCacheDataTypeE0ELb1EEEvPT_PKS2_PKT0_S8_ifPKiSA_iPKfiiiSC_SC_iiiii
; %bb.0:
	s_load_dword s5, s[0:1], 0x80
	s_load_dwordx2 s[6:7], s[0:1], 0x30
	s_load_dwordx2 s[30:31], s[0:1], 0x20
	s_mov_b32 s10, s3
	s_ashr_i32 s11, s3, 31
	s_lshl_b64 s[8:9], s[10:11], 2
	s_waitcnt lgkmcnt(0)
	s_add_u32 s6, s6, s8
	s_addc_u32 s7, s7, s9
	s_abs_i32 s3, s30
	v_cvt_f32_u32_e32 v1, s3
	s_sub_i32 s11, 0, s3
	s_abs_i32 s9, s5
	s_xor_b32 s8, s5, s30
	v_rcp_iflag_f32_e32 v1, v1
	s_ashr_i32 s8, s8, 31
	s_mov_b32 s44, 0
	v_mul_f32_e32 v1, 0x4f7ffffe, v1
	v_cvt_u32_f32_e32 v1, v1
	s_nop 0
	v_readfirstlane_b32 s12, v1
	s_mul_i32 s11, s11, s12
	s_mul_hi_u32 s11, s12, s11
	s_add_i32 s12, s12, s11
	s_mul_hi_u32 s11, s9, s12
	s_mul_i32 s12, s11, s3
	s_sub_i32 s9, s9, s12
	s_add_i32 s12, s11, 1
	s_sub_i32 s13, s9, s3
	s_cmp_ge_u32 s9, s3
	s_cselect_b32 s11, s12, s11
	s_cselect_b32 s9, s13, s9
	s_add_i32 s12, s11, 1
	s_cmp_ge_u32 s9, s3
	s_cselect_b32 s3, s12, s11
	s_xor_b32 s3, s3, s8
	s_sub_i32 s16, s3, s8
	s_abs_i32 s11, s16
	v_cvt_f32_u32_e32 v1, s11
	s_load_dwordx2 s[8:9], s[0:1], 0x40
	s_sub_i32 s3, 0, s11
	s_abs_i32 s22, s2
	v_rcp_iflag_f32_e32 v1, v1
	s_nop 0
	v_mul_f32_e32 v1, 0x4f7ffffe, v1
	v_cvt_u32_f32_e32 v1, v1
	s_nop 0
	v_readfirstlane_b32 s12, v1
	s_mul_i32 s3, s3, s12
	s_mul_hi_u32 s3, s12, s3
	s_add_i32 s12, s12, s3
	s_waitcnt lgkmcnt(0)
	s_cmp_eq_u64 s[8:9], 0
	s_mul_hi_u32 s23, s22, s12
	s_cbranch_scc1 .LBB74_2
; %bb.1:
	s_ashr_i32 s3, s2, 31
	s_lshl_b64 s[12:13], s[2:3], 2
	s_add_u32 s8, s8, s12
	s_addc_u32 s9, s9, s13
	s_load_dword s44, s[8:9], 0x0
.LBB74_2:
	s_load_dword s33, s[6:7], 0x0
	s_load_dwordx4 s[12:15], s[0:1], 0x48
	s_ashr_i32 s3, s2, 31
	s_ashr_i32 s9, s16, 31
	v_and_b32_e32 v4, 3, v0
	s_mul_i32 s20, s2, 0x50
	v_cmp_gt_u32_e32 vcc, 40, v0
	s_and_saveexec_b64 s[6:7], vcc
	s_cbranch_execz .LBB74_4
; %bb.3:
	s_load_dwordx2 s[16:17], s[0:1], 0x8
	s_waitcnt lgkmcnt(0)
	s_mul_i32 s18, s12, s10
	s_ashr_i32 s19, s18, 31
	s_lshl_b64 s[18:19], s[18:19], 1
	v_lshlrev_b32_e32 v1, 2, v0
	s_add_u32 s8, s16, s18
	s_addc_u32 s12, s17, s19
	s_ashr_i32 s21, s20, 31
	s_lshl_b64 s[16:17], s[20:21], 1
	s_add_u32 s16, s8, s16
	s_addc_u32 s17, s12, s17
	global_load_dword v1, v1, s[16:17]
	v_and_b32_e32 v2, 0x3fc, v0
	v_mad_u32_u24 v2, v4, 40, v2
	s_waitcnt vmcnt(0)
	ds_write_b32 v2, v1
.LBB74_4:
	s_or_b64 exec, exec, s[6:7]
	s_mul_i32 s6, s23, s11
	s_sub_i32 s6, s22, s6
	s_xor_b32 s3, s3, s9
	s_add_i32 s7, s23, 1
	s_sub_i32 s9, s6, s11
	s_load_dwordx4 s[16:19], s[0:1], 0x68
	s_load_dword s8, s[0:1], 0x78
	s_cmp_ge_u32 s6, s11
	s_cselect_b32 s7, s7, s23
	s_cselect_b32 s6, s9, s6
	s_add_i32 s9, s7, 1
	s_cmp_ge_u32 s6, s11
	s_cselect_b32 s6, s9, s7
	s_waitcnt lgkmcnt(0)
	s_abs_i32 s21, s19
	v_cvt_f32_u32_e32 v1, s21
	s_xor_b32 s6, s6, s3
	s_sub_i32 s3, s6, s3
	s_sub_i32 s6, 0, s21
	v_rcp_iflag_f32_e32 v1, v1
	s_add_i32 s11, s33, -1
	s_abs_i32 s9, s11
	v_mul_f32_e32 v1, 0x4f7ffffe, v1
	v_cvt_u32_f32_e32 v1, v1
	s_barrier
	v_readfirstlane_b32 s40, v1
	s_mul_i32 s6, s6, s40
	s_mul_hi_u32 s6, s40, s6
	s_add_i32 s40, s40, s6
	s_cmp_lt_i32 s8, 0
	s_mul_hi_u32 s12, s9, s40
	s_cbranch_scc0 .LBB74_6
; %bb.5:
	s_mul_i32 s6, s16, s30
	s_add_i32 s6, s3, s6
	s_mul_i32 s6, s6, s8
	s_sub_i32 s41, 1, s6
	s_mov_b64 s[6:7], 0
	s_branch .LBB74_7
.LBB74_6:
	s_mov_b64 s[6:7], -1
                                        ; implicit-def: $sgpr41
.LBB74_7:
	s_load_dwordx2 s[24:25], s[0:1], 0x28
	s_ashr_i32 s15, s11, 31
	s_andn2_b64 vcc, exec, s[6:7]
	s_ashr_i32 s42, s19, 31
	s_cbranch_vccnz .LBB74_9
; %bb.8:
	s_mul_i32 s6, s5, s16
	s_add_i32 s2, s6, s2
	s_mul_i32 s2, s2, s8
	s_add_i32 s41, s2, 1
.LBB74_9:
	s_load_dword s2, s[0:1], 0x38
	s_load_dwordx2 s[22:23], s[0:1], 0x0
	s_load_dwordx2 s[28:29], s[0:1], 0x18
	s_load_dword s11, s[0:1], 0x88
	s_xor_b32 s6, s15, s42
	s_waitcnt lgkmcnt(0)
	s_mul_i32 s26, s2, s10
	s_mul_i32 s2, s12, s21
	s_sub_i32 s2, s9, s2
	s_ashr_i32 s27, s26, 31
	s_add_i32 s7, s12, 1
	s_sub_i32 s8, s2, s21
	s_cmp_ge_u32 s2, s21
	s_cselect_b32 s7, s7, s12
	s_cselect_b32 s2, s8, s2
	s_add_i32 s8, s7, 1
	s_cmp_ge_u32 s2, s21
	s_cselect_b32 s2, s8, s7
	s_xor_b32 s2, s2, s6
	s_sub_i32 s12, s2, s6
	s_add_i32 s2, s33, 15
	s_ashr_i32 s6, s2, 31
	s_lshr_b32 s6, s6, 28
	s_add_i32 s2, s2, s6
	s_ashr_i32 s43, s2, 4
	v_lshrrev_b32_e32 v19, 6, v0
	v_cmp_le_i32_e64 s[6:7], s43, v19
	v_cmp_gt_i32_e32 vcc, s43, v19
	v_mov_b32_e32 v9, 0xff7fffff
	s_mul_i32 s14, s3, s14
	v_lshrrev_b32_e32 v1, 4, v0
	v_lshlrev_b32_e32 v20, 4, v19
	v_mbcnt_lo_u32_b32 v6, -1, 0
	s_and_saveexec_b64 s[34:35], vcc
	s_cbranch_execz .LBB74_21
; %bb.10:
	s_load_dwordx2 s[0:1], s[0:1], 0x10
	s_ashr_i32 s15, s14, 31
	s_sub_i32 s16, s12, s17
	s_lshl_b64 s[2:3], s[14:15], 1
	v_bfe_u32 v7, v0, 2, 4
	s_waitcnt lgkmcnt(0)
	s_add_u32 s0, s0, s2
	s_addc_u32 s1, s1, s3
	s_abs_i32 s15, s18
	v_cvt_f32_u32_e32 v5, s15
	v_lshlrev_b32_e32 v12, 4, v7
	v_mov_b32_e32 v13, 0
	v_lshl_add_u64 v[2:3], s[0:1], 0, v[12:13]
	v_rcp_iflag_f32_e32 v5, v5
	v_lshlrev_b32_e32 v8, 2, v0
	s_sub_i32 s0, 0, s15
	v_cmp_eq_u32_e32 vcc, 0, v4
	v_mul_f32_e32 v5, 0x4f7ffffe, v5
	v_cvt_u32_f32_e32 v5, v5
	v_and_b32_e32 v12, 12, v8
	v_mul_u32_u24_e32 v8, 40, v4
	v_lshl_add_u64 v[2:3], v[2:3], 0, v[12:13]
	v_mul_lo_u32 v4, s0, v5
	s_lshl_b64 s[0:1], s[26:27], 2
	s_add_u32 s0, s24, s0
	v_mul_hi_u32 v4, v5, v4
	v_and_b32_e32 v12, 60, v1
	s_addc_u32 s1, s25, s1
	v_subrev_u32_e32 v9, s33, v7
	v_add_u32_e32 v10, v5, v4
	v_lshl_add_u64 v[4:5], s[0:1], 0, v[12:13]
	v_add_u32_e32 v12, 1, v9
	v_lshlrev_b32_e32 v9, 2, v7
	v_lshl_or_b32 v9, v19, 6, v9
	v_mbcnt_hi_u32_b32 v15, -1, v6
	v_add_u32_e32 v13, 0xb0, v9
	v_and_b32_e32 v9, 64, v15
	s_mov_b32 s19, s13
	v_cmp_neq_f32_e64 s[2:3], s44, 0
	v_lshlrev_b32_e32 v11, 4, v19
	v_mov_b32_e32 v14, 0xff7fffff
	s_mov_b64 s[36:37], 0
	v_add_u32_e32 v16, 64, v9
	v_xor_b32_e32 v17, 2, v15
	v_xor_b32_e32 v18, 1, v15
	v_mov_b32_e32 v9, 0xff7fffff
	v_mov_b32_e32 v21, v19
	s_branch .LBB74_13
.LBB74_11:                              ;   in Loop: Header=BB74_13 Depth=1
	s_or_b64 exec, exec, s[38:39]
.LBB74_12:                              ;   in Loop: Header=BB74_13 Depth=1
	s_or_b64 exec, exec, s[8:9]
	v_add_u32_e32 v21, 2, v21
	v_cmp_le_i32_e64 s[0:1], s43, v21
	v_lshl_add_u64 v[4:5], v[4:5], 0, 8
	v_add_u32_e32 v11, 32, v11
	s_or_b64 s[36:37], s[0:1], s[36:37]
	v_add_u32_e32 v13, 0x80, v13
	s_andn2_b64 exec, exec, s[36:37]
	s_cbranch_execz .LBB74_20
.LBB74_13:                              ; =>This Inner Loop Header: Depth=1
	v_mul_hi_u32 v22, v11, s40
	s_waitcnt lgkmcnt(0)
	v_mul_lo_u32 v23, v22, s21
	v_sub_u32_e32 v23, v11, v23
	v_add_u32_e32 v24, 1, v22
	v_cmp_le_u32_e64 s[0:1], s21, v23
	s_nop 1
	v_cndmask_b32_e64 v22, v22, v24, s[0:1]
	v_subrev_u32_e32 v24, s21, v23
	v_cndmask_b32_e64 v23, v23, v24, s[0:1]
	v_add_u32_e32 v24, 1, v22
	v_cmp_le_u32_e64 s[0:1], s21, v23
	s_nop 1
	v_cndmask_b32_e64 v22, v22, v24, s[0:1]
	v_xor_b32_e32 v22, s42, v22
	v_subrev_u32_e32 v22, s42, v22
	v_add_u32_e32 v23, s41, v22
	v_sub_u32_e32 v25, 0, v23
	v_ashrrev_i32_e32 v24, 31, v23
	v_max_i32_e32 v23, v23, v25
	v_mul_hi_u32 v25, v23, v10
	v_mul_lo_u32 v25, v25, s15
	v_sub_u32_e32 v23, v23, v25
	v_subrev_u32_e32 v25, s15, v23
	v_cmp_le_u32_e64 s[0:1], s15, v23
	v_cmp_ge_i32_e64 s[8:9], s16, v22
	s_nop 0
	v_cndmask_b32_e64 v23, v23, v25, s[0:1]
	v_subrev_u32_e32 v25, s15, v23
	v_cmp_le_u32_e64 s[0:1], s15, v23
	s_nop 1
	v_cndmask_b32_e64 v23, v23, v25, s[0:1]
	v_xor_b32_e32 v23, v23, v24
	v_sub_u32_e32 v23, v23, v24
	v_cmp_ne_u32_e64 s[0:1], 0, v23
	s_and_b64 s[0:1], s[0:1], s[8:9]
	s_and_saveexec_b64 s[8:9], s[0:1]
	s_xor_b64 s[0:1], exec, s[8:9]
	s_cbranch_execz .LBB74_17
; %bb.14:                               ;   in Loop: Header=BB74_13 Depth=1
	s_and_saveexec_b64 s[8:9], vcc
; %bb.15:                               ;   in Loop: Header=BB74_13 Depth=1
	ds_write_b32 v13, v14
; %bb.16:                               ;   in Loop: Header=BB74_13 Depth=1
	s_or_b64 exec, exec, s[8:9]
.LBB74_17:                              ;   in Loop: Header=BB74_13 Depth=1
	s_andn2_saveexec_b64 s[8:9], s[0:1]
	s_cbranch_execz .LBB74_12
; %bb.18:                               ;   in Loop: Header=BB74_13 Depth=1
	global_load_dword v22, v[4:5], off
	s_waitcnt vmcnt(0)
	v_mad_i64_i32 v[22:23], s[0:1], v22, s19, 0
	v_lshl_add_u64 v[22:23], v[22:23], 1, v[2:3]
	global_load_dword v24, v[22:23], off
	global_load_dword v25, v[22:23], off offset:256
	global_load_dword v26, v[22:23], off offset:512
	;; [unrolled: 1-line block ×9, first 2 shown]
	ds_read_b32 v22, v8
	v_cmp_lt_i32_e64 s[0:1], v17, v16
	s_waitcnt lgkmcnt(0)
	v_lshrrev_b32_e32 v34, 16, v22
	v_and_b32_e32 v22, 0xffff, v22
	;;#ASMSTART
	v_cvt_f32_f16 v22, v22;
	;;#ASMEND
	;;#ASMSTART
	v_cvt_f32_f16 v34, v34;
	;;#ASMEND
	v_cndmask_b32_e64 v23, v15, v17, s[0:1]
	v_lshlrev_b32_e32 v23, 2, v23
	v_cmp_lt_i32_e64 s[0:1], v18, v16
	s_waitcnt vmcnt(9)
	v_lshrrev_b32_e32 v35, 16, v24
	v_and_b32_e32 v24, 0xffff, v24
	;;#ASMSTART
	v_cvt_f32_f16 v24, v24;
	;;#ASMEND
	;;#ASMSTART
	v_cvt_f32_f16 v35, v35;
	;;#ASMEND
	ds_read_b32 v36, v8 offset:4
	s_waitcnt vmcnt(8)
	v_lshrrev_b32_e32 v37, 16, v25
	v_and_b32_e32 v38, 0xffff, v25
	s_waitcnt vmcnt(7)
	v_lshrrev_b32_e32 v39, 16, v26
	v_and_b32_e32 v40, 0xffff, v26
	s_waitcnt lgkmcnt(0)
	v_lshrrev_b32_e32 v26, 16, v36
	v_and_b32_e32 v25, 0xffff, v36
	;;#ASMSTART
	v_cvt_f32_f16 v25, v25;
	;;#ASMEND
	;;#ASMSTART
	v_cvt_f32_f16 v26, v26;
	;;#ASMEND
	;;#ASMSTART
	v_cvt_f32_f16 v36, v38;
	;;#ASMEND
	;;#ASMSTART
	v_cvt_f32_f16 v37, v37;
	;;#ASMEND
	ds_read_b32 v38, v8 offset:8
	s_waitcnt vmcnt(6)
	v_lshrrev_b32_e32 v41, 16, v27
	v_and_b32_e32 v42, 0xffff, v27
	s_waitcnt vmcnt(5)
	v_lshrrev_b32_e32 v43, 16, v28
	v_and_b32_e32 v44, 0xffff, v28
	s_waitcnt lgkmcnt(0)
	v_lshrrev_b32_e32 v28, 16, v38
	v_and_b32_e32 v27, 0xffff, v38
	;;#ASMSTART
	v_cvt_f32_f16 v27, v27;
	;;#ASMEND
	;;#ASMSTART
	v_cvt_f32_f16 v28, v28;
	;;#ASMEND
	;; [unrolled: 22-line block ×4, first 2 shown]
	;;#ASMSTART
	v_cvt_f32_f16 v42, v44;
	;;#ASMEND
	;;#ASMSTART
	v_cvt_f32_f16 v43, v43;
	;;#ASMEND
	ds_read_b32 v44, v8 offset:20
	s_waitcnt vmcnt(0)
	v_lshrrev_b32_e32 v53, 16, v33
	v_and_b32_e32 v54, 0xffff, v33
	v_mul_f32_e32 v25, v25, v36
	v_mul_f32_e32 v26, v26, v37
	s_waitcnt lgkmcnt(0)
	v_lshrrev_b32_e32 v36, 16, v44
	v_and_b32_e32 v33, 0xffff, v44
	;;#ASMSTART
	v_cvt_f32_f16 v33, v33;
	;;#ASMEND
	;;#ASMSTART
	v_cvt_f32_f16 v36, v36;
	;;#ASMEND
	;;#ASMSTART
	v_cvt_f32_f16 v37, v46;
	;;#ASMEND
	;;#ASMSTART
	v_cvt_f32_f16 v44, v45;
	;;#ASMEND
	ds_read_b32 v45, v8 offset:24
	v_fmac_f32_e32 v25, v22, v24
	v_fmac_f32_e32 v26, v34, v35
	v_fmac_f32_e32 v25, v27, v38
	v_fmac_f32_e32 v26, v28, v39
	s_waitcnt lgkmcnt(0)
	v_lshrrev_b32_e32 v24, 16, v45
	v_and_b32_e32 v22, 0xffff, v45
	;;#ASMSTART
	v_cvt_f32_f16 v22, v22;
	;;#ASMEND
	;;#ASMSTART
	v_cvt_f32_f16 v24, v24;
	;;#ASMEND
	;;#ASMSTART
	v_cvt_f32_f16 v27, v48;
	;;#ASMEND
	;;#ASMSTART
	v_cvt_f32_f16 v28, v47;
	;;#ASMEND
	ds_read_b32 v34, v8 offset:28
	v_fmac_f32_e32 v25, v29, v40
	v_fmac_f32_e32 v26, v30, v41
	v_fmac_f32_e32 v25, v31, v42
	v_fmac_f32_e32 v26, v32, v43
	;; [unrolled: 20-line block ×4, first 2 shown]
	s_waitcnt lgkmcnt(0)
	v_lshrrev_b32_e32 v24, 16, v33
	v_and_b32_e32 v22, 0xffff, v33
	;;#ASMSTART
	v_cvt_f32_f16 v22, v22;
	;;#ASMEND
	;;#ASMSTART
	v_cvt_f32_f16 v24, v24;
	;;#ASMEND
	;; [unrolled: 3-line block ×4, first 2 shown]
	s_nop 0
	v_fmac_f32_e32 v25, v22, v27
	v_fmac_f32_e32 v26, v24, v28
	v_add_f32_e32 v22, v25, v26
	ds_bpermute_b32 v23, v23, v22
	v_cndmask_b32_e64 v24, v15, v18, s[0:1]
	s_waitcnt lgkmcnt(0)
	v_add_f32_e32 v22, v22, v23
	v_lshlrev_b32_e32 v23, 2, v24
	ds_bpermute_b32 v23, v23, v22
	s_and_saveexec_b64 s[38:39], vcc
	s_cbranch_execz .LBB74_11
; %bb.19:                               ;   in Loop: Header=BB74_13 Depth=1
	v_add_u32_e32 v24, v12, v11
	v_cvt_f32_i32_e32 v24, v24
	s_waitcnt lgkmcnt(0)
	v_add_f32_e32 v22, v22, v23
	v_add_u32_e32 v25, v7, v11
	v_cmp_gt_i32_e64 s[0:1], s33, v25
	v_mul_f32_e32 v23, s44, v24
	v_cndmask_b32_e64 v23, 0, v23, s[2:3]
	v_fmac_f32_e32 v23, s31, v22
	v_cndmask_b32_e64 v22, 0, v23, s[0:1]
	ds_write_b32 v13, v22
	v_max_f32_e32 v22, v9, v9
	v_max_f32_e32 v22, v22, v23
	v_cndmask_b32_e64 v9, v9, v22, s[0:1]
	s_branch .LBB74_11
.LBB74_20:
	s_or_b64 exec, exec, s[36:37]
.LBB74_21:
	s_or_b64 exec, exec, s[34:35]
	v_mbcnt_hi_u32_b32 v2, -1, v6
	v_and_b32_e32 v11, 64, v2
	v_add_u32_e32 v3, 64, v11
	v_xor_b32_e32 v4, 32, v2
	v_cmp_lt_i32_e32 vcc, v4, v3
	v_xor_b32_e32 v7, 16, v2
	v_max_f32_e32 v6, v9, v9
	v_cndmask_b32_e32 v4, v2, v4, vcc
	v_lshlrev_b32_e32 v5, 2, v4
	ds_bpermute_b32 v4, v5, v9
	v_cmp_lt_i32_e32 vcc, v7, v3
	v_xor_b32_e32 v8, 8, v2
	v_xor_b32_e32 v10, 4, v2
	s_waitcnt lgkmcnt(0)
	v_max_f32_e32 v4, v4, v4
	v_max_f32_e32 v4, v6, v4
	v_cndmask_b32_e32 v6, v2, v7, vcc
	v_lshlrev_b32_e32 v6, 2, v6
	ds_bpermute_b32 v7, v6, v4
	v_cmp_lt_i32_e32 vcc, v8, v3
	s_waitcnt lgkmcnt(0)
	v_max_f32_e32 v7, v7, v7
	v_max_f32_e32 v4, v4, v7
	v_cndmask_b32_e32 v7, v2, v8, vcc
	v_lshlrev_b32_e32 v9, 2, v7
	ds_bpermute_b32 v7, v9, v4
	v_cmp_lt_i32_e32 vcc, v10, v3
	s_waitcnt lgkmcnt(0)
	v_max_f32_e32 v7, v7, v7
	v_max_f32_e32 v8, v4, v7
	v_cndmask_b32_e32 v4, v2, v10, vcc
	v_lshlrev_b32_e32 v10, 2, v4
	ds_bpermute_b32 v12, v10, v8
	v_and_b32_e32 v4, 63, v0
	v_cmp_eq_u32_e32 vcc, 0, v4
	v_lshlrev_b32_e32 v7, 2, v19
	s_and_saveexec_b64 s[0:1], vcc
	s_cbranch_execz .LBB74_23
; %bb.22:
	s_waitcnt lgkmcnt(0)
	v_max_f32_e32 v12, v12, v12
	v_max_f32_e32 v8, v8, v8
	;; [unrolled: 1-line block ×3, first 2 shown]
	ds_write_b32 v7, v8 offset:160
.LBB74_23:
	s_or_b64 exec, exec, s[0:1]
	v_cmp_gt_u32_e64 s[0:1], 2, v4
	s_waitcnt lgkmcnt(0)
	v_mov_b32_e32 v12, 0xff7fffff
	v_lshlrev_b32_e32 v8, 2, v4
	s_barrier
	s_and_saveexec_b64 s[2:3], s[0:1]
; %bb.24:
	ds_read_b32 v12, v8 offset:160
; %bb.25:
	s_or_b64 exec, exec, s[2:3]
	v_xor_b32_e32 v13, 1, v2
	v_cmp_lt_i32_e64 s[2:3], v13, v3
	v_lshlrev_b32_e32 v11, 2, v11
	s_nop 0
	v_cndmask_b32_e64 v13, v2, v13, s[2:3]
	v_lshlrev_b32_e32 v21, 2, v13
	s_waitcnt lgkmcnt(0)
	ds_bpermute_b32 v13, v21, v12
	v_max_f32_e32 v12, v12, v12
	s_lshl_b32 s2, s43, 4
	s_min_i32 s15, s2, s33
	v_cmp_gt_i32_e64 s[2:3], s15, v0
	s_waitcnt lgkmcnt(0)
	v_max_f32_e32 v13, v13, v13
	v_max_f32_e32 v12, v12, v13
	ds_bpermute_b32 v12, v11, v12
	v_mov_b32_e32 v11, 0
	s_and_saveexec_b64 s[30:31], s[2:3]
	s_cbranch_execz .LBB74_29
; %bb.26:
	v_mov_b32_e32 v11, 0xb0
	v_lshl_add_u32 v13, v0, 2, v11
	v_mov_b32_e32 v11, 0
	s_mov_b64 s[34:35], 0
	v_mov_b32_e32 v14, v0
.LBB74_27:                              ; =>This Inner Loop Header: Depth=1
	ds_read_b32 v15, v13
	v_add_u32_e32 v14, 0x80, v14
	v_cmp_le_i32_e64 s[8:9], s15, v14
	s_or_b64 s[34:35], s[8:9], s[34:35]
	s_waitcnt lgkmcnt(0)
	v_sub_f32_e32 v15, v15, v12
	v_mul_f32_e32 v15, 0x3fb8aa3b, v15
	v_exp_f32_e32 v15, v15
	ds_write_b32 v13, v15
	v_add_f32_e32 v11, v11, v15
	v_add_u32_e32 v13, 0x200, v13
	s_andn2_b64 exec, exec, s[34:35]
	s_cbranch_execnz .LBB74_27
; %bb.28:
	s_or_b64 exec, exec, s[34:35]
.LBB74_29:
	s_or_b64 exec, exec, s[30:31]
	ds_bpermute_b32 v5, v5, v11
	s_waitcnt lgkmcnt(0)
	v_add_f32_e32 v5, v11, v5
	ds_bpermute_b32 v6, v6, v5
	s_waitcnt lgkmcnt(0)
	v_add_f32_e32 v5, v5, v6
	ds_bpermute_b32 v6, v9, v5
	v_xor_b32_e32 v9, 2, v2
	v_cmp_lt_i32_e64 s[8:9], v9, v3
	s_waitcnt lgkmcnt(0)
	v_add_f32_e32 v5, v5, v6
	ds_bpermute_b32 v6, v10, v5
	v_cndmask_b32_e64 v3, v2, v9, s[8:9]
	v_lshlrev_b32_e32 v3, 2, v3
	s_waitcnt lgkmcnt(0)
	v_add_f32_e32 v5, v5, v6
	ds_bpermute_b32 v3, v3, v5
	s_waitcnt lgkmcnt(0)
	v_add_f32_e32 v3, v5, v3
	ds_bpermute_b32 v5, v21, v3
	s_waitcnt lgkmcnt(0)
	v_add_f32_e32 v3, v3, v5
	s_and_saveexec_b64 s[8:9], vcc
; %bb.30:
	ds_write_b32 v7, v3 offset:168
; %bb.31:
	s_or_b64 exec, exec, s[8:9]
	s_waitcnt lgkmcnt(0)
	s_barrier
	s_and_saveexec_b64 s[8:9], s[0:1]
; %bb.32:
	ds_read_b32 v3, v8 offset:168
; %bb.33:
	s_or_b64 exec, exec, s[8:9]
	s_waitcnt lgkmcnt(0)
	ds_bpermute_b32 v5, v21, v3
	v_lshlrev_b32_e32 v2, 2, v2
	v_and_b32_e32 v2, 0x100, v2
	s_waitcnt lgkmcnt(0)
	v_add_f32_e32 v3, v3, v5
	ds_bpermute_b32 v2, v2, v3
	s_and_saveexec_b64 s[0:1], s[2:3]
	s_cbranch_execz .LBB74_46
; %bb.34:
	s_waitcnt lgkmcnt(0)
	v_add_f32_e32 v2, 0x358637bd, v2
	v_div_scale_f32 v3, s[2:3], v2, v2, 1.0
	v_rcp_f32_e32 v5, v3
	v_div_scale_f32 v6, vcc, 1.0, v2, 1.0
	s_movk_i32 s2, 0x7f
	v_fma_f32 v7, -v3, v5, 1.0
	v_fmac_f32_e32 v5, v7, v5
	v_mul_f32_e32 v7, v6, v5
	v_fma_f32 v8, -v3, v7, v6
	v_fmac_f32_e32 v7, v8, v5
	v_fma_f32 v3, -v3, v7, v6
	v_div_fmas_f32 v3, v3, v5, v7
	v_xad_u32 v5, v0, -1, s15
	v_div_fixup_f32 v2, v3, v2, 1.0
	v_cmp_lt_u32_e32 vcc, s2, v5
	s_mov_b64 s[8:9], -1
	v_mov_b32_e32 v3, v0
	s_and_saveexec_b64 s[2:3], vcc
	s_cbranch_execz .LBB74_43
; %bb.35:
	v_lshrrev_b32_e32 v5, 7, v5
	v_add_u32_e32 v7, -1, v5
	v_lshrrev_b32_e32 v6, 1, v7
	v_mov_b32_e32 v3, v2
	v_add_u32_e32 v6, 1, v6
	v_cmp_lt_u32_e32 vcc, 13, v7
	v_mov_b32_e32 v9, 0
	s_and_saveexec_b64 s[8:9], vcc
	s_cbranch_execz .LBB74_39
; %bb.36:
	v_mov_b32_e32 v8, 0xb0
	v_and_b32_e32 v7, -8, v6
	v_lshl_add_u32 v8, v0, 2, v8
	s_mov_b32 s16, 0
	s_mov_b64 s[30:31], 0
.LBB74_37:                              ; =>This Inner Loop Header: Depth=1
	ds_read2st64_b32 v[10:11], v8 offset1:2
	ds_read2st64_b32 v[12:13], v8 offset0:4 offset1:6
	ds_read2st64_b32 v[14:15], v8 offset0:8 offset1:10
	ds_read2st64_b32 v[16:17], v8 offset0:12 offset1:14
	v_add_u32_e32 v7, -8, v7
	s_waitcnt lgkmcnt(3)
	v_pk_mul_f32 v[10:11], v[2:3], v[10:11]
	s_waitcnt lgkmcnt(2)
	v_pk_mul_f32 v[12:13], v[2:3], v[12:13]
	ds_write2st64_b32 v8, v10, v11 offset1:2
	ds_write2st64_b32 v8, v12, v13 offset0:4 offset1:6
	ds_read2st64_b32 v[12:13], v8 offset0:16 offset1:18
	s_waitcnt lgkmcnt(4)
	v_pk_mul_f32 v[10:11], v[2:3], v[14:15]
	ds_write2st64_b32 v8, v10, v11 offset0:8 offset1:10
	s_waitcnt lgkmcnt(4)
	v_pk_mul_f32 v[10:11], v[2:3], v[16:17]
	ds_write2st64_b32 v8, v10, v11 offset0:12 offset1:14
	ds_read2st64_b32 v[10:11], v8 offset0:20 offset1:22
	s_waitcnt lgkmcnt(3)
	v_pk_mul_f32 v[12:13], v[2:3], v[12:13]
	ds_read2st64_b32 v[14:15], v8 offset0:24 offset1:26
	ds_write2st64_b32 v8, v12, v13 offset0:16 offset1:18
	ds_read2st64_b32 v[12:13], v8 offset0:28 offset1:30
	s_waitcnt lgkmcnt(3)
	v_pk_mul_f32 v[10:11], v[2:3], v[10:11]
	ds_write2st64_b32 v8, v10, v11 offset0:20 offset1:22
	s_waitcnt lgkmcnt(3)
	v_pk_mul_f32 v[10:11], v[2:3], v[14:15]
	ds_write2st64_b32 v8, v10, v11 offset0:24 offset1:26
	s_waitcnt lgkmcnt(2)
	v_pk_mul_f32 v[10:11], v[2:3], v[12:13]
	s_add_i32 s16, s16, 16
	v_cmp_eq_u32_e32 vcc, 0, v7
	ds_write2st64_b32 v8, v10, v11 offset0:28 offset1:30
	v_add_u32_e32 v8, 0x2000, v8
	s_or_b64 s[30:31], vcc, s[30:31]
	v_mov_b32_e32 v9, s16
	s_andn2_b64 exec, exec, s[30:31]
	s_cbranch_execnz .LBB74_37
; %bb.38:
	s_or_b64 exec, exec, s[30:31]
.LBB74_39:
	s_or_b64 exec, exec, s[8:9]
	v_and_b32_e32 v6, 7, v6
	v_cmp_ne_u32_e32 vcc, 0, v6
	s_and_saveexec_b64 s[8:9], vcc
	s_cbranch_execz .LBB74_42
; %bb.40:
	v_lshlrev_b32_e32 v7, 9, v9
	v_lshlrev_b32_e32 v8, 2, v0
	s_movk_i32 s16, 0xb0
	v_add3_u32 v7, v7, v8, s16
	s_mov_b64 s[30:31], 0
.LBB74_41:                              ; =>This Inner Loop Header: Depth=1
	ds_read2st64_b32 v[8:9], v7 offset1:2
	v_add_u32_e32 v6, -1, v6
	v_cmp_eq_u32_e32 vcc, 0, v6
	s_or_b64 s[30:31], vcc, s[30:31]
	s_waitcnt lgkmcnt(0)
	v_pk_mul_f32 v[8:9], v[2:3], v[8:9]
	ds_write2st64_b32 v7, v8, v9 offset1:2
	v_add_u32_e32 v7, 0x400, v7
	s_andn2_b64 exec, exec, s[30:31]
	s_cbranch_execnz .LBB74_41
.LBB74_42:
	s_or_b64 exec, exec, s[8:9]
	v_add_u32_e32 v5, 1, v5
	v_and_b32_e32 v6, 0x3fffffe, v5
	v_cmp_ne_u32_e32 vcc, v5, v6
	v_lshl_add_u32 v3, v6, 7, v0
	s_orn2_b64 s[8:9], vcc, exec
.LBB74_43:
	s_or_b64 exec, exec, s[2:3]
	s_and_b64 exec, exec, s[8:9]
	s_cbranch_execz .LBB74_46
; %bb.44:
	v_mov_b32_e32 v5, 0xb0
	v_lshl_add_u32 v5, v3, 2, v5
	s_mov_b64 s[2:3], 0
.LBB74_45:                              ; =>This Inner Loop Header: Depth=1
	ds_read_b32 v6, v5
	v_add_u32_e32 v3, 0x80, v3
	v_cmp_le_i32_e32 vcc, s15, v3
	s_or_b64 s[2:3], vcc, s[2:3]
	s_waitcnt lgkmcnt(0)
	v_mul_f32_e32 v6, v2, v6
	ds_write_b32 v5, v6
	v_add_u32_e32 v5, 0x200, v5
	s_andn2_b64 exec, exec, s[2:3]
	s_cbranch_execnz .LBB74_45
.LBB74_46:
	s_or_b64 exec, exec, s[0:1]
	v_lshrrev_b32_e32 v22, 1, v4
	s_waitcnt lgkmcnt(0)
	s_barrier
	s_and_saveexec_b64 s[0:1], s[6:7]
	s_xor_b64 s[0:1], exec, s[0:1]
; %bb.47:
	v_lshrrev_b32_e32 v22, 1, v4
                                        ; implicit-def: $vgpr20
                                        ; implicit-def: $vgpr19
                                        ; implicit-def: $vgpr1
; %bb.48:
	s_or_saveexec_b64 s[6:7], s[0:1]
	v_mov_b32_e32 v7, 0
	v_and_b32_e32 v23, 1, v0
	v_mov_b32_e32 v6, 0
	v_mov_b32_e32 v25, 0
	s_xor_b64 exec, exec, s[6:7]
	s_cbranch_execz .LBB74_62
; %bb.49:
	s_ashr_i32 s15, s14, 31
	s_sub_i32 s30, s12, s17
	s_lshl_b64 s[0:1], s[14:15], 1
	s_add_u32 s8, s28, s0
	s_addc_u32 s9, s29, s1
	s_abs_i32 s28, s18
	v_cvt_f32_u32_e32 v3, s28
	s_sub_i32 s2, 0, s28
	v_lshlrev_b32_e32 v2, 3, v0
	s_add_i32 s29, s43, -1
	v_rcp_iflag_f32_e32 v3, v3
	v_and_b32_e32 v24, 8, v2
	v_or_b32_e32 v4, 64, v22
	s_movk_i32 s0, 0x50
	v_mul_f32_e32 v3, 0x4f7ffffe, v3
	v_cvt_u32_f32_e32 v3, v3
	v_and_b32_e32 v8, 60, v1
	v_lshlrev_b32_e32 v1, 5, v23
	v_lshl_or_b32 v2, v22, 4, v24
	v_mul_lo_u32 v5, s2, v3
	s_lshl_b64 s[2:3], s[26:27], 2
	s_add_u32 s2, s24, s2
	v_mov_b32_e32 v9, 0
	v_cmp_gt_u32_e64 s[0:1], s0, v4
	v_lshl_or_b32 v4, v4, 4, v24
	v_mul_hi_u32 v5, v3, v5
	s_addc_u32 s3, s25, s3
	v_lshl_or_b32 v1, v19, 6, v1
	s_mov_b32 s31, s13
	s_mov_b32 s34, s33
	v_add_u32_e32 v26, v3, v5
	v_lshl_add_u64 v[10:11], s[2:3], 0, v[8:9]
	v_add_u32_e32 v27, 0xb0, v1
	s_mov_b64 s[12:13], 0
	v_lshlrev_b32_e32 v8, 1, v2
	s_mov_b32 s24, 0xffff
	v_lshlrev_b32_e32 v12, 1, v4
	v_mov_b32_e32 v25, v9
	v_mov_b32_e32 v6, v9
	v_mov_b32_e32 v7, v9
	s_branch .LBB74_53
.LBB74_50:                              ;   in Loop: Header=BB74_53 Depth=1
	s_or_b64 exec, exec, s[18:19]
	v_lshlrev_b32_e32 v14, 16, v14
	v_lshlrev_b32_e32 v1, 16, v1
	v_and_or_b32 v2, v2, s24, v14
	v_and_or_b32 v1, v3, s24, v1
	v_lshlrev_b32_e32 v3, 16, v13
	v_and_or_b32 v3, v4, s24, v3
	;;#ASMSTART
	v_pk_mul_f16 v2, v31, v2;

	;;#ASMEND
	;;#ASMSTART
	v_pk_mul_f16 v1, v32, v1;

	;;#ASMEND
	;;#ASMSTART
	v_pk_mul_f16 v3, v33, v3;

	;;#ASMEND
	;;#ASMSTART
	v_pk_mul_f16 v4, v30, v5;

	;;#ASMEND
	s_nop 0
	;;#ASMSTART
	v_pk_add_f16 v1, v2, v1;

	;;#ASMEND
	s_nop 0
	;;#ASMSTART
	v_pk_add_f16 v1, v1, v3;

	;;#ASMEND
	;; [unrolled: 5-line block ×3, first 2 shown]
	s_nop 0
	v_lshrrev_b32_e32 v2, 16, v1
	v_and_b32_e32 v1, 0xffff, v1
	;;#ASMSTART
	v_cvt_f32_f16 v1, v1;
	;;#ASMEND
	;;#ASMSTART
	v_cvt_f32_f16 v2, v2;
	;;#ASMEND
	s_nop 0
	v_add_f32_e32 v1, v1, v2
	v_add_f32_e32 v25, v25, v1
.LBB74_51:                              ;   in Loop: Header=BB74_53 Depth=1
	s_or_b64 exec, exec, s[16:17]
	v_add_f32_e32 v1, v18, v29
	v_add_f32_e32 v6, v6, v1
	;; [unrolled: 1-line block ×4, first 2 shown]
.LBB74_52:                              ;   in Loop: Header=BB74_53 Depth=1
	s_or_b64 exec, exec, s[14:15]
	v_add_u32_e32 v19, 2, v19
	v_cmp_le_i32_e32 vcc, s43, v19
	v_lshl_add_u64 v[10:11], v[10:11], 0, 8
	v_add_u32_e32 v20, 32, v20
	s_or_b64 s[12:13], vcc, s[12:13]
	v_add_u32_e32 v27, 0x80, v27
	s_andn2_b64 exec, exec, s[12:13]
	s_cbranch_execz .LBB74_61
.LBB74_53:                              ; =>This Inner Loop Header: Depth=1
	v_mul_hi_u32 v1, v20, s40
	v_mul_lo_u32 v2, v1, s21
	v_sub_u32_e32 v2, v20, v2
	v_add_u32_e32 v3, 1, v1
	v_cmp_le_u32_e32 vcc, s21, v2
	s_nop 1
	v_cndmask_b32_e32 v1, v1, v3, vcc
	v_subrev_u32_e32 v3, s21, v2
	v_cndmask_b32_e32 v2, v2, v3, vcc
	v_add_u32_e32 v3, 1, v1
	v_cmp_le_u32_e32 vcc, s21, v2
	s_nop 1
	v_cndmask_b32_e32 v1, v1, v3, vcc
	v_xor_b32_e32 v1, s42, v1
	v_subrev_u32_e32 v1, s42, v1
	v_add_u32_e32 v2, s41, v1
	v_sub_u32_e32 v4, 0, v2
	v_ashrrev_i32_e32 v3, 31, v2
	v_max_i32_e32 v2, v2, v4
	v_mul_hi_u32 v4, v2, v26
	v_mul_lo_u32 v4, v4, s28
	v_sub_u32_e32 v2, v2, v4
	v_subrev_u32_e32 v4, s28, v2
	v_cmp_le_u32_e32 vcc, s28, v2
	v_cmp_lt_i32_e64 s[2:3], s30, v1
	s_nop 0
	v_cndmask_b32_e32 v2, v2, v4, vcc
	v_subrev_u32_e32 v4, s28, v2
	v_cmp_le_u32_e32 vcc, s28, v2
	s_nop 1
	v_cndmask_b32_e32 v2, v2, v4, vcc
	v_xor_b32_e32 v2, v2, v3
	v_sub_u32_e32 v2, v2, v3
	v_cmp_eq_u32_e32 vcc, 0, v2
	s_or_b64 s[2:3], vcc, s[2:3]
	s_and_saveexec_b64 s[14:15], s[2:3]
	s_cbranch_execz .LBB74_52
; %bb.54:                               ;   in Loop: Header=BB74_53 Depth=1
	global_load_dword v1, v[10:11], off
	ds_read2_b64 v[2:5], v27 offset1:1
	ds_read2_b64 v[14:17], v27 offset0:2 offset1:3
	v_add_u32_e32 v28, v24, v20
	s_waitcnt lgkmcnt(1)
	;;#ASMSTART
	v_cvt_f16_f32 v13, v2;

	;;#ASMEND
	;;#ASMSTART
	v_cvt_f16_f32 v29, v3;

	;;#ASMEND
	;; [unrolled: 4-line block ×4, first 2 shown]
	s_waitcnt lgkmcnt(0)
	;;#ASMSTART
	v_cvt_f16_f32 v33, v14;

	;;#ASMEND
	;;#ASMSTART
	v_cvt_f16_f32 v34, v15;

	;;#ASMEND
	;; [unrolled: 4-line block ×4, first 2 shown]
	s_waitcnt vmcnt(0)
	v_mad_i64_i32 v[2:3], s[2:3], v1, s31, 0
	v_lshl_add_u64 v[14:15], v[2:3], 1, s[8:9]
	v_lshl_add_u64 v[16:17], v[14:15], 0, v[8:9]
	global_load_dwordx4 v[2:5], v[16:17], off
	v_cmp_eq_u32_e64 s[2:3], s29, v19
	s_waitcnt vmcnt(0)
	v_lshrrev_b32_e32 v1, 16, v3
	v_lshrrev_b32_e32 v18, 16, v2
	;; [unrolled: 1-line block ×3, first 2 shown]
	s_and_saveexec_b64 s[16:17], s[2:3]
	s_cbranch_execz .LBB74_56
; %bb.55:                               ;   in Loop: Header=BB74_53 Depth=1
	v_cmp_gt_i32_e32 vcc, s33, v28
	v_add_u32_e32 v39, 2, v28
	v_or_b32_e32 v31, 3, v28
	v_cndmask_b32_e32 v2, 0, v2, vcc
	v_cmp_gt_i32_e32 vcc, s33, v39
	v_or_b32_e32 v38, 1, v28
	s_nop 0
	v_cndmask_b32_e32 v3, 0, v3, vcc
	v_cmp_gt_i32_e32 vcc, s34, v31
	v_add_u32_e32 v31, 4, v28
	s_nop 0
	v_cndmask_b32_e32 v1, 0, v1, vcc
	v_cmp_gt_i32_e32 vcc, s33, v38
	v_add_u32_e32 v38, 7, v28
	;; [unrolled: 4-line block ×4, first 2 shown]
	s_nop 0
	v_cndmask_b32_e32 v37, 0, v37, vcc
	v_cmp_gt_i32_e32 vcc, s33, v31
	s_nop 1
	v_cndmask_b32_sdwa v31, v9, v5, vcc dst_sel:DWORD dst_unused:UNUSED_PAD src0_sel:DWORD src1_sel:WORD_0
	v_and_b32_e32 v5, 0xffff0000, v5
	v_cmp_gt_i32_e32 vcc, s33, v38
	s_nop 1
	v_cndmask_b32_e32 v5, 0, v5, vcc
	v_or_b32_e32 v5, v31, v5
.LBB74_56:                              ;   in Loop: Header=BB74_53 Depth=1
	s_or_b64 exec, exec, s[16:17]
	v_and_b32_e32 v13, 0xffff, v13
	v_lshl_or_b32 v31, v29, 16, v13
	v_and_b32_e32 v13, 0xffff, v30
	v_lshl_or_b32 v32, v32, 16, v13
	;; [unrolled: 2-line block ×4, first 2 shown]
	v_lshlrev_b32_e32 v13, 16, v18
	v_lshlrev_b32_e32 v1, 16, v1
	v_and_or_b32 v2, v2, s24, v13
	v_and_or_b32 v1, v3, s24, v1
	v_lshlrev_b32_e32 v3, 16, v37
	v_and_or_b32 v3, v4, s24, v3
	;;#ASMSTART
	v_pk_mul_f16 v2, v31, v2;

	;;#ASMEND
	;;#ASMSTART
	v_pk_mul_f16 v1, v32, v1;

	;;#ASMEND
	;; [unrolled: 4-line block ×4, first 2 shown]
	s_nop 0
	;;#ASMSTART
	v_pk_add_f16 v1, v2, v1;

	;;#ASMEND
	s_nop 0
	;;#ASMSTART
	v_pk_add_f16 v1, v1, v3;

	;;#ASMEND
	s_nop 0
	;;#ASMSTART
	v_pk_add_f16 v1, v1, v4;

	;;#ASMEND
	s_nop 0
	v_lshrrev_b32_e32 v2, 16, v1
	v_and_b32_e32 v1, 0xffff, v1
	;;#ASMSTART
	v_cvt_f32_f16 v18, v1;
	;;#ASMEND
	;;#ASMSTART
	v_cvt_f32_f16 v29, v2;
	;;#ASMEND
	global_load_dwordx4 v[2:5], v[16:17], off offset:1024
	s_waitcnt vmcnt(0)
	v_lshrrev_b32_e32 v1, 16, v3
	v_lshrrev_b32_e32 v16, 16, v2
	;; [unrolled: 1-line block ×3, first 2 shown]
	s_and_saveexec_b64 s[16:17], s[2:3]
	s_cbranch_execz .LBB74_58
; %bb.57:                               ;   in Loop: Header=BB74_53 Depth=1
	v_cmp_gt_i32_e32 vcc, s33, v28
	v_add_u32_e32 v35, 2, v28
	v_or_b32_e32 v17, 3, v28
	v_cndmask_b32_e32 v2, 0, v2, vcc
	v_cmp_gt_i32_e32 vcc, s33, v35
	v_or_b32_e32 v34, 1, v28
	s_nop 0
	v_cndmask_b32_e32 v3, 0, v3, vcc
	v_cmp_gt_i32_e32 vcc, s34, v17
	v_add_u32_e32 v17, 4, v28
	s_nop 0
	v_cndmask_b32_e32 v1, 0, v1, vcc
	v_cmp_gt_i32_e32 vcc, s33, v34
	v_add_u32_e32 v34, 7, v28
	;; [unrolled: 4-line block ×4, first 2 shown]
	s_nop 0
	v_cndmask_b32_e32 v13, 0, v13, vcc
	v_cmp_gt_i32_e32 vcc, s33, v17
	s_nop 1
	v_cndmask_b32_sdwa v17, v9, v5, vcc dst_sel:DWORD dst_unused:UNUSED_PAD src0_sel:DWORD src1_sel:WORD_0
	v_and_b32_e32 v5, 0xffff0000, v5
	v_cmp_gt_i32_e32 vcc, s33, v34
	s_nop 1
	v_cndmask_b32_e32 v5, 0, v5, vcc
	v_or_b32_e32 v5, v17, v5
.LBB74_58:                              ;   in Loop: Header=BB74_53 Depth=1
	s_or_b64 exec, exec, s[16:17]
	v_lshlrev_b32_e32 v16, 16, v16
	v_lshlrev_b32_e32 v1, 16, v1
	v_and_or_b32 v2, v2, s24, v16
	v_and_or_b32 v1, v3, s24, v1
	v_lshlrev_b32_e32 v3, 16, v13
	v_and_or_b32 v3, v4, s24, v3
	;;#ASMSTART
	v_pk_mul_f16 v2, v31, v2;

	;;#ASMEND
	;;#ASMSTART
	v_pk_mul_f16 v1, v32, v1;

	;;#ASMEND
	;; [unrolled: 4-line block ×4, first 2 shown]
	s_nop 0
	;;#ASMSTART
	v_pk_add_f16 v1, v2, v1;

	;;#ASMEND
	s_nop 0
	;;#ASMSTART
	v_pk_add_f16 v1, v1, v3;

	;;#ASMEND
	;; [unrolled: 5-line block ×3, first 2 shown]
	s_nop 0
	v_lshrrev_b32_e32 v2, 16, v1
	v_and_b32_e32 v1, 0xffff, v1
	;;#ASMSTART
	v_cvt_f32_f16 v16, v1;
	;;#ASMEND
	;;#ASMSTART
	v_cvt_f32_f16 v17, v2;
	;;#ASMEND
	s_and_saveexec_b64 s[16:17], s[0:1]
	s_cbranch_execz .LBB74_51
; %bb.59:                               ;   in Loop: Header=BB74_53 Depth=1
	v_mov_b32_e32 v13, v9
	v_lshl_add_u64 v[2:3], v[14:15], 0, v[12:13]
	global_load_dwordx4 v[2:5], v[2:3], off
	s_waitcnt vmcnt(0)
	v_lshrrev_b32_e32 v1, 16, v3
	v_lshrrev_b32_e32 v14, 16, v2
	;; [unrolled: 1-line block ×3, first 2 shown]
	s_and_saveexec_b64 s[18:19], s[2:3]
	s_cbranch_execz .LBB74_50
; %bb.60:                               ;   in Loop: Header=BB74_53 Depth=1
	v_cmp_gt_i32_e32 vcc, s33, v28
	v_add_u32_e32 v35, 2, v28
	v_or_b32_e32 v15, 3, v28
	v_cndmask_b32_e32 v2, 0, v2, vcc
	v_cmp_gt_i32_e32 vcc, s33, v35
	v_or_b32_e32 v34, 1, v28
	s_nop 0
	v_cndmask_b32_e32 v3, 0, v3, vcc
	v_cmp_gt_i32_e32 vcc, s34, v15
	v_add_u32_e32 v15, 4, v28
	s_nop 0
	v_cndmask_b32_e32 v1, 0, v1, vcc
	v_cmp_gt_i32_e32 vcc, s33, v34
	s_nop 1
	v_cndmask_b32_e32 v14, 0, v14, vcc
	v_cmp_gt_i32_e32 vcc, s33, v15
	v_add_u32_e32 v15, 5, v28
	s_nop 0
	v_cndmask_b32_e32 v4, 0, v4, vcc
	v_cmp_gt_i32_e32 vcc, s33, v15
	v_add_u32_e32 v15, 6, v28
	v_add_u32_e32 v28, 7, v28
	v_cndmask_b32_e32 v13, 0, v13, vcc
	v_cmp_gt_i32_e32 vcc, s33, v15
	s_nop 1
	v_cndmask_b32_sdwa v15, v9, v5, vcc dst_sel:DWORD dst_unused:UNUSED_PAD src0_sel:DWORD src1_sel:WORD_0
	v_and_b32_e32 v5, 0xffff0000, v5
	v_cmp_gt_i32_e32 vcc, s33, v28
	s_nop 1
	v_cndmask_b32_e32 v5, 0, v5, vcc
	v_or_b32_e32 v5, v15, v5
	s_branch .LBB74_50
.LBB74_61:
	s_or_b64 exec, exec, s[12:13]
.LBB74_62:
	s_or_b64 exec, exec, s[6:7]
	ds_bpermute_b32 v2, v21, v6
	ds_bpermute_b32 v3, v21, v7
	;; [unrolled: 1-line block ×3, first 2 shown]
	v_and_b32_e32 v4, 0x3c0, v0
	v_cmp_eq_u32_e64 s[0:1], 64, v4
	v_cmp_eq_u32_e32 vcc, 0, v23
	s_waitcnt lgkmcnt(1)
	v_pk_add_f32 v[2:3], v[6:7], v[2:3]
	s_waitcnt lgkmcnt(0)
	v_add_f32_e32 v1, v25, v1
	s_barrier
	s_and_saveexec_b64 s[2:3], s[0:1]
	s_cbranch_execz .LBB74_67
; %bb.63:
	s_and_saveexec_b64 s[0:1], vcc
; %bb.64:
	v_mov_b32_e32 v4, 0xb0
	v_lshl_add_u32 v4, v22, 2, v4
	ds_write2_b32 v4, v2, v3 offset1:32
; %bb.65:
	s_or_b64 exec, exec, s[0:1]
	v_or_b32_e32 v4, 64, v22
	s_movk_i32 s0, 0x50
	v_cmp_gt_u32_e64 s[0:1], s0, v4
	s_and_b64 s[0:1], vcc, s[0:1]
	s_and_b64 exec, exec, s[0:1]
; %bb.66:
	v_mov_b32_e32 v4, 0xb0
	v_lshl_add_u32 v4, v22, 2, v4
	ds_write_b32 v4, v1 offset:256
.LBB74_67:
	s_or_b64 exec, exec, s[2:3]
	v_cmp_gt_u32_e64 s[0:1], 64, v0
	v_lshrrev_b32_e32 v0, 1, v0
	s_waitcnt lgkmcnt(0)
	s_barrier
	s_and_saveexec_b64 s[6:7], s[0:1]
	s_cbranch_execz .LBB74_75
; %bb.68:
	s_and_saveexec_b64 s[2:3], vcc
	s_cbranch_execz .LBB74_70
; %bb.69:
	v_mov_b32_e32 v4, 0xb0
	v_lshl_add_u32 v4, v0, 2, v4
	ds_read_b32 v4, v4
	s_waitcnt lgkmcnt(0)
	v_add_f32_e32 v2, v2, v4
.LBB74_70:
	s_or_b64 exec, exec, s[2:3]
	v_or_b32_e32 v4, 32, v0
	s_movk_i32 s8, 0x50
	v_cmp_gt_u32_e64 s[2:3], s8, v4
	s_and_b64 s[12:13], vcc, s[2:3]
	s_and_saveexec_b64 s[2:3], s[12:13]
	s_cbranch_execz .LBB74_72
; %bb.71:
	v_mov_b32_e32 v4, 0xb0
	v_lshl_add_u32 v4, v0, 2, v4
	ds_read_b32 v4, v4 offset:128
	s_waitcnt lgkmcnt(0)
	v_add_f32_e32 v3, v3, v4
.LBB74_72:
	s_or_b64 exec, exec, s[2:3]
	v_or_b32_e32 v4, 64, v0
	v_cmp_gt_u32_e64 s[2:3], s8, v4
	s_and_b64 s[8:9], vcc, s[2:3]
	s_and_saveexec_b64 s[2:3], s[8:9]
	s_cbranch_execz .LBB74_74
; %bb.73:
	v_mov_b32_e32 v4, 0xb0
	v_lshl_add_u32 v4, v0, 2, v4
	ds_read_b32 v4, v4 offset:256
	s_waitcnt lgkmcnt(0)
	v_add_f32_e32 v1, v1, v4
.LBB74_74:
	s_or_b64 exec, exec, s[2:3]
.LBB74_75:
	s_or_b64 exec, exec, s[6:7]
	s_barrier
	s_and_saveexec_b64 s[2:3], s[0:1]
	s_cbranch_execz .LBB74_82
; %bb.76:
	s_mul_i32 s0, s10, s11
	s_mul_i32 s0, s0, s5
	s_mulk_i32 s0, 0x50
	s_ashr_i32 s1, s0, 31
	s_lshl_b64 s[0:1], s[0:1], 1
	s_add_u32 s2, s22, s0
	s_mul_i32 s0, s11, s20
	s_addc_u32 s3, s23, s1
	s_ashr_i32 s1, s0, 31
	s_lshl_b64 s[0:1], s[0:1], 1
	s_add_u32 s2, s2, s0
	s_mul_i32 s0, s4, 0x50
	s_addc_u32 s3, s3, s1
	s_ashr_i32 s1, s0, 31
	s_lshl_b64 s[0:1], s[0:1], 1
	s_add_u32 s2, s2, s0
	s_movk_i32 s5, 0x50
	s_addc_u32 s3, s3, s1
	v_lshlrev_b32_e32 v4, 1, v0
	s_and_saveexec_b64 s[0:1], vcc
	s_cbranch_execz .LBB74_78
; %bb.77:
	;;#ASMSTART
	v_cvt_f16_f32 v2, v2;

	;;#ASMEND
	global_store_short v4, v2, s[2:3]
.LBB74_78:
	s_or_b64 exec, exec, s[0:1]
	v_or_b32_e32 v2, 32, v0
	v_cmp_gt_u32_e64 s[0:1], s5, v2
	s_and_b64 s[4:5], vcc, s[0:1]
	s_and_saveexec_b64 s[0:1], s[4:5]
	s_cbranch_execz .LBB74_80
; %bb.79:
	;;#ASMSTART
	v_cvt_f16_f32 v2, v3;

	;;#ASMEND
	global_store_short v4, v2, s[2:3] offset:64
.LBB74_80:
	s_or_b64 exec, exec, s[0:1]
	v_or_b32_e32 v0, 64, v0
	s_movk_i32 s0, 0x50
	v_cmp_gt_u32_e64 s[0:1], s0, v0
	s_and_b64 s[0:1], vcc, s[0:1]
	s_and_b64 exec, exec, s[0:1]
	s_cbranch_execz .LBB74_82
; %bb.81:
	;;#ASMSTART
	v_cvt_f16_f32 v0, v1;

	;;#ASMEND
	global_store_short v4, v0, s[2:3] offset:128
.LBB74_82:
	s_endpgm
	.section	.rodata,"a",@progbits
	.p2align	6, 0x0
	.amdhsa_kernel _ZN4vllm25paged_attention_v1_kernelIttLi80ELi16ELi128ELNS_18Fp8KVCacheDataTypeE0ELb1EEEvPT_PKS2_PKT0_S8_ifPKiSA_iPKfiiiSC_SC_iiiii
		.amdhsa_group_segment_fixed_size 176
		.amdhsa_private_segment_fixed_size 0
		.amdhsa_kernarg_size 384
		.amdhsa_user_sgpr_count 2
		.amdhsa_user_sgpr_dispatch_ptr 0
		.amdhsa_user_sgpr_queue_ptr 0
		.amdhsa_user_sgpr_kernarg_segment_ptr 1
		.amdhsa_user_sgpr_dispatch_id 0
		.amdhsa_user_sgpr_kernarg_preload_length 0
		.amdhsa_user_sgpr_kernarg_preload_offset 0
		.amdhsa_user_sgpr_private_segment_size 0
		.amdhsa_uses_dynamic_stack 0
		.amdhsa_enable_private_segment 0
		.amdhsa_system_sgpr_workgroup_id_x 1
		.amdhsa_system_sgpr_workgroup_id_y 1
		.amdhsa_system_sgpr_workgroup_id_z 1
		.amdhsa_system_sgpr_workgroup_info 0
		.amdhsa_system_vgpr_workitem_id 0
		.amdhsa_next_free_vgpr 55
		.amdhsa_next_free_sgpr 45
		.amdhsa_accum_offset 56
		.amdhsa_reserve_vcc 1
		.amdhsa_float_round_mode_32 0
		.amdhsa_float_round_mode_16_64 0
		.amdhsa_float_denorm_mode_32 3
		.amdhsa_float_denorm_mode_16_64 3
		.amdhsa_dx10_clamp 1
		.amdhsa_ieee_mode 1
		.amdhsa_fp16_overflow 0
		.amdhsa_tg_split 0
		.amdhsa_exception_fp_ieee_invalid_op 0
		.amdhsa_exception_fp_denorm_src 0
		.amdhsa_exception_fp_ieee_div_zero 0
		.amdhsa_exception_fp_ieee_overflow 0
		.amdhsa_exception_fp_ieee_underflow 0
		.amdhsa_exception_fp_ieee_inexact 0
		.amdhsa_exception_int_div_zero 0
	.end_amdhsa_kernel
	.section	.text._ZN4vllm25paged_attention_v1_kernelIttLi80ELi16ELi128ELNS_18Fp8KVCacheDataTypeE0ELb1EEEvPT_PKS2_PKT0_S8_ifPKiSA_iPKfiiiSC_SC_iiiii,"axG",@progbits,_ZN4vllm25paged_attention_v1_kernelIttLi80ELi16ELi128ELNS_18Fp8KVCacheDataTypeE0ELb1EEEvPT_PKS2_PKT0_S8_ifPKiSA_iPKfiiiSC_SC_iiiii,comdat
.Lfunc_end74:
	.size	_ZN4vllm25paged_attention_v1_kernelIttLi80ELi16ELi128ELNS_18Fp8KVCacheDataTypeE0ELb1EEEvPT_PKS2_PKT0_S8_ifPKiSA_iPKfiiiSC_SC_iiiii, .Lfunc_end74-_ZN4vllm25paged_attention_v1_kernelIttLi80ELi16ELi128ELNS_18Fp8KVCacheDataTypeE0ELb1EEEvPT_PKS2_PKT0_S8_ifPKiSA_iPKfiiiSC_SC_iiiii
                                        ; -- End function
	.set _ZN4vllm25paged_attention_v1_kernelIttLi80ELi16ELi128ELNS_18Fp8KVCacheDataTypeE0ELb1EEEvPT_PKS2_PKT0_S8_ifPKiSA_iPKfiiiSC_SC_iiiii.num_vgpr, 55
	.set _ZN4vllm25paged_attention_v1_kernelIttLi80ELi16ELi128ELNS_18Fp8KVCacheDataTypeE0ELb1EEEvPT_PKS2_PKT0_S8_ifPKiSA_iPKfiiiSC_SC_iiiii.num_agpr, 0
	.set _ZN4vllm25paged_attention_v1_kernelIttLi80ELi16ELi128ELNS_18Fp8KVCacheDataTypeE0ELb1EEEvPT_PKS2_PKT0_S8_ifPKiSA_iPKfiiiSC_SC_iiiii.numbered_sgpr, 45
	.set _ZN4vllm25paged_attention_v1_kernelIttLi80ELi16ELi128ELNS_18Fp8KVCacheDataTypeE0ELb1EEEvPT_PKS2_PKT0_S8_ifPKiSA_iPKfiiiSC_SC_iiiii.num_named_barrier, 0
	.set _ZN4vllm25paged_attention_v1_kernelIttLi80ELi16ELi128ELNS_18Fp8KVCacheDataTypeE0ELb1EEEvPT_PKS2_PKT0_S8_ifPKiSA_iPKfiiiSC_SC_iiiii.private_seg_size, 0
	.set _ZN4vllm25paged_attention_v1_kernelIttLi80ELi16ELi128ELNS_18Fp8KVCacheDataTypeE0ELb1EEEvPT_PKS2_PKT0_S8_ifPKiSA_iPKfiiiSC_SC_iiiii.uses_vcc, 1
	.set _ZN4vllm25paged_attention_v1_kernelIttLi80ELi16ELi128ELNS_18Fp8KVCacheDataTypeE0ELb1EEEvPT_PKS2_PKT0_S8_ifPKiSA_iPKfiiiSC_SC_iiiii.uses_flat_scratch, 0
	.set _ZN4vllm25paged_attention_v1_kernelIttLi80ELi16ELi128ELNS_18Fp8KVCacheDataTypeE0ELb1EEEvPT_PKS2_PKT0_S8_ifPKiSA_iPKfiiiSC_SC_iiiii.has_dyn_sized_stack, 0
	.set _ZN4vllm25paged_attention_v1_kernelIttLi80ELi16ELi128ELNS_18Fp8KVCacheDataTypeE0ELb1EEEvPT_PKS2_PKT0_S8_ifPKiSA_iPKfiiiSC_SC_iiiii.has_recursion, 0
	.set _ZN4vllm25paged_attention_v1_kernelIttLi80ELi16ELi128ELNS_18Fp8KVCacheDataTypeE0ELb1EEEvPT_PKS2_PKT0_S8_ifPKiSA_iPKfiiiSC_SC_iiiii.has_indirect_call, 0
	.section	.AMDGPU.csdata,"",@progbits
; Kernel info:
; codeLenInByte = 6576
; TotalNumSgprs: 51
; NumVgprs: 55
; NumAgprs: 0
; TotalNumVgprs: 55
; ScratchSize: 0
; MemoryBound: 0
; FloatMode: 240
; IeeeMode: 1
; LDSByteSize: 176 bytes/workgroup (compile time only)
; SGPRBlocks: 6
; VGPRBlocks: 6
; NumSGPRsForWavesPerEU: 51
; NumVGPRsForWavesPerEU: 55
; AccumOffset: 56
; Occupancy: 8
; WaveLimiterHint : 1
; COMPUTE_PGM_RSRC2:SCRATCH_EN: 0
; COMPUTE_PGM_RSRC2:USER_SGPR: 2
; COMPUTE_PGM_RSRC2:TRAP_HANDLER: 0
; COMPUTE_PGM_RSRC2:TGID_X_EN: 1
; COMPUTE_PGM_RSRC2:TGID_Y_EN: 1
; COMPUTE_PGM_RSRC2:TGID_Z_EN: 1
; COMPUTE_PGM_RSRC2:TIDIG_COMP_CNT: 0
; COMPUTE_PGM_RSRC3_GFX90A:ACCUM_OFFSET: 13
; COMPUTE_PGM_RSRC3_GFX90A:TG_SPLIT: 0
	.section	.text._ZN4vllm25paged_attention_v1_kernelIttLi96ELi16ELi128ELNS_18Fp8KVCacheDataTypeE0ELb1EEEvPT_PKS2_PKT0_S8_ifPKiSA_iPKfiiiSC_SC_iiiii,"axG",@progbits,_ZN4vllm25paged_attention_v1_kernelIttLi96ELi16ELi128ELNS_18Fp8KVCacheDataTypeE0ELb1EEEvPT_PKS2_PKT0_S8_ifPKiSA_iPKfiiiSC_SC_iiiii,comdat
	.protected	_ZN4vllm25paged_attention_v1_kernelIttLi96ELi16ELi128ELNS_18Fp8KVCacheDataTypeE0ELb1EEEvPT_PKS2_PKT0_S8_ifPKiSA_iPKfiiiSC_SC_iiiii ; -- Begin function _ZN4vllm25paged_attention_v1_kernelIttLi96ELi16ELi128ELNS_18Fp8KVCacheDataTypeE0ELb1EEEvPT_PKS2_PKT0_S8_ifPKiSA_iPKfiiiSC_SC_iiiii
	.globl	_ZN4vllm25paged_attention_v1_kernelIttLi96ELi16ELi128ELNS_18Fp8KVCacheDataTypeE0ELb1EEEvPT_PKS2_PKT0_S8_ifPKiSA_iPKfiiiSC_SC_iiiii
	.p2align	8
	.type	_ZN4vllm25paged_attention_v1_kernelIttLi96ELi16ELi128ELNS_18Fp8KVCacheDataTypeE0ELb1EEEvPT_PKS2_PKT0_S8_ifPKiSA_iPKfiiiSC_SC_iiiii,@function
_ZN4vllm25paged_attention_v1_kernelIttLi96ELi16ELi128ELNS_18Fp8KVCacheDataTypeE0ELb1EEEvPT_PKS2_PKT0_S8_ifPKiSA_iPKfiiiSC_SC_iiiii: ; @_ZN4vllm25paged_attention_v1_kernelIttLi96ELi16ELi128ELNS_18Fp8KVCacheDataTypeE0ELb1EEEvPT_PKS2_PKT0_S8_ifPKiSA_iPKfiiiSC_SC_iiiii
; %bb.0:
	s_load_dword s5, s[0:1], 0x80
	s_load_dwordx2 s[6:7], s[0:1], 0x30
	s_load_dwordx2 s[30:31], s[0:1], 0x20
	s_mov_b32 s10, s3
	s_ashr_i32 s11, s3, 31
	s_lshl_b64 s[8:9], s[10:11], 2
	s_waitcnt lgkmcnt(0)
	s_add_u32 s6, s6, s8
	s_addc_u32 s7, s7, s9
	s_abs_i32 s3, s30
	v_cvt_f32_u32_e32 v1, s3
	s_sub_i32 s11, 0, s3
	s_abs_i32 s9, s5
	s_xor_b32 s8, s5, s30
	v_rcp_iflag_f32_e32 v1, v1
	s_ashr_i32 s8, s8, 31
	s_mov_b32 s42, 0
	v_mul_f32_e32 v1, 0x4f7ffffe, v1
	v_cvt_u32_f32_e32 v1, v1
	s_nop 0
	v_readfirstlane_b32 s12, v1
	s_mul_i32 s11, s11, s12
	s_mul_hi_u32 s11, s12, s11
	s_add_i32 s12, s12, s11
	s_mul_hi_u32 s11, s9, s12
	s_mul_i32 s12, s11, s3
	s_sub_i32 s9, s9, s12
	s_add_i32 s12, s11, 1
	s_sub_i32 s13, s9, s3
	s_cmp_ge_u32 s9, s3
	s_cselect_b32 s11, s12, s11
	s_cselect_b32 s9, s13, s9
	s_add_i32 s12, s11, 1
	s_cmp_ge_u32 s9, s3
	s_cselect_b32 s3, s12, s11
	s_xor_b32 s3, s3, s8
	s_sub_i32 s16, s3, s8
	s_abs_i32 s11, s16
	v_cvt_f32_u32_e32 v1, s11
	s_load_dwordx2 s[8:9], s[0:1], 0x40
	s_sub_i32 s3, 0, s11
	s_abs_i32 s22, s2
	v_rcp_iflag_f32_e32 v1, v1
	s_nop 0
	v_mul_f32_e32 v1, 0x4f7ffffe, v1
	v_cvt_u32_f32_e32 v1, v1
	s_nop 0
	v_readfirstlane_b32 s12, v1
	s_mul_i32 s3, s3, s12
	s_mul_hi_u32 s3, s12, s3
	s_add_i32 s12, s12, s3
	s_waitcnt lgkmcnt(0)
	s_cmp_eq_u64 s[8:9], 0
	s_mul_hi_u32 s23, s22, s12
	s_cbranch_scc1 .LBB75_2
; %bb.1:
	s_ashr_i32 s3, s2, 31
	s_lshl_b64 s[12:13], s[2:3], 2
	s_add_u32 s8, s8, s12
	s_addc_u32 s9, s9, s13
	s_load_dword s42, s[8:9], 0x0
.LBB75_2:
	s_load_dword s33, s[6:7], 0x0
	s_load_dwordx4 s[12:15], s[0:1], 0x48
	s_ashr_i32 s3, s2, 31
	s_ashr_i32 s9, s16, 31
	v_and_b32_e32 v4, 3, v0
	s_mul_i32 s20, s2, 0x60
	v_cmp_gt_u32_e32 vcc, 48, v0
	s_and_saveexec_b64 s[6:7], vcc
	s_cbranch_execz .LBB75_4
; %bb.3:
	s_load_dwordx2 s[16:17], s[0:1], 0x8
	s_waitcnt lgkmcnt(0)
	s_mul_i32 s18, s12, s10
	s_ashr_i32 s19, s18, 31
	s_lshl_b64 s[18:19], s[18:19], 1
	v_lshlrev_b32_e32 v1, 2, v0
	s_add_u32 s8, s16, s18
	s_addc_u32 s12, s17, s19
	s_ashr_i32 s21, s20, 31
	s_lshl_b64 s[16:17], s[20:21], 1
	s_add_u32 s16, s8, s16
	s_addc_u32 s17, s12, s17
	global_load_dword v1, v1, s[16:17]
	v_and_b32_e32 v2, 0x3fc, v0
	v_mad_u32_u24 v2, v4, 48, v2
	s_waitcnt vmcnt(0)
	ds_write_b32 v2, v1
.LBB75_4:
	s_or_b64 exec, exec, s[6:7]
	s_mul_i32 s6, s23, s11
	s_sub_i32 s6, s22, s6
	s_xor_b32 s3, s3, s9
	s_add_i32 s7, s23, 1
	s_sub_i32 s9, s6, s11
	s_load_dwordx4 s[16:19], s[0:1], 0x68
	s_load_dword s8, s[0:1], 0x78
	s_cmp_ge_u32 s6, s11
	s_cselect_b32 s7, s7, s23
	s_cselect_b32 s6, s9, s6
	s_add_i32 s9, s7, 1
	s_cmp_ge_u32 s6, s11
	s_cselect_b32 s6, s9, s7
	s_waitcnt lgkmcnt(0)
	s_abs_i32 s21, s19
	v_cvt_f32_u32_e32 v1, s21
	s_xor_b32 s6, s6, s3
	s_sub_i32 s3, s6, s3
	s_sub_i32 s6, 0, s21
	v_rcp_iflag_f32_e32 v1, v1
	s_add_i32 s11, s33, -1
	s_abs_i32 s9, s11
	v_mul_f32_e32 v1, 0x4f7ffffe, v1
	v_cvt_u32_f32_e32 v1, v1
	s_barrier
	v_readfirstlane_b32 s40, v1
	s_mul_i32 s6, s6, s40
	s_mul_hi_u32 s6, s40, s6
	s_add_i32 s40, s40, s6
	s_cmp_lt_i32 s8, 0
	s_mul_hi_u32 s12, s9, s40
	s_cbranch_scc0 .LBB75_6
; %bb.5:
	s_mul_i32 s6, s16, s30
	s_add_i32 s6, s3, s6
	s_mul_i32 s6, s6, s8
	s_sub_i32 s41, 1, s6
	s_mov_b64 s[6:7], 0
	s_branch .LBB75_7
.LBB75_6:
	s_mov_b64 s[6:7], -1
                                        ; implicit-def: $sgpr41
.LBB75_7:
	s_load_dwordx2 s[24:25], s[0:1], 0x28
	s_ashr_i32 s15, s11, 31
	s_andn2_b64 vcc, exec, s[6:7]
	s_ashr_i32 s19, s19, 31
	s_cbranch_vccnz .LBB75_9
; %bb.8:
	s_mul_i32 s6, s5, s16
	s_add_i32 s2, s6, s2
	s_mul_i32 s2, s2, s8
	s_add_i32 s41, s2, 1
.LBB75_9:
	s_load_dword s2, s[0:1], 0x38
	s_load_dwordx2 s[22:23], s[0:1], 0x0
	s_load_dwordx2 s[28:29], s[0:1], 0x18
	s_load_dword s11, s[0:1], 0x88
	s_xor_b32 s6, s15, s19
	s_waitcnt lgkmcnt(0)
	s_mul_i32 s26, s2, s10
	s_mul_i32 s2, s12, s21
	s_sub_i32 s2, s9, s2
	s_ashr_i32 s27, s26, 31
	s_add_i32 s7, s12, 1
	s_sub_i32 s8, s2, s21
	s_cmp_ge_u32 s2, s21
	s_cselect_b32 s7, s7, s12
	s_cselect_b32 s2, s8, s2
	s_add_i32 s8, s7, 1
	s_cmp_ge_u32 s2, s21
	s_cselect_b32 s2, s8, s7
	s_xor_b32 s2, s2, s6
	s_sub_i32 s12, s2, s6
	s_add_i32 s2, s33, 15
	s_ashr_i32 s6, s2, 31
	s_lshr_b32 s6, s6, 28
	s_add_i32 s2, s2, s6
	s_ashr_i32 s16, s2, 4
	v_lshrrev_b32_e32 v16, 6, v0
	v_cmp_gt_i32_e64 s[6:7], s16, v16
	v_mov_b32_e32 v9, 0xff7fffff
	s_mul_i32 s14, s3, s14
	v_lshrrev_b32_e32 v1, 4, v0
	v_lshlrev_b32_e32 v17, 4, v16
	v_mbcnt_lo_u32_b32 v6, -1, 0
	s_and_saveexec_b64 s[34:35], s[6:7]
	s_cbranch_execz .LBB75_21
; %bb.10:
	s_load_dwordx2 s[0:1], s[0:1], 0x10
	s_ashr_i32 s15, s14, 31
	s_sub_i32 s30, s12, s17
	s_lshl_b64 s[2:3], s[14:15], 1
	v_bfe_u32 v7, v0, 2, 4
	s_waitcnt lgkmcnt(0)
	s_add_u32 s0, s0, s2
	s_addc_u32 s1, s1, s3
	s_abs_i32 s15, s18
	v_cvt_f32_u32_e32 v5, s15
	v_lshlrev_b32_e32 v12, 4, v7
	v_mov_b32_e32 v13, 0
	v_lshl_add_u64 v[2:3], s[0:1], 0, v[12:13]
	v_rcp_iflag_f32_e32 v5, v5
	v_lshlrev_b32_e32 v8, 2, v0
	s_sub_i32 s0, 0, s15
	v_cmp_eq_u32_e32 vcc, 0, v4
	v_mul_f32_e32 v5, 0x4f7ffffe, v5
	v_cvt_u32_f32_e32 v5, v5
	v_and_b32_e32 v12, 12, v8
	v_mul_u32_u24_e32 v8, 48, v4
	v_lshl_add_u64 v[2:3], v[2:3], 0, v[12:13]
	v_mul_lo_u32 v4, s0, v5
	s_lshl_b64 s[0:1], s[26:27], 2
	s_add_u32 s0, s24, s0
	v_mul_hi_u32 v4, v5, v4
	v_and_b32_e32 v12, 60, v1
	s_addc_u32 s1, s25, s1
	v_subrev_u32_e32 v9, s33, v7
	v_add_u32_e32 v10, v5, v4
	v_lshl_add_u64 v[4:5], s[0:1], 0, v[12:13]
	v_add_u32_e32 v12, 1, v9
	v_lshlrev_b32_e32 v9, 2, v7
	v_lshl_or_b32 v9, v16, 6, v9
	v_mbcnt_hi_u32_b32 v15, -1, v6
	v_add_u32_e32 v13, 0xd0, v9
	v_and_b32_e32 v9, 64, v15
	s_mov_b32 s43, s13
	v_cmp_neq_f32_e64 s[2:3], s42, 0
	v_lshlrev_b32_e32 v11, 4, v16
	v_mov_b32_e32 v14, 0xff7fffff
	s_mov_b64 s[36:37], 0
	v_add_u32_e32 v18, 64, v9
	v_xor_b32_e32 v19, 2, v15
	v_xor_b32_e32 v20, 1, v15
	v_mov_b32_e32 v9, 0xff7fffff
	v_mov_b32_e32 v21, v16
	s_branch .LBB75_13
.LBB75_11:                              ;   in Loop: Header=BB75_13 Depth=1
	s_or_b64 exec, exec, s[38:39]
.LBB75_12:                              ;   in Loop: Header=BB75_13 Depth=1
	s_or_b64 exec, exec, s[8:9]
	v_add_u32_e32 v21, 2, v21
	v_cmp_le_i32_e64 s[0:1], s16, v21
	v_lshl_add_u64 v[4:5], v[4:5], 0, 8
	v_add_u32_e32 v11, 32, v11
	s_or_b64 s[36:37], s[0:1], s[36:37]
	v_add_u32_e32 v13, 0x80, v13
	s_andn2_b64 exec, exec, s[36:37]
	s_cbranch_execz .LBB75_20
.LBB75_13:                              ; =>This Inner Loop Header: Depth=1
	v_mul_hi_u32 v22, v11, s40
	s_waitcnt lgkmcnt(0)
	v_mul_lo_u32 v23, v22, s21
	v_sub_u32_e32 v23, v11, v23
	v_add_u32_e32 v24, 1, v22
	v_cmp_le_u32_e64 s[0:1], s21, v23
	s_nop 1
	v_cndmask_b32_e64 v22, v22, v24, s[0:1]
	v_subrev_u32_e32 v24, s21, v23
	v_cndmask_b32_e64 v23, v23, v24, s[0:1]
	v_add_u32_e32 v24, 1, v22
	v_cmp_le_u32_e64 s[0:1], s21, v23
	s_nop 1
	v_cndmask_b32_e64 v22, v22, v24, s[0:1]
	v_xor_b32_e32 v22, s19, v22
	v_subrev_u32_e32 v22, s19, v22
	v_add_u32_e32 v23, s41, v22
	v_sub_u32_e32 v25, 0, v23
	v_ashrrev_i32_e32 v24, 31, v23
	v_max_i32_e32 v23, v23, v25
	v_mul_hi_u32 v25, v23, v10
	v_mul_lo_u32 v25, v25, s15
	v_sub_u32_e32 v23, v23, v25
	v_subrev_u32_e32 v25, s15, v23
	v_cmp_le_u32_e64 s[0:1], s15, v23
	v_cmp_ge_i32_e64 s[8:9], s30, v22
	s_nop 0
	v_cndmask_b32_e64 v23, v23, v25, s[0:1]
	v_subrev_u32_e32 v25, s15, v23
	v_cmp_le_u32_e64 s[0:1], s15, v23
	s_nop 1
	v_cndmask_b32_e64 v23, v23, v25, s[0:1]
	v_xor_b32_e32 v23, v23, v24
	v_sub_u32_e32 v23, v23, v24
	v_cmp_ne_u32_e64 s[0:1], 0, v23
	s_and_b64 s[0:1], s[0:1], s[8:9]
	s_and_saveexec_b64 s[8:9], s[0:1]
	s_xor_b64 s[0:1], exec, s[8:9]
	s_cbranch_execz .LBB75_17
; %bb.14:                               ;   in Loop: Header=BB75_13 Depth=1
	s_and_saveexec_b64 s[8:9], vcc
; %bb.15:                               ;   in Loop: Header=BB75_13 Depth=1
	ds_write_b32 v13, v14
; %bb.16:                               ;   in Loop: Header=BB75_13 Depth=1
	s_or_b64 exec, exec, s[8:9]
.LBB75_17:                              ;   in Loop: Header=BB75_13 Depth=1
	s_andn2_saveexec_b64 s[8:9], s[0:1]
	s_cbranch_execz .LBB75_12
; %bb.18:                               ;   in Loop: Header=BB75_13 Depth=1
	global_load_dword v22, v[4:5], off
	s_waitcnt vmcnt(0)
	v_mad_i64_i32 v[22:23], s[0:1], v22, s43, 0
	v_lshl_add_u64 v[26:27], v[22:23], 1, v[2:3]
	global_load_dword v25, v[26:27], off
	global_load_dword v28, v[26:27], off offset:256
	global_load_dword v29, v[26:27], off offset:512
	;; [unrolled: 1-line block ×11, first 2 shown]
	ds_read_b32 v26, v8
	v_cmp_lt_i32_e64 s[0:1], v19, v18
	s_waitcnt lgkmcnt(0)
	v_lshrrev_b32_e32 v36, 16, v26
	v_and_b32_e32 v26, 0xffff, v26
	;;#ASMSTART
	v_cvt_f32_f16 v26, v26;
	;;#ASMEND
	;;#ASMSTART
	v_cvt_f32_f16 v36, v36;
	;;#ASMEND
	v_cndmask_b32_e64 v27, v15, v19, s[0:1]
	v_lshlrev_b32_e32 v27, 2, v27
	v_cmp_lt_i32_e64 s[0:1], v20, v18
	s_waitcnt vmcnt(11)
	v_lshrrev_b32_e32 v37, 16, v25
	v_and_b32_e32 v25, 0xffff, v25
	;;#ASMSTART
	v_cvt_f32_f16 v25, v25;
	;;#ASMEND
	;;#ASMSTART
	v_cvt_f32_f16 v37, v37;
	;;#ASMEND
	ds_read_b32 v38, v8 offset:4
	s_waitcnt vmcnt(10)
	v_lshrrev_b32_e32 v39, 16, v28
	v_and_b32_e32 v40, 0xffff, v28
	s_waitcnt vmcnt(9)
	v_lshrrev_b32_e32 v41, 16, v29
	v_and_b32_e32 v42, 0xffff, v29
	s_waitcnt lgkmcnt(0)
	v_lshrrev_b32_e32 v29, 16, v38
	v_and_b32_e32 v28, 0xffff, v38
	;;#ASMSTART
	v_cvt_f32_f16 v28, v28;
	;;#ASMEND
	;;#ASMSTART
	v_cvt_f32_f16 v29, v29;
	;;#ASMEND
	;;#ASMSTART
	v_cvt_f32_f16 v38, v40;
	;;#ASMEND
	;;#ASMSTART
	v_cvt_f32_f16 v39, v39;
	;;#ASMEND
	ds_read_b32 v40, v8 offset:8
	s_waitcnt vmcnt(8)
	v_lshrrev_b32_e32 v43, 16, v30
	v_and_b32_e32 v44, 0xffff, v30
	s_waitcnt vmcnt(7)
	v_lshrrev_b32_e32 v45, 16, v31
	v_and_b32_e32 v46, 0xffff, v31
	s_waitcnt lgkmcnt(0)
	v_lshrrev_b32_e32 v31, 16, v40
	v_and_b32_e32 v30, 0xffff, v40
	;;#ASMSTART
	v_cvt_f32_f16 v30, v30;
	;;#ASMEND
	;;#ASMSTART
	v_cvt_f32_f16 v31, v31;
	;;#ASMEND
	;; [unrolled: 22-line block ×5, first 2 shown]
	;;#ASMSTART
	v_cvt_f32_f16 v46, v48;
	;;#ASMEND
	;;#ASMSTART
	v_cvt_f32_f16 v47, v47;
	;;#ASMEND
	ds_read_b32 v48, v8 offset:24
	s_waitcnt vmcnt(0)
	v_lshrrev_b32_e32 v59, 16, v22
	v_and_b32_e32 v60, 0xffff, v22
	v_mul_f32_e32 v22, v28, v38
	v_mul_f32_e32 v28, v29, v39
	s_waitcnt lgkmcnt(0)
	v_lshrrev_b32_e32 v38, 16, v48
	v_and_b32_e32 v29, 0xffff, v48
	;;#ASMSTART
	v_cvt_f32_f16 v29, v29;
	;;#ASMEND
	;;#ASMSTART
	v_cvt_f32_f16 v38, v38;
	;;#ASMEND
	;;#ASMSTART
	v_cvt_f32_f16 v39, v50;
	;;#ASMEND
	;;#ASMSTART
	v_cvt_f32_f16 v48, v49;
	;;#ASMEND
	ds_read_b32 v49, v8 offset:28
	v_fmac_f32_e32 v22, v26, v25
	v_fmac_f32_e32 v28, v36, v37
	v_fmac_f32_e32 v22, v30, v40
	v_fmac_f32_e32 v28, v31, v41
	s_waitcnt lgkmcnt(0)
	v_lshrrev_b32_e32 v26, 16, v49
	v_and_b32_e32 v25, 0xffff, v49
	;;#ASMSTART
	v_cvt_f32_f16 v25, v25;
	;;#ASMEND
	;;#ASMSTART
	v_cvt_f32_f16 v26, v26;
	;;#ASMEND
	;;#ASMSTART
	v_cvt_f32_f16 v30, v52;
	;;#ASMEND
	;;#ASMSTART
	v_cvt_f32_f16 v31, v51;
	;;#ASMEND
	ds_read_b32 v36, v8 offset:32
	v_fmac_f32_e32 v22, v32, v42
	v_fmac_f32_e32 v28, v33, v43
	v_fmac_f32_e32 v22, v34, v44
	v_fmac_f32_e32 v28, v35, v45
	;; [unrolled: 20-line block ×5, first 2 shown]
	s_waitcnt lgkmcnt(0)
	v_lshrrev_b32_e32 v24, 16, v32
	v_and_b32_e32 v23, 0xffff, v32
	;;#ASMSTART
	v_cvt_f32_f16 v23, v23;
	;;#ASMEND
	;;#ASMSTART
	v_cvt_f32_f16 v24, v24;
	;;#ASMEND
	;; [unrolled: 3-line block ×4, first 2 shown]
	s_nop 0
	v_fmac_f32_e32 v22, v23, v25
	v_fmac_f32_e32 v28, v24, v26
	v_add_f32_e32 v22, v22, v28
	ds_bpermute_b32 v23, v27, v22
	v_cndmask_b32_e64 v24, v15, v20, s[0:1]
	s_waitcnt lgkmcnt(0)
	v_add_f32_e32 v22, v22, v23
	v_lshlrev_b32_e32 v23, 2, v24
	ds_bpermute_b32 v23, v23, v22
	s_and_saveexec_b64 s[38:39], vcc
	s_cbranch_execz .LBB75_11
; %bb.19:                               ;   in Loop: Header=BB75_13 Depth=1
	v_add_u32_e32 v24, v12, v11
	v_cvt_f32_i32_e32 v24, v24
	s_waitcnt lgkmcnt(0)
	v_add_f32_e32 v22, v22, v23
	v_add_u32_e32 v25, v7, v11
	v_cmp_gt_i32_e64 s[0:1], s33, v25
	v_mul_f32_e32 v23, s42, v24
	v_cndmask_b32_e64 v23, 0, v23, s[2:3]
	v_fmac_f32_e32 v23, s31, v22
	v_cndmask_b32_e64 v22, 0, v23, s[0:1]
	ds_write_b32 v13, v22
	v_max_f32_e32 v22, v9, v9
	v_max_f32_e32 v22, v22, v23
	v_cndmask_b32_e64 v9, v9, v22, s[0:1]
	s_branch .LBB75_11
.LBB75_20:
	s_or_b64 exec, exec, s[36:37]
.LBB75_21:
	s_or_b64 exec, exec, s[34:35]
	v_mbcnt_hi_u32_b32 v2, -1, v6
	v_and_b32_e32 v10, 64, v2
	v_add_u32_e32 v3, 64, v10
	v_xor_b32_e32 v4, 32, v2
	v_cmp_lt_i32_e32 vcc, v4, v3
	v_xor_b32_e32 v7, 16, v2
	v_max_f32_e32 v6, v9, v9
	v_cndmask_b32_e32 v4, v2, v4, vcc
	v_lshlrev_b32_e32 v4, 2, v4
	ds_bpermute_b32 v5, v4, v9
	v_cmp_lt_i32_e32 vcc, v7, v3
	v_xor_b32_e32 v8, 8, v2
	v_xor_b32_e32 v9, 4, v2
	v_and_b32_e32 v18, 63, v0
	s_waitcnt lgkmcnt(0)
	v_max_f32_e32 v5, v5, v5
	v_max_f32_e32 v6, v6, v5
	v_cndmask_b32_e32 v5, v2, v7, vcc
	v_lshlrev_b32_e32 v5, 2, v5
	ds_bpermute_b32 v7, v5, v6
	v_cmp_lt_i32_e32 vcc, v8, v3
	s_waitcnt lgkmcnt(0)
	v_max_f32_e32 v7, v7, v7
	v_max_f32_e32 v6, v6, v7
	v_cndmask_b32_e32 v7, v2, v8, vcc
	v_lshlrev_b32_e32 v8, 2, v7
	ds_bpermute_b32 v7, v8, v6
	v_cmp_lt_i32_e32 vcc, v9, v3
	s_waitcnt lgkmcnt(0)
	v_max_f32_e32 v7, v7, v7
	v_max_f32_e32 v7, v6, v7
	v_cndmask_b32_e32 v6, v2, v9, vcc
	v_lshlrev_b32_e32 v9, 2, v6
	ds_bpermute_b32 v11, v9, v7
	v_cmp_eq_u32_e32 vcc, 0, v18
	v_lshlrev_b32_e32 v6, 2, v16
	s_and_saveexec_b64 s[0:1], vcc
	s_cbranch_execz .LBB75_23
; %bb.22:
	s_waitcnt lgkmcnt(0)
	v_max_f32_e32 v11, v11, v11
	v_max_f32_e32 v7, v7, v7
	;; [unrolled: 1-line block ×3, first 2 shown]
	ds_write_b32 v6, v7 offset:192
.LBB75_23:
	s_or_b64 exec, exec, s[0:1]
	v_cmp_gt_u32_e64 s[0:1], 2, v18
	s_waitcnt lgkmcnt(0)
	v_mov_b32_e32 v11, 0xff7fffff
	v_lshlrev_b32_e32 v7, 2, v18
	s_barrier
	s_and_saveexec_b64 s[2:3], s[0:1]
; %bb.24:
	ds_read_b32 v11, v7 offset:192
; %bb.25:
	s_or_b64 exec, exec, s[2:3]
	v_xor_b32_e32 v12, 1, v2
	v_cmp_lt_i32_e64 s[2:3], v12, v3
	v_lshlrev_b32_e32 v10, 2, v10
	s_nop 0
	v_cndmask_b32_e64 v12, v2, v12, s[2:3]
	v_lshlrev_b32_e32 v19, 2, v12
	s_waitcnt lgkmcnt(0)
	ds_bpermute_b32 v12, v19, v11
	v_max_f32_e32 v11, v11, v11
	s_lshl_b32 s2, s16, 4
	s_min_i32 s15, s2, s33
	v_cmp_gt_i32_e64 s[2:3], s15, v0
	s_waitcnt lgkmcnt(0)
	v_max_f32_e32 v12, v12, v12
	v_max_f32_e32 v11, v11, v12
	ds_bpermute_b32 v11, v10, v11
	v_mov_b32_e32 v10, 0
	s_and_saveexec_b64 s[30:31], s[2:3]
	s_cbranch_execz .LBB75_29
; %bb.26:
	v_mov_b32_e32 v10, 0xd0
	v_lshl_add_u32 v12, v0, 2, v10
	v_mov_b32_e32 v10, 0
	s_mov_b64 s[34:35], 0
	v_mov_b32_e32 v13, v0
.LBB75_27:                              ; =>This Inner Loop Header: Depth=1
	ds_read_b32 v14, v12
	v_add_u32_e32 v13, 0x80, v13
	v_cmp_le_i32_e64 s[8:9], s15, v13
	s_or_b64 s[34:35], s[8:9], s[34:35]
	s_waitcnt lgkmcnt(0)
	v_sub_f32_e32 v14, v14, v11
	v_mul_f32_e32 v14, 0x3fb8aa3b, v14
	v_exp_f32_e32 v14, v14
	ds_write_b32 v12, v14
	v_add_f32_e32 v10, v10, v14
	v_add_u32_e32 v12, 0x200, v12
	s_andn2_b64 exec, exec, s[34:35]
	s_cbranch_execnz .LBB75_27
; %bb.28:
	s_or_b64 exec, exec, s[34:35]
.LBB75_29:
	s_or_b64 exec, exec, s[30:31]
	ds_bpermute_b32 v4, v4, v10
	s_waitcnt lgkmcnt(0)
	v_add_f32_e32 v4, v10, v4
	ds_bpermute_b32 v5, v5, v4
	s_waitcnt lgkmcnt(0)
	v_add_f32_e32 v4, v4, v5
	ds_bpermute_b32 v5, v8, v4
	v_xor_b32_e32 v8, 2, v2
	v_cmp_lt_i32_e64 s[8:9], v8, v3
	s_waitcnt lgkmcnt(0)
	v_add_f32_e32 v4, v4, v5
	ds_bpermute_b32 v5, v9, v4
	v_cndmask_b32_e64 v3, v2, v8, s[8:9]
	v_lshlrev_b32_e32 v3, 2, v3
	s_waitcnt lgkmcnt(0)
	v_add_f32_e32 v4, v4, v5
	ds_bpermute_b32 v3, v3, v4
	s_waitcnt lgkmcnt(0)
	v_add_f32_e32 v3, v4, v3
	ds_bpermute_b32 v4, v19, v3
	s_waitcnt lgkmcnt(0)
	v_add_f32_e32 v3, v3, v4
	s_and_saveexec_b64 s[8:9], vcc
; %bb.30:
	ds_write_b32 v6, v3 offset:200
; %bb.31:
	s_or_b64 exec, exec, s[8:9]
	s_waitcnt lgkmcnt(0)
	s_barrier
	s_and_saveexec_b64 s[8:9], s[0:1]
; %bb.32:
	ds_read_b32 v3, v7 offset:200
; %bb.33:
	s_or_b64 exec, exec, s[8:9]
	s_waitcnt lgkmcnt(0)
	ds_bpermute_b32 v4, v19, v3
	v_lshlrev_b32_e32 v2, 2, v2
	v_and_b32_e32 v2, 0x100, v2
	s_waitcnt lgkmcnt(0)
	v_add_f32_e32 v3, v3, v4
	ds_bpermute_b32 v2, v2, v3
	s_and_saveexec_b64 s[0:1], s[2:3]
	s_cbranch_execz .LBB75_46
; %bb.34:
	s_waitcnt lgkmcnt(0)
	v_add_f32_e32 v2, 0x358637bd, v2
	v_div_scale_f32 v3, s[2:3], v2, v2, 1.0
	v_rcp_f32_e32 v4, v3
	v_div_scale_f32 v5, vcc, 1.0, v2, 1.0
	s_movk_i32 s2, 0x7f
	v_fma_f32 v6, -v3, v4, 1.0
	v_fmac_f32_e32 v4, v6, v4
	v_mul_f32_e32 v6, v5, v4
	v_fma_f32 v7, -v3, v6, v5
	v_fmac_f32_e32 v6, v7, v4
	v_fma_f32 v3, -v3, v6, v5
	v_div_fmas_f32 v3, v3, v4, v6
	v_xad_u32 v4, v0, -1, s15
	v_div_fixup_f32 v2, v3, v2, 1.0
	v_cmp_lt_u32_e32 vcc, s2, v4
	s_mov_b64 s[8:9], -1
	v_mov_b32_e32 v3, v0
	s_and_saveexec_b64 s[2:3], vcc
	s_cbranch_execz .LBB75_43
; %bb.35:
	v_lshrrev_b32_e32 v4, 7, v4
	v_add_u32_e32 v6, -1, v4
	v_lshrrev_b32_e32 v5, 1, v6
	v_mov_b32_e32 v3, v2
	v_add_u32_e32 v5, 1, v5
	v_cmp_lt_u32_e32 vcc, 13, v6
	v_mov_b32_e32 v8, 0
	s_and_saveexec_b64 s[8:9], vcc
	s_cbranch_execz .LBB75_39
; %bb.36:
	v_mov_b32_e32 v7, 0xd0
	v_and_b32_e32 v6, -8, v5
	v_lshl_add_u32 v7, v0, 2, v7
	s_mov_b32 s34, 0
	s_mov_b64 s[30:31], 0
.LBB75_37:                              ; =>This Inner Loop Header: Depth=1
	ds_read2st64_b32 v[8:9], v7 offset1:2
	ds_read2st64_b32 v[10:11], v7 offset0:4 offset1:6
	ds_read2st64_b32 v[12:13], v7 offset0:8 offset1:10
	;; [unrolled: 1-line block ×3, first 2 shown]
	v_add_u32_e32 v6, -8, v6
	s_waitcnt lgkmcnt(3)
	v_pk_mul_f32 v[8:9], v[2:3], v[8:9]
	s_waitcnt lgkmcnt(2)
	v_pk_mul_f32 v[10:11], v[2:3], v[10:11]
	ds_write2st64_b32 v7, v8, v9 offset1:2
	ds_write2st64_b32 v7, v10, v11 offset0:4 offset1:6
	ds_read2st64_b32 v[10:11], v7 offset0:16 offset1:18
	s_waitcnt lgkmcnt(4)
	v_pk_mul_f32 v[8:9], v[2:3], v[12:13]
	ds_write2st64_b32 v7, v8, v9 offset0:8 offset1:10
	s_waitcnt lgkmcnt(4)
	v_pk_mul_f32 v[8:9], v[2:3], v[14:15]
	ds_write2st64_b32 v7, v8, v9 offset0:12 offset1:14
	ds_read2st64_b32 v[8:9], v7 offset0:20 offset1:22
	s_waitcnt lgkmcnt(3)
	v_pk_mul_f32 v[10:11], v[2:3], v[10:11]
	ds_read2st64_b32 v[12:13], v7 offset0:24 offset1:26
	ds_write2st64_b32 v7, v10, v11 offset0:16 offset1:18
	ds_read2st64_b32 v[10:11], v7 offset0:28 offset1:30
	s_waitcnt lgkmcnt(3)
	v_pk_mul_f32 v[8:9], v[2:3], v[8:9]
	ds_write2st64_b32 v7, v8, v9 offset0:20 offset1:22
	s_waitcnt lgkmcnt(3)
	v_pk_mul_f32 v[8:9], v[2:3], v[12:13]
	ds_write2st64_b32 v7, v8, v9 offset0:24 offset1:26
	s_waitcnt lgkmcnt(2)
	v_pk_mul_f32 v[8:9], v[2:3], v[10:11]
	s_add_i32 s34, s34, 16
	v_cmp_eq_u32_e32 vcc, 0, v6
	ds_write2st64_b32 v7, v8, v9 offset0:28 offset1:30
	v_add_u32_e32 v7, 0x2000, v7
	s_or_b64 s[30:31], vcc, s[30:31]
	v_mov_b32_e32 v8, s34
	s_andn2_b64 exec, exec, s[30:31]
	s_cbranch_execnz .LBB75_37
; %bb.38:
	s_or_b64 exec, exec, s[30:31]
.LBB75_39:
	s_or_b64 exec, exec, s[8:9]
	v_and_b32_e32 v5, 7, v5
	v_cmp_ne_u32_e32 vcc, 0, v5
	s_and_saveexec_b64 s[8:9], vcc
	s_cbranch_execz .LBB75_42
; %bb.40:
	v_lshlrev_b32_e32 v6, 9, v8
	v_lshlrev_b32_e32 v7, 2, v0
	s_movk_i32 s30, 0xd0
	v_add3_u32 v6, v6, v7, s30
	s_mov_b64 s[30:31], 0
.LBB75_41:                              ; =>This Inner Loop Header: Depth=1
	ds_read2st64_b32 v[8:9], v6 offset1:2
	v_add_u32_e32 v5, -1, v5
	v_cmp_eq_u32_e32 vcc, 0, v5
	s_or_b64 s[30:31], vcc, s[30:31]
	s_waitcnt lgkmcnt(0)
	v_pk_mul_f32 v[8:9], v[2:3], v[8:9]
	ds_write2st64_b32 v6, v8, v9 offset1:2
	v_add_u32_e32 v6, 0x400, v6
	s_andn2_b64 exec, exec, s[30:31]
	s_cbranch_execnz .LBB75_41
.LBB75_42:
	s_or_b64 exec, exec, s[8:9]
	v_add_u32_e32 v4, 1, v4
	v_and_b32_e32 v5, 0x3fffffe, v4
	v_cmp_ne_u32_e32 vcc, v4, v5
	v_lshl_add_u32 v3, v5, 7, v0
	s_orn2_b64 s[8:9], vcc, exec
.LBB75_43:
	s_or_b64 exec, exec, s[2:3]
	s_and_b64 exec, exec, s[8:9]
	s_cbranch_execz .LBB75_46
; %bb.44:
	v_mov_b32_e32 v4, 0xd0
	v_lshl_add_u32 v4, v3, 2, v4
	s_mov_b64 s[2:3], 0
.LBB75_45:                              ; =>This Inner Loop Header: Depth=1
	ds_read_b32 v5, v4
	v_add_u32_e32 v3, 0x80, v3
	v_cmp_le_i32_e32 vcc, s15, v3
	s_or_b64 s[2:3], vcc, s[2:3]
	s_waitcnt lgkmcnt(0)
	v_mul_f32_e32 v5, v2, v5
	ds_write_b32 v4, v5
	v_add_u32_e32 v4, 0x200, v4
	s_andn2_b64 exec, exec, s[2:3]
	s_cbranch_execnz .LBB75_45
.LBB75_46:
	s_or_b64 exec, exec, s[0:1]
	v_mov_b32_e32 v7, 0
	v_and_b32_e32 v20, 1, v0
	v_mov_b32_e32 v6, 0
	v_mov_b32_e32 v21, 0
	s_waitcnt lgkmcnt(0)
	s_barrier
	s_and_saveexec_b64 s[2:3], s[6:7]
	s_cbranch_execz .LBB75_58
; %bb.47:
	s_ashr_i32 s15, s14, 31
	s_sub_i32 s17, s12, s17
	s_lshl_b64 s[0:1], s[14:15], 1
	s_add_u32 s0, s28, s0
	s_addc_u32 s1, s29, s1
	s_abs_i32 s14, s18
	v_cvt_f32_u32_e32 v3, s14
	v_lshlrev_b32_e32 v2, 3, v0
	v_and_b32_e32 v22, 8, v2
	v_mov_b32_e32 v9, 0
	v_rcp_iflag_f32_e32 v2, v3
	v_lshlrev_b32_e32 v3, 4, v0
	v_and_b32_e32 v8, 0x3f0, v3
	v_lshl_add_u64 v[10:11], s[0:1], 0, v[8:9]
	v_mul_f32_e32 v2, 0x4f7ffffe, v2
	v_cvt_u32_f32_e32 v2, v2
	s_sub_i32 s0, 0, s14
	s_add_i32 s18, s16, -1
	v_and_b32_e32 v8, 60, v1
	v_mul_lo_u32 v3, s0, v2
	s_lshl_b64 s[0:1], s[26:27], 2
	s_add_u32 s0, s24, s0
	v_lshlrev_b32_e32 v1, 5, v20
	v_mul_hi_u32 v3, v2, v3
	s_addc_u32 s1, s25, s1
	v_lshl_or_b32 v1, v16, 6, v1
	s_mov_b32 s15, s13
	s_mov_b32 s28, s33
	v_add_u32_e32 v23, v2, v3
	v_lshl_add_u64 v[12:13], s[0:1], 0, v[8:9]
	v_add_u32_e32 v24, 0xd0, v1
	s_mov_b64 s[6:7], 0
	s_mov_b32 s24, 0xffff
	v_mov_b32_e32 v21, 0
	v_mov_b32_e32 v6, 0
	v_mov_b32_e32 v7, 0
	s_branch .LBB75_50
.LBB75_48:                              ;   in Loop: Header=BB75_50 Depth=1
	s_or_b64 exec, exec, s[12:13]
	v_lshlrev_b32_e32 v8, 16, v8
	v_lshlrev_b32_e32 v1, 16, v1
	v_and_or_b32 v2, v2, s24, v8
	v_and_or_b32 v1, v3, s24, v1
	v_lshlrev_b32_e32 v3, 16, v14
	v_and_or_b32 v3, v4, s24, v3
	;;#ASMSTART
	v_pk_mul_f16 v2, v34, v2;

	;;#ASMEND
	;;#ASMSTART
	v_pk_mul_f16 v1, v35, v1;

	;;#ASMEND
	;; [unrolled: 4-line block ×4, first 2 shown]
	v_add_f32_e32 v15, v39, v40
	;;#ASMSTART
	v_pk_add_f16 v1, v2, v1;

	;;#ASMEND
	v_add_f32_e32 v7, v7, v15
	;;#ASMSTART
	v_pk_add_f16 v1, v1, v3;

	;;#ASMEND
	;; [unrolled: 5-line block ×3, first 2 shown]
	v_add_f32_e32 v6, v6, v15
	v_lshrrev_b32_e32 v2, 16, v1
	v_and_b32_e32 v1, 0xffff, v1
	;;#ASMSTART
	v_cvt_f32_f16 v1, v1;
	;;#ASMEND
	;;#ASMSTART
	v_cvt_f32_f16 v2, v2;
	;;#ASMEND
	s_nop 0
	v_add_f32_e32 v1, v1, v2
	v_add_f32_e32 v21, v21, v1
.LBB75_49:                              ;   in Loop: Header=BB75_50 Depth=1
	s_or_b64 exec, exec, s[8:9]
	v_add_u32_e32 v16, 2, v16
	v_cmp_le_i32_e32 vcc, s16, v16
	v_lshl_add_u64 v[12:13], v[12:13], 0, 8
	v_add_u32_e32 v17, 32, v17
	s_or_b64 s[6:7], vcc, s[6:7]
	v_add_u32_e32 v24, 0x80, v24
	s_andn2_b64 exec, exec, s[6:7]
	s_cbranch_execz .LBB75_57
.LBB75_50:                              ; =>This Inner Loop Header: Depth=1
	v_mul_hi_u32 v1, v17, s40
	v_mul_lo_u32 v2, v1, s21
	v_sub_u32_e32 v2, v17, v2
	v_add_u32_e32 v3, 1, v1
	v_cmp_le_u32_e32 vcc, s21, v2
	s_nop 1
	v_cndmask_b32_e32 v1, v1, v3, vcc
	v_subrev_u32_e32 v3, s21, v2
	v_cndmask_b32_e32 v2, v2, v3, vcc
	v_add_u32_e32 v3, 1, v1
	v_cmp_le_u32_e32 vcc, s21, v2
	s_nop 1
	v_cndmask_b32_e32 v1, v1, v3, vcc
	v_xor_b32_e32 v1, s19, v1
	v_subrev_u32_e32 v1, s19, v1
	v_add_u32_e32 v2, s41, v1
	v_sub_u32_e32 v4, 0, v2
	v_ashrrev_i32_e32 v3, 31, v2
	v_max_i32_e32 v2, v2, v4
	v_mul_hi_u32 v4, v2, v23
	v_mul_lo_u32 v4, v4, s14
	v_sub_u32_e32 v2, v2, v4
	v_subrev_u32_e32 v4, s14, v2
	v_cmp_le_u32_e32 vcc, s14, v2
	v_cmp_lt_i32_e64 s[0:1], s17, v1
	s_nop 0
	v_cndmask_b32_e32 v2, v2, v4, vcc
	v_subrev_u32_e32 v4, s14, v2
	v_cmp_le_u32_e32 vcc, s14, v2
	s_nop 1
	v_cndmask_b32_e32 v2, v2, v4, vcc
	v_xor_b32_e32 v2, v2, v3
	v_sub_u32_e32 v2, v2, v3
	v_cmp_eq_u32_e32 vcc, 0, v2
	s_or_b64 s[0:1], vcc, s[0:1]
	s_and_saveexec_b64 s[8:9], s[0:1]
	s_cbranch_execz .LBB75_49
; %bb.51:                               ;   in Loop: Header=BB75_50 Depth=1
	global_load_dword v1, v[12:13], off
	ds_read2_b64 v[2:5], v24 offset1:1
	ds_read2_b64 v[26:29], v24 offset0:2 offset1:3
	s_waitcnt lgkmcnt(1)
	;;#ASMSTART
	v_cvt_f16_f32 v33, v2;

	;;#ASMEND
	;;#ASMSTART
	v_cvt_f16_f32 v34, v3;

	;;#ASMEND
	;; [unrolled: 4-line block ×4, first 2 shown]
	s_waitcnt lgkmcnt(0)
	;;#ASMSTART
	v_cvt_f16_f32 v37, v26;

	;;#ASMEND
	;;#ASMSTART
	v_cvt_f16_f32 v38, v27;

	;;#ASMEND
	;; [unrolled: 4-line block ×4, first 2 shown]
	v_add_u32_e32 v28, v22, v17
	v_add_u32_e32 v30, 2, v28
	;; [unrolled: 1-line block ×6, first 2 shown]
	v_or_b32_e32 v31, 3, v28
	v_or_b32_e32 v32, 1, v28
	s_waitcnt vmcnt(0)
	v_mad_i64_i32 v[2:3], s[0:1], v1, s15, 0
	v_lshl_add_u64 v[14:15], v[2:3], 1, v[10:11]
	global_load_dwordx4 v[2:5], v[14:15], off
	v_cmp_eq_u32_e64 s[0:1], s18, v16
	s_waitcnt vmcnt(0)
	v_lshrrev_b32_e32 v1, 16, v3
	v_lshrrev_b32_e32 v8, 16, v2
	;; [unrolled: 1-line block ×3, first 2 shown]
	s_and_saveexec_b64 s[12:13], s[0:1]
	s_cbranch_execz .LBB75_53
; %bb.52:                               ;   in Loop: Header=BB75_50 Depth=1
	v_cmp_gt_i32_e32 vcc, s33, v28
	s_nop 1
	v_cndmask_b32_e32 v2, 0, v2, vcc
	v_cmp_gt_i32_e32 vcc, s33, v30
	s_nop 1
	v_cndmask_b32_e32 v3, 0, v3, vcc
	;; [unrolled: 3-line block ×6, first 2 shown]
	v_cmp_gt_i32_e32 vcc, s33, v26
	s_nop 1
	v_cndmask_b32_sdwa v42, v9, v5, vcc dst_sel:DWORD dst_unused:UNUSED_PAD src0_sel:DWORD src1_sel:WORD_0
	v_and_b32_e32 v5, 0xffff0000, v5
	v_cmp_gt_i32_e32 vcc, s33, v25
	s_nop 1
	v_cndmask_b32_e32 v5, 0, v5, vcc
	v_or_b32_e32 v5, v42, v5
.LBB75_53:                              ;   in Loop: Header=BB75_50 Depth=1
	s_or_b64 exec, exec, s[12:13]
	v_and_b32_e32 v33, 0xffff, v33
	v_lshl_or_b32 v34, v34, 16, v33
	v_and_b32_e32 v33, 0xffff, v35
	v_lshlrev_b32_e32 v8, 16, v8
	v_lshlrev_b32_e32 v1, 16, v1
	v_lshl_or_b32 v35, v36, 16, v33
	v_and_b32_e32 v33, 0xffff, v37
	v_and_or_b32 v2, v2, s24, v8
	v_and_or_b32 v1, v3, s24, v1
	v_lshlrev_b32_e32 v3, 16, v41
	v_lshl_or_b32 v36, v38, 16, v33
	v_and_b32_e32 v33, 0xffff, v39
	v_and_or_b32 v3, v4, s24, v3
	;;#ASMSTART
	v_pk_mul_f16 v2, v34, v2;

	;;#ASMEND
	;;#ASMSTART
	v_pk_mul_f16 v1, v35, v1;

	;;#ASMEND
	v_lshl_or_b32 v33, v40, 16, v33
	;;#ASMSTART
	v_pk_mul_f16 v3, v36, v3;

	;;#ASMEND
	;;#ASMSTART
	v_pk_mul_f16 v4, v33, v5;

	;;#ASMEND
	;;#ASMSTART
	v_pk_add_f16 v1, v2, v1;

	;;#ASMEND
	s_nop 0
	;;#ASMSTART
	v_pk_add_f16 v1, v1, v3;

	;;#ASMEND
	s_nop 0
	;; [unrolled: 5-line block ×3, first 2 shown]
	v_lshrrev_b32_e32 v2, 16, v1
	v_and_b32_e32 v1, 0xffff, v1
	;;#ASMSTART
	v_cvt_f32_f16 v37, v1;
	;;#ASMEND
	;;#ASMSTART
	v_cvt_f32_f16 v38, v2;
	;;#ASMEND
	global_load_dwordx4 v[2:5], v[14:15], off offset:1024
	s_waitcnt vmcnt(0)
	v_lshrrev_b32_e32 v1, 16, v3
	v_lshrrev_b32_e32 v8, 16, v2
	;; [unrolled: 1-line block ×3, first 2 shown]
	s_and_saveexec_b64 s[12:13], s[0:1]
	s_cbranch_execz .LBB75_55
; %bb.54:                               ;   in Loop: Header=BB75_50 Depth=1
	v_cmp_gt_i32_e32 vcc, s33, v28
	s_nop 1
	v_cndmask_b32_e32 v2, 0, v2, vcc
	v_cmp_gt_i32_e32 vcc, s33, v30
	s_nop 1
	v_cndmask_b32_e32 v3, 0, v3, vcc
	;; [unrolled: 3-line block ×6, first 2 shown]
	v_cmp_gt_i32_e32 vcc, s33, v26
	s_nop 1
	v_cndmask_b32_sdwa v40, v9, v5, vcc dst_sel:DWORD dst_unused:UNUSED_PAD src0_sel:DWORD src1_sel:WORD_0
	v_and_b32_e32 v5, 0xffff0000, v5
	v_cmp_gt_i32_e32 vcc, s33, v25
	s_nop 1
	v_cndmask_b32_e32 v5, 0, v5, vcc
	v_or_b32_e32 v5, v40, v5
.LBB75_55:                              ;   in Loop: Header=BB75_50 Depth=1
	s_or_b64 exec, exec, s[12:13]
	v_lshlrev_b32_e32 v8, 16, v8
	v_lshlrev_b32_e32 v1, 16, v1
	v_and_or_b32 v2, v2, s24, v8
	v_and_or_b32 v1, v3, s24, v1
	v_lshlrev_b32_e32 v3, 16, v39
	v_and_or_b32 v3, v4, s24, v3
	;;#ASMSTART
	v_pk_mul_f16 v2, v34, v2;

	;;#ASMEND
	;;#ASMSTART
	v_pk_mul_f16 v1, v35, v1;

	;;#ASMEND
	;; [unrolled: 4-line block ×4, first 2 shown]
	s_nop 0
	;;#ASMSTART
	v_pk_add_f16 v1, v2, v1;

	;;#ASMEND
	s_nop 0
	;;#ASMSTART
	v_pk_add_f16 v1, v1, v3;

	;;#ASMEND
	;; [unrolled: 5-line block ×3, first 2 shown]
	s_nop 0
	v_lshrrev_b32_e32 v2, 16, v1
	v_and_b32_e32 v1, 0xffff, v1
	;;#ASMSTART
	v_cvt_f32_f16 v39, v1;
	;;#ASMEND
	;;#ASMSTART
	v_cvt_f32_f16 v40, v2;
	;;#ASMEND
	global_load_dwordx4 v[2:5], v[14:15], off offset:2048
	s_waitcnt vmcnt(0)
	v_lshrrev_b32_e32 v1, 16, v3
	v_lshrrev_b32_e32 v8, 16, v2
	;; [unrolled: 1-line block ×3, first 2 shown]
	s_and_saveexec_b64 s[12:13], s[0:1]
	s_cbranch_execz .LBB75_48
; %bb.56:                               ;   in Loop: Header=BB75_50 Depth=1
	v_cmp_gt_i32_e32 vcc, s33, v28
	s_nop 1
	v_cndmask_b32_e32 v2, 0, v2, vcc
	v_cmp_gt_i32_e32 vcc, s33, v30
	s_nop 1
	v_cndmask_b32_e32 v3, 0, v3, vcc
	;; [unrolled: 3-line block ×6, first 2 shown]
	v_cmp_gt_i32_e32 vcc, s33, v26
	s_nop 1
	v_cndmask_b32_sdwa v15, v9, v5, vcc dst_sel:DWORD dst_unused:UNUSED_PAD src0_sel:DWORD src1_sel:WORD_0
	v_and_b32_e32 v5, 0xffff0000, v5
	v_cmp_gt_i32_e32 vcc, s33, v25
	s_nop 1
	v_cndmask_b32_e32 v5, 0, v5, vcc
	v_or_b32_e32 v5, v15, v5
	s_branch .LBB75_48
.LBB75_57:
	s_or_b64 exec, exec, s[6:7]
.LBB75_58:
	s_or_b64 exec, exec, s[2:3]
	ds_bpermute_b32 v2, v19, v6
	ds_bpermute_b32 v3, v19, v7
	;; [unrolled: 1-line block ×3, first 2 shown]
	v_and_b32_e32 v4, 0x3c1, v0
	v_cmp_ne_u32_e32 vcc, 64, v4
	s_waitcnt lgkmcnt(0)
	v_pk_add_f32 v[2:3], v[6:7], v[2:3]
	s_barrier
	s_and_saveexec_b64 s[0:1], vcc
	s_xor_b64 s[0:1], exec, s[0:1]
; %bb.59:
                                        ; implicit-def: $vgpr18
; %bb.60:
	s_or_saveexec_b64 s[0:1], s[0:1]
	v_add_f32_e32 v1, v21, v1
	s_xor_b64 exec, exec, s[0:1]
	s_cbranch_execz .LBB75_62
; %bb.61:
	v_mov_b32_e32 v5, 0xd0
	v_lshl_add_u32 v5, v18, 1, v5
	ds_write2_b32 v5, v2, v3 offset1:32
	ds_write_b32 v5, v1 offset:256
.LBB75_62:
	s_or_b64 exec, exec, s[0:1]
	v_cmp_gt_u32_e32 vcc, 64, v0
	v_lshrrev_b32_e32 v0, 1, v0
	s_waitcnt lgkmcnt(0)
	s_barrier
	s_and_saveexec_b64 s[0:1], vcc
	s_cbranch_execz .LBB75_68
; %bb.63:
	v_mov_b32_e32 v5, 0xd0
	v_cmp_eq_u32_e32 vcc, 0, v20
	v_lshl_add_u32 v5, v0, 2, v5
	s_and_saveexec_b64 s[2:3], vcc
	s_cbranch_execnz .LBB75_71
; %bb.64:
	s_or_b64 exec, exec, s[2:3]
	s_and_saveexec_b64 s[2:3], vcc
	s_cbranch_execnz .LBB75_72
.LBB75_65:
	s_or_b64 exec, exec, s[2:3]
	s_and_saveexec_b64 s[2:3], vcc
	s_cbranch_execz .LBB75_67
.LBB75_66:
	ds_read_b32 v5, v5 offset:256
	s_waitcnt lgkmcnt(0)
	v_add_f32_e32 v1, v1, v5
.LBB75_67:
	s_or_b64 exec, exec, s[2:3]
.LBB75_68:
	s_or_b64 exec, exec, s[0:1]
	v_cmp_eq_u32_e32 vcc, 0, v4
	s_barrier
	s_and_saveexec_b64 s[0:1], vcc
	s_cbranch_execz .LBB75_70
; %bb.69:
	s_mul_i32 s0, s10, s11
	s_mul_i32 s0, s0, s5
	s_mulk_i32 s0, 0x60
	s_ashr_i32 s1, s0, 31
	s_lshl_b64 s[0:1], s[0:1], 1
	s_add_u32 s2, s22, s0
	s_mul_i32 s0, s11, s20
	s_addc_u32 s3, s23, s1
	s_ashr_i32 s1, s0, 31
	s_lshl_b64 s[0:1], s[0:1], 1
	s_add_u32 s2, s2, s0
	s_mul_i32 s0, s4, 0x60
	s_addc_u32 s3, s3, s1
	s_ashr_i32 s1, s0, 31
	s_lshl_b64 s[0:1], s[0:1], 1
	s_add_u32 s0, s2, s0
	s_addc_u32 s1, s3, s1
	v_lshlrev_b32_e32 v0, 1, v0
	;;#ASMSTART
	v_cvt_f16_f32 v2, v2;

	;;#ASMEND
	global_store_short v0, v2, s[0:1]
	;;#ASMSTART
	v_cvt_f16_f32 v2, v3;

	;;#ASMEND
	global_store_short v0, v2, s[0:1] offset:64
	;;#ASMSTART
	v_cvt_f16_f32 v1, v1;

	;;#ASMEND
	global_store_short v0, v1, s[0:1] offset:128
.LBB75_70:
	s_endpgm
.LBB75_71:
	ds_read_b32 v6, v5
	s_waitcnt lgkmcnt(0)
	v_add_f32_e32 v2, v2, v6
	s_or_b64 exec, exec, s[2:3]
	s_and_saveexec_b64 s[2:3], vcc
	s_cbranch_execz .LBB75_65
.LBB75_72:
	ds_read_b32 v6, v5 offset:128
	s_waitcnt lgkmcnt(0)
	v_add_f32_e32 v3, v3, v6
	s_or_b64 exec, exec, s[2:3]
	s_and_saveexec_b64 s[2:3], vcc
	s_cbranch_execnz .LBB75_66
	s_branch .LBB75_67
	.section	.rodata,"a",@progbits
	.p2align	6, 0x0
	.amdhsa_kernel _ZN4vllm25paged_attention_v1_kernelIttLi96ELi16ELi128ELNS_18Fp8KVCacheDataTypeE0ELb1EEEvPT_PKS2_PKT0_S8_ifPKiSA_iPKfiiiSC_SC_iiiii
		.amdhsa_group_segment_fixed_size 208
		.amdhsa_private_segment_fixed_size 0
		.amdhsa_kernarg_size 384
		.amdhsa_user_sgpr_count 2
		.amdhsa_user_sgpr_dispatch_ptr 0
		.amdhsa_user_sgpr_queue_ptr 0
		.amdhsa_user_sgpr_kernarg_segment_ptr 1
		.amdhsa_user_sgpr_dispatch_id 0
		.amdhsa_user_sgpr_kernarg_preload_length 0
		.amdhsa_user_sgpr_kernarg_preload_offset 0
		.amdhsa_user_sgpr_private_segment_size 0
		.amdhsa_uses_dynamic_stack 0
		.amdhsa_enable_private_segment 0
		.amdhsa_system_sgpr_workgroup_id_x 1
		.amdhsa_system_sgpr_workgroup_id_y 1
		.amdhsa_system_sgpr_workgroup_id_z 1
		.amdhsa_system_sgpr_workgroup_info 0
		.amdhsa_system_vgpr_workitem_id 0
		.amdhsa_next_free_vgpr 61
		.amdhsa_next_free_sgpr 44
		.amdhsa_accum_offset 64
		.amdhsa_reserve_vcc 1
		.amdhsa_float_round_mode_32 0
		.amdhsa_float_round_mode_16_64 0
		.amdhsa_float_denorm_mode_32 3
		.amdhsa_float_denorm_mode_16_64 3
		.amdhsa_dx10_clamp 1
		.amdhsa_ieee_mode 1
		.amdhsa_fp16_overflow 0
		.amdhsa_tg_split 0
		.amdhsa_exception_fp_ieee_invalid_op 0
		.amdhsa_exception_fp_denorm_src 0
		.amdhsa_exception_fp_ieee_div_zero 0
		.amdhsa_exception_fp_ieee_overflow 0
		.amdhsa_exception_fp_ieee_underflow 0
		.amdhsa_exception_fp_ieee_inexact 0
		.amdhsa_exception_int_div_zero 0
	.end_amdhsa_kernel
	.section	.text._ZN4vllm25paged_attention_v1_kernelIttLi96ELi16ELi128ELNS_18Fp8KVCacheDataTypeE0ELb1EEEvPT_PKS2_PKT0_S8_ifPKiSA_iPKfiiiSC_SC_iiiii,"axG",@progbits,_ZN4vllm25paged_attention_v1_kernelIttLi96ELi16ELi128ELNS_18Fp8KVCacheDataTypeE0ELb1EEEvPT_PKS2_PKT0_S8_ifPKiSA_iPKfiiiSC_SC_iiiii,comdat
.Lfunc_end75:
	.size	_ZN4vllm25paged_attention_v1_kernelIttLi96ELi16ELi128ELNS_18Fp8KVCacheDataTypeE0ELb1EEEvPT_PKS2_PKT0_S8_ifPKiSA_iPKfiiiSC_SC_iiiii, .Lfunc_end75-_ZN4vllm25paged_attention_v1_kernelIttLi96ELi16ELi128ELNS_18Fp8KVCacheDataTypeE0ELb1EEEvPT_PKS2_PKT0_S8_ifPKiSA_iPKfiiiSC_SC_iiiii
                                        ; -- End function
	.set _ZN4vllm25paged_attention_v1_kernelIttLi96ELi16ELi128ELNS_18Fp8KVCacheDataTypeE0ELb1EEEvPT_PKS2_PKT0_S8_ifPKiSA_iPKfiiiSC_SC_iiiii.num_vgpr, 61
	.set _ZN4vllm25paged_attention_v1_kernelIttLi96ELi16ELi128ELNS_18Fp8KVCacheDataTypeE0ELb1EEEvPT_PKS2_PKT0_S8_ifPKiSA_iPKfiiiSC_SC_iiiii.num_agpr, 0
	.set _ZN4vllm25paged_attention_v1_kernelIttLi96ELi16ELi128ELNS_18Fp8KVCacheDataTypeE0ELb1EEEvPT_PKS2_PKT0_S8_ifPKiSA_iPKfiiiSC_SC_iiiii.numbered_sgpr, 44
	.set _ZN4vllm25paged_attention_v1_kernelIttLi96ELi16ELi128ELNS_18Fp8KVCacheDataTypeE0ELb1EEEvPT_PKS2_PKT0_S8_ifPKiSA_iPKfiiiSC_SC_iiiii.num_named_barrier, 0
	.set _ZN4vllm25paged_attention_v1_kernelIttLi96ELi16ELi128ELNS_18Fp8KVCacheDataTypeE0ELb1EEEvPT_PKS2_PKT0_S8_ifPKiSA_iPKfiiiSC_SC_iiiii.private_seg_size, 0
	.set _ZN4vllm25paged_attention_v1_kernelIttLi96ELi16ELi128ELNS_18Fp8KVCacheDataTypeE0ELb1EEEvPT_PKS2_PKT0_S8_ifPKiSA_iPKfiiiSC_SC_iiiii.uses_vcc, 1
	.set _ZN4vllm25paged_attention_v1_kernelIttLi96ELi16ELi128ELNS_18Fp8KVCacheDataTypeE0ELb1EEEvPT_PKS2_PKT0_S8_ifPKiSA_iPKfiiiSC_SC_iiiii.uses_flat_scratch, 0
	.set _ZN4vllm25paged_attention_v1_kernelIttLi96ELi16ELi128ELNS_18Fp8KVCacheDataTypeE0ELb1EEEvPT_PKS2_PKT0_S8_ifPKiSA_iPKfiiiSC_SC_iiiii.has_dyn_sized_stack, 0
	.set _ZN4vllm25paged_attention_v1_kernelIttLi96ELi16ELi128ELNS_18Fp8KVCacheDataTypeE0ELb1EEEvPT_PKS2_PKT0_S8_ifPKiSA_iPKfiiiSC_SC_iiiii.has_recursion, 0
	.set _ZN4vllm25paged_attention_v1_kernelIttLi96ELi16ELi128ELNS_18Fp8KVCacheDataTypeE0ELb1EEEvPT_PKS2_PKT0_S8_ifPKiSA_iPKfiiiSC_SC_iiiii.has_indirect_call, 0
	.section	.AMDGPU.csdata,"",@progbits
; Kernel info:
; codeLenInByte = 6524
; TotalNumSgprs: 50
; NumVgprs: 61
; NumAgprs: 0
; TotalNumVgprs: 61
; ScratchSize: 0
; MemoryBound: 0
; FloatMode: 240
; IeeeMode: 1
; LDSByteSize: 208 bytes/workgroup (compile time only)
; SGPRBlocks: 6
; VGPRBlocks: 7
; NumSGPRsForWavesPerEU: 50
; NumVGPRsForWavesPerEU: 61
; AccumOffset: 64
; Occupancy: 8
; WaveLimiterHint : 1
; COMPUTE_PGM_RSRC2:SCRATCH_EN: 0
; COMPUTE_PGM_RSRC2:USER_SGPR: 2
; COMPUTE_PGM_RSRC2:TRAP_HANDLER: 0
; COMPUTE_PGM_RSRC2:TGID_X_EN: 1
; COMPUTE_PGM_RSRC2:TGID_Y_EN: 1
; COMPUTE_PGM_RSRC2:TGID_Z_EN: 1
; COMPUTE_PGM_RSRC2:TIDIG_COMP_CNT: 0
; COMPUTE_PGM_RSRC3_GFX90A:ACCUM_OFFSET: 15
; COMPUTE_PGM_RSRC3_GFX90A:TG_SPLIT: 0
	.section	.text._ZN4vllm25paged_attention_v1_kernelIttLi112ELi16ELi128ELNS_18Fp8KVCacheDataTypeE0ELb1EEEvPT_PKS2_PKT0_S8_ifPKiSA_iPKfiiiSC_SC_iiiii,"axG",@progbits,_ZN4vllm25paged_attention_v1_kernelIttLi112ELi16ELi128ELNS_18Fp8KVCacheDataTypeE0ELb1EEEvPT_PKS2_PKT0_S8_ifPKiSA_iPKfiiiSC_SC_iiiii,comdat
	.protected	_ZN4vllm25paged_attention_v1_kernelIttLi112ELi16ELi128ELNS_18Fp8KVCacheDataTypeE0ELb1EEEvPT_PKS2_PKT0_S8_ifPKiSA_iPKfiiiSC_SC_iiiii ; -- Begin function _ZN4vllm25paged_attention_v1_kernelIttLi112ELi16ELi128ELNS_18Fp8KVCacheDataTypeE0ELb1EEEvPT_PKS2_PKT0_S8_ifPKiSA_iPKfiiiSC_SC_iiiii
	.globl	_ZN4vllm25paged_attention_v1_kernelIttLi112ELi16ELi128ELNS_18Fp8KVCacheDataTypeE0ELb1EEEvPT_PKS2_PKT0_S8_ifPKiSA_iPKfiiiSC_SC_iiiii
	.p2align	8
	.type	_ZN4vllm25paged_attention_v1_kernelIttLi112ELi16ELi128ELNS_18Fp8KVCacheDataTypeE0ELb1EEEvPT_PKS2_PKT0_S8_ifPKiSA_iPKfiiiSC_SC_iiiii,@function
_ZN4vllm25paged_attention_v1_kernelIttLi112ELi16ELi128ELNS_18Fp8KVCacheDataTypeE0ELb1EEEvPT_PKS2_PKT0_S8_ifPKiSA_iPKfiiiSC_SC_iiiii: ; @_ZN4vllm25paged_attention_v1_kernelIttLi112ELi16ELi128ELNS_18Fp8KVCacheDataTypeE0ELb1EEEvPT_PKS2_PKT0_S8_ifPKiSA_iPKfiiiSC_SC_iiiii
; %bb.0:
	s_load_dword s5, s[0:1], 0x80
	s_load_dwordx2 s[6:7], s[0:1], 0x30
	s_load_dwordx2 s[30:31], s[0:1], 0x20
	s_mov_b32 s10, s3
	s_ashr_i32 s11, s3, 31
	s_lshl_b64 s[8:9], s[10:11], 2
	s_waitcnt lgkmcnt(0)
	s_add_u32 s6, s6, s8
	s_addc_u32 s7, s7, s9
	s_abs_i32 s3, s30
	v_cvt_f32_u32_e32 v1, s3
	s_sub_i32 s11, 0, s3
	s_abs_i32 s9, s5
	s_xor_b32 s8, s5, s30
	v_rcp_iflag_f32_e32 v1, v1
	s_ashr_i32 s8, s8, 31
	s_mov_b32 s44, 0
	v_mul_f32_e32 v1, 0x4f7ffffe, v1
	v_cvt_u32_f32_e32 v1, v1
	s_nop 0
	v_readfirstlane_b32 s12, v1
	s_mul_i32 s11, s11, s12
	s_mul_hi_u32 s11, s12, s11
	s_add_i32 s12, s12, s11
	s_mul_hi_u32 s11, s9, s12
	s_mul_i32 s12, s11, s3
	s_sub_i32 s9, s9, s12
	s_add_i32 s12, s11, 1
	s_sub_i32 s13, s9, s3
	s_cmp_ge_u32 s9, s3
	s_cselect_b32 s11, s12, s11
	s_cselect_b32 s9, s13, s9
	s_add_i32 s12, s11, 1
	s_cmp_ge_u32 s9, s3
	s_cselect_b32 s3, s12, s11
	s_xor_b32 s3, s3, s8
	s_sub_i32 s16, s3, s8
	s_abs_i32 s11, s16
	v_cvt_f32_u32_e32 v1, s11
	s_load_dwordx2 s[8:9], s[0:1], 0x40
	s_sub_i32 s3, 0, s11
	s_abs_i32 s22, s2
	v_rcp_iflag_f32_e32 v1, v1
	s_nop 0
	v_mul_f32_e32 v1, 0x4f7ffffe, v1
	v_cvt_u32_f32_e32 v1, v1
	s_nop 0
	v_readfirstlane_b32 s12, v1
	s_mul_i32 s3, s3, s12
	s_mul_hi_u32 s3, s12, s3
	s_add_i32 s12, s12, s3
	s_waitcnt lgkmcnt(0)
	s_cmp_eq_u64 s[8:9], 0
	s_mul_hi_u32 s23, s22, s12
	s_cbranch_scc1 .LBB76_2
; %bb.1:
	s_ashr_i32 s3, s2, 31
	s_lshl_b64 s[12:13], s[2:3], 2
	s_add_u32 s8, s8, s12
	s_addc_u32 s9, s9, s13
	s_load_dword s44, s[8:9], 0x0
.LBB76_2:
	s_load_dword s33, s[6:7], 0x0
	s_load_dwordx4 s[12:15], s[0:1], 0x48
	s_ashr_i32 s3, s2, 31
	s_ashr_i32 s9, s16, 31
	v_and_b32_e32 v4, 3, v0
	s_mul_i32 s20, s2, 0x70
	v_cmp_gt_u32_e32 vcc, 56, v0
	s_and_saveexec_b64 s[6:7], vcc
	s_cbranch_execz .LBB76_4
; %bb.3:
	s_load_dwordx2 s[16:17], s[0:1], 0x8
	s_waitcnt lgkmcnt(0)
	s_mul_i32 s18, s12, s10
	s_ashr_i32 s19, s18, 31
	s_lshl_b64 s[18:19], s[18:19], 1
	v_lshlrev_b32_e32 v1, 2, v0
	s_add_u32 s8, s16, s18
	s_addc_u32 s12, s17, s19
	s_ashr_i32 s21, s20, 31
	s_lshl_b64 s[16:17], s[20:21], 1
	s_add_u32 s16, s8, s16
	s_addc_u32 s17, s12, s17
	global_load_dword v1, v1, s[16:17]
	v_and_b32_e32 v2, 0x3fc, v0
	v_mad_u32_u24 v2, v4, 56, v2
	s_waitcnt vmcnt(0)
	ds_write_b32 v2, v1
.LBB76_4:
	s_or_b64 exec, exec, s[6:7]
	s_mul_i32 s6, s23, s11
	s_sub_i32 s6, s22, s6
	s_xor_b32 s3, s3, s9
	s_add_i32 s7, s23, 1
	s_sub_i32 s9, s6, s11
	s_load_dwordx4 s[16:19], s[0:1], 0x68
	s_load_dword s8, s[0:1], 0x78
	s_cmp_ge_u32 s6, s11
	s_cselect_b32 s7, s7, s23
	s_cselect_b32 s6, s9, s6
	s_add_i32 s9, s7, 1
	s_cmp_ge_u32 s6, s11
	s_cselect_b32 s6, s9, s7
	s_waitcnt lgkmcnt(0)
	s_abs_i32 s21, s19
	v_cvt_f32_u32_e32 v1, s21
	s_xor_b32 s6, s6, s3
	s_sub_i32 s3, s6, s3
	s_sub_i32 s6, 0, s21
	v_rcp_iflag_f32_e32 v1, v1
	s_add_i32 s11, s33, -1
	s_abs_i32 s9, s11
	v_mul_f32_e32 v1, 0x4f7ffffe, v1
	v_cvt_u32_f32_e32 v1, v1
	s_barrier
	v_readfirstlane_b32 s40, v1
	s_mul_i32 s6, s6, s40
	s_mul_hi_u32 s6, s40, s6
	s_add_i32 s40, s40, s6
	s_cmp_lt_i32 s8, 0
	s_mul_hi_u32 s12, s9, s40
	s_cbranch_scc0 .LBB76_6
; %bb.5:
	s_mul_i32 s6, s16, s30
	s_add_i32 s6, s3, s6
	s_mul_i32 s6, s6, s8
	s_sub_i32 s41, 1, s6
	s_mov_b64 s[6:7], 0
	s_branch .LBB76_7
.LBB76_6:
	s_mov_b64 s[6:7], -1
                                        ; implicit-def: $sgpr41
.LBB76_7:
	s_load_dwordx2 s[24:25], s[0:1], 0x28
	s_ashr_i32 s15, s11, 31
	s_andn2_b64 vcc, exec, s[6:7]
	s_ashr_i32 s42, s19, 31
	s_cbranch_vccnz .LBB76_9
; %bb.8:
	s_mul_i32 s6, s5, s16
	s_add_i32 s2, s6, s2
	s_mul_i32 s2, s2, s8
	s_add_i32 s41, s2, 1
.LBB76_9:
	s_load_dword s2, s[0:1], 0x38
	s_load_dwordx2 s[22:23], s[0:1], 0x0
	s_load_dwordx2 s[28:29], s[0:1], 0x18
	s_load_dword s11, s[0:1], 0x88
	s_xor_b32 s6, s15, s42
	s_waitcnt lgkmcnt(0)
	s_mul_i32 s26, s2, s10
	s_mul_i32 s2, s12, s21
	s_sub_i32 s2, s9, s2
	s_ashr_i32 s27, s26, 31
	s_add_i32 s7, s12, 1
	s_sub_i32 s8, s2, s21
	s_cmp_ge_u32 s2, s21
	s_cselect_b32 s7, s7, s12
	s_cselect_b32 s2, s8, s2
	s_add_i32 s8, s7, 1
	s_cmp_ge_u32 s2, s21
	s_cselect_b32 s2, s8, s7
	s_xor_b32 s2, s2, s6
	s_sub_i32 s12, s2, s6
	s_add_i32 s2, s33, 15
	s_ashr_i32 s6, s2, 31
	s_lshr_b32 s6, s6, 28
	s_add_i32 s2, s2, s6
	s_ashr_i32 s43, s2, 4
	v_lshrrev_b32_e32 v21, 6, v0
	v_cmp_le_i32_e64 s[6:7], s43, v21
	v_cmp_gt_i32_e32 vcc, s43, v21
	v_mov_b32_e32 v9, 0xff7fffff
	s_mul_i32 s14, s3, s14
	v_lshrrev_b32_e32 v1, 4, v0
	v_lshlrev_b32_e32 v22, 4, v21
	v_mbcnt_lo_u32_b32 v6, -1, 0
	s_and_saveexec_b64 s[34:35], vcc
	s_cbranch_execz .LBB76_21
; %bb.10:
	s_load_dwordx2 s[0:1], s[0:1], 0x10
	s_ashr_i32 s15, s14, 31
	s_sub_i32 s16, s12, s17
	s_lshl_b64 s[2:3], s[14:15], 1
	v_bfe_u32 v7, v0, 2, 4
	s_waitcnt lgkmcnt(0)
	s_add_u32 s0, s0, s2
	s_addc_u32 s1, s1, s3
	s_abs_i32 s15, s18
	v_cvt_f32_u32_e32 v5, s15
	v_lshlrev_b32_e32 v12, 4, v7
	v_mov_b32_e32 v13, 0
	v_lshl_add_u64 v[2:3], s[0:1], 0, v[12:13]
	v_rcp_iflag_f32_e32 v5, v5
	v_lshlrev_b32_e32 v8, 2, v0
	s_sub_i32 s0, 0, s15
	v_cmp_eq_u32_e32 vcc, 0, v4
	v_mul_f32_e32 v5, 0x4f7ffffe, v5
	v_cvt_u32_f32_e32 v5, v5
	v_and_b32_e32 v12, 12, v8
	v_mul_u32_u24_e32 v8, 56, v4
	v_lshl_add_u64 v[2:3], v[2:3], 0, v[12:13]
	v_mul_lo_u32 v4, s0, v5
	s_lshl_b64 s[0:1], s[26:27], 2
	s_add_u32 s0, s24, s0
	v_mul_hi_u32 v4, v5, v4
	v_and_b32_e32 v12, 60, v1
	s_addc_u32 s1, s25, s1
	v_subrev_u32_e32 v9, s33, v7
	v_add_u32_e32 v10, v5, v4
	v_lshl_add_u64 v[4:5], s[0:1], 0, v[12:13]
	v_add_u32_e32 v12, 1, v9
	v_lshlrev_b32_e32 v9, 2, v7
	v_lshl_or_b32 v9, v21, 6, v9
	v_mbcnt_hi_u32_b32 v15, -1, v6
	v_add_u32_e32 v13, 0xf0, v9
	v_and_b32_e32 v9, 64, v15
	s_mov_b32 s19, s13
	v_cmp_neq_f32_e64 s[2:3], s44, 0
	v_lshlrev_b32_e32 v11, 4, v21
	v_mov_b32_e32 v14, 0xff7fffff
	s_mov_b64 s[36:37], 0
	v_add_u32_e32 v16, 64, v9
	v_xor_b32_e32 v17, 2, v15
	v_xor_b32_e32 v18, 1, v15
	v_mov_b32_e32 v9, 0xff7fffff
	v_mov_b32_e32 v19, v21
	s_branch .LBB76_13
.LBB76_11:                              ;   in Loop: Header=BB76_13 Depth=1
	s_or_b64 exec, exec, s[38:39]
.LBB76_12:                              ;   in Loop: Header=BB76_13 Depth=1
	s_or_b64 exec, exec, s[8:9]
	v_add_u32_e32 v19, 2, v19
	v_cmp_le_i32_e64 s[0:1], s43, v19
	v_lshl_add_u64 v[4:5], v[4:5], 0, 8
	v_add_u32_e32 v11, 32, v11
	s_or_b64 s[36:37], s[0:1], s[36:37]
	v_add_u32_e32 v13, 0x80, v13
	s_andn2_b64 exec, exec, s[36:37]
	s_cbranch_execz .LBB76_20
.LBB76_13:                              ; =>This Inner Loop Header: Depth=1
	v_mul_hi_u32 v20, v11, s40
	s_waitcnt lgkmcnt(0)
	v_mul_lo_u32 v23, v20, s21
	v_sub_u32_e32 v23, v11, v23
	v_add_u32_e32 v24, 1, v20
	v_cmp_le_u32_e64 s[0:1], s21, v23
	s_nop 1
	v_cndmask_b32_e64 v20, v20, v24, s[0:1]
	v_subrev_u32_e32 v24, s21, v23
	v_cndmask_b32_e64 v23, v23, v24, s[0:1]
	v_add_u32_e32 v24, 1, v20
	v_cmp_le_u32_e64 s[0:1], s21, v23
	s_nop 1
	v_cndmask_b32_e64 v20, v20, v24, s[0:1]
	v_xor_b32_e32 v20, s42, v20
	v_subrev_u32_e32 v20, s42, v20
	v_add_u32_e32 v23, s41, v20
	v_sub_u32_e32 v25, 0, v23
	v_ashrrev_i32_e32 v24, 31, v23
	v_max_i32_e32 v23, v23, v25
	v_mul_hi_u32 v25, v23, v10
	v_mul_lo_u32 v25, v25, s15
	v_sub_u32_e32 v23, v23, v25
	v_subrev_u32_e32 v25, s15, v23
	v_cmp_le_u32_e64 s[0:1], s15, v23
	v_cmp_ge_i32_e64 s[8:9], s16, v20
	s_nop 0
	v_cndmask_b32_e64 v23, v23, v25, s[0:1]
	v_subrev_u32_e32 v25, s15, v23
	v_cmp_le_u32_e64 s[0:1], s15, v23
	s_nop 1
	v_cndmask_b32_e64 v23, v23, v25, s[0:1]
	v_xor_b32_e32 v23, v23, v24
	v_sub_u32_e32 v23, v23, v24
	v_cmp_ne_u32_e64 s[0:1], 0, v23
	s_and_b64 s[0:1], s[0:1], s[8:9]
	s_and_saveexec_b64 s[8:9], s[0:1]
	s_xor_b64 s[0:1], exec, s[8:9]
	s_cbranch_execz .LBB76_17
; %bb.14:                               ;   in Loop: Header=BB76_13 Depth=1
	s_and_saveexec_b64 s[8:9], vcc
; %bb.15:                               ;   in Loop: Header=BB76_13 Depth=1
	ds_write_b32 v13, v14
; %bb.16:                               ;   in Loop: Header=BB76_13 Depth=1
	s_or_b64 exec, exec, s[8:9]
.LBB76_17:                              ;   in Loop: Header=BB76_13 Depth=1
	s_andn2_saveexec_b64 s[8:9], s[0:1]
	s_cbranch_execz .LBB76_12
; %bb.18:                               ;   in Loop: Header=BB76_13 Depth=1
	global_load_dword v20, v[4:5], off
	s_waitcnt vmcnt(0)
	v_mad_i64_i32 v[24:25], s[0:1], v20, s19, 0
	v_lshl_add_u64 v[36:37], v[24:25], 1, v[2:3]
	global_load_dword v35, v[36:37], off
	global_load_dword v34, v[36:37], off offset:256
	global_load_dword v33, v[36:37], off offset:512
	;; [unrolled: 1-line block ×13, first 2 shown]
	ds_read_b32 v38, v8
	v_cmp_lt_i32_e64 s[0:1], v17, v16
	s_waitcnt lgkmcnt(0)
	v_lshrrev_b32_e32 v39, 16, v38
	v_and_b32_e32 v37, 0xffff, v38
	;;#ASMSTART
	v_cvt_f32_f16 v37, v37;
	;;#ASMEND
	;;#ASMSTART
	v_cvt_f32_f16 v38, v39;
	;;#ASMEND
	v_cndmask_b32_e64 v36, v15, v17, s[0:1]
	v_lshlrev_b32_e32 v36, 2, v36
	v_cmp_lt_i32_e64 s[0:1], v18, v16
	s_waitcnt vmcnt(13)
	v_lshrrev_b32_e32 v39, 16, v35
	v_and_b32_e32 v35, 0xffff, v35
	;;#ASMSTART
	v_cvt_f32_f16 v35, v35;
	;;#ASMEND
	;;#ASMSTART
	v_cvt_f32_f16 v39, v39;
	;;#ASMEND
	ds_read_b32 v40, v8 offset:4
	s_waitcnt vmcnt(12)
	v_lshrrev_b32_e32 v41, 16, v34
	v_and_b32_e32 v42, 0xffff, v34
	s_waitcnt vmcnt(11)
	v_lshrrev_b32_e32 v43, 16, v33
	v_and_b32_e32 v44, 0xffff, v33
	s_waitcnt lgkmcnt(0)
	v_lshrrev_b32_e32 v34, 16, v40
	v_and_b32_e32 v33, 0xffff, v40
	;;#ASMSTART
	v_cvt_f32_f16 v33, v33;
	;;#ASMEND
	;;#ASMSTART
	v_cvt_f32_f16 v34, v34;
	;;#ASMEND
	;;#ASMSTART
	v_cvt_f32_f16 v40, v42;
	;;#ASMEND
	;;#ASMSTART
	v_cvt_f32_f16 v41, v41;
	;;#ASMEND
	ds_read_b32 v42, v8 offset:8
	s_waitcnt vmcnt(10)
	v_lshrrev_b32_e32 v45, 16, v32
	v_and_b32_e32 v46, 0xffff, v32
	s_waitcnt vmcnt(9)
	v_lshrrev_b32_e32 v47, 16, v31
	v_and_b32_e32 v48, 0xffff, v31
	s_waitcnt lgkmcnt(0)
	v_lshrrev_b32_e32 v32, 16, v42
	v_and_b32_e32 v31, 0xffff, v42
	;;#ASMSTART
	v_cvt_f32_f16 v31, v31;
	;;#ASMEND
	;;#ASMSTART
	v_cvt_f32_f16 v32, v32;
	;;#ASMEND
	;; [unrolled: 22-line block ×6, first 2 shown]
	;;#ASMSTART
	v_cvt_f32_f16 v50, v52;
	;;#ASMEND
	;;#ASMSTART
	v_cvt_f32_f16 v51, v51;
	;;#ASMEND
	ds_read_b32 v52, v8 offset:28
	s_waitcnt vmcnt(0)
	v_lshrrev_b32_e32 v65, 16, v20
	v_and_b32_e32 v66, 0xffff, v20
	v_mul_f32_e32 v20, v33, v40
	v_mul_f32_e32 v33, v34, v41
	s_waitcnt lgkmcnt(0)
	v_lshrrev_b32_e32 v40, 16, v52
	v_and_b32_e32 v34, 0xffff, v52
	;;#ASMSTART
	v_cvt_f32_f16 v34, v34;
	;;#ASMEND
	;;#ASMSTART
	v_cvt_f32_f16 v40, v40;
	;;#ASMEND
	;;#ASMSTART
	v_cvt_f32_f16 v41, v54;
	;;#ASMEND
	;;#ASMSTART
	v_cvt_f32_f16 v52, v53;
	;;#ASMEND
	ds_read_b32 v53, v8 offset:32
	v_fmac_f32_e32 v20, v37, v35
	v_fmac_f32_e32 v33, v38, v39
	v_fmac_f32_e32 v20, v31, v42
	v_fmac_f32_e32 v33, v32, v43
	s_waitcnt lgkmcnt(0)
	v_lshrrev_b32_e32 v32, 16, v53
	v_and_b32_e32 v31, 0xffff, v53
	;;#ASMSTART
	v_cvt_f32_f16 v31, v31;
	;;#ASMEND
	;;#ASMSTART
	v_cvt_f32_f16 v32, v32;
	;;#ASMEND
	;;#ASMSTART
	v_cvt_f32_f16 v35, v56;
	;;#ASMEND
	;;#ASMSTART
	v_cvt_f32_f16 v37, v55;
	;;#ASMEND
	ds_read_b32 v38, v8 offset:36
	v_fmac_f32_e32 v20, v29, v44
	v_fmac_f32_e32 v33, v30, v45
	v_fmac_f32_e32 v20, v27, v46
	v_fmac_f32_e32 v33, v28, v47
	s_waitcnt lgkmcnt(0)
	v_lshrrev_b32_e32 v28, 16, v38
	v_and_b32_e32 v27, 0xffff, v38
	;;#ASMSTART
	v_cvt_f32_f16 v27, v27;
	;;#ASMEND
	;;#ASMSTART
	v_cvt_f32_f16 v28, v28;
	;;#ASMEND
	;;#ASMSTART
	v_cvt_f32_f16 v29, v58;
	;;#ASMEND
	;;#ASMSTART
	v_cvt_f32_f16 v30, v57;
	;;#ASMEND
	ds_read_b32 v38, v8 offset:40
	v_fmac_f32_e32 v20, v25, v48
	v_fmac_f32_e32 v33, v26, v49
	v_fmac_f32_e32 v20, v23, v50
	v_fmac_f32_e32 v33, v24, v51
	s_waitcnt lgkmcnt(0)
	v_lshrrev_b32_e32 v24, 16, v38
	v_and_b32_e32 v23, 0xffff, v38
	;;#ASMSTART
	v_cvt_f32_f16 v23, v23;
	;;#ASMEND
	;;#ASMSTART
	v_cvt_f32_f16 v24, v24;
	;;#ASMEND
	;;#ASMSTART
	v_cvt_f32_f16 v25, v60;
	;;#ASMEND
	;;#ASMSTART
	v_cvt_f32_f16 v26, v59;
	;;#ASMEND
	ds_read_b32 v38, v8 offset:44
	v_fmac_f32_e32 v20, v34, v41
	v_fmac_f32_e32 v33, v40, v52
	v_fmac_f32_e32 v20, v31, v35
	v_fmac_f32_e32 v33, v32, v37
	s_waitcnt lgkmcnt(0)
	v_lshrrev_b32_e32 v32, 16, v38
	v_and_b32_e32 v31, 0xffff, v38
	;;#ASMSTART
	v_cvt_f32_f16 v31, v31;
	;;#ASMEND
	;;#ASMSTART
	v_cvt_f32_f16 v32, v32;
	;;#ASMEND
	;;#ASMSTART
	v_cvt_f32_f16 v34, v62;
	;;#ASMEND
	;;#ASMSTART
	v_cvt_f32_f16 v35, v61;
	;;#ASMEND
	ds_read_b32 v37, v8 offset:48
	v_fmac_f32_e32 v20, v27, v29
	v_fmac_f32_e32 v33, v28, v30
	v_fmac_f32_e32 v20, v23, v25
	v_fmac_f32_e32 v33, v24, v26
	s_waitcnt lgkmcnt(0)
	v_lshrrev_b32_e32 v24, 16, v37
	v_and_b32_e32 v23, 0xffff, v37
	;;#ASMSTART
	v_cvt_f32_f16 v23, v23;
	;;#ASMEND
	;;#ASMSTART
	v_cvt_f32_f16 v24, v24;
	;;#ASMEND
	;;#ASMSTART
	v_cvt_f32_f16 v25, v64;
	;;#ASMEND
	;;#ASMSTART
	v_cvt_f32_f16 v26, v63;
	;;#ASMEND
	ds_read_b32 v27, v8 offset:52
	v_fmac_f32_e32 v20, v31, v34
	v_fmac_f32_e32 v33, v32, v35
	v_fmac_f32_e32 v20, v23, v25
	v_fmac_f32_e32 v33, v24, v26
	s_waitcnt lgkmcnt(0)
	v_lshrrev_b32_e32 v24, 16, v27
	v_and_b32_e32 v23, 0xffff, v27
	;;#ASMSTART
	v_cvt_f32_f16 v23, v23;
	;;#ASMEND
	;;#ASMSTART
	v_cvt_f32_f16 v24, v24;
	;;#ASMEND
	;; [unrolled: 3-line block ×4, first 2 shown]
	s_nop 0
	v_fmac_f32_e32 v20, v23, v25
	v_fmac_f32_e32 v33, v24, v26
	v_add_f32_e32 v20, v20, v33
	ds_bpermute_b32 v23, v36, v20
	v_cndmask_b32_e64 v24, v15, v18, s[0:1]
	s_waitcnt lgkmcnt(0)
	v_add_f32_e32 v20, v20, v23
	v_lshlrev_b32_e32 v23, 2, v24
	ds_bpermute_b32 v23, v23, v20
	s_and_saveexec_b64 s[38:39], vcc
	s_cbranch_execz .LBB76_11
; %bb.19:                               ;   in Loop: Header=BB76_13 Depth=1
	v_add_u32_e32 v24, v12, v11
	v_cvt_f32_i32_e32 v24, v24
	s_waitcnt lgkmcnt(0)
	v_add_f32_e32 v20, v20, v23
	v_add_u32_e32 v25, v7, v11
	v_cmp_gt_i32_e64 s[0:1], s33, v25
	v_mul_f32_e32 v23, s44, v24
	v_cndmask_b32_e64 v23, 0, v23, s[2:3]
	v_fmac_f32_e32 v23, s31, v20
	v_cndmask_b32_e64 v20, 0, v23, s[0:1]
	ds_write_b32 v13, v20
	v_max_f32_e32 v20, v9, v9
	v_max_f32_e32 v20, v20, v23
	v_cndmask_b32_e64 v9, v9, v20, s[0:1]
	s_branch .LBB76_11
.LBB76_20:
	s_or_b64 exec, exec, s[36:37]
.LBB76_21:
	s_or_b64 exec, exec, s[34:35]
	v_mbcnt_hi_u32_b32 v2, -1, v6
	v_and_b32_e32 v11, 64, v2
	v_add_u32_e32 v3, 64, v11
	v_xor_b32_e32 v4, 32, v2
	v_cmp_lt_i32_e32 vcc, v4, v3
	v_xor_b32_e32 v7, 16, v2
	v_max_f32_e32 v6, v9, v9
	v_cndmask_b32_e32 v4, v2, v4, vcc
	v_lshlrev_b32_e32 v5, 2, v4
	ds_bpermute_b32 v4, v5, v9
	v_cmp_lt_i32_e32 vcc, v7, v3
	v_xor_b32_e32 v8, 8, v2
	v_xor_b32_e32 v10, 4, v2
	s_waitcnt lgkmcnt(0)
	v_max_f32_e32 v4, v4, v4
	v_max_f32_e32 v4, v6, v4
	v_cndmask_b32_e32 v6, v2, v7, vcc
	v_lshlrev_b32_e32 v6, 2, v6
	ds_bpermute_b32 v7, v6, v4
	v_cmp_lt_i32_e32 vcc, v8, v3
	s_waitcnt lgkmcnt(0)
	v_max_f32_e32 v7, v7, v7
	v_max_f32_e32 v4, v4, v7
	v_cndmask_b32_e32 v7, v2, v8, vcc
	v_lshlrev_b32_e32 v9, 2, v7
	ds_bpermute_b32 v7, v9, v4
	v_cmp_lt_i32_e32 vcc, v10, v3
	s_waitcnt lgkmcnt(0)
	v_max_f32_e32 v7, v7, v7
	v_max_f32_e32 v8, v4, v7
	v_cndmask_b32_e32 v4, v2, v10, vcc
	v_lshlrev_b32_e32 v10, 2, v4
	ds_bpermute_b32 v12, v10, v8
	v_and_b32_e32 v4, 63, v0
	v_cmp_eq_u32_e32 vcc, 0, v4
	v_lshlrev_b32_e32 v7, 2, v21
	s_and_saveexec_b64 s[0:1], vcc
	s_cbranch_execz .LBB76_23
; %bb.22:
	s_waitcnt lgkmcnt(0)
	v_max_f32_e32 v12, v12, v12
	v_max_f32_e32 v8, v8, v8
	;; [unrolled: 1-line block ×3, first 2 shown]
	ds_write_b32 v7, v8 offset:224
.LBB76_23:
	s_or_b64 exec, exec, s[0:1]
	v_cmp_gt_u32_e64 s[0:1], 2, v4
	s_waitcnt lgkmcnt(0)
	v_mov_b32_e32 v12, 0xff7fffff
	v_lshlrev_b32_e32 v8, 2, v4
	s_barrier
	s_and_saveexec_b64 s[2:3], s[0:1]
; %bb.24:
	ds_read_b32 v12, v8 offset:224
; %bb.25:
	s_or_b64 exec, exec, s[2:3]
	v_xor_b32_e32 v13, 1, v2
	v_cmp_lt_i32_e64 s[2:3], v13, v3
	v_lshlrev_b32_e32 v11, 2, v11
	s_nop 0
	v_cndmask_b32_e64 v13, v2, v13, s[2:3]
	v_lshlrev_b32_e32 v23, 2, v13
	s_waitcnt lgkmcnt(0)
	ds_bpermute_b32 v13, v23, v12
	v_max_f32_e32 v12, v12, v12
	s_lshl_b32 s2, s43, 4
	s_min_i32 s15, s2, s33
	v_cmp_gt_i32_e64 s[2:3], s15, v0
	s_waitcnt lgkmcnt(0)
	v_max_f32_e32 v13, v13, v13
	v_max_f32_e32 v12, v12, v13
	ds_bpermute_b32 v12, v11, v12
	v_mov_b32_e32 v11, 0
	s_and_saveexec_b64 s[30:31], s[2:3]
	s_cbranch_execz .LBB76_29
; %bb.26:
	v_mov_b32_e32 v11, 0xf0
	v_lshl_add_u32 v13, v0, 2, v11
	v_mov_b32_e32 v11, 0
	s_mov_b64 s[34:35], 0
	v_mov_b32_e32 v14, v0
.LBB76_27:                              ; =>This Inner Loop Header: Depth=1
	ds_read_b32 v15, v13
	v_add_u32_e32 v14, 0x80, v14
	v_cmp_le_i32_e64 s[8:9], s15, v14
	s_or_b64 s[34:35], s[8:9], s[34:35]
	s_waitcnt lgkmcnt(0)
	v_sub_f32_e32 v15, v15, v12
	v_mul_f32_e32 v15, 0x3fb8aa3b, v15
	v_exp_f32_e32 v15, v15
	ds_write_b32 v13, v15
	v_add_f32_e32 v11, v11, v15
	v_add_u32_e32 v13, 0x200, v13
	s_andn2_b64 exec, exec, s[34:35]
	s_cbranch_execnz .LBB76_27
; %bb.28:
	s_or_b64 exec, exec, s[34:35]
.LBB76_29:
	s_or_b64 exec, exec, s[30:31]
	ds_bpermute_b32 v5, v5, v11
	s_waitcnt lgkmcnt(0)
	v_add_f32_e32 v5, v11, v5
	ds_bpermute_b32 v6, v6, v5
	s_waitcnt lgkmcnt(0)
	v_add_f32_e32 v5, v5, v6
	ds_bpermute_b32 v6, v9, v5
	v_xor_b32_e32 v9, 2, v2
	v_cmp_lt_i32_e64 s[8:9], v9, v3
	s_waitcnt lgkmcnt(0)
	v_add_f32_e32 v5, v5, v6
	ds_bpermute_b32 v6, v10, v5
	v_cndmask_b32_e64 v3, v2, v9, s[8:9]
	v_lshlrev_b32_e32 v3, 2, v3
	s_waitcnt lgkmcnt(0)
	v_add_f32_e32 v5, v5, v6
	ds_bpermute_b32 v3, v3, v5
	s_waitcnt lgkmcnt(0)
	v_add_f32_e32 v3, v5, v3
	ds_bpermute_b32 v5, v23, v3
	s_waitcnt lgkmcnt(0)
	v_add_f32_e32 v3, v3, v5
	s_and_saveexec_b64 s[8:9], vcc
; %bb.30:
	ds_write_b32 v7, v3 offset:232
; %bb.31:
	s_or_b64 exec, exec, s[8:9]
	s_waitcnt lgkmcnt(0)
	s_barrier
	s_and_saveexec_b64 s[8:9], s[0:1]
; %bb.32:
	ds_read_b32 v3, v8 offset:232
; %bb.33:
	s_or_b64 exec, exec, s[8:9]
	s_waitcnt lgkmcnt(0)
	ds_bpermute_b32 v5, v23, v3
	v_lshlrev_b32_e32 v2, 2, v2
	v_and_b32_e32 v2, 0x100, v2
	s_waitcnt lgkmcnt(0)
	v_add_f32_e32 v3, v3, v5
	ds_bpermute_b32 v2, v2, v3
	s_and_saveexec_b64 s[0:1], s[2:3]
	s_cbranch_execz .LBB76_46
; %bb.34:
	s_waitcnt lgkmcnt(0)
	v_add_f32_e32 v2, 0x358637bd, v2
	v_div_scale_f32 v3, s[2:3], v2, v2, 1.0
	v_rcp_f32_e32 v5, v3
	v_div_scale_f32 v6, vcc, 1.0, v2, 1.0
	s_movk_i32 s2, 0x7f
	v_fma_f32 v7, -v3, v5, 1.0
	v_fmac_f32_e32 v5, v7, v5
	v_mul_f32_e32 v7, v6, v5
	v_fma_f32 v8, -v3, v7, v6
	v_fmac_f32_e32 v7, v8, v5
	v_fma_f32 v3, -v3, v7, v6
	v_div_fmas_f32 v3, v3, v5, v7
	v_xad_u32 v5, v0, -1, s15
	v_div_fixup_f32 v2, v3, v2, 1.0
	v_cmp_lt_u32_e32 vcc, s2, v5
	s_mov_b64 s[8:9], -1
	v_mov_b32_e32 v3, v0
	s_and_saveexec_b64 s[2:3], vcc
	s_cbranch_execz .LBB76_43
; %bb.35:
	v_lshrrev_b32_e32 v5, 7, v5
	v_add_u32_e32 v7, -1, v5
	v_lshrrev_b32_e32 v6, 1, v7
	v_mov_b32_e32 v3, v2
	v_add_u32_e32 v6, 1, v6
	v_cmp_lt_u32_e32 vcc, 13, v7
	v_mov_b32_e32 v9, 0
	s_and_saveexec_b64 s[8:9], vcc
	s_cbranch_execz .LBB76_39
; %bb.36:
	v_mov_b32_e32 v8, 0xf0
	v_and_b32_e32 v7, -8, v6
	v_lshl_add_u32 v8, v0, 2, v8
	s_mov_b32 s16, 0
	s_mov_b64 s[30:31], 0
.LBB76_37:                              ; =>This Inner Loop Header: Depth=1
	ds_read2st64_b32 v[10:11], v8 offset1:2
	ds_read2st64_b32 v[12:13], v8 offset0:4 offset1:6
	ds_read2st64_b32 v[14:15], v8 offset0:8 offset1:10
	;; [unrolled: 1-line block ×3, first 2 shown]
	v_add_u32_e32 v7, -8, v7
	s_waitcnt lgkmcnt(3)
	v_pk_mul_f32 v[10:11], v[2:3], v[10:11]
	s_waitcnt lgkmcnt(2)
	v_pk_mul_f32 v[12:13], v[2:3], v[12:13]
	ds_write2st64_b32 v8, v10, v11 offset1:2
	ds_write2st64_b32 v8, v12, v13 offset0:4 offset1:6
	ds_read2st64_b32 v[12:13], v8 offset0:16 offset1:18
	s_waitcnt lgkmcnt(4)
	v_pk_mul_f32 v[10:11], v[2:3], v[14:15]
	ds_write2st64_b32 v8, v10, v11 offset0:8 offset1:10
	s_waitcnt lgkmcnt(4)
	v_pk_mul_f32 v[10:11], v[2:3], v[16:17]
	ds_write2st64_b32 v8, v10, v11 offset0:12 offset1:14
	ds_read2st64_b32 v[10:11], v8 offset0:20 offset1:22
	s_waitcnt lgkmcnt(3)
	v_pk_mul_f32 v[12:13], v[2:3], v[12:13]
	ds_read2st64_b32 v[14:15], v8 offset0:24 offset1:26
	ds_write2st64_b32 v8, v12, v13 offset0:16 offset1:18
	ds_read2st64_b32 v[12:13], v8 offset0:28 offset1:30
	s_waitcnt lgkmcnt(3)
	v_pk_mul_f32 v[10:11], v[2:3], v[10:11]
	ds_write2st64_b32 v8, v10, v11 offset0:20 offset1:22
	s_waitcnt lgkmcnt(3)
	v_pk_mul_f32 v[10:11], v[2:3], v[14:15]
	ds_write2st64_b32 v8, v10, v11 offset0:24 offset1:26
	s_waitcnt lgkmcnt(2)
	v_pk_mul_f32 v[10:11], v[2:3], v[12:13]
	s_add_i32 s16, s16, 16
	v_cmp_eq_u32_e32 vcc, 0, v7
	ds_write2st64_b32 v8, v10, v11 offset0:28 offset1:30
	v_add_u32_e32 v8, 0x2000, v8
	s_or_b64 s[30:31], vcc, s[30:31]
	v_mov_b32_e32 v9, s16
	s_andn2_b64 exec, exec, s[30:31]
	s_cbranch_execnz .LBB76_37
; %bb.38:
	s_or_b64 exec, exec, s[30:31]
.LBB76_39:
	s_or_b64 exec, exec, s[8:9]
	v_and_b32_e32 v6, 7, v6
	v_cmp_ne_u32_e32 vcc, 0, v6
	s_and_saveexec_b64 s[8:9], vcc
	s_cbranch_execz .LBB76_42
; %bb.40:
	v_lshlrev_b32_e32 v7, 9, v9
	v_lshlrev_b32_e32 v8, 2, v0
	s_movk_i32 s16, 0xf0
	v_add3_u32 v7, v7, v8, s16
	s_mov_b64 s[30:31], 0
.LBB76_41:                              ; =>This Inner Loop Header: Depth=1
	ds_read2st64_b32 v[8:9], v7 offset1:2
	v_add_u32_e32 v6, -1, v6
	v_cmp_eq_u32_e32 vcc, 0, v6
	s_or_b64 s[30:31], vcc, s[30:31]
	s_waitcnt lgkmcnt(0)
	v_pk_mul_f32 v[8:9], v[2:3], v[8:9]
	ds_write2st64_b32 v7, v8, v9 offset1:2
	v_add_u32_e32 v7, 0x400, v7
	s_andn2_b64 exec, exec, s[30:31]
	s_cbranch_execnz .LBB76_41
.LBB76_42:
	s_or_b64 exec, exec, s[8:9]
	v_add_u32_e32 v5, 1, v5
	v_and_b32_e32 v6, 0x3fffffe, v5
	v_cmp_ne_u32_e32 vcc, v5, v6
	v_lshl_add_u32 v3, v6, 7, v0
	s_orn2_b64 s[8:9], vcc, exec
.LBB76_43:
	s_or_b64 exec, exec, s[2:3]
	s_and_b64 exec, exec, s[8:9]
	s_cbranch_execz .LBB76_46
; %bb.44:
	v_mov_b32_e32 v5, 0xf0
	v_lshl_add_u32 v5, v3, 2, v5
	s_mov_b64 s[2:3], 0
.LBB76_45:                              ; =>This Inner Loop Header: Depth=1
	ds_read_b32 v6, v5
	v_add_u32_e32 v3, 0x80, v3
	v_cmp_le_i32_e32 vcc, s15, v3
	s_or_b64 s[2:3], vcc, s[2:3]
	s_waitcnt lgkmcnt(0)
	v_mul_f32_e32 v6, v2, v6
	ds_write_b32 v5, v6
	v_add_u32_e32 v5, 0x200, v5
	s_andn2_b64 exec, exec, s[2:3]
	s_cbranch_execnz .LBB76_45
.LBB76_46:
	s_or_b64 exec, exec, s[0:1]
	v_lshrrev_b32_e32 v24, 1, v4
	s_waitcnt lgkmcnt(0)
	s_barrier
	s_and_saveexec_b64 s[0:1], s[6:7]
	s_xor_b64 s[0:1], exec, s[0:1]
; %bb.47:
	v_lshrrev_b32_e32 v24, 1, v4
                                        ; implicit-def: $vgpr22
                                        ; implicit-def: $vgpr21
                                        ; implicit-def: $vgpr1
; %bb.48:
	s_or_saveexec_b64 s[6:7], s[0:1]
	v_mov_b32_e32 v7, 0
	v_and_b32_e32 v25, 1, v0
	v_mov_b32_e32 v6, 0
	v_mov_b32_e32 v9, 0
	;; [unrolled: 1-line block ×3, first 2 shown]
	s_xor_b64 exec, exec, s[6:7]
	s_cbranch_execz .LBB76_64
; %bb.49:
	s_ashr_i32 s15, s14, 31
	s_sub_i32 s30, s12, s17
	s_lshl_b64 s[0:1], s[14:15], 1
	s_add_u32 s8, s28, s0
	s_addc_u32 s9, s29, s1
	s_abs_i32 s28, s18
	v_cvt_f32_u32_e32 v3, s28
	s_sub_i32 s2, 0, s28
	v_lshlrev_b32_e32 v2, 3, v0
	s_add_i32 s29, s43, -1
	v_rcp_iflag_f32_e32 v3, v3
	v_and_b32_e32 v26, 8, v2
	v_or_b32_e32 v4, 0x60, v24
	s_movk_i32 s0, 0x70
	v_mul_f32_e32 v3, 0x4f7ffffe, v3
	v_cvt_u32_f32_e32 v3, v3
	v_and_b32_e32 v10, 60, v1
	v_lshlrev_b32_e32 v1, 5, v25
	v_lshl_or_b32 v2, v24, 4, v26
	v_mul_lo_u32 v5, s2, v3
	s_lshl_b64 s[2:3], s[26:27], 2
	s_add_u32 s2, s24, s2
	v_mov_b32_e32 v11, 0
	v_cmp_gt_u32_e64 s[0:1], s0, v4
	v_lshl_or_b32 v4, v4, 4, v26
	v_mul_hi_u32 v5, v3, v5
	s_addc_u32 s3, s25, s3
	v_lshl_or_b32 v1, v21, 6, v1
	s_mov_b32 s31, s13
	s_mov_b32 s34, s33
	v_add_u32_e32 v27, v3, v5
	v_lshl_add_u64 v[12:13], s[2:3], 0, v[10:11]
	v_add_u32_e32 v28, 0xf0, v1
	s_mov_b64 s[12:13], 0
	v_lshlrev_b32_e32 v10, 1, v2
	s_mov_b32 s24, 0xffff
	v_lshlrev_b32_e32 v14, 1, v4
	v_mov_b32_e32 v8, v11
	v_mov_b32_e32 v9, v11
	;; [unrolled: 1-line block ×4, first 2 shown]
	s_branch .LBB76_53
.LBB76_50:                              ;   in Loop: Header=BB76_53 Depth=1
	s_or_b64 exec, exec, s[18:19]
	v_lshlrev_b32_e32 v16, 16, v16
	v_lshlrev_b32_e32 v1, 16, v1
	v_and_or_b32 v2, v2, s24, v16
	v_and_or_b32 v1, v3, s24, v1
	v_lshlrev_b32_e32 v3, 16, v15
	v_and_or_b32 v3, v4, s24, v3
	;;#ASMSTART
	v_pk_mul_f16 v2, v33, v2;

	;;#ASMEND
	;;#ASMSTART
	v_pk_mul_f16 v1, v34, v1;

	;;#ASMEND
	;;#ASMSTART
	v_pk_mul_f16 v3, v35, v3;

	;;#ASMEND
	;;#ASMSTART
	v_pk_mul_f16 v4, v32, v5;

	;;#ASMEND
	s_nop 0
	;;#ASMSTART
	v_pk_add_f16 v1, v2, v1;

	;;#ASMEND
	s_nop 0
	;;#ASMSTART
	v_pk_add_f16 v1, v1, v3;

	;;#ASMEND
	;; [unrolled: 5-line block ×3, first 2 shown]
	s_nop 0
	v_lshrrev_b32_e32 v2, 16, v1
	v_and_b32_e32 v1, 0xffff, v1
	;;#ASMSTART
	v_cvt_f32_f16 v1, v1;
	;;#ASMEND
	;;#ASMSTART
	v_cvt_f32_f16 v2, v2;
	;;#ASMEND
	s_nop 0
	v_add_f32_e32 v1, v1, v2
	v_add_f32_e32 v7, v7, v1
.LBB76_51:                              ;   in Loop: Header=BB76_53 Depth=1
	s_or_b64 exec, exec, s[16:17]
	v_add_f32_e32 v1, v20, v36
	v_add_f32_e32 v9, v9, v1
	v_add_f32_e32 v1, v30, v31
	v_add_f32_e32 v8, v8, v1
	v_add_f32_e32 v1, v18, v19
	v_add_f32_e32 v6, v6, v1
.LBB76_52:                              ;   in Loop: Header=BB76_53 Depth=1
	s_or_b64 exec, exec, s[14:15]
	v_add_u32_e32 v21, 2, v21
	v_cmp_le_i32_e32 vcc, s43, v21
	v_lshl_add_u64 v[12:13], v[12:13], 0, 8
	v_add_u32_e32 v22, 32, v22
	s_or_b64 s[12:13], vcc, s[12:13]
	v_add_u32_e32 v28, 0x80, v28
	s_andn2_b64 exec, exec, s[12:13]
	s_cbranch_execz .LBB76_63
.LBB76_53:                              ; =>This Inner Loop Header: Depth=1
	v_mul_hi_u32 v1, v22, s40
	v_mul_lo_u32 v2, v1, s21
	v_sub_u32_e32 v2, v22, v2
	v_add_u32_e32 v3, 1, v1
	v_cmp_le_u32_e32 vcc, s21, v2
	s_nop 1
	v_cndmask_b32_e32 v1, v1, v3, vcc
	v_subrev_u32_e32 v3, s21, v2
	v_cndmask_b32_e32 v2, v2, v3, vcc
	v_add_u32_e32 v3, 1, v1
	v_cmp_le_u32_e32 vcc, s21, v2
	s_nop 1
	v_cndmask_b32_e32 v1, v1, v3, vcc
	v_xor_b32_e32 v1, s42, v1
	v_subrev_u32_e32 v1, s42, v1
	v_add_u32_e32 v2, s41, v1
	v_sub_u32_e32 v4, 0, v2
	v_ashrrev_i32_e32 v3, 31, v2
	v_max_i32_e32 v2, v2, v4
	v_mul_hi_u32 v4, v2, v27
	v_mul_lo_u32 v4, v4, s28
	v_sub_u32_e32 v2, v2, v4
	v_subrev_u32_e32 v4, s28, v2
	v_cmp_le_u32_e32 vcc, s28, v2
	v_cmp_lt_i32_e64 s[2:3], s30, v1
	s_nop 0
	v_cndmask_b32_e32 v2, v2, v4, vcc
	v_subrev_u32_e32 v4, s28, v2
	v_cmp_le_u32_e32 vcc, s28, v2
	s_nop 1
	v_cndmask_b32_e32 v2, v2, v4, vcc
	v_xor_b32_e32 v2, v2, v3
	v_sub_u32_e32 v2, v2, v3
	v_cmp_eq_u32_e32 vcc, 0, v2
	s_or_b64 s[2:3], vcc, s[2:3]
	s_and_saveexec_b64 s[14:15], s[2:3]
	s_cbranch_execz .LBB76_52
; %bb.54:                               ;   in Loop: Header=BB76_53 Depth=1
	global_load_dword v1, v[12:13], off
	ds_read2_b64 v[2:5], v28 offset1:1
	ds_read2_b64 v[16:19], v28 offset0:2 offset1:3
	v_add_u32_e32 v29, v26, v22
	s_waitcnt lgkmcnt(1)
	;;#ASMSTART
	v_cvt_f16_f32 v15, v2;

	;;#ASMEND
	;;#ASMSTART
	v_cvt_f16_f32 v30, v3;

	;;#ASMEND
	;;#ASMSTART
	v_cvt_f16_f32 v31, v4;

	;;#ASMEND
	;;#ASMSTART
	v_cvt_f16_f32 v32, v5;

	;;#ASMEND
	s_waitcnt lgkmcnt(0)
	;;#ASMSTART
	v_cvt_f16_f32 v35, v16;

	;;#ASMEND
	;;#ASMSTART
	v_cvt_f16_f32 v36, v17;

	;;#ASMEND
	;; [unrolled: 4-line block ×4, first 2 shown]
	s_waitcnt vmcnt(0)
	v_mad_i64_i32 v[2:3], s[2:3], v1, s31, 0
	v_lshl_add_u64 v[16:17], v[2:3], 1, s[8:9]
	v_lshl_add_u64 v[18:19], v[16:17], 0, v[10:11]
	global_load_dwordx4 v[2:5], v[18:19], off
	v_cmp_eq_u32_e64 s[2:3], s29, v21
	s_waitcnt vmcnt(0)
	v_lshrrev_b32_e32 v1, 16, v3
	v_lshrrev_b32_e32 v20, 16, v2
	;; [unrolled: 1-line block ×3, first 2 shown]
	s_and_saveexec_b64 s[16:17], s[2:3]
	s_cbranch_execz .LBB76_56
; %bb.55:                               ;   in Loop: Header=BB76_53 Depth=1
	v_cmp_gt_i32_e32 vcc, s33, v29
	v_add_u32_e32 v40, 2, v29
	v_or_b32_e32 v33, 3, v29
	v_cndmask_b32_e32 v2, 0, v2, vcc
	v_cmp_gt_i32_e32 vcc, s33, v40
	v_or_b32_e32 v34, 1, v29
	s_nop 0
	v_cndmask_b32_e32 v3, 0, v3, vcc
	v_cmp_gt_i32_e32 vcc, s34, v33
	v_add_u32_e32 v33, 4, v29
	s_nop 0
	v_cndmask_b32_e32 v1, 0, v1, vcc
	v_cmp_gt_i32_e32 vcc, s33, v34
	v_add_u32_e32 v34, 7, v29
	;; [unrolled: 4-line block ×4, first 2 shown]
	s_nop 0
	v_cndmask_b32_e32 v39, 0, v39, vcc
	v_cmp_gt_i32_e32 vcc, s33, v33
	s_nop 1
	v_cndmask_b32_sdwa v33, v11, v5, vcc dst_sel:DWORD dst_unused:UNUSED_PAD src0_sel:DWORD src1_sel:WORD_0
	v_and_b32_e32 v5, 0xffff0000, v5
	v_cmp_gt_i32_e32 vcc, s33, v34
	s_nop 1
	v_cndmask_b32_e32 v5, 0, v5, vcc
	v_or_b32_e32 v5, v33, v5
.LBB76_56:                              ;   in Loop: Header=BB76_53 Depth=1
	s_or_b64 exec, exec, s[16:17]
	v_and_b32_e32 v15, 0xffff, v15
	v_lshl_or_b32 v33, v30, 16, v15
	v_and_b32_e32 v15, 0xffff, v31
	v_lshl_or_b32 v34, v32, 16, v15
	;; [unrolled: 2-line block ×4, first 2 shown]
	v_lshlrev_b32_e32 v15, 16, v20
	v_lshlrev_b32_e32 v1, 16, v1
	v_and_or_b32 v2, v2, s24, v15
	v_and_or_b32 v1, v3, s24, v1
	v_lshlrev_b32_e32 v3, 16, v39
	v_and_or_b32 v3, v4, s24, v3
	;;#ASMSTART
	v_pk_mul_f16 v2, v33, v2;

	;;#ASMEND
	;;#ASMSTART
	v_pk_mul_f16 v1, v34, v1;

	;;#ASMEND
	;; [unrolled: 4-line block ×4, first 2 shown]
	s_nop 0
	;;#ASMSTART
	v_pk_add_f16 v1, v2, v1;

	;;#ASMEND
	s_nop 0
	;;#ASMSTART
	v_pk_add_f16 v1, v1, v3;

	;;#ASMEND
	;; [unrolled: 5-line block ×3, first 2 shown]
	s_nop 0
	v_lshrrev_b32_e32 v2, 16, v1
	v_and_b32_e32 v1, 0xffff, v1
	;;#ASMSTART
	v_cvt_f32_f16 v30, v1;
	;;#ASMEND
	;;#ASMSTART
	v_cvt_f32_f16 v31, v2;
	;;#ASMEND
	global_load_dwordx4 v[2:5], v[18:19], off offset:1024
	s_waitcnt vmcnt(0)
	v_lshrrev_b32_e32 v1, 16, v3
	v_lshrrev_b32_e32 v20, 16, v2
	;; [unrolled: 1-line block ×3, first 2 shown]
	s_and_saveexec_b64 s[16:17], s[2:3]
	s_cbranch_execz .LBB76_58
; %bb.57:                               ;   in Loop: Header=BB76_53 Depth=1
	v_cmp_gt_i32_e32 vcc, s33, v29
	v_add_u32_e32 v38, 2, v29
	v_or_b32_e32 v36, 3, v29
	v_cndmask_b32_e32 v2, 0, v2, vcc
	v_cmp_gt_i32_e32 vcc, s33, v38
	v_or_b32_e32 v37, 1, v29
	s_nop 0
	v_cndmask_b32_e32 v3, 0, v3, vcc
	v_cmp_gt_i32_e32 vcc, s34, v36
	v_add_u32_e32 v36, 4, v29
	s_nop 0
	v_cndmask_b32_e32 v1, 0, v1, vcc
	v_cmp_gt_i32_e32 vcc, s33, v37
	v_add_u32_e32 v37, 7, v29
	;; [unrolled: 4-line block ×4, first 2 shown]
	s_nop 0
	v_cndmask_b32_e32 v15, 0, v15, vcc
	v_cmp_gt_i32_e32 vcc, s33, v36
	s_nop 1
	v_cndmask_b32_sdwa v36, v11, v5, vcc dst_sel:DWORD dst_unused:UNUSED_PAD src0_sel:DWORD src1_sel:WORD_0
	v_and_b32_e32 v5, 0xffff0000, v5
	v_cmp_gt_i32_e32 vcc, s33, v37
	s_nop 1
	v_cndmask_b32_e32 v5, 0, v5, vcc
	v_or_b32_e32 v5, v36, v5
.LBB76_58:                              ;   in Loop: Header=BB76_53 Depth=1
	s_or_b64 exec, exec, s[16:17]
	v_lshlrev_b32_e32 v20, 16, v20
	v_lshlrev_b32_e32 v1, 16, v1
	v_and_or_b32 v2, v2, s24, v20
	v_and_or_b32 v1, v3, s24, v1
	v_lshlrev_b32_e32 v3, 16, v15
	v_and_or_b32 v3, v4, s24, v3
	;;#ASMSTART
	v_pk_mul_f16 v2, v33, v2;

	;;#ASMEND
	;;#ASMSTART
	v_pk_mul_f16 v1, v34, v1;

	;;#ASMEND
	;; [unrolled: 4-line block ×4, first 2 shown]
	s_nop 0
	;;#ASMSTART
	v_pk_add_f16 v1, v2, v1;

	;;#ASMEND
	s_nop 0
	;;#ASMSTART
	v_pk_add_f16 v1, v1, v3;

	;;#ASMEND
	s_nop 0
	;;#ASMSTART
	v_pk_add_f16 v1, v1, v4;

	;;#ASMEND
	s_nop 0
	v_lshrrev_b32_e32 v2, 16, v1
	v_and_b32_e32 v1, 0xffff, v1
	;;#ASMSTART
	v_cvt_f32_f16 v20, v1;
	;;#ASMEND
	;;#ASMSTART
	v_cvt_f32_f16 v36, v2;
	;;#ASMEND
	global_load_dwordx4 v[2:5], v[18:19], off offset:2048
	s_waitcnt vmcnt(0)
	v_lshrrev_b32_e32 v1, 16, v3
	v_lshrrev_b32_e32 v18, 16, v2
	;; [unrolled: 1-line block ×3, first 2 shown]
	s_and_saveexec_b64 s[16:17], s[2:3]
	s_cbranch_execz .LBB76_60
; %bb.59:                               ;   in Loop: Header=BB76_53 Depth=1
	v_cmp_gt_i32_e32 vcc, s33, v29
	v_add_u32_e32 v38, 2, v29
	v_or_b32_e32 v19, 3, v29
	v_cndmask_b32_e32 v2, 0, v2, vcc
	v_cmp_gt_i32_e32 vcc, s33, v38
	v_or_b32_e32 v37, 1, v29
	s_nop 0
	v_cndmask_b32_e32 v3, 0, v3, vcc
	v_cmp_gt_i32_e32 vcc, s34, v19
	v_add_u32_e32 v19, 4, v29
	s_nop 0
	v_cndmask_b32_e32 v1, 0, v1, vcc
	v_cmp_gt_i32_e32 vcc, s33, v37
	v_add_u32_e32 v37, 7, v29
	;; [unrolled: 4-line block ×4, first 2 shown]
	s_nop 0
	v_cndmask_b32_e32 v15, 0, v15, vcc
	v_cmp_gt_i32_e32 vcc, s33, v19
	s_nop 1
	v_cndmask_b32_sdwa v19, v11, v5, vcc dst_sel:DWORD dst_unused:UNUSED_PAD src0_sel:DWORD src1_sel:WORD_0
	v_and_b32_e32 v5, 0xffff0000, v5
	v_cmp_gt_i32_e32 vcc, s33, v37
	s_nop 1
	v_cndmask_b32_e32 v5, 0, v5, vcc
	v_or_b32_e32 v5, v19, v5
.LBB76_60:                              ;   in Loop: Header=BB76_53 Depth=1
	s_or_b64 exec, exec, s[16:17]
	v_lshlrev_b32_e32 v18, 16, v18
	v_lshlrev_b32_e32 v1, 16, v1
	v_and_or_b32 v2, v2, s24, v18
	v_and_or_b32 v1, v3, s24, v1
	v_lshlrev_b32_e32 v3, 16, v15
	v_and_or_b32 v3, v4, s24, v3
	;;#ASMSTART
	v_pk_mul_f16 v2, v33, v2;

	;;#ASMEND
	;;#ASMSTART
	v_pk_mul_f16 v1, v34, v1;

	;;#ASMEND
	;; [unrolled: 4-line block ×4, first 2 shown]
	s_nop 0
	;;#ASMSTART
	v_pk_add_f16 v1, v2, v1;

	;;#ASMEND
	s_nop 0
	;;#ASMSTART
	v_pk_add_f16 v1, v1, v3;

	;;#ASMEND
	;; [unrolled: 5-line block ×3, first 2 shown]
	s_nop 0
	v_lshrrev_b32_e32 v2, 16, v1
	v_and_b32_e32 v1, 0xffff, v1
	;;#ASMSTART
	v_cvt_f32_f16 v18, v1;
	;;#ASMEND
	;;#ASMSTART
	v_cvt_f32_f16 v19, v2;
	;;#ASMEND
	s_and_saveexec_b64 s[16:17], s[0:1]
	s_cbranch_execz .LBB76_51
; %bb.61:                               ;   in Loop: Header=BB76_53 Depth=1
	v_mov_b32_e32 v15, v11
	v_lshl_add_u64 v[2:3], v[16:17], 0, v[14:15]
	global_load_dwordx4 v[2:5], v[2:3], off
	s_waitcnt vmcnt(0)
	v_lshrrev_b32_e32 v1, 16, v3
	v_lshrrev_b32_e32 v16, 16, v2
	;; [unrolled: 1-line block ×3, first 2 shown]
	s_and_saveexec_b64 s[18:19], s[2:3]
	s_cbranch_execz .LBB76_50
; %bb.62:                               ;   in Loop: Header=BB76_53 Depth=1
	v_cmp_gt_i32_e32 vcc, s33, v29
	v_add_u32_e32 v38, 2, v29
	v_or_b32_e32 v17, 3, v29
	v_cndmask_b32_e32 v2, 0, v2, vcc
	v_cmp_gt_i32_e32 vcc, s33, v38
	v_or_b32_e32 v37, 1, v29
	s_nop 0
	v_cndmask_b32_e32 v3, 0, v3, vcc
	v_cmp_gt_i32_e32 vcc, s34, v17
	v_add_u32_e32 v17, 4, v29
	s_nop 0
	v_cndmask_b32_e32 v1, 0, v1, vcc
	v_cmp_gt_i32_e32 vcc, s33, v37
	s_nop 1
	v_cndmask_b32_e32 v16, 0, v16, vcc
	v_cmp_gt_i32_e32 vcc, s33, v17
	v_add_u32_e32 v17, 5, v29
	s_nop 0
	v_cndmask_b32_e32 v4, 0, v4, vcc
	v_cmp_gt_i32_e32 vcc, s33, v17
	v_add_u32_e32 v17, 6, v29
	v_add_u32_e32 v29, 7, v29
	v_cndmask_b32_e32 v15, 0, v15, vcc
	v_cmp_gt_i32_e32 vcc, s33, v17
	s_nop 1
	v_cndmask_b32_sdwa v17, v11, v5, vcc dst_sel:DWORD dst_unused:UNUSED_PAD src0_sel:DWORD src1_sel:WORD_0
	v_and_b32_e32 v5, 0xffff0000, v5
	v_cmp_gt_i32_e32 vcc, s33, v29
	s_nop 1
	v_cndmask_b32_e32 v5, 0, v5, vcc
	v_or_b32_e32 v5, v17, v5
	s_branch .LBB76_50
.LBB76_63:
	s_or_b64 exec, exec, s[12:13]
.LBB76_64:
	s_or_b64 exec, exec, s[6:7]
	ds_bpermute_b32 v2, v23, v8
	ds_bpermute_b32 v3, v23, v9
	;; [unrolled: 1-line block ×4, first 2 shown]
	v_and_b32_e32 v1, 0x3c0, v0
	v_cmp_eq_u32_e64 s[0:1], 64, v1
	s_waitcnt lgkmcnt(2)
	v_pk_add_f32 v[4:5], v[8:9], v[2:3]
	v_cmp_eq_u32_e32 vcc, 0, v25
	s_waitcnt lgkmcnt(0)
	v_pk_add_f32 v[2:3], v[6:7], v[10:11]
	s_barrier
	s_and_saveexec_b64 s[2:3], s[0:1]
	s_cbranch_execz .LBB76_69
; %bb.65:
	s_and_saveexec_b64 s[0:1], vcc
	s_cbranch_execz .LBB76_67
; %bb.66:
	v_mov_b32_e32 v1, 0xf0
	v_lshl_add_u32 v1, v24, 2, v1
	ds_write2_b32 v1, v4, v5 offset1:32
	ds_write_b32 v1, v2 offset:256
.LBB76_67:
	s_or_b64 exec, exec, s[0:1]
	v_or_b32_e32 v1, 0x60, v24
	s_movk_i32 s0, 0x70
	v_cmp_gt_u32_e64 s[0:1], s0, v1
	s_and_b64 s[0:1], vcc, s[0:1]
	s_and_b64 exec, exec, s[0:1]
; %bb.68:
	v_mov_b32_e32 v1, 0xf0
	v_lshl_add_u32 v1, v24, 2, v1
	ds_write_b32 v1, v3 offset:384
.LBB76_69:
	s_or_b64 exec, exec, s[2:3]
	v_cmp_gt_u32_e64 s[0:1], 64, v0
	v_lshrrev_b32_e32 v0, 1, v0
	s_waitcnt lgkmcnt(0)
	s_barrier
	s_and_saveexec_b64 s[6:7], s[0:1]
	s_cbranch_execz .LBB76_79
; %bb.70:
	s_and_saveexec_b64 s[2:3], vcc
	s_cbranch_execz .LBB76_72
; %bb.71:
	v_mov_b32_e32 v1, 0xf0
	v_lshl_add_u32 v1, v0, 2, v1
	ds_read_b32 v1, v1
	s_waitcnt lgkmcnt(0)
	v_add_f32_e32 v4, v4, v1
.LBB76_72:
	s_or_b64 exec, exec, s[2:3]
	v_or_b32_e32 v1, 32, v0
	s_movk_i32 s8, 0x70
	v_cmp_gt_u32_e64 s[2:3], s8, v1
	s_and_b64 s[12:13], vcc, s[2:3]
	s_and_saveexec_b64 s[2:3], s[12:13]
	s_cbranch_execz .LBB76_74
; %bb.73:
	v_mov_b32_e32 v1, 0xf0
	v_lshl_add_u32 v1, v0, 2, v1
	ds_read_b32 v1, v1 offset:128
	s_waitcnt lgkmcnt(0)
	v_add_f32_e32 v5, v5, v1
.LBB76_74:
	s_or_b64 exec, exec, s[2:3]
	v_or_b32_e32 v1, 64, v0
	v_cmp_gt_u32_e64 s[2:3], s8, v1
	s_and_b64 s[8:9], vcc, s[2:3]
	s_and_saveexec_b64 s[2:3], s[8:9]
	s_cbranch_execz .LBB76_76
; %bb.75:
	v_mov_b32_e32 v1, 0xf0
	v_lshl_add_u32 v1, v0, 2, v1
	ds_read_b32 v1, v1 offset:256
	s_waitcnt lgkmcnt(0)
	v_add_f32_e32 v2, v2, v1
.LBB76_76:
	s_or_b64 exec, exec, s[2:3]
	v_or_b32_e32 v1, 0x60, v0
	s_movk_i32 s2, 0x70
	v_cmp_gt_u32_e64 s[2:3], s2, v1
	s_and_b64 s[8:9], vcc, s[2:3]
	s_and_saveexec_b64 s[2:3], s[8:9]
	s_cbranch_execz .LBB76_78
; %bb.77:
	v_mov_b32_e32 v1, 0xf0
	v_lshl_add_u32 v1, v0, 2, v1
	ds_read_b32 v1, v1 offset:384
	s_waitcnt lgkmcnt(0)
	v_add_f32_e32 v3, v3, v1
.LBB76_78:
	s_or_b64 exec, exec, s[2:3]
.LBB76_79:
	s_or_b64 exec, exec, s[6:7]
	s_barrier
	s_and_saveexec_b64 s[2:3], s[0:1]
	s_cbranch_execz .LBB76_88
; %bb.80:
	s_mul_i32 s0, s10, s11
	s_mul_i32 s0, s0, s5
	s_mulk_i32 s0, 0x70
	s_ashr_i32 s1, s0, 31
	s_lshl_b64 s[0:1], s[0:1], 1
	s_add_u32 s2, s22, s0
	s_mul_i32 s0, s11, s20
	s_addc_u32 s3, s23, s1
	s_ashr_i32 s1, s0, 31
	s_lshl_b64 s[0:1], s[0:1], 1
	s_add_u32 s2, s2, s0
	s_mul_i32 s0, s4, 0x70
	s_addc_u32 s3, s3, s1
	s_ashr_i32 s1, s0, 31
	s_lshl_b64 s[0:1], s[0:1], 1
	s_add_u32 s2, s2, s0
	s_movk_i32 s5, 0x70
	s_addc_u32 s3, s3, s1
	v_lshlrev_b32_e32 v1, 1, v0
	s_and_saveexec_b64 s[0:1], vcc
	s_cbranch_execz .LBB76_82
; %bb.81:
	;;#ASMSTART
	v_cvt_f16_f32 v4, v4;

	;;#ASMEND
	global_store_short v1, v4, s[2:3]
.LBB76_82:
	s_or_b64 exec, exec, s[0:1]
	v_or_b32_e32 v4, 32, v0
	v_cmp_gt_u32_e64 s[0:1], s5, v4
	s_and_b64 s[4:5], vcc, s[0:1]
	s_and_saveexec_b64 s[0:1], s[4:5]
	s_cbranch_execz .LBB76_84
; %bb.83:
	;;#ASMSTART
	v_cvt_f16_f32 v4, v5;

	;;#ASMEND
	global_store_short v1, v4, s[2:3] offset:64
.LBB76_84:
	s_or_b64 exec, exec, s[0:1]
	v_or_b32_e32 v4, 64, v0
	s_movk_i32 s4, 0x70
	v_cmp_gt_u32_e64 s[0:1], s4, v4
	s_and_b64 s[6:7], vcc, s[0:1]
	s_and_saveexec_b64 s[0:1], s[6:7]
	s_cbranch_execz .LBB76_86
; %bb.85:
	;;#ASMSTART
	v_cvt_f16_f32 v2, v2;

	;;#ASMEND
	global_store_short v1, v2, s[2:3] offset:128
.LBB76_86:
	s_or_b64 exec, exec, s[0:1]
	v_or_b32_e32 v0, 0x60, v0
	v_cmp_gt_u32_e64 s[0:1], s4, v0
	s_and_b64 s[0:1], vcc, s[0:1]
	s_and_b64 exec, exec, s[0:1]
	s_cbranch_execz .LBB76_88
; %bb.87:
	;;#ASMSTART
	v_cvt_f16_f32 v0, v3;

	;;#ASMEND
	global_store_short v1, v0, s[2:3] offset:192
.LBB76_88:
	s_endpgm
	.section	.rodata,"a",@progbits
	.p2align	6, 0x0
	.amdhsa_kernel _ZN4vllm25paged_attention_v1_kernelIttLi112ELi16ELi128ELNS_18Fp8KVCacheDataTypeE0ELb1EEEvPT_PKS2_PKT0_S8_ifPKiSA_iPKfiiiSC_SC_iiiii
		.amdhsa_group_segment_fixed_size 240
		.amdhsa_private_segment_fixed_size 0
		.amdhsa_kernarg_size 384
		.amdhsa_user_sgpr_count 2
		.amdhsa_user_sgpr_dispatch_ptr 0
		.amdhsa_user_sgpr_queue_ptr 0
		.amdhsa_user_sgpr_kernarg_segment_ptr 1
		.amdhsa_user_sgpr_dispatch_id 0
		.amdhsa_user_sgpr_kernarg_preload_length 0
		.amdhsa_user_sgpr_kernarg_preload_offset 0
		.amdhsa_user_sgpr_private_segment_size 0
		.amdhsa_uses_dynamic_stack 0
		.amdhsa_enable_private_segment 0
		.amdhsa_system_sgpr_workgroup_id_x 1
		.amdhsa_system_sgpr_workgroup_id_y 1
		.amdhsa_system_sgpr_workgroup_id_z 1
		.amdhsa_system_sgpr_workgroup_info 0
		.amdhsa_system_vgpr_workitem_id 0
		.amdhsa_next_free_vgpr 67
		.amdhsa_next_free_sgpr 45
		.amdhsa_accum_offset 68
		.amdhsa_reserve_vcc 1
		.amdhsa_float_round_mode_32 0
		.amdhsa_float_round_mode_16_64 0
		.amdhsa_float_denorm_mode_32 3
		.amdhsa_float_denorm_mode_16_64 3
		.amdhsa_dx10_clamp 1
		.amdhsa_ieee_mode 1
		.amdhsa_fp16_overflow 0
		.amdhsa_tg_split 0
		.amdhsa_exception_fp_ieee_invalid_op 0
		.amdhsa_exception_fp_denorm_src 0
		.amdhsa_exception_fp_ieee_div_zero 0
		.amdhsa_exception_fp_ieee_overflow 0
		.amdhsa_exception_fp_ieee_underflow 0
		.amdhsa_exception_fp_ieee_inexact 0
		.amdhsa_exception_int_div_zero 0
	.end_amdhsa_kernel
	.section	.text._ZN4vllm25paged_attention_v1_kernelIttLi112ELi16ELi128ELNS_18Fp8KVCacheDataTypeE0ELb1EEEvPT_PKS2_PKT0_S8_ifPKiSA_iPKfiiiSC_SC_iiiii,"axG",@progbits,_ZN4vllm25paged_attention_v1_kernelIttLi112ELi16ELi128ELNS_18Fp8KVCacheDataTypeE0ELb1EEEvPT_PKS2_PKT0_S8_ifPKiSA_iPKfiiiSC_SC_iiiii,comdat
.Lfunc_end76:
	.size	_ZN4vllm25paged_attention_v1_kernelIttLi112ELi16ELi128ELNS_18Fp8KVCacheDataTypeE0ELb1EEEvPT_PKS2_PKT0_S8_ifPKiSA_iPKfiiiSC_SC_iiiii, .Lfunc_end76-_ZN4vllm25paged_attention_v1_kernelIttLi112ELi16ELi128ELNS_18Fp8KVCacheDataTypeE0ELb1EEEvPT_PKS2_PKT0_S8_ifPKiSA_iPKfiiiSC_SC_iiiii
                                        ; -- End function
	.set _ZN4vllm25paged_attention_v1_kernelIttLi112ELi16ELi128ELNS_18Fp8KVCacheDataTypeE0ELb1EEEvPT_PKS2_PKT0_S8_ifPKiSA_iPKfiiiSC_SC_iiiii.num_vgpr, 67
	.set _ZN4vllm25paged_attention_v1_kernelIttLi112ELi16ELi128ELNS_18Fp8KVCacheDataTypeE0ELb1EEEvPT_PKS2_PKT0_S8_ifPKiSA_iPKfiiiSC_SC_iiiii.num_agpr, 0
	.set _ZN4vllm25paged_attention_v1_kernelIttLi112ELi16ELi128ELNS_18Fp8KVCacheDataTypeE0ELb1EEEvPT_PKS2_PKT0_S8_ifPKiSA_iPKfiiiSC_SC_iiiii.numbered_sgpr, 45
	.set _ZN4vllm25paged_attention_v1_kernelIttLi112ELi16ELi128ELNS_18Fp8KVCacheDataTypeE0ELb1EEEvPT_PKS2_PKT0_S8_ifPKiSA_iPKfiiiSC_SC_iiiii.num_named_barrier, 0
	.set _ZN4vllm25paged_attention_v1_kernelIttLi112ELi16ELi128ELNS_18Fp8KVCacheDataTypeE0ELb1EEEvPT_PKS2_PKT0_S8_ifPKiSA_iPKfiiiSC_SC_iiiii.private_seg_size, 0
	.set _ZN4vllm25paged_attention_v1_kernelIttLi112ELi16ELi128ELNS_18Fp8KVCacheDataTypeE0ELb1EEEvPT_PKS2_PKT0_S8_ifPKiSA_iPKfiiiSC_SC_iiiii.uses_vcc, 1
	.set _ZN4vllm25paged_attention_v1_kernelIttLi112ELi16ELi128ELNS_18Fp8KVCacheDataTypeE0ELb1EEEvPT_PKS2_PKT0_S8_ifPKiSA_iPKfiiiSC_SC_iiiii.uses_flat_scratch, 0
	.set _ZN4vllm25paged_attention_v1_kernelIttLi112ELi16ELi128ELNS_18Fp8KVCacheDataTypeE0ELb1EEEvPT_PKS2_PKT0_S8_ifPKiSA_iPKfiiiSC_SC_iiiii.has_dyn_sized_stack, 0
	.set _ZN4vllm25paged_attention_v1_kernelIttLi112ELi16ELi128ELNS_18Fp8KVCacheDataTypeE0ELb1EEEvPT_PKS2_PKT0_S8_ifPKiSA_iPKfiiiSC_SC_iiiii.has_recursion, 0
	.set _ZN4vllm25paged_attention_v1_kernelIttLi112ELi16ELi128ELNS_18Fp8KVCacheDataTypeE0ELb1EEEvPT_PKS2_PKT0_S8_ifPKiSA_iPKfiiiSC_SC_iiiii.has_indirect_call, 0
	.section	.AMDGPU.csdata,"",@progbits
; Kernel info:
; codeLenInByte = 7608
; TotalNumSgprs: 51
; NumVgprs: 67
; NumAgprs: 0
; TotalNumVgprs: 67
; ScratchSize: 0
; MemoryBound: 0
; FloatMode: 240
; IeeeMode: 1
; LDSByteSize: 240 bytes/workgroup (compile time only)
; SGPRBlocks: 6
; VGPRBlocks: 8
; NumSGPRsForWavesPerEU: 51
; NumVGPRsForWavesPerEU: 67
; AccumOffset: 68
; Occupancy: 7
; WaveLimiterHint : 1
; COMPUTE_PGM_RSRC2:SCRATCH_EN: 0
; COMPUTE_PGM_RSRC2:USER_SGPR: 2
; COMPUTE_PGM_RSRC2:TRAP_HANDLER: 0
; COMPUTE_PGM_RSRC2:TGID_X_EN: 1
; COMPUTE_PGM_RSRC2:TGID_Y_EN: 1
; COMPUTE_PGM_RSRC2:TGID_Z_EN: 1
; COMPUTE_PGM_RSRC2:TIDIG_COMP_CNT: 0
; COMPUTE_PGM_RSRC3_GFX90A:ACCUM_OFFSET: 16
; COMPUTE_PGM_RSRC3_GFX90A:TG_SPLIT: 0
	.section	.text._ZN4vllm25paged_attention_v1_kernelIttLi120ELi16ELi128ELNS_18Fp8KVCacheDataTypeE0ELb1EEEvPT_PKS2_PKT0_S8_ifPKiSA_iPKfiiiSC_SC_iiiii,"axG",@progbits,_ZN4vllm25paged_attention_v1_kernelIttLi120ELi16ELi128ELNS_18Fp8KVCacheDataTypeE0ELb1EEEvPT_PKS2_PKT0_S8_ifPKiSA_iPKfiiiSC_SC_iiiii,comdat
	.protected	_ZN4vllm25paged_attention_v1_kernelIttLi120ELi16ELi128ELNS_18Fp8KVCacheDataTypeE0ELb1EEEvPT_PKS2_PKT0_S8_ifPKiSA_iPKfiiiSC_SC_iiiii ; -- Begin function _ZN4vllm25paged_attention_v1_kernelIttLi120ELi16ELi128ELNS_18Fp8KVCacheDataTypeE0ELb1EEEvPT_PKS2_PKT0_S8_ifPKiSA_iPKfiiiSC_SC_iiiii
	.globl	_ZN4vllm25paged_attention_v1_kernelIttLi120ELi16ELi128ELNS_18Fp8KVCacheDataTypeE0ELb1EEEvPT_PKS2_PKT0_S8_ifPKiSA_iPKfiiiSC_SC_iiiii
	.p2align	8
	.type	_ZN4vllm25paged_attention_v1_kernelIttLi120ELi16ELi128ELNS_18Fp8KVCacheDataTypeE0ELb1EEEvPT_PKS2_PKT0_S8_ifPKiSA_iPKfiiiSC_SC_iiiii,@function
_ZN4vllm25paged_attention_v1_kernelIttLi120ELi16ELi128ELNS_18Fp8KVCacheDataTypeE0ELb1EEEvPT_PKS2_PKT0_S8_ifPKiSA_iPKfiiiSC_SC_iiiii: ; @_ZN4vllm25paged_attention_v1_kernelIttLi120ELi16ELi128ELNS_18Fp8KVCacheDataTypeE0ELb1EEEvPT_PKS2_PKT0_S8_ifPKiSA_iPKfiiiSC_SC_iiiii
; %bb.0:
	s_load_dword s5, s[0:1], 0x80
	s_load_dwordx2 s[6:7], s[0:1], 0x30
	s_load_dwordx2 s[30:31], s[0:1], 0x20
	s_mov_b32 s10, s3
	s_ashr_i32 s11, s3, 31
	s_lshl_b64 s[8:9], s[10:11], 2
	s_waitcnt lgkmcnt(0)
	s_add_u32 s6, s6, s8
	s_addc_u32 s7, s7, s9
	s_abs_i32 s3, s30
	v_cvt_f32_u32_e32 v1, s3
	s_sub_i32 s11, 0, s3
	s_abs_i32 s9, s5
	s_xor_b32 s8, s5, s30
	v_rcp_iflag_f32_e32 v1, v1
	s_ashr_i32 s8, s8, 31
	s_mov_b32 s44, 0
	v_mul_f32_e32 v1, 0x4f7ffffe, v1
	v_cvt_u32_f32_e32 v1, v1
	s_nop 0
	v_readfirstlane_b32 s12, v1
	s_mul_i32 s11, s11, s12
	s_mul_hi_u32 s11, s12, s11
	s_add_i32 s12, s12, s11
	s_mul_hi_u32 s11, s9, s12
	s_mul_i32 s12, s11, s3
	s_sub_i32 s9, s9, s12
	s_add_i32 s12, s11, 1
	s_sub_i32 s13, s9, s3
	s_cmp_ge_u32 s9, s3
	s_cselect_b32 s11, s12, s11
	s_cselect_b32 s9, s13, s9
	s_add_i32 s12, s11, 1
	s_cmp_ge_u32 s9, s3
	s_cselect_b32 s3, s12, s11
	s_xor_b32 s3, s3, s8
	s_sub_i32 s16, s3, s8
	s_abs_i32 s11, s16
	v_cvt_f32_u32_e32 v1, s11
	s_load_dwordx2 s[8:9], s[0:1], 0x40
	s_sub_i32 s3, 0, s11
	s_abs_i32 s22, s2
	v_rcp_iflag_f32_e32 v1, v1
	s_nop 0
	v_mul_f32_e32 v1, 0x4f7ffffe, v1
	v_cvt_u32_f32_e32 v1, v1
	s_nop 0
	v_readfirstlane_b32 s12, v1
	s_mul_i32 s3, s3, s12
	s_mul_hi_u32 s3, s12, s3
	s_add_i32 s12, s12, s3
	s_waitcnt lgkmcnt(0)
	s_cmp_eq_u64 s[8:9], 0
	s_mul_hi_u32 s23, s22, s12
	s_cbranch_scc1 .LBB77_2
; %bb.1:
	s_ashr_i32 s3, s2, 31
	s_lshl_b64 s[12:13], s[2:3], 2
	s_add_u32 s8, s8, s12
	s_addc_u32 s9, s9, s13
	s_load_dword s44, s[8:9], 0x0
.LBB77_2:
	s_load_dword s33, s[6:7], 0x0
	s_load_dwordx4 s[12:15], s[0:1], 0x48
	s_ashr_i32 s3, s2, 31
	s_ashr_i32 s9, s16, 31
	v_and_b32_e32 v4, 3, v0
	s_mul_i32 s20, s2, 0x78
	v_cmp_gt_u32_e32 vcc, 60, v0
	s_and_saveexec_b64 s[6:7], vcc
	s_cbranch_execz .LBB77_4
; %bb.3:
	s_load_dwordx2 s[16:17], s[0:1], 0x8
	s_waitcnt lgkmcnt(0)
	s_mul_i32 s18, s12, s10
	s_ashr_i32 s19, s18, 31
	s_lshl_b64 s[18:19], s[18:19], 1
	v_lshlrev_b32_e32 v1, 2, v0
	s_add_u32 s8, s16, s18
	s_addc_u32 s12, s17, s19
	s_ashr_i32 s21, s20, 31
	s_lshl_b64 s[16:17], s[20:21], 1
	s_add_u32 s16, s8, s16
	s_addc_u32 s17, s12, s17
	global_load_dword v1, v1, s[16:17]
	v_and_b32_e32 v2, 0x3fc, v0
	v_mad_u32_u24 v2, v4, 60, v2
	s_waitcnt vmcnt(0)
	ds_write_b32 v2, v1
.LBB77_4:
	s_or_b64 exec, exec, s[6:7]
	s_mul_i32 s6, s23, s11
	s_sub_i32 s6, s22, s6
	s_xor_b32 s3, s3, s9
	s_add_i32 s7, s23, 1
	s_sub_i32 s9, s6, s11
	s_load_dwordx4 s[16:19], s[0:1], 0x68
	s_load_dword s8, s[0:1], 0x78
	s_cmp_ge_u32 s6, s11
	s_cselect_b32 s7, s7, s23
	s_cselect_b32 s6, s9, s6
	s_add_i32 s9, s7, 1
	s_cmp_ge_u32 s6, s11
	s_cselect_b32 s6, s9, s7
	s_waitcnt lgkmcnt(0)
	s_abs_i32 s21, s19
	v_cvt_f32_u32_e32 v1, s21
	s_xor_b32 s6, s6, s3
	s_sub_i32 s3, s6, s3
	s_sub_i32 s6, 0, s21
	v_rcp_iflag_f32_e32 v1, v1
	s_add_i32 s11, s33, -1
	s_abs_i32 s9, s11
	v_mul_f32_e32 v1, 0x4f7ffffe, v1
	v_cvt_u32_f32_e32 v1, v1
	s_barrier
	v_readfirstlane_b32 s40, v1
	s_mul_i32 s6, s6, s40
	s_mul_hi_u32 s6, s40, s6
	s_add_i32 s40, s40, s6
	s_cmp_lt_i32 s8, 0
	s_mul_hi_u32 s12, s9, s40
	s_cbranch_scc0 .LBB77_6
; %bb.5:
	s_mul_i32 s6, s16, s30
	s_add_i32 s6, s3, s6
	s_mul_i32 s6, s6, s8
	s_sub_i32 s41, 1, s6
	s_mov_b64 s[6:7], 0
	s_branch .LBB77_7
.LBB77_6:
	s_mov_b64 s[6:7], -1
                                        ; implicit-def: $sgpr41
.LBB77_7:
	s_load_dwordx2 s[24:25], s[0:1], 0x28
	s_ashr_i32 s15, s11, 31
	s_andn2_b64 vcc, exec, s[6:7]
	s_ashr_i32 s42, s19, 31
	s_cbranch_vccnz .LBB77_9
; %bb.8:
	s_mul_i32 s6, s5, s16
	s_add_i32 s2, s6, s2
	s_mul_i32 s2, s2, s8
	s_add_i32 s41, s2, 1
.LBB77_9:
	s_load_dword s2, s[0:1], 0x38
	s_load_dwordx2 s[22:23], s[0:1], 0x0
	s_load_dwordx2 s[28:29], s[0:1], 0x18
	s_load_dword s11, s[0:1], 0x88
	s_xor_b32 s6, s15, s42
	s_waitcnt lgkmcnt(0)
	s_mul_i32 s26, s2, s10
	s_mul_i32 s2, s12, s21
	s_sub_i32 s2, s9, s2
	s_ashr_i32 s27, s26, 31
	s_add_i32 s7, s12, 1
	s_sub_i32 s8, s2, s21
	s_cmp_ge_u32 s2, s21
	s_cselect_b32 s7, s7, s12
	s_cselect_b32 s2, s8, s2
	s_add_i32 s8, s7, 1
	s_cmp_ge_u32 s2, s21
	s_cselect_b32 s2, s8, s7
	s_xor_b32 s2, s2, s6
	s_sub_i32 s12, s2, s6
	s_add_i32 s2, s33, 15
	s_ashr_i32 s6, s2, 31
	s_lshr_b32 s6, s6, 28
	s_add_i32 s2, s2, s6
	s_ashr_i32 s43, s2, 4
	v_lshrrev_b32_e32 v21, 6, v0
	v_cmp_le_i32_e64 s[6:7], s43, v21
	v_cmp_gt_i32_e32 vcc, s43, v21
	v_mov_b32_e32 v9, 0xff7fffff
	s_mul_i32 s14, s3, s14
	v_lshrrev_b32_e32 v1, 4, v0
	v_lshlrev_b32_e32 v22, 4, v21
	v_mbcnt_lo_u32_b32 v6, -1, 0
	s_and_saveexec_b64 s[34:35], vcc
	s_cbranch_execz .LBB77_21
; %bb.10:
	s_load_dwordx2 s[0:1], s[0:1], 0x10
	s_ashr_i32 s15, s14, 31
	s_sub_i32 s16, s12, s17
	s_lshl_b64 s[2:3], s[14:15], 1
	v_bfe_u32 v7, v0, 2, 4
	s_waitcnt lgkmcnt(0)
	s_add_u32 s0, s0, s2
	s_addc_u32 s1, s1, s3
	s_abs_i32 s15, s18
	v_cvt_f32_u32_e32 v5, s15
	v_lshlrev_b32_e32 v12, 4, v7
	v_mov_b32_e32 v13, 0
	v_lshl_add_u64 v[2:3], s[0:1], 0, v[12:13]
	v_rcp_iflag_f32_e32 v5, v5
	v_lshlrev_b32_e32 v8, 2, v0
	s_sub_i32 s0, 0, s15
	v_cmp_eq_u32_e32 vcc, 0, v4
	v_mul_f32_e32 v5, 0x4f7ffffe, v5
	v_cvt_u32_f32_e32 v5, v5
	v_and_b32_e32 v12, 12, v8
	v_mul_u32_u24_e32 v8, 60, v4
	v_lshl_add_u64 v[2:3], v[2:3], 0, v[12:13]
	v_mul_lo_u32 v4, s0, v5
	s_lshl_b64 s[0:1], s[26:27], 2
	s_add_u32 s0, s24, s0
	v_mul_hi_u32 v4, v5, v4
	v_and_b32_e32 v12, 60, v1
	s_addc_u32 s1, s25, s1
	v_subrev_u32_e32 v9, s33, v7
	v_add_u32_e32 v10, v5, v4
	v_lshl_add_u64 v[4:5], s[0:1], 0, v[12:13]
	v_add_u32_e32 v12, 1, v9
	v_lshlrev_b32_e32 v9, 2, v7
	v_lshl_or_b32 v9, v21, 6, v9
	v_mbcnt_hi_u32_b32 v15, -1, v6
	v_add_u32_e32 v13, 0x100, v9
	v_and_b32_e32 v9, 64, v15
	s_mov_b32 s19, s13
	v_cmp_neq_f32_e64 s[2:3], s44, 0
	v_lshlrev_b32_e32 v11, 4, v21
	v_mov_b32_e32 v14, 0xff7fffff
	s_mov_b64 s[36:37], 0
	v_add_u32_e32 v16, 64, v9
	v_xor_b32_e32 v17, 2, v15
	v_xor_b32_e32 v18, 1, v15
	v_mov_b32_e32 v9, 0xff7fffff
	v_mov_b32_e32 v19, v21
	s_branch .LBB77_13
.LBB77_11:                              ;   in Loop: Header=BB77_13 Depth=1
	s_or_b64 exec, exec, s[38:39]
.LBB77_12:                              ;   in Loop: Header=BB77_13 Depth=1
	s_or_b64 exec, exec, s[8:9]
	v_add_u32_e32 v19, 2, v19
	v_cmp_le_i32_e64 s[0:1], s43, v19
	v_lshl_add_u64 v[4:5], v[4:5], 0, 8
	v_add_u32_e32 v11, 32, v11
	s_or_b64 s[36:37], s[0:1], s[36:37]
	v_add_u32_e32 v13, 0x80, v13
	s_andn2_b64 exec, exec, s[36:37]
	s_cbranch_execz .LBB77_20
.LBB77_13:                              ; =>This Inner Loop Header: Depth=1
	v_mul_hi_u32 v20, v11, s40
	s_waitcnt lgkmcnt(0)
	v_mul_lo_u32 v23, v20, s21
	v_sub_u32_e32 v23, v11, v23
	v_add_u32_e32 v24, 1, v20
	v_cmp_le_u32_e64 s[0:1], s21, v23
	s_nop 1
	v_cndmask_b32_e64 v20, v20, v24, s[0:1]
	v_subrev_u32_e32 v24, s21, v23
	v_cndmask_b32_e64 v23, v23, v24, s[0:1]
	v_add_u32_e32 v24, 1, v20
	v_cmp_le_u32_e64 s[0:1], s21, v23
	s_nop 1
	v_cndmask_b32_e64 v20, v20, v24, s[0:1]
	v_xor_b32_e32 v20, s42, v20
	v_subrev_u32_e32 v20, s42, v20
	v_add_u32_e32 v23, s41, v20
	v_sub_u32_e32 v25, 0, v23
	v_ashrrev_i32_e32 v24, 31, v23
	v_max_i32_e32 v23, v23, v25
	v_mul_hi_u32 v25, v23, v10
	v_mul_lo_u32 v25, v25, s15
	v_sub_u32_e32 v23, v23, v25
	v_subrev_u32_e32 v25, s15, v23
	v_cmp_le_u32_e64 s[0:1], s15, v23
	v_cmp_ge_i32_e64 s[8:9], s16, v20
	s_nop 0
	v_cndmask_b32_e64 v23, v23, v25, s[0:1]
	v_subrev_u32_e32 v25, s15, v23
	v_cmp_le_u32_e64 s[0:1], s15, v23
	s_nop 1
	v_cndmask_b32_e64 v23, v23, v25, s[0:1]
	v_xor_b32_e32 v23, v23, v24
	v_sub_u32_e32 v23, v23, v24
	v_cmp_ne_u32_e64 s[0:1], 0, v23
	s_and_b64 s[0:1], s[0:1], s[8:9]
	s_and_saveexec_b64 s[8:9], s[0:1]
	s_xor_b64 s[0:1], exec, s[8:9]
	s_cbranch_execz .LBB77_17
; %bb.14:                               ;   in Loop: Header=BB77_13 Depth=1
	s_and_saveexec_b64 s[8:9], vcc
; %bb.15:                               ;   in Loop: Header=BB77_13 Depth=1
	ds_write_b32 v13, v14
; %bb.16:                               ;   in Loop: Header=BB77_13 Depth=1
	s_or_b64 exec, exec, s[8:9]
.LBB77_17:                              ;   in Loop: Header=BB77_13 Depth=1
	s_andn2_saveexec_b64 s[8:9], s[0:1]
	s_cbranch_execz .LBB77_12
; %bb.18:                               ;   in Loop: Header=BB77_13 Depth=1
	global_load_dword v20, v[4:5], off
	s_waitcnt vmcnt(0)
	v_mad_i64_i32 v[24:25], s[0:1], v20, s19, 0
	v_lshl_add_u64 v[38:39], v[24:25], 1, v[2:3]
	global_load_dword v36, v[38:39], off
	global_load_dword v35, v[38:39], off offset:256
	global_load_dword v34, v[38:39], off offset:512
	;; [unrolled: 1-line block ×12, first 2 shown]
	ds_read_b32 v37, v8
	global_load_dword v23, v[38:39], off offset:3328
	global_load_dword v20, v[38:39], off offset:3584
	v_cmp_lt_i32_e64 s[0:1], v17, v16
	s_waitcnt lgkmcnt(0)
	v_lshrrev_b32_e32 v39, 16, v37
	v_and_b32_e32 v37, 0xffff, v37
	;;#ASMSTART
	v_cvt_f32_f16 v37, v37;
	;;#ASMEND
	;;#ASMSTART
	v_cvt_f32_f16 v39, v39;
	;;#ASMEND
	v_cndmask_b32_e64 v38, v15, v17, s[0:1]
	v_lshlrev_b32_e32 v38, 2, v38
	v_cmp_lt_i32_e64 s[0:1], v18, v16
	s_waitcnt vmcnt(14)
	v_lshrrev_b32_e32 v40, 16, v36
	v_and_b32_e32 v36, 0xffff, v36
	;;#ASMSTART
	v_cvt_f32_f16 v36, v36;
	;;#ASMEND
	;;#ASMSTART
	v_cvt_f32_f16 v40, v40;
	;;#ASMEND
	ds_read_b32 v41, v8 offset:4
	s_waitcnt vmcnt(13)
	v_lshrrev_b32_e32 v42, 16, v35
	v_and_b32_e32 v43, 0xffff, v35
	s_waitcnt vmcnt(12)
	v_lshrrev_b32_e32 v44, 16, v34
	v_and_b32_e32 v45, 0xffff, v34
	s_waitcnt lgkmcnt(0)
	v_lshrrev_b32_e32 v35, 16, v41
	v_and_b32_e32 v34, 0xffff, v41
	;;#ASMSTART
	v_cvt_f32_f16 v34, v34;
	;;#ASMEND
	;;#ASMSTART
	v_cvt_f32_f16 v35, v35;
	;;#ASMEND
	;;#ASMSTART
	v_cvt_f32_f16 v41, v43;
	;;#ASMEND
	;;#ASMSTART
	v_cvt_f32_f16 v42, v42;
	;;#ASMEND
	ds_read_b32 v43, v8 offset:8
	s_waitcnt vmcnt(11)
	v_lshrrev_b32_e32 v46, 16, v33
	v_and_b32_e32 v47, 0xffff, v33
	s_waitcnt vmcnt(10)
	v_lshrrev_b32_e32 v48, 16, v32
	v_and_b32_e32 v49, 0xffff, v32
	s_waitcnt lgkmcnt(0)
	v_lshrrev_b32_e32 v33, 16, v43
	v_and_b32_e32 v32, 0xffff, v43
	;;#ASMSTART
	v_cvt_f32_f16 v32, v32;
	;;#ASMEND
	;;#ASMSTART
	v_cvt_f32_f16 v33, v33;
	;;#ASMEND
	;;#ASMSTART
	v_cvt_f32_f16 v43, v45;
	;;#ASMEND
	;;#ASMSTART
	v_cvt_f32_f16 v44, v44;
	;;#ASMEND
	ds_read_b32 v45, v8 offset:12
	s_waitcnt vmcnt(9)
	v_lshrrev_b32_e32 v50, 16, v31
	v_and_b32_e32 v51, 0xffff, v31
	s_waitcnt vmcnt(8)
	v_lshrrev_b32_e32 v52, 16, v30
	v_and_b32_e32 v53, 0xffff, v30
	s_waitcnt lgkmcnt(0)
	v_lshrrev_b32_e32 v31, 16, v45
	v_and_b32_e32 v30, 0xffff, v45
	;;#ASMSTART
	v_cvt_f32_f16 v30, v30;
	;;#ASMEND
	;;#ASMSTART
	v_cvt_f32_f16 v31, v31;
	;;#ASMEND
	;;#ASMSTART
	v_cvt_f32_f16 v45, v47;
	;;#ASMEND
	;;#ASMSTART
	v_cvt_f32_f16 v46, v46;
	;;#ASMEND
	ds_read_b32 v47, v8 offset:16
	s_waitcnt vmcnt(7)
	v_lshrrev_b32_e32 v54, 16, v29
	v_and_b32_e32 v55, 0xffff, v29
	s_waitcnt vmcnt(6)
	v_lshrrev_b32_e32 v56, 16, v28
	v_and_b32_e32 v57, 0xffff, v28
	s_waitcnt lgkmcnt(0)
	v_lshrrev_b32_e32 v29, 16, v47
	v_and_b32_e32 v28, 0xffff, v47
	;;#ASMSTART
	v_cvt_f32_f16 v28, v28;
	;;#ASMEND
	;;#ASMSTART
	v_cvt_f32_f16 v29, v29;
	;;#ASMEND
	;;#ASMSTART
	v_cvt_f32_f16 v47, v49;
	;;#ASMEND
	;;#ASMSTART
	v_cvt_f32_f16 v48, v48;
	;;#ASMEND
	ds_read_b32 v49, v8 offset:20
	s_waitcnt vmcnt(5)
	v_lshrrev_b32_e32 v58, 16, v27
	v_and_b32_e32 v59, 0xffff, v27
	s_waitcnt vmcnt(4)
	v_lshrrev_b32_e32 v60, 16, v26
	v_and_b32_e32 v61, 0xffff, v26
	s_waitcnt lgkmcnt(0)
	v_lshrrev_b32_e32 v27, 16, v49
	v_and_b32_e32 v26, 0xffff, v49
	;;#ASMSTART
	v_cvt_f32_f16 v26, v26;
	;;#ASMEND
	;;#ASMSTART
	v_cvt_f32_f16 v27, v27;
	;;#ASMEND
	;;#ASMSTART
	v_cvt_f32_f16 v49, v51;
	;;#ASMEND
	;;#ASMSTART
	v_cvt_f32_f16 v50, v50;
	;;#ASMEND
	ds_read_b32 v51, v8 offset:24
	s_waitcnt vmcnt(3)
	v_lshrrev_b32_e32 v62, 16, v25
	v_and_b32_e32 v63, 0xffff, v25
	s_waitcnt vmcnt(2)
	v_lshrrev_b32_e32 v64, 16, v24
	v_and_b32_e32 v65, 0xffff, v24
	s_waitcnt lgkmcnt(0)
	v_lshrrev_b32_e32 v25, 16, v51
	v_and_b32_e32 v24, 0xffff, v51
	;;#ASMSTART
	v_cvt_f32_f16 v24, v24;
	;;#ASMEND
	;;#ASMSTART
	v_cvt_f32_f16 v25, v25;
	;;#ASMEND
	;;#ASMSTART
	v_cvt_f32_f16 v51, v53;
	;;#ASMEND
	;;#ASMSTART
	v_cvt_f32_f16 v52, v52;
	;;#ASMEND
	ds_read_b32 v53, v8 offset:28
	s_waitcnt vmcnt(1)
	v_lshrrev_b32_e32 v66, 16, v23
	v_and_b32_e32 v67, 0xffff, v23
	s_waitcnt vmcnt(0)
	v_lshrrev_b32_e32 v68, 16, v20
	v_and_b32_e32 v69, 0xffff, v20
	s_waitcnt lgkmcnt(0)
	v_lshrrev_b32_e32 v23, 16, v53
	v_and_b32_e32 v20, 0xffff, v53
	;;#ASMSTART
	v_cvt_f32_f16 v20, v20;
	;;#ASMEND
	;;#ASMSTART
	v_cvt_f32_f16 v23, v23;
	;;#ASMEND
	;;#ASMSTART
	v_cvt_f32_f16 v53, v55;
	;;#ASMEND
	;;#ASMSTART
	v_cvt_f32_f16 v54, v54;
	;;#ASMEND
	ds_read_b32 v55, v8 offset:32
	v_mul_f32_e32 v34, v34, v41
	v_mul_f32_e32 v35, v35, v42
	v_fmac_f32_e32 v34, v37, v36
	v_fmac_f32_e32 v35, v39, v40
	s_waitcnt lgkmcnt(0)
	v_lshrrev_b32_e32 v37, 16, v55
	v_and_b32_e32 v36, 0xffff, v55
	;;#ASMSTART
	v_cvt_f32_f16 v36, v36;
	;;#ASMEND
	;;#ASMSTART
	v_cvt_f32_f16 v37, v37;
	;;#ASMEND
	;;#ASMSTART
	v_cvt_f32_f16 v39, v57;
	;;#ASMEND
	;;#ASMSTART
	v_cvt_f32_f16 v40, v56;
	;;#ASMEND
	ds_read_b32 v41, v8 offset:36
	v_fmac_f32_e32 v34, v32, v43
	v_fmac_f32_e32 v35, v33, v44
	v_fmac_f32_e32 v34, v30, v45
	v_fmac_f32_e32 v35, v31, v46
	s_waitcnt lgkmcnt(0)
	v_lshrrev_b32_e32 v31, 16, v41
	v_and_b32_e32 v30, 0xffff, v41
	;;#ASMSTART
	v_cvt_f32_f16 v30, v30;
	;;#ASMEND
	;;#ASMSTART
	v_cvt_f32_f16 v31, v31;
	;;#ASMEND
	;;#ASMSTART
	v_cvt_f32_f16 v32, v59;
	;;#ASMEND
	;;#ASMSTART
	v_cvt_f32_f16 v33, v58;
	;;#ASMEND
	ds_read_b32 v41, v8 offset:40
	v_fmac_f32_e32 v34, v28, v47
	v_fmac_f32_e32 v35, v29, v48
	;; [unrolled: 20-line block ×6, first 2 shown]
	v_fmac_f32_e32 v34, v20, v24
	v_fmac_f32_e32 v35, v23, v25
	s_waitcnt lgkmcnt(0)
	v_lshrrev_b32_e32 v23, 16, v26
	v_and_b32_e32 v20, 0xffff, v26
	;;#ASMSTART
	v_cvt_f32_f16 v20, v20;
	;;#ASMEND
	;;#ASMSTART
	v_cvt_f32_f16 v23, v23;
	;;#ASMEND
	;; [unrolled: 3-line block ×4, first 2 shown]
	s_nop 0
	v_fmac_f32_e32 v34, v20, v24
	v_fmac_f32_e32 v35, v23, v25
	v_add_f32_e32 v20, v34, v35
	ds_bpermute_b32 v23, v38, v20
	v_cndmask_b32_e64 v24, v15, v18, s[0:1]
	s_waitcnt lgkmcnt(0)
	v_add_f32_e32 v20, v20, v23
	v_lshlrev_b32_e32 v23, 2, v24
	ds_bpermute_b32 v23, v23, v20
	s_and_saveexec_b64 s[38:39], vcc
	s_cbranch_execz .LBB77_11
; %bb.19:                               ;   in Loop: Header=BB77_13 Depth=1
	v_add_u32_e32 v24, v12, v11
	v_cvt_f32_i32_e32 v24, v24
	s_waitcnt lgkmcnt(0)
	v_add_f32_e32 v20, v20, v23
	v_add_u32_e32 v25, v7, v11
	v_cmp_gt_i32_e64 s[0:1], s33, v25
	v_mul_f32_e32 v23, s44, v24
	v_cndmask_b32_e64 v23, 0, v23, s[2:3]
	v_fmac_f32_e32 v23, s31, v20
	v_cndmask_b32_e64 v20, 0, v23, s[0:1]
	ds_write_b32 v13, v20
	v_max_f32_e32 v20, v9, v9
	v_max_f32_e32 v20, v20, v23
	v_cndmask_b32_e64 v9, v9, v20, s[0:1]
	s_branch .LBB77_11
.LBB77_20:
	s_or_b64 exec, exec, s[36:37]
.LBB77_21:
	s_or_b64 exec, exec, s[34:35]
	v_mbcnt_hi_u32_b32 v2, -1, v6
	v_and_b32_e32 v11, 64, v2
	v_add_u32_e32 v3, 64, v11
	v_xor_b32_e32 v4, 32, v2
	v_cmp_lt_i32_e32 vcc, v4, v3
	v_xor_b32_e32 v7, 16, v2
	v_max_f32_e32 v6, v9, v9
	v_cndmask_b32_e32 v4, v2, v4, vcc
	v_lshlrev_b32_e32 v5, 2, v4
	ds_bpermute_b32 v4, v5, v9
	v_cmp_lt_i32_e32 vcc, v7, v3
	v_xor_b32_e32 v8, 8, v2
	v_xor_b32_e32 v10, 4, v2
	s_waitcnt lgkmcnt(0)
	v_max_f32_e32 v4, v4, v4
	v_max_f32_e32 v4, v6, v4
	v_cndmask_b32_e32 v6, v2, v7, vcc
	v_lshlrev_b32_e32 v6, 2, v6
	ds_bpermute_b32 v7, v6, v4
	v_cmp_lt_i32_e32 vcc, v8, v3
	s_waitcnt lgkmcnt(0)
	v_max_f32_e32 v7, v7, v7
	v_max_f32_e32 v4, v4, v7
	v_cndmask_b32_e32 v7, v2, v8, vcc
	v_lshlrev_b32_e32 v9, 2, v7
	ds_bpermute_b32 v7, v9, v4
	v_cmp_lt_i32_e32 vcc, v10, v3
	s_waitcnt lgkmcnt(0)
	v_max_f32_e32 v7, v7, v7
	v_max_f32_e32 v8, v4, v7
	v_cndmask_b32_e32 v4, v2, v10, vcc
	v_lshlrev_b32_e32 v10, 2, v4
	ds_bpermute_b32 v12, v10, v8
	v_and_b32_e32 v4, 63, v0
	v_cmp_eq_u32_e32 vcc, 0, v4
	v_lshlrev_b32_e32 v7, 2, v21
	s_and_saveexec_b64 s[0:1], vcc
	s_cbranch_execz .LBB77_23
; %bb.22:
	s_waitcnt lgkmcnt(0)
	v_max_f32_e32 v12, v12, v12
	v_max_f32_e32 v8, v8, v8
	;; [unrolled: 1-line block ×3, first 2 shown]
	ds_write_b32 v7, v8 offset:240
.LBB77_23:
	s_or_b64 exec, exec, s[0:1]
	v_cmp_gt_u32_e64 s[0:1], 2, v4
	s_waitcnt lgkmcnt(0)
	v_mov_b32_e32 v12, 0xff7fffff
	v_lshlrev_b32_e32 v8, 2, v4
	s_barrier
	s_and_saveexec_b64 s[2:3], s[0:1]
; %bb.24:
	ds_read_b32 v12, v8 offset:240
; %bb.25:
	s_or_b64 exec, exec, s[2:3]
	v_xor_b32_e32 v13, 1, v2
	v_cmp_lt_i32_e64 s[2:3], v13, v3
	v_lshlrev_b32_e32 v11, 2, v11
	s_nop 0
	v_cndmask_b32_e64 v13, v2, v13, s[2:3]
	v_lshlrev_b32_e32 v23, 2, v13
	s_waitcnt lgkmcnt(0)
	ds_bpermute_b32 v13, v23, v12
	v_max_f32_e32 v12, v12, v12
	s_lshl_b32 s2, s43, 4
	s_min_i32 s15, s2, s33
	v_cmp_gt_i32_e64 s[2:3], s15, v0
	s_waitcnt lgkmcnt(0)
	v_max_f32_e32 v13, v13, v13
	v_max_f32_e32 v12, v12, v13
	ds_bpermute_b32 v12, v11, v12
	v_mov_b32_e32 v11, 0
	s_and_saveexec_b64 s[30:31], s[2:3]
	s_cbranch_execz .LBB77_29
; %bb.26:
	v_mov_b32_e32 v11, 0x100
	v_lshl_add_u32 v13, v0, 2, v11
	v_mov_b32_e32 v11, 0
	s_mov_b64 s[34:35], 0
	v_mov_b32_e32 v14, v0
.LBB77_27:                              ; =>This Inner Loop Header: Depth=1
	ds_read_b32 v15, v13
	v_add_u32_e32 v14, 0x80, v14
	v_cmp_le_i32_e64 s[8:9], s15, v14
	s_or_b64 s[34:35], s[8:9], s[34:35]
	s_waitcnt lgkmcnt(0)
	v_sub_f32_e32 v15, v15, v12
	v_mul_f32_e32 v15, 0x3fb8aa3b, v15
	v_exp_f32_e32 v15, v15
	ds_write_b32 v13, v15
	v_add_f32_e32 v11, v11, v15
	v_add_u32_e32 v13, 0x200, v13
	s_andn2_b64 exec, exec, s[34:35]
	s_cbranch_execnz .LBB77_27
; %bb.28:
	s_or_b64 exec, exec, s[34:35]
.LBB77_29:
	s_or_b64 exec, exec, s[30:31]
	ds_bpermute_b32 v5, v5, v11
	s_waitcnt lgkmcnt(0)
	v_add_f32_e32 v5, v11, v5
	ds_bpermute_b32 v6, v6, v5
	s_waitcnt lgkmcnt(0)
	v_add_f32_e32 v5, v5, v6
	ds_bpermute_b32 v6, v9, v5
	v_xor_b32_e32 v9, 2, v2
	v_cmp_lt_i32_e64 s[8:9], v9, v3
	s_waitcnt lgkmcnt(0)
	v_add_f32_e32 v5, v5, v6
	ds_bpermute_b32 v6, v10, v5
	v_cndmask_b32_e64 v3, v2, v9, s[8:9]
	v_lshlrev_b32_e32 v3, 2, v3
	s_waitcnt lgkmcnt(0)
	v_add_f32_e32 v5, v5, v6
	ds_bpermute_b32 v3, v3, v5
	s_waitcnt lgkmcnt(0)
	v_add_f32_e32 v3, v5, v3
	ds_bpermute_b32 v5, v23, v3
	s_waitcnt lgkmcnt(0)
	v_add_f32_e32 v3, v3, v5
	s_and_saveexec_b64 s[8:9], vcc
; %bb.30:
	ds_write_b32 v7, v3 offset:248
; %bb.31:
	s_or_b64 exec, exec, s[8:9]
	s_waitcnt lgkmcnt(0)
	s_barrier
	s_and_saveexec_b64 s[8:9], s[0:1]
; %bb.32:
	ds_read_b32 v3, v8 offset:248
; %bb.33:
	s_or_b64 exec, exec, s[8:9]
	s_waitcnt lgkmcnt(0)
	ds_bpermute_b32 v5, v23, v3
	v_lshlrev_b32_e32 v2, 2, v2
	v_and_b32_e32 v2, 0x100, v2
	s_waitcnt lgkmcnt(0)
	v_add_f32_e32 v3, v3, v5
	ds_bpermute_b32 v2, v2, v3
	s_and_saveexec_b64 s[0:1], s[2:3]
	s_cbranch_execz .LBB77_46
; %bb.34:
	s_waitcnt lgkmcnt(0)
	v_add_f32_e32 v2, 0x358637bd, v2
	v_div_scale_f32 v3, s[2:3], v2, v2, 1.0
	v_rcp_f32_e32 v5, v3
	v_div_scale_f32 v6, vcc, 1.0, v2, 1.0
	s_movk_i32 s2, 0x7f
	v_fma_f32 v7, -v3, v5, 1.0
	v_fmac_f32_e32 v5, v7, v5
	v_mul_f32_e32 v7, v6, v5
	v_fma_f32 v8, -v3, v7, v6
	v_fmac_f32_e32 v7, v8, v5
	v_fma_f32 v3, -v3, v7, v6
	v_div_fmas_f32 v3, v3, v5, v7
	v_xad_u32 v5, v0, -1, s15
	v_div_fixup_f32 v2, v3, v2, 1.0
	v_cmp_lt_u32_e32 vcc, s2, v5
	s_mov_b64 s[8:9], -1
	v_mov_b32_e32 v3, v0
	s_and_saveexec_b64 s[2:3], vcc
	s_cbranch_execz .LBB77_43
; %bb.35:
	v_lshrrev_b32_e32 v5, 7, v5
	v_add_u32_e32 v7, -1, v5
	v_lshrrev_b32_e32 v6, 1, v7
	v_mov_b32_e32 v3, v2
	v_add_u32_e32 v6, 1, v6
	v_cmp_lt_u32_e32 vcc, 13, v7
	v_mov_b32_e32 v9, 0
	s_and_saveexec_b64 s[8:9], vcc
	s_cbranch_execz .LBB77_39
; %bb.36:
	v_mov_b32_e32 v8, 0x100
	v_and_b32_e32 v7, -8, v6
	v_lshl_add_u32 v8, v0, 2, v8
	s_mov_b32 s16, 0
	s_mov_b64 s[30:31], 0
.LBB77_37:                              ; =>This Inner Loop Header: Depth=1
	ds_read2st64_b32 v[10:11], v8 offset1:2
	ds_read2st64_b32 v[12:13], v8 offset0:4 offset1:6
	ds_read2st64_b32 v[14:15], v8 offset0:8 offset1:10
	;; [unrolled: 1-line block ×3, first 2 shown]
	v_add_u32_e32 v7, -8, v7
	s_waitcnt lgkmcnt(3)
	v_pk_mul_f32 v[10:11], v[2:3], v[10:11]
	s_waitcnt lgkmcnt(2)
	v_pk_mul_f32 v[12:13], v[2:3], v[12:13]
	ds_write2st64_b32 v8, v10, v11 offset1:2
	ds_write2st64_b32 v8, v12, v13 offset0:4 offset1:6
	ds_read2st64_b32 v[12:13], v8 offset0:16 offset1:18
	s_waitcnt lgkmcnt(4)
	v_pk_mul_f32 v[10:11], v[2:3], v[14:15]
	ds_write2st64_b32 v8, v10, v11 offset0:8 offset1:10
	s_waitcnt lgkmcnt(4)
	v_pk_mul_f32 v[10:11], v[2:3], v[16:17]
	ds_write2st64_b32 v8, v10, v11 offset0:12 offset1:14
	ds_read2st64_b32 v[10:11], v8 offset0:20 offset1:22
	s_waitcnt lgkmcnt(3)
	v_pk_mul_f32 v[12:13], v[2:3], v[12:13]
	ds_read2st64_b32 v[14:15], v8 offset0:24 offset1:26
	ds_write2st64_b32 v8, v12, v13 offset0:16 offset1:18
	ds_read2st64_b32 v[12:13], v8 offset0:28 offset1:30
	s_waitcnt lgkmcnt(3)
	v_pk_mul_f32 v[10:11], v[2:3], v[10:11]
	ds_write2st64_b32 v8, v10, v11 offset0:20 offset1:22
	s_waitcnt lgkmcnt(3)
	v_pk_mul_f32 v[10:11], v[2:3], v[14:15]
	ds_write2st64_b32 v8, v10, v11 offset0:24 offset1:26
	s_waitcnt lgkmcnt(2)
	v_pk_mul_f32 v[10:11], v[2:3], v[12:13]
	s_add_i32 s16, s16, 16
	v_cmp_eq_u32_e32 vcc, 0, v7
	ds_write2st64_b32 v8, v10, v11 offset0:28 offset1:30
	v_add_u32_e32 v8, 0x2000, v8
	s_or_b64 s[30:31], vcc, s[30:31]
	v_mov_b32_e32 v9, s16
	s_andn2_b64 exec, exec, s[30:31]
	s_cbranch_execnz .LBB77_37
; %bb.38:
	s_or_b64 exec, exec, s[30:31]
.LBB77_39:
	s_or_b64 exec, exec, s[8:9]
	v_and_b32_e32 v6, 7, v6
	v_cmp_ne_u32_e32 vcc, 0, v6
	s_and_saveexec_b64 s[8:9], vcc
	s_cbranch_execz .LBB77_42
; %bb.40:
	v_lshlrev_b32_e32 v7, 9, v9
	v_lshlrev_b32_e32 v8, 2, v0
	s_movk_i32 s16, 0x100
	v_add3_u32 v7, v7, v8, s16
	s_mov_b64 s[30:31], 0
.LBB77_41:                              ; =>This Inner Loop Header: Depth=1
	ds_read2st64_b32 v[8:9], v7 offset1:2
	v_add_u32_e32 v6, -1, v6
	v_cmp_eq_u32_e32 vcc, 0, v6
	s_or_b64 s[30:31], vcc, s[30:31]
	s_waitcnt lgkmcnt(0)
	v_pk_mul_f32 v[8:9], v[2:3], v[8:9]
	ds_write2st64_b32 v7, v8, v9 offset1:2
	v_add_u32_e32 v7, 0x400, v7
	s_andn2_b64 exec, exec, s[30:31]
	s_cbranch_execnz .LBB77_41
.LBB77_42:
	s_or_b64 exec, exec, s[8:9]
	v_add_u32_e32 v5, 1, v5
	v_and_b32_e32 v6, 0x3fffffe, v5
	v_cmp_ne_u32_e32 vcc, v5, v6
	v_lshl_add_u32 v3, v6, 7, v0
	s_orn2_b64 s[8:9], vcc, exec
.LBB77_43:
	s_or_b64 exec, exec, s[2:3]
	s_and_b64 exec, exec, s[8:9]
	s_cbranch_execz .LBB77_46
; %bb.44:
	v_mov_b32_e32 v5, 0x100
	v_lshl_add_u32 v5, v3, 2, v5
	s_mov_b64 s[2:3], 0
.LBB77_45:                              ; =>This Inner Loop Header: Depth=1
	ds_read_b32 v6, v5
	v_add_u32_e32 v3, 0x80, v3
	v_cmp_le_i32_e32 vcc, s15, v3
	s_or_b64 s[2:3], vcc, s[2:3]
	s_waitcnt lgkmcnt(0)
	v_mul_f32_e32 v6, v2, v6
	ds_write_b32 v5, v6
	v_add_u32_e32 v5, 0x200, v5
	s_andn2_b64 exec, exec, s[2:3]
	s_cbranch_execnz .LBB77_45
.LBB77_46:
	s_or_b64 exec, exec, s[0:1]
	v_lshrrev_b32_e32 v24, 1, v4
	s_waitcnt lgkmcnt(0)
	s_barrier
	s_and_saveexec_b64 s[0:1], s[6:7]
	s_xor_b64 s[0:1], exec, s[0:1]
; %bb.47:
	v_lshrrev_b32_e32 v24, 1, v4
                                        ; implicit-def: $vgpr22
                                        ; implicit-def: $vgpr21
                                        ; implicit-def: $vgpr1
; %bb.48:
	s_or_saveexec_b64 s[6:7], s[0:1]
	v_mov_b32_e32 v7, 0
	v_and_b32_e32 v25, 1, v0
	v_mov_b32_e32 v6, 0
	v_mov_b32_e32 v9, 0
	;; [unrolled: 1-line block ×3, first 2 shown]
	s_xor_b64 exec, exec, s[6:7]
	s_cbranch_execz .LBB77_64
; %bb.49:
	s_ashr_i32 s15, s14, 31
	s_sub_i32 s30, s12, s17
	s_lshl_b64 s[0:1], s[14:15], 1
	s_add_u32 s8, s28, s0
	s_addc_u32 s9, s29, s1
	s_abs_i32 s28, s18
	v_cvt_f32_u32_e32 v3, s28
	s_sub_i32 s2, 0, s28
	v_lshlrev_b32_e32 v2, 3, v0
	s_add_i32 s29, s43, -1
	v_rcp_iflag_f32_e32 v3, v3
	v_and_b32_e32 v26, 8, v2
	v_or_b32_e32 v4, 0x60, v24
	s_movk_i32 s0, 0x78
	v_mul_f32_e32 v3, 0x4f7ffffe, v3
	v_cvt_u32_f32_e32 v3, v3
	v_and_b32_e32 v10, 60, v1
	v_lshlrev_b32_e32 v1, 5, v25
	v_lshl_or_b32 v2, v24, 4, v26
	v_mul_lo_u32 v5, s2, v3
	s_lshl_b64 s[2:3], s[26:27], 2
	s_add_u32 s2, s24, s2
	v_mov_b32_e32 v11, 0
	v_cmp_gt_u32_e64 s[0:1], s0, v4
	v_lshl_or_b32 v4, v4, 4, v26
	v_mul_hi_u32 v5, v3, v5
	s_addc_u32 s3, s25, s3
	v_lshl_or_b32 v1, v21, 6, v1
	s_mov_b32 s31, s13
	s_mov_b32 s34, s33
	v_add_u32_e32 v27, v3, v5
	v_lshl_add_u64 v[12:13], s[2:3], 0, v[10:11]
	v_add_u32_e32 v28, 0x100, v1
	s_mov_b64 s[12:13], 0
	v_lshlrev_b32_e32 v10, 1, v2
	s_mov_b32 s24, 0xffff
	v_lshlrev_b32_e32 v14, 1, v4
	v_mov_b32_e32 v8, v11
	v_mov_b32_e32 v9, v11
	;; [unrolled: 1-line block ×4, first 2 shown]
	s_branch .LBB77_53
.LBB77_50:                              ;   in Loop: Header=BB77_53 Depth=1
	s_or_b64 exec, exec, s[18:19]
	v_lshlrev_b32_e32 v16, 16, v16
	v_lshlrev_b32_e32 v1, 16, v1
	v_and_or_b32 v2, v2, s24, v16
	v_and_or_b32 v1, v3, s24, v1
	v_lshlrev_b32_e32 v3, 16, v15
	v_and_or_b32 v3, v4, s24, v3
	;;#ASMSTART
	v_pk_mul_f16 v2, v33, v2;

	;;#ASMEND
	;;#ASMSTART
	v_pk_mul_f16 v1, v34, v1;

	;;#ASMEND
	;; [unrolled: 4-line block ×4, first 2 shown]
	s_nop 0
	;;#ASMSTART
	v_pk_add_f16 v1, v2, v1;

	;;#ASMEND
	s_nop 0
	;;#ASMSTART
	v_pk_add_f16 v1, v1, v3;

	;;#ASMEND
	;; [unrolled: 5-line block ×3, first 2 shown]
	s_nop 0
	v_lshrrev_b32_e32 v2, 16, v1
	v_and_b32_e32 v1, 0xffff, v1
	;;#ASMSTART
	v_cvt_f32_f16 v1, v1;
	;;#ASMEND
	;;#ASMSTART
	v_cvt_f32_f16 v2, v2;
	;;#ASMEND
	s_nop 0
	v_add_f32_e32 v1, v1, v2
	v_add_f32_e32 v7, v7, v1
.LBB77_51:                              ;   in Loop: Header=BB77_53 Depth=1
	s_or_b64 exec, exec, s[16:17]
	v_add_f32_e32 v1, v20, v36
	v_add_f32_e32 v9, v9, v1
	;; [unrolled: 1-line block ×6, first 2 shown]
.LBB77_52:                              ;   in Loop: Header=BB77_53 Depth=1
	s_or_b64 exec, exec, s[14:15]
	v_add_u32_e32 v21, 2, v21
	v_cmp_le_i32_e32 vcc, s43, v21
	v_lshl_add_u64 v[12:13], v[12:13], 0, 8
	v_add_u32_e32 v22, 32, v22
	s_or_b64 s[12:13], vcc, s[12:13]
	v_add_u32_e32 v28, 0x80, v28
	s_andn2_b64 exec, exec, s[12:13]
	s_cbranch_execz .LBB77_63
.LBB77_53:                              ; =>This Inner Loop Header: Depth=1
	v_mul_hi_u32 v1, v22, s40
	v_mul_lo_u32 v2, v1, s21
	v_sub_u32_e32 v2, v22, v2
	v_add_u32_e32 v3, 1, v1
	v_cmp_le_u32_e32 vcc, s21, v2
	s_nop 1
	v_cndmask_b32_e32 v1, v1, v3, vcc
	v_subrev_u32_e32 v3, s21, v2
	v_cndmask_b32_e32 v2, v2, v3, vcc
	v_add_u32_e32 v3, 1, v1
	v_cmp_le_u32_e32 vcc, s21, v2
	s_nop 1
	v_cndmask_b32_e32 v1, v1, v3, vcc
	v_xor_b32_e32 v1, s42, v1
	v_subrev_u32_e32 v1, s42, v1
	v_add_u32_e32 v2, s41, v1
	v_sub_u32_e32 v4, 0, v2
	v_ashrrev_i32_e32 v3, 31, v2
	v_max_i32_e32 v2, v2, v4
	v_mul_hi_u32 v4, v2, v27
	v_mul_lo_u32 v4, v4, s28
	v_sub_u32_e32 v2, v2, v4
	v_subrev_u32_e32 v4, s28, v2
	v_cmp_le_u32_e32 vcc, s28, v2
	v_cmp_lt_i32_e64 s[2:3], s30, v1
	s_nop 0
	v_cndmask_b32_e32 v2, v2, v4, vcc
	v_subrev_u32_e32 v4, s28, v2
	v_cmp_le_u32_e32 vcc, s28, v2
	s_nop 1
	v_cndmask_b32_e32 v2, v2, v4, vcc
	v_xor_b32_e32 v2, v2, v3
	v_sub_u32_e32 v2, v2, v3
	v_cmp_eq_u32_e32 vcc, 0, v2
	s_or_b64 s[2:3], vcc, s[2:3]
	s_and_saveexec_b64 s[14:15], s[2:3]
	s_cbranch_execz .LBB77_52
; %bb.54:                               ;   in Loop: Header=BB77_53 Depth=1
	global_load_dword v1, v[12:13], off
	ds_read2_b64 v[2:5], v28 offset1:1
	ds_read2_b64 v[16:19], v28 offset0:2 offset1:3
	v_add_u32_e32 v29, v26, v22
	s_waitcnt lgkmcnt(1)
	;;#ASMSTART
	v_cvt_f16_f32 v15, v2;

	;;#ASMEND
	;;#ASMSTART
	v_cvt_f16_f32 v30, v3;

	;;#ASMEND
	;; [unrolled: 4-line block ×4, first 2 shown]
	s_waitcnt lgkmcnt(0)
	;;#ASMSTART
	v_cvt_f16_f32 v35, v16;

	;;#ASMEND
	;;#ASMSTART
	v_cvt_f16_f32 v36, v17;

	;;#ASMEND
	;; [unrolled: 4-line block ×4, first 2 shown]
	s_waitcnt vmcnt(0)
	v_mad_i64_i32 v[2:3], s[2:3], v1, s31, 0
	v_lshl_add_u64 v[16:17], v[2:3], 1, s[8:9]
	v_lshl_add_u64 v[18:19], v[16:17], 0, v[10:11]
	global_load_dwordx4 v[2:5], v[18:19], off
	v_cmp_eq_u32_e64 s[2:3], s29, v21
	s_waitcnt vmcnt(0)
	v_lshrrev_b32_e32 v1, 16, v3
	v_lshrrev_b32_e32 v20, 16, v2
	;; [unrolled: 1-line block ×3, first 2 shown]
	s_and_saveexec_b64 s[16:17], s[2:3]
	s_cbranch_execz .LBB77_56
; %bb.55:                               ;   in Loop: Header=BB77_53 Depth=1
	v_cmp_gt_i32_e32 vcc, s33, v29
	v_add_u32_e32 v40, 2, v29
	v_or_b32_e32 v33, 3, v29
	v_cndmask_b32_e32 v2, 0, v2, vcc
	v_cmp_gt_i32_e32 vcc, s33, v40
	v_or_b32_e32 v34, 1, v29
	s_nop 0
	v_cndmask_b32_e32 v3, 0, v3, vcc
	v_cmp_gt_i32_e32 vcc, s34, v33
	v_add_u32_e32 v33, 4, v29
	s_nop 0
	v_cndmask_b32_e32 v1, 0, v1, vcc
	v_cmp_gt_i32_e32 vcc, s33, v34
	v_add_u32_e32 v34, 7, v29
	;; [unrolled: 4-line block ×4, first 2 shown]
	s_nop 0
	v_cndmask_b32_e32 v39, 0, v39, vcc
	v_cmp_gt_i32_e32 vcc, s33, v33
	s_nop 1
	v_cndmask_b32_sdwa v33, v11, v5, vcc dst_sel:DWORD dst_unused:UNUSED_PAD src0_sel:DWORD src1_sel:WORD_0
	v_and_b32_e32 v5, 0xffff0000, v5
	v_cmp_gt_i32_e32 vcc, s33, v34
	s_nop 1
	v_cndmask_b32_e32 v5, 0, v5, vcc
	v_or_b32_e32 v5, v33, v5
.LBB77_56:                              ;   in Loop: Header=BB77_53 Depth=1
	s_or_b64 exec, exec, s[16:17]
	v_and_b32_e32 v15, 0xffff, v15
	v_lshl_or_b32 v33, v30, 16, v15
	v_and_b32_e32 v15, 0xffff, v31
	v_lshl_or_b32 v34, v32, 16, v15
	;; [unrolled: 2-line block ×4, first 2 shown]
	v_lshlrev_b32_e32 v15, 16, v20
	v_lshlrev_b32_e32 v1, 16, v1
	v_and_or_b32 v2, v2, s24, v15
	v_and_or_b32 v1, v3, s24, v1
	v_lshlrev_b32_e32 v3, 16, v39
	v_and_or_b32 v3, v4, s24, v3
	;;#ASMSTART
	v_pk_mul_f16 v2, v33, v2;

	;;#ASMEND
	;;#ASMSTART
	v_pk_mul_f16 v1, v34, v1;

	;;#ASMEND
	;; [unrolled: 4-line block ×4, first 2 shown]
	s_nop 0
	;;#ASMSTART
	v_pk_add_f16 v1, v2, v1;

	;;#ASMEND
	s_nop 0
	;;#ASMSTART
	v_pk_add_f16 v1, v1, v3;

	;;#ASMEND
	;; [unrolled: 5-line block ×3, first 2 shown]
	s_nop 0
	v_lshrrev_b32_e32 v2, 16, v1
	v_and_b32_e32 v1, 0xffff, v1
	;;#ASMSTART
	v_cvt_f32_f16 v30, v1;
	;;#ASMEND
	;;#ASMSTART
	v_cvt_f32_f16 v31, v2;
	;;#ASMEND
	global_load_dwordx4 v[2:5], v[18:19], off offset:1024
	s_waitcnt vmcnt(0)
	v_lshrrev_b32_e32 v1, 16, v3
	v_lshrrev_b32_e32 v20, 16, v2
	;; [unrolled: 1-line block ×3, first 2 shown]
	s_and_saveexec_b64 s[16:17], s[2:3]
	s_cbranch_execz .LBB77_58
; %bb.57:                               ;   in Loop: Header=BB77_53 Depth=1
	v_cmp_gt_i32_e32 vcc, s33, v29
	v_add_u32_e32 v38, 2, v29
	v_or_b32_e32 v36, 3, v29
	v_cndmask_b32_e32 v2, 0, v2, vcc
	v_cmp_gt_i32_e32 vcc, s33, v38
	v_or_b32_e32 v37, 1, v29
	s_nop 0
	v_cndmask_b32_e32 v3, 0, v3, vcc
	v_cmp_gt_i32_e32 vcc, s34, v36
	v_add_u32_e32 v36, 4, v29
	s_nop 0
	v_cndmask_b32_e32 v1, 0, v1, vcc
	v_cmp_gt_i32_e32 vcc, s33, v37
	v_add_u32_e32 v37, 7, v29
	;; [unrolled: 4-line block ×4, first 2 shown]
	s_nop 0
	v_cndmask_b32_e32 v15, 0, v15, vcc
	v_cmp_gt_i32_e32 vcc, s33, v36
	s_nop 1
	v_cndmask_b32_sdwa v36, v11, v5, vcc dst_sel:DWORD dst_unused:UNUSED_PAD src0_sel:DWORD src1_sel:WORD_0
	v_and_b32_e32 v5, 0xffff0000, v5
	v_cmp_gt_i32_e32 vcc, s33, v37
	s_nop 1
	v_cndmask_b32_e32 v5, 0, v5, vcc
	v_or_b32_e32 v5, v36, v5
.LBB77_58:                              ;   in Loop: Header=BB77_53 Depth=1
	s_or_b64 exec, exec, s[16:17]
	v_lshlrev_b32_e32 v20, 16, v20
	v_lshlrev_b32_e32 v1, 16, v1
	v_and_or_b32 v2, v2, s24, v20
	v_and_or_b32 v1, v3, s24, v1
	v_lshlrev_b32_e32 v3, 16, v15
	v_and_or_b32 v3, v4, s24, v3
	;;#ASMSTART
	v_pk_mul_f16 v2, v33, v2;

	;;#ASMEND
	;;#ASMSTART
	v_pk_mul_f16 v1, v34, v1;

	;;#ASMEND
	;; [unrolled: 4-line block ×4, first 2 shown]
	s_nop 0
	;;#ASMSTART
	v_pk_add_f16 v1, v2, v1;

	;;#ASMEND
	s_nop 0
	;;#ASMSTART
	v_pk_add_f16 v1, v1, v3;

	;;#ASMEND
	;; [unrolled: 5-line block ×3, first 2 shown]
	s_nop 0
	v_lshrrev_b32_e32 v2, 16, v1
	v_and_b32_e32 v1, 0xffff, v1
	;;#ASMSTART
	v_cvt_f32_f16 v20, v1;
	;;#ASMEND
	;;#ASMSTART
	v_cvt_f32_f16 v36, v2;
	;;#ASMEND
	global_load_dwordx4 v[2:5], v[18:19], off offset:2048
	s_waitcnt vmcnt(0)
	v_lshrrev_b32_e32 v1, 16, v3
	v_lshrrev_b32_e32 v18, 16, v2
	;; [unrolled: 1-line block ×3, first 2 shown]
	s_and_saveexec_b64 s[16:17], s[2:3]
	s_cbranch_execz .LBB77_60
; %bb.59:                               ;   in Loop: Header=BB77_53 Depth=1
	v_cmp_gt_i32_e32 vcc, s33, v29
	v_add_u32_e32 v38, 2, v29
	v_or_b32_e32 v19, 3, v29
	v_cndmask_b32_e32 v2, 0, v2, vcc
	v_cmp_gt_i32_e32 vcc, s33, v38
	v_or_b32_e32 v37, 1, v29
	s_nop 0
	v_cndmask_b32_e32 v3, 0, v3, vcc
	v_cmp_gt_i32_e32 vcc, s34, v19
	v_add_u32_e32 v19, 4, v29
	s_nop 0
	v_cndmask_b32_e32 v1, 0, v1, vcc
	v_cmp_gt_i32_e32 vcc, s33, v37
	v_add_u32_e32 v37, 7, v29
	;; [unrolled: 4-line block ×4, first 2 shown]
	s_nop 0
	v_cndmask_b32_e32 v15, 0, v15, vcc
	v_cmp_gt_i32_e32 vcc, s33, v19
	s_nop 1
	v_cndmask_b32_sdwa v19, v11, v5, vcc dst_sel:DWORD dst_unused:UNUSED_PAD src0_sel:DWORD src1_sel:WORD_0
	v_and_b32_e32 v5, 0xffff0000, v5
	v_cmp_gt_i32_e32 vcc, s33, v37
	s_nop 1
	v_cndmask_b32_e32 v5, 0, v5, vcc
	v_or_b32_e32 v5, v19, v5
.LBB77_60:                              ;   in Loop: Header=BB77_53 Depth=1
	s_or_b64 exec, exec, s[16:17]
	v_lshlrev_b32_e32 v18, 16, v18
	v_lshlrev_b32_e32 v1, 16, v1
	v_and_or_b32 v2, v2, s24, v18
	v_and_or_b32 v1, v3, s24, v1
	v_lshlrev_b32_e32 v3, 16, v15
	v_and_or_b32 v3, v4, s24, v3
	;;#ASMSTART
	v_pk_mul_f16 v2, v33, v2;

	;;#ASMEND
	;;#ASMSTART
	v_pk_mul_f16 v1, v34, v1;

	;;#ASMEND
	;; [unrolled: 4-line block ×4, first 2 shown]
	s_nop 0
	;;#ASMSTART
	v_pk_add_f16 v1, v2, v1;

	;;#ASMEND
	s_nop 0
	;;#ASMSTART
	v_pk_add_f16 v1, v1, v3;

	;;#ASMEND
	;; [unrolled: 5-line block ×3, first 2 shown]
	s_nop 0
	v_lshrrev_b32_e32 v2, 16, v1
	v_and_b32_e32 v1, 0xffff, v1
	;;#ASMSTART
	v_cvt_f32_f16 v18, v1;
	;;#ASMEND
	;;#ASMSTART
	v_cvt_f32_f16 v19, v2;
	;;#ASMEND
	s_and_saveexec_b64 s[16:17], s[0:1]
	s_cbranch_execz .LBB77_51
; %bb.61:                               ;   in Loop: Header=BB77_53 Depth=1
	v_mov_b32_e32 v15, v11
	v_lshl_add_u64 v[2:3], v[16:17], 0, v[14:15]
	global_load_dwordx4 v[2:5], v[2:3], off
	s_waitcnt vmcnt(0)
	v_lshrrev_b32_e32 v1, 16, v3
	v_lshrrev_b32_e32 v16, 16, v2
	;; [unrolled: 1-line block ×3, first 2 shown]
	s_and_saveexec_b64 s[18:19], s[2:3]
	s_cbranch_execz .LBB77_50
; %bb.62:                               ;   in Loop: Header=BB77_53 Depth=1
	v_cmp_gt_i32_e32 vcc, s33, v29
	v_add_u32_e32 v38, 2, v29
	v_or_b32_e32 v17, 3, v29
	v_cndmask_b32_e32 v2, 0, v2, vcc
	v_cmp_gt_i32_e32 vcc, s33, v38
	v_or_b32_e32 v37, 1, v29
	s_nop 0
	v_cndmask_b32_e32 v3, 0, v3, vcc
	v_cmp_gt_i32_e32 vcc, s34, v17
	v_add_u32_e32 v17, 4, v29
	s_nop 0
	v_cndmask_b32_e32 v1, 0, v1, vcc
	v_cmp_gt_i32_e32 vcc, s33, v37
	s_nop 1
	v_cndmask_b32_e32 v16, 0, v16, vcc
	v_cmp_gt_i32_e32 vcc, s33, v17
	v_add_u32_e32 v17, 5, v29
	s_nop 0
	v_cndmask_b32_e32 v4, 0, v4, vcc
	v_cmp_gt_i32_e32 vcc, s33, v17
	v_add_u32_e32 v17, 6, v29
	v_add_u32_e32 v29, 7, v29
	v_cndmask_b32_e32 v15, 0, v15, vcc
	v_cmp_gt_i32_e32 vcc, s33, v17
	s_nop 1
	v_cndmask_b32_sdwa v17, v11, v5, vcc dst_sel:DWORD dst_unused:UNUSED_PAD src0_sel:DWORD src1_sel:WORD_0
	v_and_b32_e32 v5, 0xffff0000, v5
	v_cmp_gt_i32_e32 vcc, s33, v29
	s_nop 1
	v_cndmask_b32_e32 v5, 0, v5, vcc
	v_or_b32_e32 v5, v17, v5
	s_branch .LBB77_50
.LBB77_63:
	s_or_b64 exec, exec, s[12:13]
.LBB77_64:
	s_or_b64 exec, exec, s[6:7]
	ds_bpermute_b32 v2, v23, v8
	ds_bpermute_b32 v3, v23, v9
	;; [unrolled: 1-line block ×4, first 2 shown]
	v_and_b32_e32 v1, 0x3c0, v0
	v_cmp_eq_u32_e64 s[0:1], 64, v1
	s_waitcnt lgkmcnt(2)
	v_pk_add_f32 v[4:5], v[8:9], v[2:3]
	v_cmp_eq_u32_e32 vcc, 0, v25
	s_waitcnt lgkmcnt(0)
	v_pk_add_f32 v[2:3], v[6:7], v[10:11]
	s_barrier
	s_and_saveexec_b64 s[2:3], s[0:1]
	s_cbranch_execz .LBB77_69
; %bb.65:
	s_and_saveexec_b64 s[0:1], vcc
	s_cbranch_execz .LBB77_67
; %bb.66:
	v_mov_b32_e32 v1, 0x100
	v_lshl_add_u32 v1, v24, 2, v1
	ds_write2_b32 v1, v4, v5 offset1:32
	ds_write_b32 v1, v2 offset:256
.LBB77_67:
	s_or_b64 exec, exec, s[0:1]
	v_or_b32_e32 v1, 0x60, v24
	s_movk_i32 s0, 0x78
	v_cmp_gt_u32_e64 s[0:1], s0, v1
	s_and_b64 s[0:1], vcc, s[0:1]
	s_and_b64 exec, exec, s[0:1]
; %bb.68:
	v_mov_b32_e32 v1, 0x100
	v_lshl_add_u32 v1, v24, 2, v1
	ds_write_b32 v1, v3 offset:384
.LBB77_69:
	s_or_b64 exec, exec, s[2:3]
	v_cmp_gt_u32_e64 s[0:1], 64, v0
	v_lshrrev_b32_e32 v0, 1, v0
	s_waitcnt lgkmcnt(0)
	s_barrier
	s_and_saveexec_b64 s[6:7], s[0:1]
	s_cbranch_execz .LBB77_79
; %bb.70:
	s_and_saveexec_b64 s[2:3], vcc
	s_cbranch_execz .LBB77_72
; %bb.71:
	v_mov_b32_e32 v1, 0x100
	v_lshl_add_u32 v1, v0, 2, v1
	ds_read_b32 v1, v1
	s_waitcnt lgkmcnt(0)
	v_add_f32_e32 v4, v4, v1
.LBB77_72:
	s_or_b64 exec, exec, s[2:3]
	v_or_b32_e32 v1, 32, v0
	s_movk_i32 s8, 0x78
	v_cmp_gt_u32_e64 s[2:3], s8, v1
	s_and_b64 s[12:13], vcc, s[2:3]
	s_and_saveexec_b64 s[2:3], s[12:13]
	s_cbranch_execz .LBB77_74
; %bb.73:
	v_mov_b32_e32 v1, 0x100
	v_lshl_add_u32 v1, v0, 2, v1
	ds_read_b32 v1, v1 offset:128
	s_waitcnt lgkmcnt(0)
	v_add_f32_e32 v5, v5, v1
.LBB77_74:
	s_or_b64 exec, exec, s[2:3]
	v_or_b32_e32 v1, 64, v0
	v_cmp_gt_u32_e64 s[2:3], s8, v1
	s_and_b64 s[8:9], vcc, s[2:3]
	s_and_saveexec_b64 s[2:3], s[8:9]
	s_cbranch_execz .LBB77_76
; %bb.75:
	v_mov_b32_e32 v1, 0x100
	v_lshl_add_u32 v1, v0, 2, v1
	ds_read_b32 v1, v1 offset:256
	s_waitcnt lgkmcnt(0)
	v_add_f32_e32 v2, v2, v1
.LBB77_76:
	s_or_b64 exec, exec, s[2:3]
	v_or_b32_e32 v1, 0x60, v0
	s_movk_i32 s2, 0x78
	v_cmp_gt_u32_e64 s[2:3], s2, v1
	s_and_b64 s[8:9], vcc, s[2:3]
	s_and_saveexec_b64 s[2:3], s[8:9]
	s_cbranch_execz .LBB77_78
; %bb.77:
	v_mov_b32_e32 v1, 0x100
	v_lshl_add_u32 v1, v0, 2, v1
	ds_read_b32 v1, v1 offset:384
	s_waitcnt lgkmcnt(0)
	v_add_f32_e32 v3, v3, v1
.LBB77_78:
	s_or_b64 exec, exec, s[2:3]
.LBB77_79:
	s_or_b64 exec, exec, s[6:7]
	s_barrier
	s_and_saveexec_b64 s[2:3], s[0:1]
	s_cbranch_execz .LBB77_88
; %bb.80:
	s_mul_i32 s0, s10, s11
	s_mul_i32 s0, s0, s5
	s_mulk_i32 s0, 0x78
	s_ashr_i32 s1, s0, 31
	s_lshl_b64 s[0:1], s[0:1], 1
	s_add_u32 s2, s22, s0
	s_mul_i32 s0, s11, s20
	s_addc_u32 s3, s23, s1
	s_ashr_i32 s1, s0, 31
	s_lshl_b64 s[0:1], s[0:1], 1
	s_add_u32 s2, s2, s0
	s_mul_i32 s0, s4, 0x78
	s_addc_u32 s3, s3, s1
	s_ashr_i32 s1, s0, 31
	s_lshl_b64 s[0:1], s[0:1], 1
	s_add_u32 s2, s2, s0
	s_movk_i32 s5, 0x78
	s_addc_u32 s3, s3, s1
	v_lshlrev_b32_e32 v1, 1, v0
	s_and_saveexec_b64 s[0:1], vcc
	s_cbranch_execz .LBB77_82
; %bb.81:
	;;#ASMSTART
	v_cvt_f16_f32 v4, v4;

	;;#ASMEND
	global_store_short v1, v4, s[2:3]
.LBB77_82:
	s_or_b64 exec, exec, s[0:1]
	v_or_b32_e32 v4, 32, v0
	v_cmp_gt_u32_e64 s[0:1], s5, v4
	s_and_b64 s[4:5], vcc, s[0:1]
	s_and_saveexec_b64 s[0:1], s[4:5]
	s_cbranch_execz .LBB77_84
; %bb.83:
	;;#ASMSTART
	v_cvt_f16_f32 v4, v5;

	;;#ASMEND
	global_store_short v1, v4, s[2:3] offset:64
.LBB77_84:
	s_or_b64 exec, exec, s[0:1]
	v_or_b32_e32 v4, 64, v0
	s_movk_i32 s4, 0x78
	v_cmp_gt_u32_e64 s[0:1], s4, v4
	s_and_b64 s[6:7], vcc, s[0:1]
	s_and_saveexec_b64 s[0:1], s[6:7]
	s_cbranch_execz .LBB77_86
; %bb.85:
	;;#ASMSTART
	v_cvt_f16_f32 v2, v2;

	;;#ASMEND
	global_store_short v1, v2, s[2:3] offset:128
.LBB77_86:
	s_or_b64 exec, exec, s[0:1]
	v_or_b32_e32 v0, 0x60, v0
	v_cmp_gt_u32_e64 s[0:1], s4, v0
	s_and_b64 s[0:1], vcc, s[0:1]
	s_and_b64 exec, exec, s[0:1]
	s_cbranch_execz .LBB77_88
; %bb.87:
	;;#ASMSTART
	v_cvt_f16_f32 v0, v3;

	;;#ASMEND
	global_store_short v1, v0, s[2:3] offset:192
.LBB77_88:
	s_endpgm
	.section	.rodata,"a",@progbits
	.p2align	6, 0x0
	.amdhsa_kernel _ZN4vllm25paged_attention_v1_kernelIttLi120ELi16ELi128ELNS_18Fp8KVCacheDataTypeE0ELb1EEEvPT_PKS2_PKT0_S8_ifPKiSA_iPKfiiiSC_SC_iiiii
		.amdhsa_group_segment_fixed_size 256
		.amdhsa_private_segment_fixed_size 0
		.amdhsa_kernarg_size 384
		.amdhsa_user_sgpr_count 2
		.amdhsa_user_sgpr_dispatch_ptr 0
		.amdhsa_user_sgpr_queue_ptr 0
		.amdhsa_user_sgpr_kernarg_segment_ptr 1
		.amdhsa_user_sgpr_dispatch_id 0
		.amdhsa_user_sgpr_kernarg_preload_length 0
		.amdhsa_user_sgpr_kernarg_preload_offset 0
		.amdhsa_user_sgpr_private_segment_size 0
		.amdhsa_uses_dynamic_stack 0
		.amdhsa_enable_private_segment 0
		.amdhsa_system_sgpr_workgroup_id_x 1
		.amdhsa_system_sgpr_workgroup_id_y 1
		.amdhsa_system_sgpr_workgroup_id_z 1
		.amdhsa_system_sgpr_workgroup_info 0
		.amdhsa_system_vgpr_workitem_id 0
		.amdhsa_next_free_vgpr 70
		.amdhsa_next_free_sgpr 45
		.amdhsa_accum_offset 72
		.amdhsa_reserve_vcc 1
		.amdhsa_float_round_mode_32 0
		.amdhsa_float_round_mode_16_64 0
		.amdhsa_float_denorm_mode_32 3
		.amdhsa_float_denorm_mode_16_64 3
		.amdhsa_dx10_clamp 1
		.amdhsa_ieee_mode 1
		.amdhsa_fp16_overflow 0
		.amdhsa_tg_split 0
		.amdhsa_exception_fp_ieee_invalid_op 0
		.amdhsa_exception_fp_denorm_src 0
		.amdhsa_exception_fp_ieee_div_zero 0
		.amdhsa_exception_fp_ieee_overflow 0
		.amdhsa_exception_fp_ieee_underflow 0
		.amdhsa_exception_fp_ieee_inexact 0
		.amdhsa_exception_int_div_zero 0
	.end_amdhsa_kernel
	.section	.text._ZN4vllm25paged_attention_v1_kernelIttLi120ELi16ELi128ELNS_18Fp8KVCacheDataTypeE0ELb1EEEvPT_PKS2_PKT0_S8_ifPKiSA_iPKfiiiSC_SC_iiiii,"axG",@progbits,_ZN4vllm25paged_attention_v1_kernelIttLi120ELi16ELi128ELNS_18Fp8KVCacheDataTypeE0ELb1EEEvPT_PKS2_PKT0_S8_ifPKiSA_iPKfiiiSC_SC_iiiii,comdat
.Lfunc_end77:
	.size	_ZN4vllm25paged_attention_v1_kernelIttLi120ELi16ELi128ELNS_18Fp8KVCacheDataTypeE0ELb1EEEvPT_PKS2_PKT0_S8_ifPKiSA_iPKfiiiSC_SC_iiiii, .Lfunc_end77-_ZN4vllm25paged_attention_v1_kernelIttLi120ELi16ELi128ELNS_18Fp8KVCacheDataTypeE0ELb1EEEvPT_PKS2_PKT0_S8_ifPKiSA_iPKfiiiSC_SC_iiiii
                                        ; -- End function
	.set _ZN4vllm25paged_attention_v1_kernelIttLi120ELi16ELi128ELNS_18Fp8KVCacheDataTypeE0ELb1EEEvPT_PKS2_PKT0_S8_ifPKiSA_iPKfiiiSC_SC_iiiii.num_vgpr, 70
	.set _ZN4vllm25paged_attention_v1_kernelIttLi120ELi16ELi128ELNS_18Fp8KVCacheDataTypeE0ELb1EEEvPT_PKS2_PKT0_S8_ifPKiSA_iPKfiiiSC_SC_iiiii.num_agpr, 0
	.set _ZN4vllm25paged_attention_v1_kernelIttLi120ELi16ELi128ELNS_18Fp8KVCacheDataTypeE0ELb1EEEvPT_PKS2_PKT0_S8_ifPKiSA_iPKfiiiSC_SC_iiiii.numbered_sgpr, 45
	.set _ZN4vllm25paged_attention_v1_kernelIttLi120ELi16ELi128ELNS_18Fp8KVCacheDataTypeE0ELb1EEEvPT_PKS2_PKT0_S8_ifPKiSA_iPKfiiiSC_SC_iiiii.num_named_barrier, 0
	.set _ZN4vllm25paged_attention_v1_kernelIttLi120ELi16ELi128ELNS_18Fp8KVCacheDataTypeE0ELb1EEEvPT_PKS2_PKT0_S8_ifPKiSA_iPKfiiiSC_SC_iiiii.private_seg_size, 0
	.set _ZN4vllm25paged_attention_v1_kernelIttLi120ELi16ELi128ELNS_18Fp8KVCacheDataTypeE0ELb1EEEvPT_PKS2_PKT0_S8_ifPKiSA_iPKfiiiSC_SC_iiiii.uses_vcc, 1
	.set _ZN4vllm25paged_attention_v1_kernelIttLi120ELi16ELi128ELNS_18Fp8KVCacheDataTypeE0ELb1EEEvPT_PKS2_PKT0_S8_ifPKiSA_iPKfiiiSC_SC_iiiii.uses_flat_scratch, 0
	.set _ZN4vllm25paged_attention_v1_kernelIttLi120ELi16ELi128ELNS_18Fp8KVCacheDataTypeE0ELb1EEEvPT_PKS2_PKT0_S8_ifPKiSA_iPKfiiiSC_SC_iiiii.has_dyn_sized_stack, 0
	.set _ZN4vllm25paged_attention_v1_kernelIttLi120ELi16ELi128ELNS_18Fp8KVCacheDataTypeE0ELb1EEEvPT_PKS2_PKT0_S8_ifPKiSA_iPKfiiiSC_SC_iiiii.has_recursion, 0
	.set _ZN4vllm25paged_attention_v1_kernelIttLi120ELi16ELi128ELNS_18Fp8KVCacheDataTypeE0ELb1EEEvPT_PKS2_PKT0_S8_ifPKiSA_iPKfiiiSC_SC_iiiii.has_indirect_call, 0
	.section	.AMDGPU.csdata,"",@progbits
; Kernel info:
; codeLenInByte = 7728
; TotalNumSgprs: 51
; NumVgprs: 70
; NumAgprs: 0
; TotalNumVgprs: 70
; ScratchSize: 0
; MemoryBound: 0
; FloatMode: 240
; IeeeMode: 1
; LDSByteSize: 256 bytes/workgroup (compile time only)
; SGPRBlocks: 6
; VGPRBlocks: 8
; NumSGPRsForWavesPerEU: 51
; NumVGPRsForWavesPerEU: 70
; AccumOffset: 72
; Occupancy: 7
; WaveLimiterHint : 1
; COMPUTE_PGM_RSRC2:SCRATCH_EN: 0
; COMPUTE_PGM_RSRC2:USER_SGPR: 2
; COMPUTE_PGM_RSRC2:TRAP_HANDLER: 0
; COMPUTE_PGM_RSRC2:TGID_X_EN: 1
; COMPUTE_PGM_RSRC2:TGID_Y_EN: 1
; COMPUTE_PGM_RSRC2:TGID_Z_EN: 1
; COMPUTE_PGM_RSRC2:TIDIG_COMP_CNT: 0
; COMPUTE_PGM_RSRC3_GFX90A:ACCUM_OFFSET: 17
; COMPUTE_PGM_RSRC3_GFX90A:TG_SPLIT: 0
	.section	.text._ZN4vllm25paged_attention_v1_kernelIttLi128ELi16ELi128ELNS_18Fp8KVCacheDataTypeE0ELb1EEEvPT_PKS2_PKT0_S8_ifPKiSA_iPKfiiiSC_SC_iiiii,"axG",@progbits,_ZN4vllm25paged_attention_v1_kernelIttLi128ELi16ELi128ELNS_18Fp8KVCacheDataTypeE0ELb1EEEvPT_PKS2_PKT0_S8_ifPKiSA_iPKfiiiSC_SC_iiiii,comdat
	.protected	_ZN4vllm25paged_attention_v1_kernelIttLi128ELi16ELi128ELNS_18Fp8KVCacheDataTypeE0ELb1EEEvPT_PKS2_PKT0_S8_ifPKiSA_iPKfiiiSC_SC_iiiii ; -- Begin function _ZN4vllm25paged_attention_v1_kernelIttLi128ELi16ELi128ELNS_18Fp8KVCacheDataTypeE0ELb1EEEvPT_PKS2_PKT0_S8_ifPKiSA_iPKfiiiSC_SC_iiiii
	.globl	_ZN4vllm25paged_attention_v1_kernelIttLi128ELi16ELi128ELNS_18Fp8KVCacheDataTypeE0ELb1EEEvPT_PKS2_PKT0_S8_ifPKiSA_iPKfiiiSC_SC_iiiii
	.p2align	8
	.type	_ZN4vllm25paged_attention_v1_kernelIttLi128ELi16ELi128ELNS_18Fp8KVCacheDataTypeE0ELb1EEEvPT_PKS2_PKT0_S8_ifPKiSA_iPKfiiiSC_SC_iiiii,@function
_ZN4vllm25paged_attention_v1_kernelIttLi128ELi16ELi128ELNS_18Fp8KVCacheDataTypeE0ELb1EEEvPT_PKS2_PKT0_S8_ifPKiSA_iPKfiiiSC_SC_iiiii: ; @_ZN4vllm25paged_attention_v1_kernelIttLi128ELi16ELi128ELNS_18Fp8KVCacheDataTypeE0ELb1EEEvPT_PKS2_PKT0_S8_ifPKiSA_iPKfiiiSC_SC_iiiii
; %bb.0:
	s_load_dword s5, s[0:1], 0x80
	s_load_dwordx2 s[6:7], s[0:1], 0x30
	s_load_dwordx2 s[34:35], s[0:1], 0x20
	s_mov_b32 s20, s3
	s_ashr_i32 s21, s3, 31
	s_lshl_b64 s[8:9], s[20:21], 2
	s_waitcnt lgkmcnt(0)
	s_add_u32 s6, s6, s8
	s_addc_u32 s7, s7, s9
	s_abs_i32 s3, s34
	v_cvt_f32_u32_e32 v1, s3
	s_sub_i32 s10, 0, s3
	s_abs_i32 s9, s5
	s_xor_b32 s8, s5, s34
	v_rcp_iflag_f32_e32 v1, v1
	s_ashr_i32 s8, s8, 31
	s_mov_b32 s44, 0
	v_mul_f32_e32 v1, 0x4f7ffffe, v1
	v_cvt_u32_f32_e32 v1, v1
	s_nop 0
	v_readfirstlane_b32 s11, v1
	s_mul_i32 s10, s10, s11
	s_mul_hi_u32 s10, s11, s10
	s_add_i32 s11, s11, s10
	s_mul_hi_u32 s10, s9, s11
	s_mul_i32 s11, s10, s3
	s_sub_i32 s9, s9, s11
	s_add_i32 s11, s10, 1
	s_sub_i32 s12, s9, s3
	s_cmp_ge_u32 s9, s3
	s_cselect_b32 s10, s11, s10
	s_cselect_b32 s9, s12, s9
	s_add_i32 s11, s10, 1
	s_cmp_ge_u32 s9, s3
	s_cselect_b32 s3, s11, s10
	s_xor_b32 s3, s3, s8
	s_sub_i32 s16, s3, s8
	s_abs_i32 s10, s16
	v_cvt_f32_u32_e32 v1, s10
	s_load_dwordx2 s[8:9], s[0:1], 0x40
	s_sub_i32 s3, 0, s10
	s_abs_i32 s11, s2
	v_rcp_iflag_f32_e32 v1, v1
	s_nop 0
	v_mul_f32_e32 v1, 0x4f7ffffe, v1
	v_cvt_u32_f32_e32 v1, v1
	s_nop 0
	v_readfirstlane_b32 s12, v1
	s_mul_i32 s3, s3, s12
	s_mul_hi_u32 s3, s12, s3
	s_add_i32 s12, s12, s3
	s_waitcnt lgkmcnt(0)
	s_cmp_eq_u64 s[8:9], 0
	s_mul_hi_u32 s24, s11, s12
	s_cbranch_scc1 .LBB78_2
; %bb.1:
	s_ashr_i32 s3, s2, 31
	s_lshl_b64 s[12:13], s[2:3], 2
	s_add_u32 s8, s8, s12
	s_addc_u32 s9, s9, s13
	s_load_dword s44, s[8:9], 0x0
.LBB78_2:
	s_load_dword s21, s[6:7], 0x0
	s_load_dwordx4 s[12:15], s[0:1], 0x48
	s_ashr_i32 s25, s2, 31
	s_waitcnt lgkmcnt(0)
	s_ashr_i32 s15, s16, 31
	v_and_b32_e32 v4, 3, v0
	s_lshl_b32 s22, s2, 7
	v_cmp_gt_u32_e64 s[6:7], 64, v0
	s_and_saveexec_b64 s[8:9], s[6:7]
	s_cbranch_execz .LBB78_4
; %bb.3:
	s_load_dwordx2 s[16:17], s[0:1], 0x8
	s_mul_i32 s18, s12, s20
	s_ashr_i32 s19, s18, 31
	s_lshl_b64 s[18:19], s[18:19], 1
	v_lshlrev_b32_e32 v1, 2, v0
	s_waitcnt lgkmcnt(0)
	s_add_u32 s3, s16, s18
	s_addc_u32 s12, s17, s19
	s_ashr_i32 s23, s22, 31
	s_lshl_b64 s[16:17], s[22:23], 1
	s_add_u32 s16, s3, s16
	s_addc_u32 s17, s12, s17
	global_load_dword v1, v1, s[16:17]
	v_and_b32_e32 v2, 0x3fc, v0
	v_lshl_add_u32 v2, v4, 6, v2
	s_waitcnt vmcnt(0)
	ds_write_b32 v2, v1
.LBB78_4:
	s_or_b64 exec, exec, s[8:9]
	s_mul_i32 s9, s24, s10
	s_sub_i32 s9, s11, s9
	s_xor_b32 s8, s25, s15
	s_add_i32 s11, s24, 1
	s_sub_i32 s12, s9, s10
	s_load_dwordx4 s[16:19], s[0:1], 0x68
	s_load_dword s3, s[0:1], 0x78
	s_cmp_ge_u32 s9, s10
	s_cselect_b32 s11, s11, s24
	s_cselect_b32 s9, s12, s9
	s_add_i32 s12, s11, 1
	s_cmp_ge_u32 s9, s10
	s_cselect_b32 s9, s12, s11
	s_waitcnt lgkmcnt(0)
	s_abs_i32 s23, s19
	v_cvt_f32_u32_e32 v1, s23
	s_xor_b32 s9, s9, s8
	s_sub_i32 s10, s9, s8
	s_sub_i32 s8, 0, s23
	v_rcp_iflag_f32_e32 v1, v1
	s_add_i32 s15, s21, -1
	s_abs_i32 s11, s15
	v_mul_f32_e32 v1, 0x4f7ffffe, v1
	v_cvt_u32_f32_e32 v1, v1
	s_barrier
	v_readfirstlane_b32 s33, v1
	s_mul_i32 s8, s8, s33
	s_mul_hi_u32 s8, s33, s8
	s_add_i32 s33, s33, s8
	s_cmp_lt_i32 s3, 0
	s_mul_hi_u32 s12, s11, s33
	s_cbranch_scc0 .LBB78_6
; %bb.5:
	s_mul_i32 s8, s16, s34
	s_add_i32 s8, s10, s8
	s_mul_i32 s8, s8, s3
	s_sub_i32 s42, 1, s8
	s_mov_b64 s[8:9], 0
	s_branch .LBB78_7
.LBB78_6:
	s_mov_b64 s[8:9], -1
                                        ; implicit-def: $sgpr42
.LBB78_7:
	s_load_dwordx2 s[26:27], s[0:1], 0x28
	s_ashr_i32 s15, s15, 31
	s_andn2_b64 vcc, exec, s[8:9]
	s_ashr_i32 s19, s19, 31
	s_cbranch_vccnz .LBB78_9
; %bb.8:
	s_mul_i32 s8, s5, s16
	s_add_i32 s2, s8, s2
	s_mul_i32 s2, s2, s3
	s_add_i32 s42, s2, 1
.LBB78_9:
	s_load_dword s2, s[0:1], 0x38
	s_load_dwordx2 s[24:25], s[0:1], 0x0
	s_load_dwordx2 s[30:31], s[0:1], 0x18
	s_load_dword s16, s[0:1], 0x88
	s_xor_b32 s3, s15, s19
	s_waitcnt lgkmcnt(0)
	s_mul_i32 s28, s2, s20
	s_mul_i32 s2, s12, s23
	s_sub_i32 s2, s11, s2
	s_ashr_i32 s29, s28, 31
	s_add_i32 s8, s12, 1
	s_sub_i32 s9, s2, s23
	s_cmp_ge_u32 s2, s23
	s_cselect_b32 s8, s8, s12
	s_cselect_b32 s2, s9, s2
	s_add_i32 s9, s8, 1
	s_cmp_ge_u32 s2, s23
	s_cselect_b32 s2, s9, s8
	s_xor_b32 s2, s2, s3
	s_sub_i32 s12, s2, s3
	s_add_i32 s2, s21, 15
	s_ashr_i32 s3, s2, 31
	s_lshr_b32 s3, s3, 28
	s_add_i32 s2, s2, s3
	s_ashr_i32 s43, s2, 4
	v_lshrrev_b32_e32 v18, 6, v0
	v_cmp_gt_i32_e64 s[2:3], s43, v18
	v_mov_b32_e32 v11, 0xff7fffff
	s_mul_i32 s14, s10, s14
	v_lshrrev_b32_e32 v1, 4, v0
	v_lshlrev_b32_e32 v19, 4, v18
	v_mbcnt_lo_u32_b32 v8, -1, 0
	s_and_saveexec_b64 s[36:37], s[2:3]
	s_cbranch_execz .LBB78_21
; %bb.10:
	s_load_dwordx2 s[0:1], s[0:1], 0x10
	s_ashr_i32 s15, s14, 31
	s_sub_i32 s34, s12, s17
	s_lshl_b64 s[8:9], s[14:15], 1
	v_bfe_u32 v9, v0, 2, 4
	s_waitcnt lgkmcnt(0)
	s_add_u32 s0, s0, s8
	s_addc_u32 s1, s1, s9
	s_abs_i32 s15, s18
	v_cvt_f32_u32_e32 v5, s15
	v_lshlrev_b32_e32 v6, 4, v9
	v_mov_b32_e32 v7, 0
	s_sub_i32 s8, 0, s15
	v_rcp_iflag_f32_e32 v5, v5
	v_cmp_eq_u32_e32 vcc, 0, v4
	v_lshl_add_u64 v[2:3], s[0:1], 0, v[6:7]
	v_lshlrev_b32_e32 v6, 2, v0
	v_mul_f32_e32 v5, 0x4f7ffffe, v5
	v_cvt_u32_f32_e32 v5, v5
	v_lshlrev_b32_e32 v10, 6, v4
	v_and_b32_e32 v6, 12, v6
	v_lshl_add_u64 v[2:3], v[2:3], 0, v[6:7]
	v_mul_lo_u32 v4, s8, v5
	s_lshl_b64 s[8:9], s[28:29], 2
	s_add_u32 s8, s26, s8
	v_mul_hi_u32 v4, v5, v4
	v_and_b32_e32 v6, 60, v1
	s_addc_u32 s9, s27, s9
	v_add_u32_e32 v12, v5, v4
	v_lshl_add_u64 v[4:5], s[8:9], 0, v[6:7]
	v_subrev_u32_e32 v6, s21, v9
	v_add_u32_e32 v14, 1, v6
	v_lshlrev_b32_e32 v6, 2, v9
	v_lshl_or_b32 v6, v18, 6, v6
	v_mbcnt_hi_u32_b32 v16, -1, v8
	v_add_u32_e32 v15, 0x110, v6
	v_and_b32_e32 v6, 64, v16
	s_mov_b32 s45, s13
	v_cmp_neq_f32_e64 s[0:1], s44, 0
	v_lshlrev_b32_e32 v13, 4, v18
	s_mov_b64 s[38:39], 0
	v_add_u32_e32 v17, 64, v6
	v_xor_b32_e32 v20, 2, v16
	v_xor_b32_e32 v21, 1, v16
	v_mov_b32_e32 v11, 0xff7fffff
	v_mov_b32_e32 v22, v18
	s_branch .LBB78_13
.LBB78_11:                              ;   in Loop: Header=BB78_13 Depth=1
	s_or_b64 exec, exec, s[40:41]
.LBB78_12:                              ;   in Loop: Header=BB78_13 Depth=1
	s_or_b64 exec, exec, s[10:11]
	v_add_u32_e32 v22, 2, v22
	v_cmp_le_i32_e64 s[8:9], s43, v22
	v_lshl_add_u64 v[4:5], v[4:5], 0, 8
	v_add_u32_e32 v13, 32, v13
	s_or_b64 s[38:39], s[8:9], s[38:39]
	v_add_u32_e32 v15, 0x80, v15
	s_andn2_b64 exec, exec, s[38:39]
	s_cbranch_execz .LBB78_20
.LBB78_13:                              ; =>This Inner Loop Header: Depth=1
	v_mul_hi_u32 v6, v13, s33
	s_waitcnt lgkmcnt(0)
	v_mul_lo_u32 v7, v6, s23
	v_sub_u32_e32 v7, v13, v7
	v_add_u32_e32 v23, 1, v6
	v_cmp_le_u32_e64 s[8:9], s23, v7
	s_nop 1
	v_cndmask_b32_e64 v6, v6, v23, s[8:9]
	v_subrev_u32_e32 v23, s23, v7
	v_cndmask_b32_e64 v7, v7, v23, s[8:9]
	v_add_u32_e32 v23, 1, v6
	v_cmp_le_u32_e64 s[8:9], s23, v7
	s_nop 1
	v_cndmask_b32_e64 v6, v6, v23, s[8:9]
	v_xor_b32_e32 v6, s19, v6
	v_subrev_u32_e32 v6, s19, v6
	v_add_u32_e32 v7, s42, v6
	v_sub_u32_e32 v24, 0, v7
	v_ashrrev_i32_e32 v23, 31, v7
	v_max_i32_e32 v7, v7, v24
	v_mul_hi_u32 v24, v7, v12
	v_mul_lo_u32 v24, v24, s15
	v_sub_u32_e32 v7, v7, v24
	v_subrev_u32_e32 v24, s15, v7
	v_cmp_le_u32_e64 s[8:9], s15, v7
	v_cmp_ge_i32_e64 s[10:11], s34, v6
	s_nop 0
	v_cndmask_b32_e64 v7, v7, v24, s[8:9]
	v_subrev_u32_e32 v24, s15, v7
	v_cmp_le_u32_e64 s[8:9], s15, v7
	s_nop 1
	v_cndmask_b32_e64 v7, v7, v24, s[8:9]
	v_xor_b32_e32 v7, v7, v23
	v_sub_u32_e32 v7, v7, v23
	v_cmp_ne_u32_e64 s[8:9], 0, v7
	s_and_b64 s[8:9], s[8:9], s[10:11]
	s_and_saveexec_b64 s[10:11], s[8:9]
	s_xor_b64 s[8:9], exec, s[10:11]
	s_cbranch_execz .LBB78_17
; %bb.14:                               ;   in Loop: Header=BB78_13 Depth=1
	s_and_saveexec_b64 s[10:11], vcc
; %bb.15:                               ;   in Loop: Header=BB78_13 Depth=1
	v_mov_b32_e32 v6, 0xff7fffff
	ds_write_b32 v15, v6
; %bb.16:                               ;   in Loop: Header=BB78_13 Depth=1
	s_or_b64 exec, exec, s[10:11]
.LBB78_17:                              ;   in Loop: Header=BB78_13 Depth=1
	s_andn2_saveexec_b64 s[10:11], s[8:9]
	s_cbranch_execz .LBB78_12
; %bb.18:                               ;   in Loop: Header=BB78_13 Depth=1
	global_load_dword v6, v[4:5], off
	s_waitcnt vmcnt(0)
	v_mad_i64_i32 v[6:7], s[8:9], v6, s45, 0
	v_lshl_add_u64 v[6:7], v[6:7], 1, v[2:3]
	global_load_dword v36, v[6:7], off
	global_load_dword v35, v[6:7], off offset:256
	global_load_dword v34, v[6:7], off offset:512
	;; [unrolled: 1-line block ×14, first 2 shown]
	ds_read_b32 v37, v10
	global_load_dword v6, v[6:7], off offset:3840
	v_cmp_lt_i32_e64 s[8:9], v20, v17
	s_waitcnt lgkmcnt(0)
	v_lshrrev_b32_e32 v40, 16, v37
	v_and_b32_e32 v37, 0xffff, v37
	;;#ASMSTART
	v_cvt_f32_f16 v7, v37;
	;;#ASMEND
	;;#ASMSTART
	v_cvt_f32_f16 v37, v40;
	;;#ASMEND
	v_cndmask_b32_e64 v38, v16, v20, s[8:9]
	v_lshlrev_b32_e32 v38, 2, v38
	v_cmp_lt_i32_e64 s[8:9], v21, v17
	s_waitcnt vmcnt(15)
	v_lshrrev_b32_e32 v40, 16, v36
	v_and_b32_e32 v36, 0xffff, v36
	;;#ASMSTART
	v_cvt_f32_f16 v36, v36;
	;;#ASMEND
	;;#ASMSTART
	v_cvt_f32_f16 v40, v40;
	;;#ASMEND
	ds_read_b32 v41, v10 offset:4
	s_waitcnt vmcnt(14)
	v_lshrrev_b32_e32 v42, 16, v35
	v_and_b32_e32 v43, 0xffff, v35
	s_waitcnt vmcnt(13)
	v_lshrrev_b32_e32 v44, 16, v34
	v_and_b32_e32 v45, 0xffff, v34
	s_waitcnt lgkmcnt(0)
	v_lshrrev_b32_e32 v35, 16, v41
	v_and_b32_e32 v34, 0xffff, v41
	;;#ASMSTART
	v_cvt_f32_f16 v34, v34;
	;;#ASMEND
	;;#ASMSTART
	v_cvt_f32_f16 v35, v35;
	;;#ASMEND
	;;#ASMSTART
	v_cvt_f32_f16 v41, v43;
	;;#ASMEND
	;;#ASMSTART
	v_cvt_f32_f16 v42, v42;
	;;#ASMEND
	ds_read_b32 v43, v10 offset:8
	s_waitcnt vmcnt(12)
	v_lshrrev_b32_e32 v46, 16, v33
	v_and_b32_e32 v47, 0xffff, v33
	s_waitcnt vmcnt(11)
	v_lshrrev_b32_e32 v48, 16, v32
	v_and_b32_e32 v49, 0xffff, v32
	s_waitcnt lgkmcnt(0)
	v_lshrrev_b32_e32 v33, 16, v43
	v_and_b32_e32 v32, 0xffff, v43
	;;#ASMSTART
	v_cvt_f32_f16 v32, v32;
	;;#ASMEND
	;;#ASMSTART
	v_cvt_f32_f16 v33, v33;
	;;#ASMEND
	;; [unrolled: 22-line block ×7, first 2 shown]
	;;#ASMSTART
	v_cvt_f32_f16 v53, v55;
	;;#ASMEND
	;;#ASMSTART
	v_cvt_f32_f16 v54, v54;
	;;#ASMEND
	ds_read_b32 v55, v10 offset:32
	s_waitcnt vmcnt(0)
	v_lshrrev_b32_e32 v70, 16, v6
	v_and_b32_e32 v71, 0xffff, v6
	v_mul_f32_e32 v6, v34, v41
	v_mul_f32_e32 v34, v35, v42
	s_waitcnt lgkmcnt(0)
	v_lshrrev_b32_e32 v41, 16, v55
	v_and_b32_e32 v35, 0xffff, v55
	;;#ASMSTART
	v_cvt_f32_f16 v35, v35;
	;;#ASMEND
	;;#ASMSTART
	v_cvt_f32_f16 v41, v41;
	;;#ASMEND
	;;#ASMSTART
	v_cvt_f32_f16 v42, v57;
	;;#ASMEND
	;;#ASMSTART
	v_cvt_f32_f16 v55, v56;
	;;#ASMEND
	ds_read_b32 v56, v10 offset:36
	v_fmac_f32_e32 v6, v7, v36
	v_fmac_f32_e32 v34, v37, v40
	v_fmac_f32_e32 v6, v32, v43
	v_fmac_f32_e32 v34, v33, v44
	s_waitcnt lgkmcnt(0)
	v_lshrrev_b32_e32 v32, 16, v56
	v_and_b32_e32 v7, 0xffff, v56
	;;#ASMSTART
	v_cvt_f32_f16 v7, v7;
	;;#ASMEND
	;;#ASMSTART
	v_cvt_f32_f16 v32, v32;
	;;#ASMEND
	;;#ASMSTART
	v_cvt_f32_f16 v33, v59;
	;;#ASMEND
	;;#ASMSTART
	v_cvt_f32_f16 v36, v58;
	;;#ASMEND
	ds_read_b32 v37, v10 offset:40
	v_fmac_f32_e32 v6, v30, v45
	v_fmac_f32_e32 v34, v31, v46
	v_fmac_f32_e32 v6, v28, v47
	v_fmac_f32_e32 v34, v29, v48
	;; [unrolled: 20-line block ×7, first 2 shown]
	s_waitcnt lgkmcnt(0)
	v_lshrrev_b32_e32 v23, 16, v27
	v_and_b32_e32 v7, 0xffff, v27
	;;#ASMSTART
	v_cvt_f32_f16 v7, v7;
	;;#ASMEND
	;;#ASMSTART
	v_cvt_f32_f16 v23, v23;
	;;#ASMEND
	;; [unrolled: 3-line block ×4, first 2 shown]
	s_nop 0
	v_fmac_f32_e32 v6, v7, v24
	v_fmac_f32_e32 v34, v23, v25
	v_add_f32_e32 v6, v6, v34
	ds_bpermute_b32 v7, v38, v6
	v_cndmask_b32_e64 v23, v16, v21, s[8:9]
	s_waitcnt lgkmcnt(0)
	v_add_f32_e32 v6, v6, v7
	v_lshlrev_b32_e32 v7, 2, v23
	ds_bpermute_b32 v7, v7, v6
	s_and_saveexec_b64 s[40:41], vcc
	s_cbranch_execz .LBB78_11
; %bb.19:                               ;   in Loop: Header=BB78_13 Depth=1
	v_add_u32_e32 v23, v14, v13
	v_cvt_f32_i32_e32 v23, v23
	s_waitcnt lgkmcnt(0)
	v_add_f32_e32 v6, v6, v7
	v_add_u32_e32 v24, v9, v13
	v_cmp_gt_i32_e64 s[8:9], s21, v24
	v_mul_f32_e32 v7, s44, v23
	v_cndmask_b32_e64 v7, 0, v7, s[0:1]
	v_fmac_f32_e32 v7, s35, v6
	v_cndmask_b32_e64 v6, 0, v7, s[8:9]
	ds_write_b32 v15, v6
	v_max_f32_e32 v6, v11, v11
	v_max_f32_e32 v6, v6, v7
	v_cndmask_b32_e64 v11, v11, v6, s[8:9]
	s_branch .LBB78_11
.LBB78_20:
	s_or_b64 exec, exec, s[38:39]
.LBB78_21:
	s_or_b64 exec, exec, s[36:37]
	v_mbcnt_hi_u32_b32 v2, -1, v8
	v_and_b32_e32 v10, 64, v2
	v_add_u32_e32 v3, 64, v10
	v_xor_b32_e32 v4, 32, v2
	v_cmp_lt_i32_e32 vcc, v4, v3
	s_waitcnt lgkmcnt(0)
	v_xor_b32_e32 v7, 16, v2
	v_max_f32_e32 v6, v11, v11
	v_cndmask_b32_e32 v4, v2, v4, vcc
	v_lshlrev_b32_e32 v4, 2, v4
	ds_bpermute_b32 v5, v4, v11
	v_cmp_lt_i32_e32 vcc, v7, v3
	v_xor_b32_e32 v8, 8, v2
	v_xor_b32_e32 v9, 4, v2
	v_and_b32_e32 v20, 63, v0
	s_waitcnt lgkmcnt(0)
	v_max_f32_e32 v5, v5, v5
	v_max_f32_e32 v6, v6, v5
	v_cndmask_b32_e32 v5, v2, v7, vcc
	v_lshlrev_b32_e32 v5, 2, v5
	ds_bpermute_b32 v7, v5, v6
	v_cmp_lt_i32_e32 vcc, v8, v3
	s_waitcnt lgkmcnt(0)
	v_max_f32_e32 v7, v7, v7
	v_max_f32_e32 v6, v6, v7
	v_cndmask_b32_e32 v7, v2, v8, vcc
	v_lshlrev_b32_e32 v8, 2, v7
	ds_bpermute_b32 v7, v8, v6
	v_cmp_lt_i32_e32 vcc, v9, v3
	s_waitcnt lgkmcnt(0)
	v_max_f32_e32 v7, v7, v7
	v_max_f32_e32 v7, v6, v7
	v_cndmask_b32_e32 v6, v2, v9, vcc
	v_lshlrev_b32_e32 v9, 2, v6
	ds_bpermute_b32 v11, v9, v7
	v_cmp_eq_u32_e32 vcc, 0, v20
	v_lshlrev_b32_e32 v6, 2, v18
	s_and_saveexec_b64 s[0:1], vcc
	s_cbranch_execz .LBB78_23
; %bb.22:
	s_waitcnt lgkmcnt(0)
	v_max_f32_e32 v11, v11, v11
	v_max_f32_e32 v7, v7, v7
	;; [unrolled: 1-line block ×3, first 2 shown]
	ds_write_b32 v6, v7 offset:256
.LBB78_23:
	s_or_b64 exec, exec, s[0:1]
	v_cmp_gt_u32_e64 s[0:1], 2, v20
	s_waitcnt lgkmcnt(0)
	v_mov_b32_e32 v11, 0xff7fffff
	v_lshlrev_b32_e32 v7, 2, v20
	s_barrier
	s_and_saveexec_b64 s[8:9], s[0:1]
; %bb.24:
	ds_read_b32 v11, v7 offset:256
; %bb.25:
	s_or_b64 exec, exec, s[8:9]
	v_xor_b32_e32 v12, 1, v2
	v_cmp_lt_i32_e64 s[8:9], v12, v3
	v_lshlrev_b32_e32 v10, 2, v10
	s_nop 0
	v_cndmask_b32_e64 v12, v2, v12, s[8:9]
	v_lshlrev_b32_e32 v21, 2, v12
	s_waitcnt lgkmcnt(0)
	ds_bpermute_b32 v12, v21, v11
	v_max_f32_e32 v11, v11, v11
	s_lshl_b32 s8, s43, 4
	s_min_i32 s15, s8, s21
	v_cmp_gt_i32_e64 s[8:9], s15, v0
	s_waitcnt lgkmcnt(0)
	v_max_f32_e32 v12, v12, v12
	v_max_f32_e32 v11, v11, v12
	ds_bpermute_b32 v11, v10, v11
	v_mov_b32_e32 v10, 0
	s_and_saveexec_b64 s[34:35], s[8:9]
	s_cbranch_execz .LBB78_29
; %bb.26:
	v_mov_b32_e32 v10, 0x110
	v_lshl_add_u32 v12, v0, 2, v10
	v_mov_b32_e32 v10, 0
	s_mov_b64 s[36:37], 0
	v_mov_b32_e32 v13, v0
.LBB78_27:                              ; =>This Inner Loop Header: Depth=1
	ds_read_b32 v14, v12
	v_add_u32_e32 v13, 0x80, v13
	v_cmp_le_i32_e64 s[10:11], s15, v13
	s_or_b64 s[36:37], s[10:11], s[36:37]
	s_waitcnt lgkmcnt(0)
	v_sub_f32_e32 v14, v14, v11
	v_mul_f32_e32 v14, 0x3fb8aa3b, v14
	v_exp_f32_e32 v14, v14
	ds_write_b32 v12, v14
	v_add_f32_e32 v10, v10, v14
	v_add_u32_e32 v12, 0x200, v12
	s_andn2_b64 exec, exec, s[36:37]
	s_cbranch_execnz .LBB78_27
; %bb.28:
	s_or_b64 exec, exec, s[36:37]
.LBB78_29:
	s_or_b64 exec, exec, s[34:35]
	ds_bpermute_b32 v4, v4, v10
	s_waitcnt lgkmcnt(0)
	v_add_f32_e32 v4, v10, v4
	ds_bpermute_b32 v5, v5, v4
	s_waitcnt lgkmcnt(0)
	v_add_f32_e32 v4, v4, v5
	ds_bpermute_b32 v5, v8, v4
	v_xor_b32_e32 v8, 2, v2
	v_cmp_lt_i32_e64 s[10:11], v8, v3
	s_waitcnt lgkmcnt(0)
	v_add_f32_e32 v4, v4, v5
	ds_bpermute_b32 v5, v9, v4
	v_cndmask_b32_e64 v3, v2, v8, s[10:11]
	v_lshlrev_b32_e32 v3, 2, v3
	s_waitcnt lgkmcnt(0)
	v_add_f32_e32 v4, v4, v5
	ds_bpermute_b32 v3, v3, v4
	s_waitcnt lgkmcnt(0)
	v_add_f32_e32 v3, v4, v3
	ds_bpermute_b32 v4, v21, v3
	s_waitcnt lgkmcnt(0)
	v_add_f32_e32 v3, v3, v4
	s_and_saveexec_b64 s[10:11], vcc
; %bb.30:
	ds_write_b32 v6, v3 offset:264
; %bb.31:
	s_or_b64 exec, exec, s[10:11]
	s_waitcnt lgkmcnt(0)
	s_barrier
	s_and_saveexec_b64 s[10:11], s[0:1]
; %bb.32:
	ds_read_b32 v3, v7 offset:264
; %bb.33:
	s_or_b64 exec, exec, s[10:11]
	s_waitcnt lgkmcnt(0)
	ds_bpermute_b32 v4, v21, v3
	v_lshlrev_b32_e32 v2, 2, v2
	v_and_b32_e32 v2, 0x100, v2
	s_waitcnt lgkmcnt(0)
	v_add_f32_e32 v3, v3, v4
	ds_bpermute_b32 v2, v2, v3
	s_and_saveexec_b64 s[0:1], s[8:9]
	s_cbranch_execz .LBB78_46
; %bb.34:
	s_waitcnt lgkmcnt(0)
	v_add_f32_e32 v2, 0x358637bd, v2
	v_div_scale_f32 v3, s[8:9], v2, v2, 1.0
	v_rcp_f32_e32 v4, v3
	v_div_scale_f32 v5, vcc, 1.0, v2, 1.0
	s_movk_i32 s8, 0x7f
	v_fma_f32 v6, -v3, v4, 1.0
	v_fmac_f32_e32 v4, v6, v4
	v_mul_f32_e32 v6, v5, v4
	v_fma_f32 v7, -v3, v6, v5
	v_fmac_f32_e32 v6, v7, v4
	v_fma_f32 v3, -v3, v6, v5
	v_div_fmas_f32 v3, v3, v4, v6
	v_xad_u32 v4, v0, -1, s15
	v_div_fixup_f32 v2, v3, v2, 1.0
	v_cmp_lt_u32_e32 vcc, s8, v4
	s_mov_b64 s[10:11], -1
	v_mov_b32_e32 v3, v0
	s_and_saveexec_b64 s[8:9], vcc
	s_cbranch_execz .LBB78_43
; %bb.35:
	v_lshrrev_b32_e32 v4, 7, v4
	v_add_u32_e32 v6, -1, v4
	v_lshrrev_b32_e32 v5, 1, v6
	v_mov_b32_e32 v3, v2
	v_add_u32_e32 v5, 1, v5
	v_cmp_lt_u32_e32 vcc, 13, v6
	v_mov_b32_e32 v8, 0
	s_and_saveexec_b64 s[10:11], vcc
	s_cbranch_execz .LBB78_39
; %bb.36:
	v_mov_b32_e32 v7, 0x110
	v_and_b32_e32 v6, -8, v5
	v_lshl_add_u32 v7, v0, 2, v7
	s_mov_b32 s36, 0
	s_mov_b64 s[34:35], 0
.LBB78_37:                              ; =>This Inner Loop Header: Depth=1
	ds_read2st64_b32 v[8:9], v7 offset1:2
	ds_read2st64_b32 v[10:11], v7 offset0:4 offset1:6
	ds_read2st64_b32 v[12:13], v7 offset0:8 offset1:10
	ds_read2st64_b32 v[14:15], v7 offset0:12 offset1:14
	v_add_u32_e32 v6, -8, v6
	s_waitcnt lgkmcnt(3)
	v_pk_mul_f32 v[8:9], v[2:3], v[8:9]
	s_waitcnt lgkmcnt(2)
	v_pk_mul_f32 v[10:11], v[2:3], v[10:11]
	ds_write2st64_b32 v7, v8, v9 offset1:2
	ds_write2st64_b32 v7, v10, v11 offset0:4 offset1:6
	ds_read2st64_b32 v[10:11], v7 offset0:16 offset1:18
	s_waitcnt lgkmcnt(4)
	v_pk_mul_f32 v[8:9], v[2:3], v[12:13]
	ds_write2st64_b32 v7, v8, v9 offset0:8 offset1:10
	s_waitcnt lgkmcnt(4)
	v_pk_mul_f32 v[8:9], v[2:3], v[14:15]
	ds_write2st64_b32 v7, v8, v9 offset0:12 offset1:14
	ds_read2st64_b32 v[8:9], v7 offset0:20 offset1:22
	s_waitcnt lgkmcnt(3)
	v_pk_mul_f32 v[10:11], v[2:3], v[10:11]
	ds_read2st64_b32 v[12:13], v7 offset0:24 offset1:26
	ds_write2st64_b32 v7, v10, v11 offset0:16 offset1:18
	ds_read2st64_b32 v[10:11], v7 offset0:28 offset1:30
	s_waitcnt lgkmcnt(3)
	v_pk_mul_f32 v[8:9], v[2:3], v[8:9]
	ds_write2st64_b32 v7, v8, v9 offset0:20 offset1:22
	s_waitcnt lgkmcnt(3)
	v_pk_mul_f32 v[8:9], v[2:3], v[12:13]
	ds_write2st64_b32 v7, v8, v9 offset0:24 offset1:26
	s_waitcnt lgkmcnt(2)
	v_pk_mul_f32 v[8:9], v[2:3], v[10:11]
	s_add_i32 s36, s36, 16
	v_cmp_eq_u32_e32 vcc, 0, v6
	ds_write2st64_b32 v7, v8, v9 offset0:28 offset1:30
	v_add_u32_e32 v7, 0x2000, v7
	s_or_b64 s[34:35], vcc, s[34:35]
	v_mov_b32_e32 v8, s36
	s_andn2_b64 exec, exec, s[34:35]
	s_cbranch_execnz .LBB78_37
; %bb.38:
	s_or_b64 exec, exec, s[34:35]
.LBB78_39:
	s_or_b64 exec, exec, s[10:11]
	v_and_b32_e32 v5, 7, v5
	v_cmp_ne_u32_e32 vcc, 0, v5
	s_and_saveexec_b64 s[10:11], vcc
	s_cbranch_execz .LBB78_42
; %bb.40:
	v_lshlrev_b32_e32 v6, 9, v8
	v_lshlrev_b32_e32 v7, 2, v0
	s_movk_i32 s34, 0x110
	v_add3_u32 v6, v6, v7, s34
	s_mov_b64 s[34:35], 0
.LBB78_41:                              ; =>This Inner Loop Header: Depth=1
	ds_read2st64_b32 v[8:9], v6 offset1:2
	v_add_u32_e32 v5, -1, v5
	v_cmp_eq_u32_e32 vcc, 0, v5
	s_or_b64 s[34:35], vcc, s[34:35]
	s_waitcnt lgkmcnt(0)
	v_pk_mul_f32 v[8:9], v[2:3], v[8:9]
	ds_write2st64_b32 v6, v8, v9 offset1:2
	v_add_u32_e32 v6, 0x400, v6
	s_andn2_b64 exec, exec, s[34:35]
	s_cbranch_execnz .LBB78_41
.LBB78_42:
	s_or_b64 exec, exec, s[10:11]
	v_add_u32_e32 v4, 1, v4
	v_and_b32_e32 v5, 0x3fffffe, v4
	v_cmp_ne_u32_e32 vcc, v4, v5
	v_lshl_add_u32 v3, v5, 7, v0
	s_orn2_b64 s[10:11], vcc, exec
.LBB78_43:
	s_or_b64 exec, exec, s[8:9]
	s_and_b64 exec, exec, s[10:11]
	s_cbranch_execz .LBB78_46
; %bb.44:
	v_mov_b32_e32 v4, 0x110
	v_lshl_add_u32 v4, v3, 2, v4
	s_mov_b64 s[8:9], 0
.LBB78_45:                              ; =>This Inner Loop Header: Depth=1
	ds_read_b32 v5, v4
	v_add_u32_e32 v3, 0x80, v3
	v_cmp_le_i32_e32 vcc, s15, v3
	s_or_b64 s[8:9], vcc, s[8:9]
	s_waitcnt lgkmcnt(0)
	v_mul_f32_e32 v5, v2, v5
	ds_write_b32 v4, v5
	v_add_u32_e32 v4, 0x200, v4
	s_andn2_b64 exec, exec, s[8:9]
	s_cbranch_execnz .LBB78_45
.LBB78_46:
	s_or_b64 exec, exec, s[0:1]
	v_mov_b32_e32 v7, 0
	v_and_b32_e32 v22, 1, v0
	v_mov_b32_e32 v6, v7
	v_mov_b32_e32 v9, v7
	;; [unrolled: 1-line block ×3, first 2 shown]
	s_waitcnt lgkmcnt(0)
	s_barrier
	s_and_saveexec_b64 s[8:9], s[2:3]
	s_cbranch_execz .LBB78_60
; %bb.47:
	s_ashr_i32 s15, s14, 31
	s_sub_i32 s17, s12, s17
	s_lshl_b64 s[0:1], s[14:15], 1
	s_add_u32 s0, s30, s0
	s_addc_u32 s1, s31, s1
	s_abs_i32 s14, s18
	v_cvt_f32_u32_e32 v3, s14
	v_lshlrev_b32_e32 v2, 3, v0
	v_and_b32_e32 v23, 8, v2
	v_mov_b32_e32 v11, 0
	v_rcp_iflag_f32_e32 v2, v3
	v_lshlrev_b32_e32 v3, 4, v0
	v_and_b32_e32 v10, 0x3f0, v3
	v_lshl_add_u64 v[12:13], s[0:1], 0, v[10:11]
	v_mul_f32_e32 v2, 0x4f7ffffe, v2
	v_cvt_u32_f32_e32 v2, v2
	s_sub_i32 s0, 0, s14
	s_add_i32 s18, s43, -1
	v_and_b32_e32 v10, 60, v1
	v_mul_lo_u32 v3, s0, v2
	s_lshl_b64 s[0:1], s[28:29], 2
	s_add_u32 s0, s26, s0
	v_lshlrev_b32_e32 v1, 5, v22
	v_mul_hi_u32 v3, v2, v3
	s_addc_u32 s1, s27, s1
	v_lshl_or_b32 v1, v18, 6, v1
	s_mov_b32 s15, s13
	s_mov_b32 s30, s21
	v_add_u32_e32 v24, v2, v3
	v_lshl_add_u64 v[14:15], s[0:1], 0, v[10:11]
	v_add_u32_e32 v25, 0x110, v1
	s_mov_b64 s[10:11], 0
	s_mov_b32 s26, 0xffff
	v_mov_b32_e32 v8, 0
	v_mov_b32_e32 v9, 0
	;; [unrolled: 1-line block ×4, first 2 shown]
	s_branch .LBB78_50
.LBB78_48:                              ;   in Loop: Header=BB78_50 Depth=1
	s_or_b64 exec, exec, s[12:13]
	v_lshlrev_b32_e32 v10, 16, v10
	v_lshlrev_b32_e32 v1, 16, v1
	v_and_or_b32 v2, v2, s26, v10
	v_and_or_b32 v1, v3, s26, v1
	v_lshlrev_b32_e32 v3, 16, v16
	v_and_or_b32 v3, v4, s26, v3
	;;#ASMSTART
	v_pk_mul_f16 v2, v35, v2;

	;;#ASMEND
	;;#ASMSTART
	v_pk_mul_f16 v1, v36, v1;

	;;#ASMEND
	;; [unrolled: 4-line block ×4, first 2 shown]
	v_add_f32_e32 v17, v42, v43
	;;#ASMSTART
	v_pk_add_f16 v1, v2, v1;

	;;#ASMEND
	v_add_f32_e32 v6, v6, v17
	;;#ASMSTART
	v_pk_add_f16 v1, v1, v3;

	;;#ASMEND
	;; [unrolled: 5-line block ×3, first 2 shown]
	v_add_f32_e32 v9, v9, v17
	v_lshrrev_b32_e32 v2, 16, v1
	v_and_b32_e32 v1, 0xffff, v1
	;;#ASMSTART
	v_cvt_f32_f16 v1, v1;
	;;#ASMEND
	v_add_f32_e32 v17, v38, v39
	;;#ASMSTART
	v_cvt_f32_f16 v2, v2;
	;;#ASMEND
	v_add_f32_e32 v8, v8, v17
	v_add_f32_e32 v1, v1, v2
	;; [unrolled: 1-line block ×3, first 2 shown]
.LBB78_49:                              ;   in Loop: Header=BB78_50 Depth=1
	s_or_b64 exec, exec, s[0:1]
	v_add_u32_e32 v18, 2, v18
	v_cmp_le_i32_e32 vcc, s43, v18
	v_lshl_add_u64 v[14:15], v[14:15], 0, 8
	v_add_u32_e32 v19, 32, v19
	s_or_b64 s[10:11], vcc, s[10:11]
	v_add_u32_e32 v25, 0x80, v25
	s_andn2_b64 exec, exec, s[10:11]
	s_cbranch_execz .LBB78_59
.LBB78_50:                              ; =>This Inner Loop Header: Depth=1
	v_mul_hi_u32 v1, v19, s33
	v_mul_lo_u32 v2, v1, s23
	v_sub_u32_e32 v2, v19, v2
	v_add_u32_e32 v3, 1, v1
	v_cmp_le_u32_e32 vcc, s23, v2
	s_nop 1
	v_cndmask_b32_e32 v1, v1, v3, vcc
	v_subrev_u32_e32 v3, s23, v2
	v_cndmask_b32_e32 v2, v2, v3, vcc
	v_add_u32_e32 v3, 1, v1
	v_cmp_le_u32_e32 vcc, s23, v2
	s_nop 1
	v_cndmask_b32_e32 v1, v1, v3, vcc
	v_xor_b32_e32 v1, s19, v1
	v_subrev_u32_e32 v1, s19, v1
	v_add_u32_e32 v2, s42, v1
	v_sub_u32_e32 v4, 0, v2
	v_ashrrev_i32_e32 v3, 31, v2
	v_max_i32_e32 v2, v2, v4
	v_mul_hi_u32 v4, v2, v24
	v_mul_lo_u32 v4, v4, s14
	v_sub_u32_e32 v2, v2, v4
	v_subrev_u32_e32 v4, s14, v2
	v_cmp_le_u32_e32 vcc, s14, v2
	v_cmp_lt_i32_e64 s[0:1], s17, v1
	s_nop 0
	v_cndmask_b32_e32 v2, v2, v4, vcc
	v_subrev_u32_e32 v4, s14, v2
	v_cmp_le_u32_e32 vcc, s14, v2
	s_nop 1
	v_cndmask_b32_e32 v2, v2, v4, vcc
	v_xor_b32_e32 v2, v2, v3
	v_sub_u32_e32 v2, v2, v3
	v_cmp_eq_u32_e32 vcc, 0, v2
	s_or_b64 s[2:3], vcc, s[0:1]
	s_and_saveexec_b64 s[0:1], s[2:3]
	s_cbranch_execz .LBB78_49
; %bb.51:                               ;   in Loop: Header=BB78_50 Depth=1
	global_load_dword v1, v[14:15], off
	ds_read2_b64 v[2:5], v25 offset1:1
	ds_read2_b64 v[26:29], v25 offset0:2 offset1:3
	s_waitcnt lgkmcnt(1)
	;;#ASMSTART
	v_cvt_f16_f32 v34, v2;

	;;#ASMEND
	;;#ASMSTART
	v_cvt_f16_f32 v35, v3;

	;;#ASMEND
	;; [unrolled: 4-line block ×4, first 2 shown]
	s_waitcnt lgkmcnt(0)
	;;#ASMSTART
	v_cvt_f16_f32 v38, v26;

	;;#ASMEND
	;;#ASMSTART
	v_cvt_f16_f32 v39, v27;

	;;#ASMEND
	;; [unrolled: 4-line block ×4, first 2 shown]
	v_add_u32_e32 v29, v23, v19
	v_add_u32_e32 v31, 2, v29
	;; [unrolled: 1-line block ×6, first 2 shown]
	v_or_b32_e32 v32, 3, v29
	v_or_b32_e32 v33, 1, v29
	s_waitcnt vmcnt(0)
	v_mad_i64_i32 v[2:3], s[2:3], v1, s15, 0
	v_lshl_add_u64 v[16:17], v[2:3], 1, v[12:13]
	global_load_dwordx4 v[2:5], v[16:17], off
	v_cmp_eq_u32_e64 s[2:3], s18, v18
	s_waitcnt vmcnt(0)
	v_lshrrev_b32_e32 v1, 16, v3
	v_lshrrev_b32_e32 v10, 16, v2
	;; [unrolled: 1-line block ×3, first 2 shown]
	s_and_saveexec_b64 s[12:13], s[2:3]
	s_cbranch_execz .LBB78_53
; %bb.52:                               ;   in Loop: Header=BB78_50 Depth=1
	v_cmp_gt_i32_e32 vcc, s21, v29
	s_nop 1
	v_cndmask_b32_e32 v2, 0, v2, vcc
	v_cmp_gt_i32_e32 vcc, s21, v31
	s_nop 1
	v_cndmask_b32_e32 v3, 0, v3, vcc
	v_cmp_gt_i32_e32 vcc, s30, v32
	s_nop 1
	v_cndmask_b32_e32 v1, 0, v1, vcc
	v_cmp_gt_i32_e32 vcc, s21, v33
	s_nop 1
	v_cndmask_b32_e32 v10, 0, v10, vcc
	v_cmp_gt_i32_e32 vcc, s21, v30
	s_nop 1
	v_cndmask_b32_e32 v4, 0, v4, vcc
	v_cmp_gt_i32_e32 vcc, s21, v28
	s_nop 1
	v_cndmask_b32_e32 v42, 0, v42, vcc
	v_cmp_gt_i32_e32 vcc, s21, v27
	s_nop 1
	v_cndmask_b32_sdwa v43, v11, v5, vcc dst_sel:DWORD dst_unused:UNUSED_PAD src0_sel:DWORD src1_sel:WORD_0
	v_and_b32_e32 v5, 0xffff0000, v5
	v_cmp_gt_i32_e32 vcc, s21, v26
	s_nop 1
	v_cndmask_b32_e32 v5, 0, v5, vcc
	v_or_b32_e32 v5, v43, v5
.LBB78_53:                              ;   in Loop: Header=BB78_50 Depth=1
	s_or_b64 exec, exec, s[12:13]
	v_and_b32_e32 v34, 0xffff, v34
	v_lshl_or_b32 v35, v35, 16, v34
	v_and_b32_e32 v34, 0xffff, v36
	v_lshlrev_b32_e32 v10, 16, v10
	v_lshlrev_b32_e32 v1, 16, v1
	v_lshl_or_b32 v36, v37, 16, v34
	v_and_b32_e32 v34, 0xffff, v38
	v_and_or_b32 v2, v2, s26, v10
	v_and_or_b32 v1, v3, s26, v1
	v_lshlrev_b32_e32 v3, 16, v42
	v_lshl_or_b32 v37, v39, 16, v34
	v_and_b32_e32 v34, 0xffff, v40
	v_and_or_b32 v3, v4, s26, v3
	;;#ASMSTART
	v_pk_mul_f16 v2, v35, v2;

	;;#ASMEND
	;;#ASMSTART
	v_pk_mul_f16 v1, v36, v1;

	;;#ASMEND
	v_lshl_or_b32 v34, v41, 16, v34
	;;#ASMSTART
	v_pk_mul_f16 v3, v37, v3;

	;;#ASMEND
	;;#ASMSTART
	v_pk_mul_f16 v4, v34, v5;

	;;#ASMEND
	;;#ASMSTART
	v_pk_add_f16 v1, v2, v1;

	;;#ASMEND
	s_nop 0
	;;#ASMSTART
	v_pk_add_f16 v1, v1, v3;

	;;#ASMEND
	s_nop 0
	;; [unrolled: 5-line block ×3, first 2 shown]
	v_lshrrev_b32_e32 v2, 16, v1
	v_and_b32_e32 v1, 0xffff, v1
	;;#ASMSTART
	v_cvt_f32_f16 v38, v1;
	;;#ASMEND
	;;#ASMSTART
	v_cvt_f32_f16 v39, v2;
	;;#ASMEND
	global_load_dwordx4 v[2:5], v[16:17], off offset:1024
	s_waitcnt vmcnt(0)
	v_lshrrev_b32_e32 v1, 16, v3
	v_lshrrev_b32_e32 v10, 16, v2
	;; [unrolled: 1-line block ×3, first 2 shown]
	s_and_saveexec_b64 s[12:13], s[2:3]
	s_cbranch_execz .LBB78_55
; %bb.54:                               ;   in Loop: Header=BB78_50 Depth=1
	v_cmp_gt_i32_e32 vcc, s21, v29
	s_nop 1
	v_cndmask_b32_e32 v2, 0, v2, vcc
	v_cmp_gt_i32_e32 vcc, s21, v31
	s_nop 1
	v_cndmask_b32_e32 v3, 0, v3, vcc
	;; [unrolled: 3-line block ×6, first 2 shown]
	v_cmp_gt_i32_e32 vcc, s21, v27
	s_nop 1
	v_cndmask_b32_sdwa v41, v11, v5, vcc dst_sel:DWORD dst_unused:UNUSED_PAD src0_sel:DWORD src1_sel:WORD_0
	v_and_b32_e32 v5, 0xffff0000, v5
	v_cmp_gt_i32_e32 vcc, s21, v26
	s_nop 1
	v_cndmask_b32_e32 v5, 0, v5, vcc
	v_or_b32_e32 v5, v41, v5
.LBB78_55:                              ;   in Loop: Header=BB78_50 Depth=1
	s_or_b64 exec, exec, s[12:13]
	v_lshlrev_b32_e32 v10, 16, v10
	v_lshlrev_b32_e32 v1, 16, v1
	v_and_or_b32 v2, v2, s26, v10
	v_and_or_b32 v1, v3, s26, v1
	v_lshlrev_b32_e32 v3, 16, v40
	v_and_or_b32 v3, v4, s26, v3
	;;#ASMSTART
	v_pk_mul_f16 v2, v35, v2;

	;;#ASMEND
	;;#ASMSTART
	v_pk_mul_f16 v1, v36, v1;

	;;#ASMEND
	;; [unrolled: 4-line block ×4, first 2 shown]
	s_nop 0
	;;#ASMSTART
	v_pk_add_f16 v1, v2, v1;

	;;#ASMEND
	s_nop 0
	;;#ASMSTART
	v_pk_add_f16 v1, v1, v3;

	;;#ASMEND
	;; [unrolled: 5-line block ×3, first 2 shown]
	s_nop 0
	v_lshrrev_b32_e32 v2, 16, v1
	v_and_b32_e32 v1, 0xffff, v1
	;;#ASMSTART
	v_cvt_f32_f16 v40, v1;
	;;#ASMEND
	;;#ASMSTART
	v_cvt_f32_f16 v41, v2;
	;;#ASMEND
	global_load_dwordx4 v[2:5], v[16:17], off offset:2048
	s_waitcnt vmcnt(0)
	v_lshrrev_b32_e32 v1, 16, v3
	v_lshrrev_b32_e32 v10, 16, v2
	;; [unrolled: 1-line block ×3, first 2 shown]
	s_and_saveexec_b64 s[12:13], s[2:3]
	s_cbranch_execz .LBB78_57
; %bb.56:                               ;   in Loop: Header=BB78_50 Depth=1
	v_cmp_gt_i32_e32 vcc, s21, v29
	s_nop 1
	v_cndmask_b32_e32 v2, 0, v2, vcc
	v_cmp_gt_i32_e32 vcc, s21, v31
	s_nop 1
	v_cndmask_b32_e32 v3, 0, v3, vcc
	;; [unrolled: 3-line block ×6, first 2 shown]
	v_cmp_gt_i32_e32 vcc, s21, v27
	s_nop 1
	v_cndmask_b32_sdwa v43, v11, v5, vcc dst_sel:DWORD dst_unused:UNUSED_PAD src0_sel:DWORD src1_sel:WORD_0
	v_and_b32_e32 v5, 0xffff0000, v5
	v_cmp_gt_i32_e32 vcc, s21, v26
	s_nop 1
	v_cndmask_b32_e32 v5, 0, v5, vcc
	v_or_b32_e32 v5, v43, v5
.LBB78_57:                              ;   in Loop: Header=BB78_50 Depth=1
	s_or_b64 exec, exec, s[12:13]
	v_lshlrev_b32_e32 v10, 16, v10
	v_lshlrev_b32_e32 v1, 16, v1
	v_and_or_b32 v2, v2, s26, v10
	v_and_or_b32 v1, v3, s26, v1
	v_lshlrev_b32_e32 v3, 16, v42
	v_and_or_b32 v3, v4, s26, v3
	;;#ASMSTART
	v_pk_mul_f16 v2, v35, v2;

	;;#ASMEND
	;;#ASMSTART
	v_pk_mul_f16 v1, v36, v1;

	;;#ASMEND
	;; [unrolled: 4-line block ×4, first 2 shown]
	s_nop 0
	;;#ASMSTART
	v_pk_add_f16 v1, v2, v1;

	;;#ASMEND
	s_nop 0
	;;#ASMSTART
	v_pk_add_f16 v1, v1, v3;

	;;#ASMEND
	;; [unrolled: 5-line block ×3, first 2 shown]
	s_nop 0
	v_lshrrev_b32_e32 v2, 16, v1
	v_and_b32_e32 v1, 0xffff, v1
	;;#ASMSTART
	v_cvt_f32_f16 v42, v1;
	;;#ASMEND
	;;#ASMSTART
	v_cvt_f32_f16 v43, v2;
	;;#ASMEND
	global_load_dwordx4 v[2:5], v[16:17], off offset:3072
	s_waitcnt vmcnt(0)
	v_lshrrev_b32_e32 v1, 16, v3
	v_lshrrev_b32_e32 v10, 16, v2
	v_lshrrev_b32_e32 v16, 16, v4
	s_and_saveexec_b64 s[12:13], s[2:3]
	s_cbranch_execz .LBB78_48
; %bb.58:                               ;   in Loop: Header=BB78_50 Depth=1
	v_cmp_gt_i32_e32 vcc, s21, v29
	s_nop 1
	v_cndmask_b32_e32 v2, 0, v2, vcc
	v_cmp_gt_i32_e32 vcc, s21, v31
	s_nop 1
	v_cndmask_b32_e32 v3, 0, v3, vcc
	;; [unrolled: 3-line block ×6, first 2 shown]
	v_cmp_gt_i32_e32 vcc, s21, v27
	s_nop 1
	v_cndmask_b32_sdwa v17, v11, v5, vcc dst_sel:DWORD dst_unused:UNUSED_PAD src0_sel:DWORD src1_sel:WORD_0
	v_and_b32_e32 v5, 0xffff0000, v5
	v_cmp_gt_i32_e32 vcc, s21, v26
	s_nop 1
	v_cndmask_b32_e32 v5, 0, v5, vcc
	v_or_b32_e32 v5, v17, v5
	s_branch .LBB78_48
.LBB78_59:
	s_or_b64 exec, exec, s[10:11]
.LBB78_60:
	s_or_b64 exec, exec, s[8:9]
	ds_bpermute_b32 v2, v21, v8
	ds_bpermute_b32 v3, v21, v9
	;; [unrolled: 1-line block ×4, first 2 shown]
	v_and_b32_e32 v1, 0x3c1, v0
	v_cmp_ne_u32_e32 vcc, 64, v1
	s_waitcnt lgkmcnt(2)
	v_pk_add_f32 v[2:3], v[8:9], v[2:3]
	s_waitcnt lgkmcnt(0)
	s_barrier
	s_and_saveexec_b64 s[0:1], vcc
	s_xor_b64 s[0:1], exec, s[0:1]
; %bb.61:
                                        ; implicit-def: $vgpr20
; %bb.62:
	s_or_saveexec_b64 s[0:1], s[0:1]
	v_pk_add_f32 v[4:5], v[6:7], v[4:5]
	s_xor_b64 exec, exec, s[0:1]
	s_cbranch_execz .LBB78_64
; %bb.63:
	v_mov_b32_e32 v6, 0x110
	v_lshl_add_u32 v6, v20, 1, v6
	ds_write2_b32 v6, v2, v3 offset1:32
	ds_write2_b32 v6, v4, v5 offset0:64 offset1:96
.LBB78_64:
	s_or_b64 exec, exec, s[0:1]
	v_lshrrev_b32_e32 v0, 1, v0
	s_waitcnt lgkmcnt(0)
	s_barrier
	s_and_saveexec_b64 s[0:1], s[6:7]
	s_cbranch_execz .LBB78_71
; %bb.65:
	v_mov_b32_e32 v6, 0x110
	v_cmp_eq_u32_e32 vcc, 0, v22
	v_lshl_add_u32 v6, v0, 2, v6
	s_and_saveexec_b64 s[2:3], vcc
	s_cbranch_execnz .LBB78_74
; %bb.66:
	s_or_b64 exec, exec, s[2:3]
	s_and_saveexec_b64 s[2:3], vcc
	s_cbranch_execnz .LBB78_75
.LBB78_67:
	s_or_b64 exec, exec, s[2:3]
	s_and_saveexec_b64 s[2:3], vcc
	s_cbranch_execnz .LBB78_76
.LBB78_68:
	s_or_b64 exec, exec, s[2:3]
	s_and_saveexec_b64 s[2:3], vcc
	s_cbranch_execz .LBB78_70
.LBB78_69:
	ds_read_b32 v6, v6 offset:384
	s_waitcnt lgkmcnt(0)
	v_add_f32_e32 v5, v5, v6
.LBB78_70:
	s_or_b64 exec, exec, s[2:3]
.LBB78_71:
	s_or_b64 exec, exec, s[0:1]
	v_cmp_eq_u32_e32 vcc, 0, v1
	s_barrier
	s_and_saveexec_b64 s[0:1], vcc
	s_cbranch_execz .LBB78_73
; %bb.72:
	s_mul_i32 s0, s20, s16
	s_mul_i32 s0, s0, s5
	s_lshl_b32 s0, s0, 7
	s_ashr_i32 s1, s0, 31
	s_lshl_b64 s[0:1], s[0:1], 1
	s_add_u32 s2, s24, s0
	s_mul_i32 s0, s16, s22
	s_addc_u32 s3, s25, s1
	s_ashr_i32 s1, s0, 31
	s_lshl_b64 s[0:1], s[0:1], 1
	s_add_u32 s2, s2, s0
	s_addc_u32 s3, s3, s1
	s_lshl_b32 s0, s4, 7
	s_ashr_i32 s1, s0, 31
	s_lshl_b64 s[0:1], s[0:1], 1
	s_add_u32 s0, s2, s0
	s_addc_u32 s1, s3, s1
	v_lshlrev_b32_e32 v0, 1, v0
	;;#ASMSTART
	v_cvt_f16_f32 v1, v2;

	;;#ASMEND
	global_store_short v0, v1, s[0:1]
	;;#ASMSTART
	v_cvt_f16_f32 v1, v3;

	;;#ASMEND
	global_store_short v0, v1, s[0:1] offset:64
	;;#ASMSTART
	v_cvt_f16_f32 v1, v4;

	;;#ASMEND
	global_store_short v0, v1, s[0:1] offset:128
	;; [unrolled: 5-line block ×3, first 2 shown]
.LBB78_73:
	s_endpgm
.LBB78_74:
	ds_read_b32 v7, v6
	s_waitcnt lgkmcnt(0)
	v_add_f32_e32 v2, v2, v7
	s_or_b64 exec, exec, s[2:3]
	s_and_saveexec_b64 s[2:3], vcc
	s_cbranch_execz .LBB78_67
.LBB78_75:
	ds_read_b32 v7, v6 offset:128
	s_waitcnt lgkmcnt(0)
	v_add_f32_e32 v3, v3, v7
	s_or_b64 exec, exec, s[2:3]
	s_and_saveexec_b64 s[2:3], vcc
	s_cbranch_execz .LBB78_68
.LBB78_76:
	ds_read_b32 v7, v6 offset:256
	s_waitcnt lgkmcnt(0)
	v_add_f32_e32 v4, v4, v7
	s_or_b64 exec, exec, s[2:3]
	s_and_saveexec_b64 s[2:3], vcc
	s_cbranch_execnz .LBB78_69
	s_branch .LBB78_70
	.section	.rodata,"a",@progbits
	.p2align	6, 0x0
	.amdhsa_kernel _ZN4vllm25paged_attention_v1_kernelIttLi128ELi16ELi128ELNS_18Fp8KVCacheDataTypeE0ELb1EEEvPT_PKS2_PKT0_S8_ifPKiSA_iPKfiiiSC_SC_iiiii
		.amdhsa_group_segment_fixed_size 272
		.amdhsa_private_segment_fixed_size 0
		.amdhsa_kernarg_size 384
		.amdhsa_user_sgpr_count 2
		.amdhsa_user_sgpr_dispatch_ptr 0
		.amdhsa_user_sgpr_queue_ptr 0
		.amdhsa_user_sgpr_kernarg_segment_ptr 1
		.amdhsa_user_sgpr_dispatch_id 0
		.amdhsa_user_sgpr_kernarg_preload_length 0
		.amdhsa_user_sgpr_kernarg_preload_offset 0
		.amdhsa_user_sgpr_private_segment_size 0
		.amdhsa_uses_dynamic_stack 0
		.amdhsa_enable_private_segment 0
		.amdhsa_system_sgpr_workgroup_id_x 1
		.amdhsa_system_sgpr_workgroup_id_y 1
		.amdhsa_system_sgpr_workgroup_id_z 1
		.amdhsa_system_sgpr_workgroup_info 0
		.amdhsa_system_vgpr_workitem_id 0
		.amdhsa_next_free_vgpr 72
		.amdhsa_next_free_sgpr 46
		.amdhsa_accum_offset 72
		.amdhsa_reserve_vcc 1
		.amdhsa_float_round_mode_32 0
		.amdhsa_float_round_mode_16_64 0
		.amdhsa_float_denorm_mode_32 3
		.amdhsa_float_denorm_mode_16_64 3
		.amdhsa_dx10_clamp 1
		.amdhsa_ieee_mode 1
		.amdhsa_fp16_overflow 0
		.amdhsa_tg_split 0
		.amdhsa_exception_fp_ieee_invalid_op 0
		.amdhsa_exception_fp_denorm_src 0
		.amdhsa_exception_fp_ieee_div_zero 0
		.amdhsa_exception_fp_ieee_overflow 0
		.amdhsa_exception_fp_ieee_underflow 0
		.amdhsa_exception_fp_ieee_inexact 0
		.amdhsa_exception_int_div_zero 0
	.end_amdhsa_kernel
	.section	.text._ZN4vllm25paged_attention_v1_kernelIttLi128ELi16ELi128ELNS_18Fp8KVCacheDataTypeE0ELb1EEEvPT_PKS2_PKT0_S8_ifPKiSA_iPKfiiiSC_SC_iiiii,"axG",@progbits,_ZN4vllm25paged_attention_v1_kernelIttLi128ELi16ELi128ELNS_18Fp8KVCacheDataTypeE0ELb1EEEvPT_PKS2_PKT0_S8_ifPKiSA_iPKfiiiSC_SC_iiiii,comdat
.Lfunc_end78:
	.size	_ZN4vllm25paged_attention_v1_kernelIttLi128ELi16ELi128ELNS_18Fp8KVCacheDataTypeE0ELb1EEEvPT_PKS2_PKT0_S8_ifPKiSA_iPKfiiiSC_SC_iiiii, .Lfunc_end78-_ZN4vllm25paged_attention_v1_kernelIttLi128ELi16ELi128ELNS_18Fp8KVCacheDataTypeE0ELb1EEEvPT_PKS2_PKT0_S8_ifPKiSA_iPKfiiiSC_SC_iiiii
                                        ; -- End function
	.set _ZN4vllm25paged_attention_v1_kernelIttLi128ELi16ELi128ELNS_18Fp8KVCacheDataTypeE0ELb1EEEvPT_PKS2_PKT0_S8_ifPKiSA_iPKfiiiSC_SC_iiiii.num_vgpr, 72
	.set _ZN4vllm25paged_attention_v1_kernelIttLi128ELi16ELi128ELNS_18Fp8KVCacheDataTypeE0ELb1EEEvPT_PKS2_PKT0_S8_ifPKiSA_iPKfiiiSC_SC_iiiii.num_agpr, 0
	.set _ZN4vllm25paged_attention_v1_kernelIttLi128ELi16ELi128ELNS_18Fp8KVCacheDataTypeE0ELb1EEEvPT_PKS2_PKT0_S8_ifPKiSA_iPKfiiiSC_SC_iiiii.numbered_sgpr, 46
	.set _ZN4vllm25paged_attention_v1_kernelIttLi128ELi16ELi128ELNS_18Fp8KVCacheDataTypeE0ELb1EEEvPT_PKS2_PKT0_S8_ifPKiSA_iPKfiiiSC_SC_iiiii.num_named_barrier, 0
	.set _ZN4vllm25paged_attention_v1_kernelIttLi128ELi16ELi128ELNS_18Fp8KVCacheDataTypeE0ELb1EEEvPT_PKS2_PKT0_S8_ifPKiSA_iPKfiiiSC_SC_iiiii.private_seg_size, 0
	.set _ZN4vllm25paged_attention_v1_kernelIttLi128ELi16ELi128ELNS_18Fp8KVCacheDataTypeE0ELb1EEEvPT_PKS2_PKT0_S8_ifPKiSA_iPKfiiiSC_SC_iiiii.uses_vcc, 1
	.set _ZN4vllm25paged_attention_v1_kernelIttLi128ELi16ELi128ELNS_18Fp8KVCacheDataTypeE0ELb1EEEvPT_PKS2_PKT0_S8_ifPKiSA_iPKfiiiSC_SC_iiiii.uses_flat_scratch, 0
	.set _ZN4vllm25paged_attention_v1_kernelIttLi128ELi16ELi128ELNS_18Fp8KVCacheDataTypeE0ELb1EEEvPT_PKS2_PKT0_S8_ifPKiSA_iPKfiiiSC_SC_iiiii.has_dyn_sized_stack, 0
	.set _ZN4vllm25paged_attention_v1_kernelIttLi128ELi16ELi128ELNS_18Fp8KVCacheDataTypeE0ELb1EEEvPT_PKS2_PKT0_S8_ifPKiSA_iPKfiiiSC_SC_iiiii.has_recursion, 0
	.set _ZN4vllm25paged_attention_v1_kernelIttLi128ELi16ELi128ELNS_18Fp8KVCacheDataTypeE0ELb1EEEvPT_PKS2_PKT0_S8_ifPKiSA_iPKfiiiSC_SC_iiiii.has_indirect_call, 0
	.section	.AMDGPU.csdata,"",@progbits
; Kernel info:
; codeLenInByte = 7452
; TotalNumSgprs: 52
; NumVgprs: 72
; NumAgprs: 0
; TotalNumVgprs: 72
; ScratchSize: 0
; MemoryBound: 0
; FloatMode: 240
; IeeeMode: 1
; LDSByteSize: 272 bytes/workgroup (compile time only)
; SGPRBlocks: 6
; VGPRBlocks: 8
; NumSGPRsForWavesPerEU: 52
; NumVGPRsForWavesPerEU: 72
; AccumOffset: 72
; Occupancy: 7
; WaveLimiterHint : 1
; COMPUTE_PGM_RSRC2:SCRATCH_EN: 0
; COMPUTE_PGM_RSRC2:USER_SGPR: 2
; COMPUTE_PGM_RSRC2:TRAP_HANDLER: 0
; COMPUTE_PGM_RSRC2:TGID_X_EN: 1
; COMPUTE_PGM_RSRC2:TGID_Y_EN: 1
; COMPUTE_PGM_RSRC2:TGID_Z_EN: 1
; COMPUTE_PGM_RSRC2:TIDIG_COMP_CNT: 0
; COMPUTE_PGM_RSRC3_GFX90A:ACCUM_OFFSET: 17
; COMPUTE_PGM_RSRC3_GFX90A:TG_SPLIT: 0
	.section	.text._ZN4vllm25paged_attention_v1_kernelIttLi192ELi16ELi128ELNS_18Fp8KVCacheDataTypeE0ELb1EEEvPT_PKS2_PKT0_S8_ifPKiSA_iPKfiiiSC_SC_iiiii,"axG",@progbits,_ZN4vllm25paged_attention_v1_kernelIttLi192ELi16ELi128ELNS_18Fp8KVCacheDataTypeE0ELb1EEEvPT_PKS2_PKT0_S8_ifPKiSA_iPKfiiiSC_SC_iiiii,comdat
	.protected	_ZN4vllm25paged_attention_v1_kernelIttLi192ELi16ELi128ELNS_18Fp8KVCacheDataTypeE0ELb1EEEvPT_PKS2_PKT0_S8_ifPKiSA_iPKfiiiSC_SC_iiiii ; -- Begin function _ZN4vllm25paged_attention_v1_kernelIttLi192ELi16ELi128ELNS_18Fp8KVCacheDataTypeE0ELb1EEEvPT_PKS2_PKT0_S8_ifPKiSA_iPKfiiiSC_SC_iiiii
	.globl	_ZN4vllm25paged_attention_v1_kernelIttLi192ELi16ELi128ELNS_18Fp8KVCacheDataTypeE0ELb1EEEvPT_PKS2_PKT0_S8_ifPKiSA_iPKfiiiSC_SC_iiiii
	.p2align	8
	.type	_ZN4vllm25paged_attention_v1_kernelIttLi192ELi16ELi128ELNS_18Fp8KVCacheDataTypeE0ELb1EEEvPT_PKS2_PKT0_S8_ifPKiSA_iPKfiiiSC_SC_iiiii,@function
_ZN4vllm25paged_attention_v1_kernelIttLi192ELi16ELi128ELNS_18Fp8KVCacheDataTypeE0ELb1EEEvPT_PKS2_PKT0_S8_ifPKiSA_iPKfiiiSC_SC_iiiii: ; @_ZN4vllm25paged_attention_v1_kernelIttLi192ELi16ELi128ELNS_18Fp8KVCacheDataTypeE0ELb1EEEvPT_PKS2_PKT0_S8_ifPKiSA_iPKfiiiSC_SC_iiiii
; %bb.0:
	s_load_dword s5, s[0:1], 0x80
	s_load_dwordx2 s[6:7], s[0:1], 0x30
	s_load_dwordx2 s[30:31], s[0:1], 0x20
	s_mov_b32 s10, s3
	s_ashr_i32 s11, s3, 31
	s_lshl_b64 s[8:9], s[10:11], 2
	s_waitcnt lgkmcnt(0)
	s_add_u32 s6, s6, s8
	s_addc_u32 s7, s7, s9
	s_abs_i32 s3, s30
	v_cvt_f32_u32_e32 v1, s3
	s_sub_i32 s11, 0, s3
	s_abs_i32 s9, s5
	s_xor_b32 s8, s5, s30
	v_rcp_iflag_f32_e32 v1, v1
	s_ashr_i32 s8, s8, 31
	s_mov_b32 s42, 0
	v_mul_f32_e32 v1, 0x4f7ffffe, v1
	v_cvt_u32_f32_e32 v1, v1
	s_nop 0
	v_readfirstlane_b32 s12, v1
	s_mul_i32 s11, s11, s12
	s_mul_hi_u32 s11, s12, s11
	s_add_i32 s12, s12, s11
	s_mul_hi_u32 s11, s9, s12
	s_mul_i32 s12, s11, s3
	s_sub_i32 s9, s9, s12
	s_add_i32 s12, s11, 1
	s_sub_i32 s13, s9, s3
	s_cmp_ge_u32 s9, s3
	s_cselect_b32 s11, s12, s11
	s_cselect_b32 s9, s13, s9
	s_add_i32 s12, s11, 1
	s_cmp_ge_u32 s9, s3
	s_cselect_b32 s3, s12, s11
	s_xor_b32 s3, s3, s8
	s_sub_i32 s12, s3, s8
	s_abs_i32 s11, s12
	v_cvt_f32_u32_e32 v1, s11
	s_load_dwordx2 s[8:9], s[0:1], 0x40
	s_sub_i32 s3, 0, s11
	s_abs_i32 s22, s2
	v_rcp_iflag_f32_e32 v1, v1
	s_nop 0
	v_mul_f32_e32 v1, 0x4f7ffffe, v1
	v_cvt_u32_f32_e32 v1, v1
	s_nop 0
	v_readfirstlane_b32 s13, v1
	s_mul_i32 s3, s3, s13
	s_mul_hi_u32 s3, s13, s3
	s_add_i32 s13, s13, s3
	s_waitcnt lgkmcnt(0)
	s_cmp_eq_u64 s[8:9], 0
	s_mul_hi_u32 s23, s22, s13
	s_cbranch_scc1 .LBB79_2
; %bb.1:
	s_ashr_i32 s3, s2, 31
	s_lshl_b64 s[14:15], s[2:3], 2
	s_add_u32 s8, s8, s14
	s_addc_u32 s9, s9, s15
	s_load_dword s42, s[8:9], 0x0
.LBB79_2:
	s_load_dword s33, s[6:7], 0x0
	s_ashr_i32 s9, s12, 31
	s_load_dwordx4 s[12:15], s[0:1], 0x48
	s_movk_i32 s8, 0x60
	s_ashr_i32 s3, s2, 31
	v_and_b32_e32 v4, 3, v0
	s_mul_i32 s20, s2, 0xc0
	v_cmp_gt_u32_e32 vcc, s8, v0
	s_and_saveexec_b64 s[6:7], vcc
	s_cbranch_execz .LBB79_4
; %bb.3:
	s_load_dwordx2 s[16:17], s[0:1], 0x8
	s_waitcnt lgkmcnt(0)
	s_mul_i32 s18, s12, s10
	s_ashr_i32 s19, s18, 31
	s_lshl_b64 s[18:19], s[18:19], 1
	v_lshlrev_b32_e32 v1, 2, v0
	s_add_u32 s12, s16, s18
	s_addc_u32 s15, s17, s19
	s_ashr_i32 s21, s20, 31
	s_lshl_b64 s[16:17], s[20:21], 1
	s_add_u32 s16, s12, s16
	s_addc_u32 s17, s15, s17
	global_load_dword v1, v1, s[16:17]
	v_and_b32_e32 v2, 0x3fc, v0
	v_mad_u32_u24 v2, v4, s8, v2
	s_waitcnt vmcnt(0)
	ds_write_b32 v2, v1
.LBB79_4:
	s_or_b64 exec, exec, s[6:7]
	s_mul_i32 s6, s23, s11
	s_sub_i32 s6, s22, s6
	s_xor_b32 s3, s3, s9
	s_add_i32 s7, s23, 1
	s_sub_i32 s9, s6, s11
	s_load_dwordx4 s[16:19], s[0:1], 0x68
	s_load_dword s8, s[0:1], 0x78
	s_cmp_ge_u32 s6, s11
	s_cselect_b32 s7, s7, s23
	s_cselect_b32 s6, s9, s6
	s_add_i32 s9, s7, 1
	s_cmp_ge_u32 s6, s11
	s_cselect_b32 s6, s9, s7
	s_waitcnt lgkmcnt(0)
	s_abs_i32 s21, s19
	v_cvt_f32_u32_e32 v1, s21
	s_xor_b32 s6, s6, s3
	s_sub_i32 s3, s6, s3
	s_sub_i32 s6, 0, s21
	v_rcp_iflag_f32_e32 v1, v1
	s_add_i32 s11, s33, -1
	s_abs_i32 s9, s11
	v_mul_f32_e32 v1, 0x4f7ffffe, v1
	v_cvt_u32_f32_e32 v1, v1
	s_barrier
	v_readfirstlane_b32 s40, v1
	s_mul_i32 s6, s6, s40
	s_mul_hi_u32 s6, s40, s6
	s_add_i32 s40, s40, s6
	s_cmp_lt_i32 s8, 0
	s_mul_hi_u32 s12, s9, s40
	s_cbranch_scc0 .LBB79_6
; %bb.5:
	s_mul_i32 s6, s16, s30
	s_add_i32 s6, s3, s6
	s_mul_i32 s6, s6, s8
	s_sub_i32 s41, 1, s6
	s_mov_b64 s[6:7], 0
	s_branch .LBB79_7
.LBB79_6:
	s_mov_b64 s[6:7], -1
                                        ; implicit-def: $sgpr41
.LBB79_7:
	s_load_dwordx2 s[24:25], s[0:1], 0x28
	s_ashr_i32 s15, s11, 31
	s_andn2_b64 vcc, exec, s[6:7]
	s_ashr_i32 s19, s19, 31
	s_cbranch_vccnz .LBB79_9
; %bb.8:
	s_mul_i32 s6, s5, s16
	s_add_i32 s2, s6, s2
	s_mul_i32 s2, s2, s8
	s_add_i32 s41, s2, 1
.LBB79_9:
	s_load_dword s2, s[0:1], 0x38
	s_load_dwordx2 s[22:23], s[0:1], 0x0
	s_load_dwordx2 s[28:29], s[0:1], 0x18
	s_load_dword s11, s[0:1], 0x88
	s_xor_b32 s6, s15, s19
	s_waitcnt lgkmcnt(0)
	s_mul_i32 s26, s2, s10
	s_mul_i32 s2, s12, s21
	s_sub_i32 s2, s9, s2
	s_ashr_i32 s27, s26, 31
	s_add_i32 s7, s12, 1
	s_sub_i32 s8, s2, s21
	s_cmp_ge_u32 s2, s21
	s_cselect_b32 s7, s7, s12
	s_cselect_b32 s2, s8, s2
	s_add_i32 s8, s7, 1
	s_cmp_ge_u32 s2, s21
	s_cselect_b32 s2, s8, s7
	s_xor_b32 s2, s2, s6
	s_sub_i32 s12, s2, s6
	s_add_i32 s2, s33, 15
	s_ashr_i32 s6, s2, 31
	s_lshr_b32 s6, s6, 28
	s_add_i32 s2, s2, s6
	s_ashr_i32 s16, s2, 4
	v_lshrrev_b32_e32 v20, 6, v0
	v_cmp_gt_i32_e64 s[6:7], s16, v20
	v_mov_b32_e32 v11, 0xff7fffff
	s_mul_i32 s14, s3, s14
	v_lshrrev_b32_e32 v1, 4, v0
	v_lshlrev_b32_e32 v21, 4, v20
	v_mbcnt_lo_u32_b32 v8, -1, 0
	s_and_saveexec_b64 s[34:35], s[6:7]
	s_cbranch_execz .LBB79_21
; %bb.10:
	s_load_dwordx2 s[0:1], s[0:1], 0x10
	s_ashr_i32 s15, s14, 31
	s_sub_i32 s30, s12, s17
	s_lshl_b64 s[2:3], s[14:15], 1
	v_bfe_u32 v9, v0, 2, 4
	s_waitcnt lgkmcnt(0)
	s_add_u32 s0, s0, s2
	s_addc_u32 s1, s1, s3
	s_abs_i32 s15, s18
	v_cvt_f32_u32_e32 v5, s15
	v_lshlrev_b32_e32 v6, 4, v9
	v_mov_b32_e32 v7, 0
	v_lshl_add_u64 v[2:3], s[0:1], 0, v[6:7]
	v_rcp_iflag_f32_e32 v5, v5
	s_sub_i32 s0, 0, s15
	v_cmp_eq_u32_e32 vcc, 0, v4
	v_lshlrev_b32_e32 v6, 2, v0
	v_mul_f32_e32 v5, 0x4f7ffffe, v5
	v_cvt_u32_f32_e32 v5, v5
	v_mul_u32_u24_e32 v10, 0x60, v4
	v_and_b32_e32 v6, 12, v6
	v_lshl_add_u64 v[2:3], v[2:3], 0, v[6:7]
	v_mul_lo_u32 v4, s0, v5
	s_lshl_b64 s[0:1], s[26:27], 2
	s_add_u32 s0, s24, s0
	v_mul_hi_u32 v4, v5, v4
	v_and_b32_e32 v6, 60, v1
	s_addc_u32 s1, s25, s1
	v_add_u32_e32 v12, v5, v4
	v_lshl_add_u64 v[4:5], s[0:1], 0, v[6:7]
	v_subrev_u32_e32 v6, s33, v9
	v_add_u32_e32 v14, 1, v6
	v_lshlrev_b32_e32 v6, 2, v9
	v_lshl_or_b32 v6, v20, 6, v6
	v_mbcnt_hi_u32_b32 v17, -1, v8
	v_add_u32_e32 v15, 0x190, v6
	v_and_b32_e32 v6, 64, v17
	s_mov_b32 s43, s13
	v_cmp_neq_f32_e64 s[2:3], s42, 0
	v_lshlrev_b32_e32 v13, 4, v20
	v_mov_b32_e32 v16, 0xff7fffff
	s_mov_b64 s[36:37], 0
	s_movk_i32 s44, 0x1000
	v_add_u32_e32 v18, 64, v6
	v_xor_b32_e32 v19, 2, v17
	v_xor_b32_e32 v22, 1, v17
	v_mov_b32_e32 v11, 0xff7fffff
	v_mov_b32_e32 v23, v20
	s_branch .LBB79_13
.LBB79_11:                              ;   in Loop: Header=BB79_13 Depth=1
	s_or_b64 exec, exec, s[38:39]
.LBB79_12:                              ;   in Loop: Header=BB79_13 Depth=1
	s_or_b64 exec, exec, s[8:9]
	v_add_u32_e32 v23, 2, v23
	v_cmp_le_i32_e64 s[0:1], s16, v23
	v_lshl_add_u64 v[4:5], v[4:5], 0, 8
	v_add_u32_e32 v13, 32, v13
	s_or_b64 s[36:37], s[0:1], s[36:37]
	v_add_u32_e32 v15, 0x80, v15
	s_andn2_b64 exec, exec, s[36:37]
	s_cbranch_execz .LBB79_20
.LBB79_13:                              ; =>This Inner Loop Header: Depth=1
	v_mul_hi_u32 v6, v13, s40
	s_waitcnt lgkmcnt(0)
	v_mul_lo_u32 v7, v6, s21
	v_sub_u32_e32 v7, v13, v7
	v_add_u32_e32 v24, 1, v6
	v_cmp_le_u32_e64 s[0:1], s21, v7
	s_nop 1
	v_cndmask_b32_e64 v6, v6, v24, s[0:1]
	v_subrev_u32_e32 v24, s21, v7
	v_cndmask_b32_e64 v7, v7, v24, s[0:1]
	v_add_u32_e32 v24, 1, v6
	v_cmp_le_u32_e64 s[0:1], s21, v7
	s_nop 1
	v_cndmask_b32_e64 v6, v6, v24, s[0:1]
	v_xor_b32_e32 v6, s19, v6
	v_subrev_u32_e32 v6, s19, v6
	v_add_u32_e32 v7, s41, v6
	v_sub_u32_e32 v25, 0, v7
	v_ashrrev_i32_e32 v24, 31, v7
	v_max_i32_e32 v7, v7, v25
	v_mul_hi_u32 v25, v7, v12
	v_mul_lo_u32 v25, v25, s15
	v_sub_u32_e32 v7, v7, v25
	v_subrev_u32_e32 v25, s15, v7
	v_cmp_le_u32_e64 s[0:1], s15, v7
	v_cmp_ge_i32_e64 s[8:9], s30, v6
	s_nop 0
	v_cndmask_b32_e64 v7, v7, v25, s[0:1]
	v_subrev_u32_e32 v25, s15, v7
	v_cmp_le_u32_e64 s[0:1], s15, v7
	s_nop 1
	v_cndmask_b32_e64 v7, v7, v25, s[0:1]
	v_xor_b32_e32 v7, v7, v24
	v_sub_u32_e32 v7, v7, v24
	v_cmp_ne_u32_e64 s[0:1], 0, v7
	s_and_b64 s[0:1], s[0:1], s[8:9]
	s_and_saveexec_b64 s[8:9], s[0:1]
	s_xor_b64 s[0:1], exec, s[8:9]
	s_cbranch_execz .LBB79_17
; %bb.14:                               ;   in Loop: Header=BB79_13 Depth=1
	s_and_saveexec_b64 s[8:9], vcc
; %bb.15:                               ;   in Loop: Header=BB79_13 Depth=1
	ds_write_b32 v15, v16
; %bb.16:                               ;   in Loop: Header=BB79_13 Depth=1
	s_or_b64 exec, exec, s[8:9]
.LBB79_17:                              ;   in Loop: Header=BB79_13 Depth=1
	s_andn2_saveexec_b64 s[8:9], s[0:1]
	s_cbranch_execz .LBB79_12
; %bb.18:                               ;   in Loop: Header=BB79_13 Depth=1
	global_load_dword v6, v[4:5], off
	s_waitcnt vmcnt(0)
	v_mad_i64_i32 v[6:7], s[0:1], v6, s43, 0
	v_lshl_add_u64 v[6:7], v[6:7], 1, v[2:3]
	global_load_dword v34, v[6:7], off
	global_load_dword v33, v[6:7], off offset:256
	global_load_dword v32, v[6:7], off offset:512
	;; [unrolled: 1-line block ×11, first 2 shown]
	ds_read_b32 v36, v10
	global_load_dword v39, v[6:7], off offset:3072
	global_load_dword v40, v[6:7], off offset:3328
	global_load_dword v41, v[6:7], off offset:3584
	global_load_dword v42, v[6:7], off offset:3840
	v_cmp_lt_i32_e64 s[0:1], v19, v18
	s_waitcnt lgkmcnt(0)
	v_lshrrev_b32_e32 v49, 16, v36
	v_cndmask_b32_e64 v35, v17, v19, s[0:1]
	v_and_b32_e32 v50, 0xffff, v36
	v_add_co_u32_e64 v36, s[0:1], s44, v6
	v_lshlrev_b32_e32 v35, 2, v35
	s_nop 0
	v_addc_co_u32_e64 v37, s[0:1], 0, v7, s[0:1]
	global_load_dword v43, v[36:37], off
	global_load_dword v44, v[36:37], off offset:256
	global_load_dword v45, v[36:37], off offset:512
	;; [unrolled: 1-line block ×7, first 2 shown]
	;;#ASMSTART
	v_cvt_f32_f16 v36, v50;
	;;#ASMEND
	;;#ASMSTART
	v_cvt_f32_f16 v37, v49;
	;;#ASMEND
	v_cmp_lt_i32_e64 s[0:1], v22, v18
	s_waitcnt vmcnt(23)
	v_lshrrev_b32_e32 v49, 16, v34
	v_and_b32_e32 v34, 0xffff, v34
	;;#ASMSTART
	v_cvt_f32_f16 v34, v34;
	;;#ASMEND
	;;#ASMSTART
	v_cvt_f32_f16 v49, v49;
	;;#ASMEND
	ds_read_b32 v50, v10 offset:4
	s_waitcnt vmcnt(22)
	v_lshrrev_b32_e32 v51, 16, v33
	v_and_b32_e32 v52, 0xffff, v33
	s_waitcnt vmcnt(21)
	v_lshrrev_b32_e32 v53, 16, v32
	v_and_b32_e32 v54, 0xffff, v32
	s_waitcnt lgkmcnt(0)
	v_lshrrev_b32_e32 v33, 16, v50
	v_and_b32_e32 v32, 0xffff, v50
	;;#ASMSTART
	v_cvt_f32_f16 v32, v32;
	;;#ASMEND
	;;#ASMSTART
	v_cvt_f32_f16 v33, v33;
	;;#ASMEND
	;;#ASMSTART
	v_cvt_f32_f16 v50, v52;
	;;#ASMEND
	;;#ASMSTART
	v_cvt_f32_f16 v51, v51;
	;;#ASMEND
	ds_read_b32 v52, v10 offset:8
	s_waitcnt vmcnt(20)
	v_lshrrev_b32_e32 v55, 16, v31
	v_and_b32_e32 v56, 0xffff, v31
	s_waitcnt vmcnt(19)
	v_lshrrev_b32_e32 v57, 16, v30
	v_and_b32_e32 v58, 0xffff, v30
	s_waitcnt lgkmcnt(0)
	v_lshrrev_b32_e32 v31, 16, v52
	v_and_b32_e32 v30, 0xffff, v52
	;;#ASMSTART
	v_cvt_f32_f16 v30, v30;
	;;#ASMEND
	;;#ASMSTART
	v_cvt_f32_f16 v31, v31;
	;;#ASMEND
	;;#ASMSTART
	v_cvt_f32_f16 v52, v54;
	;;#ASMEND
	;;#ASMSTART
	v_cvt_f32_f16 v53, v53;
	;;#ASMEND
	ds_read_b32 v54, v10 offset:12
	s_waitcnt vmcnt(18)
	v_lshrrev_b32_e32 v59, 16, v29
	v_and_b32_e32 v60, 0xffff, v29
	s_waitcnt vmcnt(17)
	v_lshrrev_b32_e32 v61, 16, v28
	v_and_b32_e32 v62, 0xffff, v28
	s_waitcnt lgkmcnt(0)
	v_lshrrev_b32_e32 v29, 16, v54
	v_and_b32_e32 v28, 0xffff, v54
	;;#ASMSTART
	v_cvt_f32_f16 v28, v28;
	;;#ASMEND
	;;#ASMSTART
	v_cvt_f32_f16 v29, v29;
	;;#ASMEND
	;;#ASMSTART
	v_cvt_f32_f16 v54, v56;
	;;#ASMEND
	;;#ASMSTART
	v_cvt_f32_f16 v55, v55;
	;;#ASMEND
	ds_read_b32 v56, v10 offset:16
	s_waitcnt vmcnt(16)
	v_lshrrev_b32_e32 v63, 16, v27
	v_and_b32_e32 v64, 0xffff, v27
	s_waitcnt vmcnt(15)
	v_lshrrev_b32_e32 v65, 16, v26
	v_and_b32_e32 v66, 0xffff, v26
	s_waitcnt lgkmcnt(0)
	v_lshrrev_b32_e32 v27, 16, v56
	v_and_b32_e32 v26, 0xffff, v56
	;;#ASMSTART
	v_cvt_f32_f16 v26, v26;
	;;#ASMEND
	;;#ASMSTART
	v_cvt_f32_f16 v27, v27;
	;;#ASMEND
	;;#ASMSTART
	v_cvt_f32_f16 v56, v58;
	;;#ASMEND
	;;#ASMSTART
	v_cvt_f32_f16 v57, v57;
	;;#ASMEND
	ds_read_b32 v58, v10 offset:20
	s_waitcnt vmcnt(14)
	v_lshrrev_b32_e32 v67, 16, v25
	v_and_b32_e32 v68, 0xffff, v25
	s_waitcnt vmcnt(13)
	v_lshrrev_b32_e32 v69, 16, v24
	v_and_b32_e32 v70, 0xffff, v24
	s_waitcnt lgkmcnt(0)
	v_lshrrev_b32_e32 v25, 16, v58
	v_and_b32_e32 v24, 0xffff, v58
	;;#ASMSTART
	v_cvt_f32_f16 v24, v24;
	;;#ASMEND
	;;#ASMSTART
	v_cvt_f32_f16 v25, v25;
	;;#ASMEND
	;;#ASMSTART
	v_cvt_f32_f16 v58, v60;
	;;#ASMEND
	;;#ASMSTART
	v_cvt_f32_f16 v59, v59;
	;;#ASMEND
	ds_read_b32 v60, v10 offset:24
	s_waitcnt vmcnt(12)
	v_lshrrev_b32_e32 v71, 16, v38
	v_and_b32_e32 v72, 0xffff, v38
	s_waitcnt vmcnt(11)
	v_lshrrev_b32_e32 v73, 16, v39
	v_and_b32_e32 v74, 0xffff, v39
	s_waitcnt lgkmcnt(0)
	v_lshrrev_b32_e32 v39, 16, v60
	v_and_b32_e32 v38, 0xffff, v60
	;;#ASMSTART
	v_cvt_f32_f16 v38, v38;
	;;#ASMEND
	;;#ASMSTART
	v_cvt_f32_f16 v39, v39;
	;;#ASMEND
	;;#ASMSTART
	v_cvt_f32_f16 v60, v62;
	;;#ASMEND
	;;#ASMSTART
	v_cvt_f32_f16 v61, v61;
	;;#ASMEND
	ds_read_b32 v62, v10 offset:28
	s_waitcnt vmcnt(10)
	v_lshrrev_b32_e32 v75, 16, v40
	v_and_b32_e32 v76, 0xffff, v40
	s_waitcnt vmcnt(9)
	v_lshrrev_b32_e32 v77, 16, v41
	v_and_b32_e32 v78, 0xffff, v41
	s_waitcnt lgkmcnt(0)
	v_lshrrev_b32_e32 v41, 16, v62
	v_and_b32_e32 v40, 0xffff, v62
	;;#ASMSTART
	v_cvt_f32_f16 v40, v40;
	;;#ASMEND
	;;#ASMSTART
	v_cvt_f32_f16 v41, v41;
	;;#ASMEND
	;;#ASMSTART
	v_cvt_f32_f16 v62, v64;
	;;#ASMEND
	;;#ASMSTART
	v_cvt_f32_f16 v63, v63;
	;;#ASMEND
	ds_read_b32 v64, v10 offset:32
	s_waitcnt vmcnt(8)
	v_lshrrev_b32_e32 v79, 16, v42
	v_and_b32_e32 v80, 0xffff, v42
	s_waitcnt vmcnt(7)
	v_lshrrev_b32_e32 v81, 16, v43
	v_and_b32_e32 v82, 0xffff, v43
	s_waitcnt lgkmcnt(0)
	v_lshrrev_b32_e32 v43, 16, v64
	v_and_b32_e32 v42, 0xffff, v64
	;;#ASMSTART
	v_cvt_f32_f16 v42, v42;
	;;#ASMEND
	;;#ASMSTART
	v_cvt_f32_f16 v43, v43;
	;;#ASMEND
	;;#ASMSTART
	v_cvt_f32_f16 v64, v66;
	;;#ASMEND
	;;#ASMSTART
	v_cvt_f32_f16 v65, v65;
	;;#ASMEND
	ds_read_b32 v66, v10 offset:36
	s_waitcnt vmcnt(6)
	v_lshrrev_b32_e32 v83, 16, v44
	v_and_b32_e32 v84, 0xffff, v44
	s_waitcnt vmcnt(5)
	v_lshrrev_b32_e32 v85, 16, v45
	v_and_b32_e32 v86, 0xffff, v45
	s_waitcnt lgkmcnt(0)
	v_lshrrev_b32_e32 v45, 16, v66
	v_and_b32_e32 v44, 0xffff, v66
	;;#ASMSTART
	v_cvt_f32_f16 v44, v44;
	;;#ASMEND
	;;#ASMSTART
	v_cvt_f32_f16 v45, v45;
	;;#ASMEND
	;;#ASMSTART
	v_cvt_f32_f16 v66, v68;
	;;#ASMEND
	;;#ASMSTART
	v_cvt_f32_f16 v67, v67;
	;;#ASMEND
	ds_read_b32 v68, v10 offset:40
	s_waitcnt vmcnt(4)
	v_lshrrev_b32_e32 v87, 16, v46
	v_and_b32_e32 v88, 0xffff, v46
	v_mul_f32_e32 v32, v32, v50
	v_mul_f32_e32 v33, v33, v51
	s_waitcnt lgkmcnt(0)
	v_lshrrev_b32_e32 v50, 16, v68
	v_and_b32_e32 v46, 0xffff, v68
	;;#ASMSTART
	v_cvt_f32_f16 v46, v46;
	;;#ASMEND
	;;#ASMSTART
	v_cvt_f32_f16 v50, v50;
	;;#ASMEND
	;;#ASMSTART
	v_cvt_f32_f16 v51, v70;
	;;#ASMEND
	;;#ASMSTART
	v_cvt_f32_f16 v68, v69;
	;;#ASMEND
	ds_read_b32 v69, v10 offset:44
	v_fmac_f32_e32 v32, v36, v34
	s_waitcnt vmcnt(3)
	v_lshrrev_b32_e32 v70, 16, v47
	v_and_b32_e32 v89, 0xffff, v47
	v_fmac_f32_e32 v33, v37, v49
	s_waitcnt lgkmcnt(0)
	v_lshrrev_b32_e32 v36, 16, v69
	v_and_b32_e32 v34, 0xffff, v69
	;;#ASMSTART
	v_cvt_f32_f16 v34, v34;
	;;#ASMEND
	;;#ASMSTART
	v_cvt_f32_f16 v36, v36;
	;;#ASMEND
	;; [unrolled: 3-line block ×4, first 2 shown]
	ds_read_b32 v49, v10 offset:48
	s_waitcnt vmcnt(2)
	v_lshrrev_b32_e32 v71, 16, v48
	v_and_b32_e32 v72, 0xffff, v48
	v_fmac_f32_e32 v32, v30, v52
	s_waitcnt vmcnt(1)
	v_lshrrev_b32_e32 v90, 16, v7
	s_waitcnt lgkmcnt(0)
	v_lshrrev_b32_e32 v48, 16, v49
	v_and_b32_e32 v30, 0xffff, v49
	;;#ASMSTART
	v_cvt_f32_f16 v30, v30;
	;;#ASMEND
	;;#ASMSTART
	v_cvt_f32_f16 v48, v48;
	;;#ASMEND
	;; [unrolled: 3-line block ×4, first 2 shown]
	ds_read_b32 v69, v10 offset:52
	v_and_b32_e32 v73, 0xffff, v7
	v_fmac_f32_e32 v32, v28, v54
	v_fmac_f32_e32 v33, v31, v53
	s_waitcnt vmcnt(0)
	v_lshrrev_b32_e32 v74, 16, v6
	s_waitcnt lgkmcnt(0)
	v_lshrrev_b32_e32 v28, 16, v69
	v_and_b32_e32 v7, 0xffff, v69
	;;#ASMSTART
	v_cvt_f32_f16 v7, v7;
	;;#ASMEND
	;;#ASMSTART
	v_cvt_f32_f16 v28, v28;
	;;#ASMEND
	;;#ASMSTART
	v_cvt_f32_f16 v31, v76;
	;;#ASMEND
	;;#ASMSTART
	v_cvt_f32_f16 v53, v75;
	;;#ASMEND
	ds_read_b32 v54, v10 offset:56
	v_and_b32_e32 v69, 0xffff, v6
	v_fmac_f32_e32 v33, v29, v55
	v_fmac_f32_e32 v32, v26, v56
	v_fmac_f32_e32 v33, v27, v57
	s_waitcnt lgkmcnt(0)
	v_lshrrev_b32_e32 v26, 16, v54
	v_and_b32_e32 v6, 0xffff, v54
	;;#ASMSTART
	v_cvt_f32_f16 v6, v6;
	;;#ASMEND
	;;#ASMSTART
	v_cvt_f32_f16 v26, v26;
	;;#ASMEND
	;;#ASMSTART
	v_cvt_f32_f16 v27, v78;
	;;#ASMEND
	;;#ASMSTART
	v_cvt_f32_f16 v29, v77;
	;;#ASMEND
	ds_read_b32 v54, v10 offset:60
	v_fmac_f32_e32 v32, v24, v58
	v_fmac_f32_e32 v33, v25, v59
	v_fmac_f32_e32 v32, v38, v60
	v_fmac_f32_e32 v33, v39, v61
	s_waitcnt lgkmcnt(0)
	v_lshrrev_b32_e32 v25, 16, v54
	v_and_b32_e32 v24, 0xffff, v54
	;;#ASMSTART
	v_cvt_f32_f16 v24, v24;
	;;#ASMEND
	;;#ASMSTART
	v_cvt_f32_f16 v25, v25;
	;;#ASMEND
	;;#ASMSTART
	v_cvt_f32_f16 v38, v80;
	;;#ASMEND
	;;#ASMSTART
	v_cvt_f32_f16 v39, v79;
	;;#ASMEND
	ds_read_b32 v54, v10 offset:64
	v_fmac_f32_e32 v32, v40, v62
	;; [unrolled: 20-line block ×9, first 2 shown]
	v_fmac_f32_e32 v33, v31, v36
	v_fmac_f32_e32 v32, v6, v24
	;; [unrolled: 1-line block ×3, first 2 shown]
	s_waitcnt lgkmcnt(0)
	v_lshrrev_b32_e32 v7, 16, v26
	v_and_b32_e32 v6, 0xffff, v26
	;;#ASMSTART
	v_cvt_f32_f16 v6, v6;
	;;#ASMEND
	;;#ASMSTART
	v_cvt_f32_f16 v7, v7;
	;;#ASMEND
	;; [unrolled: 3-line block ×4, first 2 shown]
	s_nop 0
	v_fmac_f32_e32 v32, v6, v24
	v_fmac_f32_e32 v33, v7, v25
	v_add_f32_e32 v6, v32, v33
	ds_bpermute_b32 v7, v35, v6
	v_cndmask_b32_e64 v24, v17, v22, s[0:1]
	s_waitcnt lgkmcnt(0)
	v_add_f32_e32 v6, v6, v7
	v_lshlrev_b32_e32 v7, 2, v24
	ds_bpermute_b32 v7, v7, v6
	s_and_saveexec_b64 s[38:39], vcc
	s_cbranch_execz .LBB79_11
; %bb.19:                               ;   in Loop: Header=BB79_13 Depth=1
	v_add_u32_e32 v24, v14, v13
	v_cvt_f32_i32_e32 v24, v24
	s_waitcnt lgkmcnt(0)
	v_add_f32_e32 v6, v6, v7
	v_add_u32_e32 v25, v9, v13
	v_cmp_gt_i32_e64 s[0:1], s33, v25
	v_mul_f32_e32 v7, s42, v24
	v_cndmask_b32_e64 v7, 0, v7, s[2:3]
	v_fmac_f32_e32 v7, s31, v6
	v_cndmask_b32_e64 v6, 0, v7, s[0:1]
	ds_write_b32 v15, v6
	v_max_f32_e32 v6, v11, v11
	v_max_f32_e32 v6, v6, v7
	v_cndmask_b32_e64 v11, v11, v6, s[0:1]
	s_branch .LBB79_11
.LBB79_20:
	s_or_b64 exec, exec, s[36:37]
.LBB79_21:
	s_or_b64 exec, exec, s[34:35]
	v_mbcnt_hi_u32_b32 v2, -1, v8
	v_and_b32_e32 v10, 64, v2
	v_add_u32_e32 v3, 64, v10
	v_xor_b32_e32 v4, 32, v2
	v_cmp_lt_i32_e32 vcc, v4, v3
	s_waitcnt lgkmcnt(0)
	v_xor_b32_e32 v7, 16, v2
	v_max_f32_e32 v6, v11, v11
	v_cndmask_b32_e32 v4, v2, v4, vcc
	v_lshlrev_b32_e32 v4, 2, v4
	ds_bpermute_b32 v5, v4, v11
	v_cmp_lt_i32_e32 vcc, v7, v3
	v_xor_b32_e32 v8, 8, v2
	v_xor_b32_e32 v9, 4, v2
	v_and_b32_e32 v22, 63, v0
	s_waitcnt lgkmcnt(0)
	v_max_f32_e32 v5, v5, v5
	v_max_f32_e32 v6, v6, v5
	v_cndmask_b32_e32 v5, v2, v7, vcc
	v_lshlrev_b32_e32 v5, 2, v5
	ds_bpermute_b32 v7, v5, v6
	v_cmp_lt_i32_e32 vcc, v8, v3
	s_waitcnt lgkmcnt(0)
	v_max_f32_e32 v7, v7, v7
	v_max_f32_e32 v6, v6, v7
	v_cndmask_b32_e32 v7, v2, v8, vcc
	v_lshlrev_b32_e32 v8, 2, v7
	ds_bpermute_b32 v7, v8, v6
	v_cmp_lt_i32_e32 vcc, v9, v3
	s_waitcnt lgkmcnt(0)
	v_max_f32_e32 v7, v7, v7
	v_max_f32_e32 v7, v6, v7
	v_cndmask_b32_e32 v6, v2, v9, vcc
	v_lshlrev_b32_e32 v9, 2, v6
	ds_bpermute_b32 v11, v9, v7
	v_cmp_eq_u32_e32 vcc, 0, v22
	v_lshlrev_b32_e32 v6, 2, v20
	s_and_saveexec_b64 s[0:1], vcc
	s_cbranch_execz .LBB79_23
; %bb.22:
	s_waitcnt lgkmcnt(0)
	v_max_f32_e32 v11, v11, v11
	v_max_f32_e32 v7, v7, v7
	;; [unrolled: 1-line block ×3, first 2 shown]
	ds_write_b32 v6, v7 offset:384
.LBB79_23:
	s_or_b64 exec, exec, s[0:1]
	v_cmp_gt_u32_e64 s[0:1], 2, v22
	s_waitcnt lgkmcnt(0)
	v_mov_b32_e32 v11, 0xff7fffff
	v_lshlrev_b32_e32 v7, 2, v22
	s_barrier
	s_and_saveexec_b64 s[2:3], s[0:1]
; %bb.24:
	ds_read_b32 v11, v7 offset:384
; %bb.25:
	s_or_b64 exec, exec, s[2:3]
	v_xor_b32_e32 v12, 1, v2
	v_cmp_lt_i32_e64 s[2:3], v12, v3
	v_lshlrev_b32_e32 v10, 2, v10
	s_nop 0
	v_cndmask_b32_e64 v12, v2, v12, s[2:3]
	v_lshlrev_b32_e32 v23, 2, v12
	s_waitcnt lgkmcnt(0)
	ds_bpermute_b32 v12, v23, v11
	v_max_f32_e32 v11, v11, v11
	s_lshl_b32 s2, s16, 4
	s_min_i32 s15, s2, s33
	v_cmp_gt_i32_e64 s[2:3], s15, v0
	s_waitcnt lgkmcnt(0)
	v_max_f32_e32 v12, v12, v12
	v_max_f32_e32 v11, v11, v12
	ds_bpermute_b32 v11, v10, v11
	v_mov_b32_e32 v10, 0
	s_and_saveexec_b64 s[30:31], s[2:3]
	s_cbranch_execz .LBB79_29
; %bb.26:
	v_mov_b32_e32 v10, 0x190
	v_lshl_add_u32 v12, v0, 2, v10
	v_mov_b32_e32 v10, 0
	s_mov_b64 s[34:35], 0
	v_mov_b32_e32 v13, v0
.LBB79_27:                              ; =>This Inner Loop Header: Depth=1
	ds_read_b32 v14, v12
	v_add_u32_e32 v13, 0x80, v13
	v_cmp_le_i32_e64 s[8:9], s15, v13
	s_or_b64 s[34:35], s[8:9], s[34:35]
	s_waitcnt lgkmcnt(0)
	v_sub_f32_e32 v14, v14, v11
	v_mul_f32_e32 v14, 0x3fb8aa3b, v14
	v_exp_f32_e32 v14, v14
	ds_write_b32 v12, v14
	v_add_f32_e32 v10, v10, v14
	v_add_u32_e32 v12, 0x200, v12
	s_andn2_b64 exec, exec, s[34:35]
	s_cbranch_execnz .LBB79_27
; %bb.28:
	s_or_b64 exec, exec, s[34:35]
.LBB79_29:
	s_or_b64 exec, exec, s[30:31]
	ds_bpermute_b32 v4, v4, v10
	s_waitcnt lgkmcnt(0)
	v_add_f32_e32 v4, v10, v4
	ds_bpermute_b32 v5, v5, v4
	s_waitcnt lgkmcnt(0)
	v_add_f32_e32 v4, v4, v5
	ds_bpermute_b32 v5, v8, v4
	v_xor_b32_e32 v8, 2, v2
	v_cmp_lt_i32_e64 s[8:9], v8, v3
	s_waitcnt lgkmcnt(0)
	v_add_f32_e32 v4, v4, v5
	ds_bpermute_b32 v5, v9, v4
	v_cndmask_b32_e64 v3, v2, v8, s[8:9]
	v_lshlrev_b32_e32 v3, 2, v3
	s_waitcnt lgkmcnt(0)
	v_add_f32_e32 v4, v4, v5
	ds_bpermute_b32 v3, v3, v4
	s_waitcnt lgkmcnt(0)
	v_add_f32_e32 v3, v4, v3
	ds_bpermute_b32 v4, v23, v3
	s_waitcnt lgkmcnt(0)
	v_add_f32_e32 v3, v3, v4
	s_and_saveexec_b64 s[8:9], vcc
; %bb.30:
	ds_write_b32 v6, v3 offset:392
; %bb.31:
	s_or_b64 exec, exec, s[8:9]
	s_waitcnt lgkmcnt(0)
	s_barrier
	s_and_saveexec_b64 s[8:9], s[0:1]
; %bb.32:
	ds_read_b32 v3, v7 offset:392
; %bb.33:
	s_or_b64 exec, exec, s[8:9]
	s_waitcnt lgkmcnt(0)
	ds_bpermute_b32 v4, v23, v3
	v_lshlrev_b32_e32 v2, 2, v2
	v_and_b32_e32 v2, 0x100, v2
	s_waitcnt lgkmcnt(0)
	v_add_f32_e32 v3, v3, v4
	ds_bpermute_b32 v2, v2, v3
	s_and_saveexec_b64 s[0:1], s[2:3]
	s_cbranch_execz .LBB79_46
; %bb.34:
	s_waitcnt lgkmcnt(0)
	v_add_f32_e32 v2, 0x358637bd, v2
	v_div_scale_f32 v3, s[2:3], v2, v2, 1.0
	v_rcp_f32_e32 v4, v3
	v_div_scale_f32 v5, vcc, 1.0, v2, 1.0
	s_movk_i32 s2, 0x7f
	v_fma_f32 v6, -v3, v4, 1.0
	v_fmac_f32_e32 v4, v6, v4
	v_mul_f32_e32 v6, v5, v4
	v_fma_f32 v7, -v3, v6, v5
	v_fmac_f32_e32 v6, v7, v4
	v_fma_f32 v3, -v3, v6, v5
	v_div_fmas_f32 v3, v3, v4, v6
	v_xad_u32 v4, v0, -1, s15
	v_div_fixup_f32 v2, v3, v2, 1.0
	v_cmp_lt_u32_e32 vcc, s2, v4
	s_mov_b64 s[8:9], -1
	v_mov_b32_e32 v3, v0
	s_and_saveexec_b64 s[2:3], vcc
	s_cbranch_execz .LBB79_43
; %bb.35:
	v_lshrrev_b32_e32 v4, 7, v4
	v_add_u32_e32 v6, -1, v4
	v_lshrrev_b32_e32 v5, 1, v6
	v_mov_b32_e32 v3, v2
	v_add_u32_e32 v5, 1, v5
	v_cmp_lt_u32_e32 vcc, 13, v6
	v_mov_b32_e32 v8, 0
	s_and_saveexec_b64 s[8:9], vcc
	s_cbranch_execz .LBB79_39
; %bb.36:
	v_mov_b32_e32 v7, 0x190
	v_and_b32_e32 v6, -8, v5
	v_lshl_add_u32 v7, v0, 2, v7
	s_mov_b32 s34, 0
	s_mov_b64 s[30:31], 0
.LBB79_37:                              ; =>This Inner Loop Header: Depth=1
	ds_read2st64_b32 v[8:9], v7 offset1:2
	ds_read2st64_b32 v[10:11], v7 offset0:4 offset1:6
	ds_read2st64_b32 v[12:13], v7 offset0:8 offset1:10
	;; [unrolled: 1-line block ×3, first 2 shown]
	v_add_u32_e32 v6, -8, v6
	s_waitcnt lgkmcnt(3)
	v_pk_mul_f32 v[8:9], v[2:3], v[8:9]
	s_waitcnt lgkmcnt(2)
	v_pk_mul_f32 v[10:11], v[2:3], v[10:11]
	ds_write2st64_b32 v7, v8, v9 offset1:2
	ds_write2st64_b32 v7, v10, v11 offset0:4 offset1:6
	ds_read2st64_b32 v[10:11], v7 offset0:16 offset1:18
	s_waitcnt lgkmcnt(4)
	v_pk_mul_f32 v[8:9], v[2:3], v[12:13]
	ds_write2st64_b32 v7, v8, v9 offset0:8 offset1:10
	s_waitcnt lgkmcnt(4)
	v_pk_mul_f32 v[8:9], v[2:3], v[14:15]
	ds_write2st64_b32 v7, v8, v9 offset0:12 offset1:14
	ds_read2st64_b32 v[8:9], v7 offset0:20 offset1:22
	s_waitcnt lgkmcnt(3)
	v_pk_mul_f32 v[10:11], v[2:3], v[10:11]
	ds_read2st64_b32 v[12:13], v7 offset0:24 offset1:26
	ds_write2st64_b32 v7, v10, v11 offset0:16 offset1:18
	ds_read2st64_b32 v[10:11], v7 offset0:28 offset1:30
	s_waitcnt lgkmcnt(3)
	v_pk_mul_f32 v[8:9], v[2:3], v[8:9]
	ds_write2st64_b32 v7, v8, v9 offset0:20 offset1:22
	s_waitcnt lgkmcnt(3)
	v_pk_mul_f32 v[8:9], v[2:3], v[12:13]
	ds_write2st64_b32 v7, v8, v9 offset0:24 offset1:26
	s_waitcnt lgkmcnt(2)
	v_pk_mul_f32 v[8:9], v[2:3], v[10:11]
	s_add_i32 s34, s34, 16
	v_cmp_eq_u32_e32 vcc, 0, v6
	ds_write2st64_b32 v7, v8, v9 offset0:28 offset1:30
	v_add_u32_e32 v7, 0x2000, v7
	s_or_b64 s[30:31], vcc, s[30:31]
	v_mov_b32_e32 v8, s34
	s_andn2_b64 exec, exec, s[30:31]
	s_cbranch_execnz .LBB79_37
; %bb.38:
	s_or_b64 exec, exec, s[30:31]
.LBB79_39:
	s_or_b64 exec, exec, s[8:9]
	v_and_b32_e32 v5, 7, v5
	v_cmp_ne_u32_e32 vcc, 0, v5
	s_and_saveexec_b64 s[8:9], vcc
	s_cbranch_execz .LBB79_42
; %bb.40:
	v_lshlrev_b32_e32 v6, 9, v8
	v_lshlrev_b32_e32 v7, 2, v0
	s_movk_i32 s30, 0x190
	v_add3_u32 v6, v6, v7, s30
	s_mov_b64 s[30:31], 0
.LBB79_41:                              ; =>This Inner Loop Header: Depth=1
	ds_read2st64_b32 v[8:9], v6 offset1:2
	v_add_u32_e32 v5, -1, v5
	v_cmp_eq_u32_e32 vcc, 0, v5
	s_or_b64 s[30:31], vcc, s[30:31]
	s_waitcnt lgkmcnt(0)
	v_pk_mul_f32 v[8:9], v[2:3], v[8:9]
	ds_write2st64_b32 v6, v8, v9 offset1:2
	v_add_u32_e32 v6, 0x400, v6
	s_andn2_b64 exec, exec, s[30:31]
	s_cbranch_execnz .LBB79_41
.LBB79_42:
	s_or_b64 exec, exec, s[8:9]
	v_add_u32_e32 v4, 1, v4
	v_and_b32_e32 v5, 0x3fffffe, v4
	v_cmp_ne_u32_e32 vcc, v4, v5
	v_lshl_add_u32 v3, v5, 7, v0
	s_orn2_b64 s[8:9], vcc, exec
.LBB79_43:
	s_or_b64 exec, exec, s[2:3]
	s_and_b64 exec, exec, s[8:9]
	s_cbranch_execz .LBB79_46
; %bb.44:
	v_mov_b32_e32 v4, 0x190
	v_lshl_add_u32 v4, v3, 2, v4
	s_mov_b64 s[2:3], 0
.LBB79_45:                              ; =>This Inner Loop Header: Depth=1
	ds_read_b32 v5, v4
	v_add_u32_e32 v3, 0x80, v3
	v_cmp_le_i32_e32 vcc, s15, v3
	s_or_b64 s[2:3], vcc, s[2:3]
	s_waitcnt lgkmcnt(0)
	v_mul_f32_e32 v5, v2, v5
	ds_write_b32 v4, v5
	v_add_u32_e32 v4, 0x200, v4
	s_andn2_b64 exec, exec, s[2:3]
	s_cbranch_execnz .LBB79_45
.LBB79_46:
	s_or_b64 exec, exec, s[0:1]
	v_mov_b32_e32 v7, 0
	v_and_b32_e32 v24, 1, v0
	v_mov_b32_e32 v6, v7
	v_mov_b32_e32 v9, v7
	;; [unrolled: 1-line block ×5, first 2 shown]
	s_waitcnt lgkmcnt(0)
	s_barrier
	s_and_saveexec_b64 s[2:3], s[6:7]
	s_cbranch_execz .LBB79_64
; %bb.47:
	s_ashr_i32 s15, s14, 31
	s_sub_i32 s17, s12, s17
	s_lshl_b64 s[0:1], s[14:15], 1
	s_add_u32 s0, s28, s0
	s_addc_u32 s1, s29, s1
	s_abs_i32 s14, s18
	v_cvt_f32_u32_e32 v3, s14
	v_lshlrev_b32_e32 v2, 3, v0
	v_and_b32_e32 v25, 8, v2
	v_mov_b32_e32 v13, 0
	v_rcp_iflag_f32_e32 v2, v3
	v_lshlrev_b32_e32 v3, 4, v0
	v_and_b32_e32 v12, 0x3f0, v3
	v_lshl_add_u64 v[14:15], s[0:1], 0, v[12:13]
	v_mul_f32_e32 v2, 0x4f7ffffe, v2
	v_cvt_u32_f32_e32 v2, v2
	s_sub_i32 s0, 0, s14
	s_add_i32 s18, s16, -1
	v_and_b32_e32 v12, 60, v1
	v_mul_lo_u32 v3, s0, v2
	s_lshl_b64 s[0:1], s[26:27], 2
	s_add_u32 s0, s24, s0
	v_lshlrev_b32_e32 v1, 5, v24
	v_mul_hi_u32 v3, v2, v3
	s_addc_u32 s1, s25, s1
	v_lshl_or_b32 v1, v20, 6, v1
	s_mov_b32 s15, s13
	s_mov_b32 s28, s33
	v_add_u32_e32 v26, v2, v3
	v_lshl_add_u64 v[16:17], s[0:1], 0, v[12:13]
	v_add_u32_e32 v27, 0x190, v1
	s_mov_b64 s[6:7], 0
	s_mov_b32 s24, 0xffff
	s_movk_i32 s25, 0x1000
	v_mov_b32_e32 v10, 0
	v_mov_b32_e32 v11, 0
	v_mov_b32_e32 v8, 0
	v_mov_b32_e32 v9, 0
	v_mov_b32_e32 v6, 0
	v_mov_b32_e32 v7, 0
	s_branch .LBB79_50
.LBB79_48:                              ;   in Loop: Header=BB79_50 Depth=1
	s_or_b64 exec, exec, s[12:13]
	v_lshlrev_b32_e32 v12, 16, v12
	v_lshlrev_b32_e32 v1, 16, v1
	v_and_or_b32 v2, v2, s24, v12
	v_and_or_b32 v1, v3, s24, v1
	v_lshlrev_b32_e32 v3, 16, v18
	v_and_or_b32 v3, v4, s24, v3
	;;#ASMSTART
	v_pk_mul_f16 v2, v37, v2;

	;;#ASMEND
	;;#ASMSTART
	v_pk_mul_f16 v1, v38, v1;

	;;#ASMEND
	;; [unrolled: 4-line block ×4, first 2 shown]
	v_add_f32_e32 v19, v48, v49
	;;#ASMSTART
	v_pk_add_f16 v1, v2, v1;

	;;#ASMEND
	v_add_f32_e32 v6, v6, v19
	;;#ASMSTART
	v_pk_add_f16 v1, v1, v3;

	;;#ASMEND
	;; [unrolled: 5-line block ×3, first 2 shown]
	v_add_f32_e32 v9, v9, v19
	v_add_f32_e32 v19, v44, v45
	v_lshrrev_b32_e32 v2, 16, v1
	v_and_b32_e32 v1, 0xffff, v1
	v_add_f32_e32 v8, v8, v19
	v_add_f32_e32 v19, v42, v43
	;;#ASMSTART
	v_cvt_f32_f16 v1, v1;
	;;#ASMEND
	v_add_f32_e32 v11, v11, v19
	v_add_f32_e32 v19, v40, v41
	;;#ASMSTART
	v_cvt_f32_f16 v2, v2;
	;;#ASMEND
	v_add_f32_e32 v10, v10, v19
	v_add_f32_e32 v1, v1, v2
	;; [unrolled: 1-line block ×3, first 2 shown]
.LBB79_49:                              ;   in Loop: Header=BB79_50 Depth=1
	s_or_b64 exec, exec, s[8:9]
	v_add_u32_e32 v20, 2, v20
	v_cmp_le_i32_e32 vcc, s16, v20
	v_lshl_add_u64 v[16:17], v[16:17], 0, 8
	v_add_u32_e32 v21, 32, v21
	s_or_b64 s[6:7], vcc, s[6:7]
	v_add_u32_e32 v27, 0x80, v27
	s_andn2_b64 exec, exec, s[6:7]
	s_cbranch_execz .LBB79_63
.LBB79_50:                              ; =>This Inner Loop Header: Depth=1
	v_mul_hi_u32 v1, v21, s40
	v_mul_lo_u32 v2, v1, s21
	v_sub_u32_e32 v2, v21, v2
	v_add_u32_e32 v3, 1, v1
	v_cmp_le_u32_e32 vcc, s21, v2
	s_nop 1
	v_cndmask_b32_e32 v1, v1, v3, vcc
	v_subrev_u32_e32 v3, s21, v2
	v_cndmask_b32_e32 v2, v2, v3, vcc
	v_add_u32_e32 v3, 1, v1
	v_cmp_le_u32_e32 vcc, s21, v2
	s_nop 1
	v_cndmask_b32_e32 v1, v1, v3, vcc
	v_xor_b32_e32 v1, s19, v1
	v_subrev_u32_e32 v1, s19, v1
	v_add_u32_e32 v2, s41, v1
	v_sub_u32_e32 v4, 0, v2
	v_ashrrev_i32_e32 v3, 31, v2
	v_max_i32_e32 v2, v2, v4
	v_mul_hi_u32 v4, v2, v26
	v_mul_lo_u32 v4, v4, s14
	v_sub_u32_e32 v2, v2, v4
	v_subrev_u32_e32 v4, s14, v2
	v_cmp_le_u32_e32 vcc, s14, v2
	v_cmp_lt_i32_e64 s[0:1], s17, v1
	s_nop 0
	v_cndmask_b32_e32 v2, v2, v4, vcc
	v_subrev_u32_e32 v4, s14, v2
	v_cmp_le_u32_e32 vcc, s14, v2
	s_nop 1
	v_cndmask_b32_e32 v2, v2, v4, vcc
	v_xor_b32_e32 v2, v2, v3
	v_sub_u32_e32 v2, v2, v3
	v_cmp_eq_u32_e32 vcc, 0, v2
	s_or_b64 s[0:1], vcc, s[0:1]
	s_and_saveexec_b64 s[8:9], s[0:1]
	s_cbranch_execz .LBB79_49
; %bb.51:                               ;   in Loop: Header=BB79_50 Depth=1
	global_load_dword v1, v[16:17], off
	ds_read2_b64 v[2:5], v27 offset1:1
	ds_read2_b64 v[28:31], v27 offset0:2 offset1:3
	s_waitcnt lgkmcnt(1)
	;;#ASMSTART
	v_cvt_f16_f32 v36, v2;

	;;#ASMEND
	;;#ASMSTART
	v_cvt_f16_f32 v37, v3;

	;;#ASMEND
	;; [unrolled: 4-line block ×4, first 2 shown]
	s_waitcnt lgkmcnt(0)
	;;#ASMSTART
	v_cvt_f16_f32 v40, v28;

	;;#ASMEND
	;;#ASMSTART
	v_cvt_f16_f32 v41, v29;

	;;#ASMEND
	;; [unrolled: 4-line block ×4, first 2 shown]
	v_add_u32_e32 v31, v25, v21
	v_add_u32_e32 v33, 2, v31
	;; [unrolled: 1-line block ×6, first 2 shown]
	v_or_b32_e32 v34, 3, v31
	v_or_b32_e32 v35, 1, v31
	s_waitcnt vmcnt(0)
	v_mad_i64_i32 v[2:3], s[0:1], v1, s15, 0
	v_lshl_add_u64 v[18:19], v[2:3], 1, v[14:15]
	global_load_dwordx4 v[2:5], v[18:19], off
	v_cmp_eq_u32_e64 s[0:1], s18, v20
	s_waitcnt vmcnt(0)
	v_lshrrev_b32_e32 v1, 16, v3
	v_lshrrev_b32_e32 v12, 16, v2
	;; [unrolled: 1-line block ×3, first 2 shown]
	s_and_saveexec_b64 s[12:13], s[0:1]
	s_cbranch_execz .LBB79_53
; %bb.52:                               ;   in Loop: Header=BB79_50 Depth=1
	v_cmp_gt_i32_e32 vcc, s33, v31
	s_nop 1
	v_cndmask_b32_e32 v2, 0, v2, vcc
	v_cmp_gt_i32_e32 vcc, s33, v33
	s_nop 1
	v_cndmask_b32_e32 v3, 0, v3, vcc
	v_cmp_gt_i32_e32 vcc, s28, v34
	s_nop 1
	v_cndmask_b32_e32 v1, 0, v1, vcc
	v_cmp_gt_i32_e32 vcc, s33, v35
	s_nop 1
	v_cndmask_b32_e32 v12, 0, v12, vcc
	v_cmp_gt_i32_e32 vcc, s33, v32
	s_nop 1
	v_cndmask_b32_e32 v4, 0, v4, vcc
	v_cmp_gt_i32_e32 vcc, s33, v30
	s_nop 1
	v_cndmask_b32_e32 v44, 0, v44, vcc
	v_cmp_gt_i32_e32 vcc, s33, v29
	s_nop 1
	v_cndmask_b32_sdwa v45, v13, v5, vcc dst_sel:DWORD dst_unused:UNUSED_PAD src0_sel:DWORD src1_sel:WORD_0
	v_and_b32_e32 v5, 0xffff0000, v5
	v_cmp_gt_i32_e32 vcc, s33, v28
	s_nop 1
	v_cndmask_b32_e32 v5, 0, v5, vcc
	v_or_b32_e32 v5, v45, v5
.LBB79_53:                              ;   in Loop: Header=BB79_50 Depth=1
	s_or_b64 exec, exec, s[12:13]
	v_and_b32_e32 v36, 0xffff, v36
	v_lshl_or_b32 v37, v37, 16, v36
	v_and_b32_e32 v36, 0xffff, v38
	v_lshlrev_b32_e32 v12, 16, v12
	v_lshlrev_b32_e32 v1, 16, v1
	v_lshl_or_b32 v38, v39, 16, v36
	v_and_b32_e32 v36, 0xffff, v40
	v_and_or_b32 v2, v2, s24, v12
	v_and_or_b32 v1, v3, s24, v1
	v_lshlrev_b32_e32 v3, 16, v44
	v_lshl_or_b32 v39, v41, 16, v36
	v_and_b32_e32 v36, 0xffff, v42
	v_and_or_b32 v3, v4, s24, v3
	;;#ASMSTART
	v_pk_mul_f16 v2, v37, v2;

	;;#ASMEND
	;;#ASMSTART
	v_pk_mul_f16 v1, v38, v1;

	;;#ASMEND
	v_lshl_or_b32 v36, v43, 16, v36
	;;#ASMSTART
	v_pk_mul_f16 v3, v39, v3;

	;;#ASMEND
	;;#ASMSTART
	v_pk_mul_f16 v4, v36, v5;

	;;#ASMEND
	;;#ASMSTART
	v_pk_add_f16 v1, v2, v1;

	;;#ASMEND
	s_nop 0
	;;#ASMSTART
	v_pk_add_f16 v1, v1, v3;

	;;#ASMEND
	s_nop 0
	;; [unrolled: 5-line block ×3, first 2 shown]
	v_lshrrev_b32_e32 v2, 16, v1
	v_and_b32_e32 v1, 0xffff, v1
	;;#ASMSTART
	v_cvt_f32_f16 v40, v1;
	;;#ASMEND
	;;#ASMSTART
	v_cvt_f32_f16 v41, v2;
	;;#ASMEND
	global_load_dwordx4 v[2:5], v[18:19], off offset:1024
	s_waitcnt vmcnt(0)
	v_lshrrev_b32_e32 v1, 16, v3
	v_lshrrev_b32_e32 v12, 16, v2
	;; [unrolled: 1-line block ×3, first 2 shown]
	s_and_saveexec_b64 s[12:13], s[0:1]
	s_cbranch_execz .LBB79_55
; %bb.54:                               ;   in Loop: Header=BB79_50 Depth=1
	v_cmp_gt_i32_e32 vcc, s33, v31
	s_nop 1
	v_cndmask_b32_e32 v2, 0, v2, vcc
	v_cmp_gt_i32_e32 vcc, s33, v33
	s_nop 1
	v_cndmask_b32_e32 v3, 0, v3, vcc
	;; [unrolled: 3-line block ×6, first 2 shown]
	v_cmp_gt_i32_e32 vcc, s33, v29
	s_nop 1
	v_cndmask_b32_sdwa v43, v13, v5, vcc dst_sel:DWORD dst_unused:UNUSED_PAD src0_sel:DWORD src1_sel:WORD_0
	v_and_b32_e32 v5, 0xffff0000, v5
	v_cmp_gt_i32_e32 vcc, s33, v28
	s_nop 1
	v_cndmask_b32_e32 v5, 0, v5, vcc
	v_or_b32_e32 v5, v43, v5
.LBB79_55:                              ;   in Loop: Header=BB79_50 Depth=1
	s_or_b64 exec, exec, s[12:13]
	v_lshlrev_b32_e32 v12, 16, v12
	v_lshlrev_b32_e32 v1, 16, v1
	v_and_or_b32 v2, v2, s24, v12
	v_and_or_b32 v1, v3, s24, v1
	v_lshlrev_b32_e32 v3, 16, v42
	v_and_or_b32 v3, v4, s24, v3
	;;#ASMSTART
	v_pk_mul_f16 v2, v37, v2;

	;;#ASMEND
	;;#ASMSTART
	v_pk_mul_f16 v1, v38, v1;

	;;#ASMEND
	;; [unrolled: 4-line block ×4, first 2 shown]
	s_nop 0
	;;#ASMSTART
	v_pk_add_f16 v1, v2, v1;

	;;#ASMEND
	s_nop 0
	;;#ASMSTART
	v_pk_add_f16 v1, v1, v3;

	;;#ASMEND
	;; [unrolled: 5-line block ×3, first 2 shown]
	s_nop 0
	v_lshrrev_b32_e32 v2, 16, v1
	v_and_b32_e32 v1, 0xffff, v1
	;;#ASMSTART
	v_cvt_f32_f16 v42, v1;
	;;#ASMEND
	;;#ASMSTART
	v_cvt_f32_f16 v43, v2;
	;;#ASMEND
	global_load_dwordx4 v[2:5], v[18:19], off offset:2048
	s_waitcnt vmcnt(0)
	v_lshrrev_b32_e32 v1, 16, v3
	v_lshrrev_b32_e32 v12, 16, v2
	;; [unrolled: 1-line block ×3, first 2 shown]
	s_and_saveexec_b64 s[12:13], s[0:1]
	s_cbranch_execz .LBB79_57
; %bb.56:                               ;   in Loop: Header=BB79_50 Depth=1
	v_cmp_gt_i32_e32 vcc, s33, v31
	s_nop 1
	v_cndmask_b32_e32 v2, 0, v2, vcc
	v_cmp_gt_i32_e32 vcc, s33, v33
	s_nop 1
	v_cndmask_b32_e32 v3, 0, v3, vcc
	;; [unrolled: 3-line block ×6, first 2 shown]
	v_cmp_gt_i32_e32 vcc, s33, v29
	s_nop 1
	v_cndmask_b32_sdwa v45, v13, v5, vcc dst_sel:DWORD dst_unused:UNUSED_PAD src0_sel:DWORD src1_sel:WORD_0
	v_and_b32_e32 v5, 0xffff0000, v5
	v_cmp_gt_i32_e32 vcc, s33, v28
	s_nop 1
	v_cndmask_b32_e32 v5, 0, v5, vcc
	v_or_b32_e32 v5, v45, v5
.LBB79_57:                              ;   in Loop: Header=BB79_50 Depth=1
	s_or_b64 exec, exec, s[12:13]
	v_lshlrev_b32_e32 v12, 16, v12
	v_lshlrev_b32_e32 v1, 16, v1
	v_and_or_b32 v2, v2, s24, v12
	v_and_or_b32 v1, v3, s24, v1
	v_lshlrev_b32_e32 v3, 16, v44
	v_and_or_b32 v3, v4, s24, v3
	;;#ASMSTART
	v_pk_mul_f16 v2, v37, v2;

	;;#ASMEND
	;;#ASMSTART
	v_pk_mul_f16 v1, v38, v1;

	;;#ASMEND
	;;#ASMSTART
	v_pk_mul_f16 v3, v39, v3;

	;;#ASMEND
	;;#ASMSTART
	v_pk_mul_f16 v4, v36, v5;

	;;#ASMEND
	s_nop 0
	;;#ASMSTART
	v_pk_add_f16 v1, v2, v1;

	;;#ASMEND
	s_nop 0
	;;#ASMSTART
	v_pk_add_f16 v1, v1, v3;

	;;#ASMEND
	;; [unrolled: 5-line block ×3, first 2 shown]
	s_nop 0
	v_lshrrev_b32_e32 v2, 16, v1
	v_and_b32_e32 v1, 0xffff, v1
	;;#ASMSTART
	v_cvt_f32_f16 v44, v1;
	;;#ASMEND
	;;#ASMSTART
	v_cvt_f32_f16 v45, v2;
	;;#ASMEND
	global_load_dwordx4 v[2:5], v[18:19], off offset:3072
	s_waitcnt vmcnt(0)
	v_lshrrev_b32_e32 v1, 16, v3
	v_lshrrev_b32_e32 v12, 16, v2
	;; [unrolled: 1-line block ×3, first 2 shown]
	s_and_saveexec_b64 s[12:13], s[0:1]
	s_cbranch_execz .LBB79_59
; %bb.58:                               ;   in Loop: Header=BB79_50 Depth=1
	v_cmp_gt_i32_e32 vcc, s33, v31
	s_nop 1
	v_cndmask_b32_e32 v2, 0, v2, vcc
	v_cmp_gt_i32_e32 vcc, s33, v33
	s_nop 1
	v_cndmask_b32_e32 v3, 0, v3, vcc
	;; [unrolled: 3-line block ×6, first 2 shown]
	v_cmp_gt_i32_e32 vcc, s33, v29
	s_nop 1
	v_cndmask_b32_sdwa v47, v13, v5, vcc dst_sel:DWORD dst_unused:UNUSED_PAD src0_sel:DWORD src1_sel:WORD_0
	v_and_b32_e32 v5, 0xffff0000, v5
	v_cmp_gt_i32_e32 vcc, s33, v28
	s_nop 1
	v_cndmask_b32_e32 v5, 0, v5, vcc
	v_or_b32_e32 v5, v47, v5
.LBB79_59:                              ;   in Loop: Header=BB79_50 Depth=1
	s_or_b64 exec, exec, s[12:13]
	v_lshlrev_b32_e32 v12, 16, v12
	v_lshlrev_b32_e32 v1, 16, v1
	v_and_or_b32 v2, v2, s24, v12
	v_and_or_b32 v1, v3, s24, v1
	v_lshlrev_b32_e32 v3, 16, v46
	v_and_or_b32 v3, v4, s24, v3
	;;#ASMSTART
	v_pk_mul_f16 v2, v37, v2;

	;;#ASMEND
	;;#ASMSTART
	v_pk_mul_f16 v1, v38, v1;

	;;#ASMEND
	;; [unrolled: 4-line block ×4, first 2 shown]
	v_add_co_u32_e32 v18, vcc, s25, v18
	;;#ASMSTART
	v_pk_add_f16 v1, v2, v1;

	;;#ASMEND
	s_nop 0
	;;#ASMSTART
	v_pk_add_f16 v1, v1, v3;

	;;#ASMEND
	s_nop 0
	v_addc_co_u32_e32 v19, vcc, 0, v19, vcc
	;;#ASMSTART
	v_pk_add_f16 v1, v1, v4;

	;;#ASMEND
	s_nop 0
	v_lshrrev_b32_e32 v2, 16, v1
	v_and_b32_e32 v1, 0xffff, v1
	;;#ASMSTART
	v_cvt_f32_f16 v46, v1;
	;;#ASMEND
	;;#ASMSTART
	v_cvt_f32_f16 v47, v2;
	;;#ASMEND
	global_load_dwordx4 v[2:5], v[18:19], off
	s_waitcnt vmcnt(0)
	v_lshrrev_b32_e32 v1, 16, v3
	v_lshrrev_b32_e32 v12, 16, v2
	;; [unrolled: 1-line block ×3, first 2 shown]
	s_and_saveexec_b64 s[12:13], s[0:1]
	s_cbranch_execz .LBB79_61
; %bb.60:                               ;   in Loop: Header=BB79_50 Depth=1
	v_cmp_gt_i32_e32 vcc, s33, v31
	s_nop 1
	v_cndmask_b32_e32 v2, 0, v2, vcc
	v_cmp_gt_i32_e32 vcc, s33, v33
	s_nop 1
	v_cndmask_b32_e32 v3, 0, v3, vcc
	;; [unrolled: 3-line block ×6, first 2 shown]
	v_cmp_gt_i32_e32 vcc, s33, v29
	s_nop 1
	v_cndmask_b32_sdwa v49, v13, v5, vcc dst_sel:DWORD dst_unused:UNUSED_PAD src0_sel:DWORD src1_sel:WORD_0
	v_and_b32_e32 v5, 0xffff0000, v5
	v_cmp_gt_i32_e32 vcc, s33, v28
	s_nop 1
	v_cndmask_b32_e32 v5, 0, v5, vcc
	v_or_b32_e32 v5, v49, v5
.LBB79_61:                              ;   in Loop: Header=BB79_50 Depth=1
	s_or_b64 exec, exec, s[12:13]
	v_lshlrev_b32_e32 v12, 16, v12
	v_lshlrev_b32_e32 v1, 16, v1
	v_and_or_b32 v2, v2, s24, v12
	v_and_or_b32 v1, v3, s24, v1
	v_lshlrev_b32_e32 v3, 16, v48
	v_and_or_b32 v3, v4, s24, v3
	;;#ASMSTART
	v_pk_mul_f16 v2, v37, v2;

	;;#ASMEND
	;;#ASMSTART
	v_pk_mul_f16 v1, v38, v1;

	;;#ASMEND
	;; [unrolled: 4-line block ×4, first 2 shown]
	s_nop 0
	;;#ASMSTART
	v_pk_add_f16 v1, v2, v1;

	;;#ASMEND
	s_nop 0
	;;#ASMSTART
	v_pk_add_f16 v1, v1, v3;

	;;#ASMEND
	;; [unrolled: 5-line block ×3, first 2 shown]
	s_nop 0
	v_lshrrev_b32_e32 v2, 16, v1
	v_and_b32_e32 v1, 0xffff, v1
	;;#ASMSTART
	v_cvt_f32_f16 v48, v1;
	;;#ASMEND
	;;#ASMSTART
	v_cvt_f32_f16 v49, v2;
	;;#ASMEND
	global_load_dwordx4 v[2:5], v[18:19], off offset:1024
	s_waitcnt vmcnt(0)
	v_lshrrev_b32_e32 v1, 16, v3
	v_lshrrev_b32_e32 v12, 16, v2
	;; [unrolled: 1-line block ×3, first 2 shown]
	s_and_saveexec_b64 s[12:13], s[0:1]
	s_cbranch_execz .LBB79_48
; %bb.62:                               ;   in Loop: Header=BB79_50 Depth=1
	v_cmp_gt_i32_e32 vcc, s33, v31
	s_nop 1
	v_cndmask_b32_e32 v2, 0, v2, vcc
	v_cmp_gt_i32_e32 vcc, s33, v33
	s_nop 1
	v_cndmask_b32_e32 v3, 0, v3, vcc
	;; [unrolled: 3-line block ×6, first 2 shown]
	v_cmp_gt_i32_e32 vcc, s33, v29
	s_nop 1
	v_cndmask_b32_sdwa v19, v13, v5, vcc dst_sel:DWORD dst_unused:UNUSED_PAD src0_sel:DWORD src1_sel:WORD_0
	v_and_b32_e32 v5, 0xffff0000, v5
	v_cmp_gt_i32_e32 vcc, s33, v28
	s_nop 1
	v_cndmask_b32_e32 v5, 0, v5, vcc
	v_or_b32_e32 v5, v19, v5
	s_branch .LBB79_48
.LBB79_63:
	s_or_b64 exec, exec, s[6:7]
.LBB79_64:
	s_or_b64 exec, exec, s[2:3]
	ds_bpermute_b32 v2, v23, v10
	ds_bpermute_b32 v3, v23, v11
	;; [unrolled: 1-line block ×4, first 2 shown]
	v_and_b32_e32 v1, 0x3c1, v0
	v_cmp_ne_u32_e32 vcc, 64, v1
	s_waitcnt lgkmcnt(2)
	v_pk_add_f32 v[4:5], v[10:11], v[2:3]
	s_waitcnt lgkmcnt(0)
	v_pk_add_f32 v[2:3], v[8:9], v[12:13]
	ds_bpermute_b32 v8, v23, v6
	ds_bpermute_b32 v9, v23, v7
	s_barrier
	s_waitcnt lgkmcnt(0)
	s_and_saveexec_b64 s[0:1], vcc
	s_xor_b64 s[0:1], exec, s[0:1]
; %bb.65:
                                        ; implicit-def: $vgpr22
; %bb.66:
	s_or_saveexec_b64 s[0:1], s[0:1]
	v_pk_add_f32 v[6:7], v[6:7], v[8:9]
	s_xor_b64 exec, exec, s[0:1]
	s_cbranch_execz .LBB79_68
; %bb.67:
	v_mov_b32_e32 v8, 0x190
	v_lshl_add_u32 v8, v22, 1, v8
	ds_write2_b32 v8, v4, v5 offset1:32
	ds_write2_b32 v8, v2, v3 offset0:64 offset1:96
	ds_write2_b32 v8, v6, v7 offset0:128 offset1:160
.LBB79_68:
	s_or_b64 exec, exec, s[0:1]
	v_cmp_gt_u32_e32 vcc, 64, v0
	v_lshrrev_b32_e32 v0, 1, v0
	s_waitcnt lgkmcnt(0)
	s_barrier
	s_and_saveexec_b64 s[0:1], vcc
	s_cbranch_execz .LBB79_77
; %bb.69:
	v_mov_b32_e32 v8, 0x190
	v_cmp_eq_u32_e32 vcc, 0, v24
	v_lshl_add_u32 v8, v0, 2, v8
	s_and_saveexec_b64 s[2:3], vcc
	s_cbranch_execnz .LBB79_80
; %bb.70:
	s_or_b64 exec, exec, s[2:3]
	s_and_saveexec_b64 s[2:3], vcc
	s_cbranch_execnz .LBB79_81
.LBB79_71:
	s_or_b64 exec, exec, s[2:3]
	s_and_saveexec_b64 s[2:3], vcc
	s_cbranch_execnz .LBB79_82
.LBB79_72:
	s_or_b64 exec, exec, s[2:3]
	s_and_saveexec_b64 s[2:3], vcc
	s_cbranch_execnz .LBB79_83
.LBB79_73:
	s_or_b64 exec, exec, s[2:3]
	s_and_saveexec_b64 s[2:3], vcc
	s_cbranch_execnz .LBB79_84
.LBB79_74:
	s_or_b64 exec, exec, s[2:3]
	s_and_saveexec_b64 s[2:3], vcc
	s_cbranch_execz .LBB79_76
.LBB79_75:
	ds_read_b32 v8, v8 offset:640
	s_waitcnt lgkmcnt(0)
	v_add_f32_e32 v7, v7, v8
.LBB79_76:
	s_or_b64 exec, exec, s[2:3]
.LBB79_77:
	s_or_b64 exec, exec, s[0:1]
	v_cmp_eq_u32_e32 vcc, 0, v1
	s_barrier
	s_and_saveexec_b64 s[0:1], vcc
	s_cbranch_execz .LBB79_79
; %bb.78:
	s_mul_i32 s0, s10, s11
	s_mul_i32 s0, s0, s5
	s_mulk_i32 s0, 0xc0
	s_ashr_i32 s1, s0, 31
	s_lshl_b64 s[0:1], s[0:1], 1
	s_add_u32 s2, s22, s0
	s_mul_i32 s0, s11, s20
	s_addc_u32 s3, s23, s1
	s_ashr_i32 s1, s0, 31
	s_lshl_b64 s[0:1], s[0:1], 1
	s_add_u32 s2, s2, s0
	s_mul_i32 s0, s4, 0xc0
	s_addc_u32 s3, s3, s1
	s_ashr_i32 s1, s0, 31
	s_lshl_b64 s[0:1], s[0:1], 1
	s_add_u32 s0, s2, s0
	s_addc_u32 s1, s3, s1
	v_lshlrev_b32_e32 v0, 1, v0
	;;#ASMSTART
	v_cvt_f16_f32 v1, v4;

	;;#ASMEND
	global_store_short v0, v1, s[0:1]
	;;#ASMSTART
	v_cvt_f16_f32 v1, v5;

	;;#ASMEND
	global_store_short v0, v1, s[0:1] offset:64
	;;#ASMSTART
	v_cvt_f16_f32 v1, v2;

	;;#ASMEND
	global_store_short v0, v1, s[0:1] offset:128
	;; [unrolled: 5-line block ×5, first 2 shown]
.LBB79_79:
	s_endpgm
.LBB79_80:
	ds_read_b32 v9, v8
	s_waitcnt lgkmcnt(0)
	v_add_f32_e32 v4, v4, v9
	s_or_b64 exec, exec, s[2:3]
	s_and_saveexec_b64 s[2:3], vcc
	s_cbranch_execz .LBB79_71
.LBB79_81:
	ds_read_b32 v9, v8 offset:128
	s_waitcnt lgkmcnt(0)
	v_add_f32_e32 v5, v5, v9
	s_or_b64 exec, exec, s[2:3]
	s_and_saveexec_b64 s[2:3], vcc
	s_cbranch_execz .LBB79_72
.LBB79_82:
	ds_read_b32 v9, v8 offset:256
	s_waitcnt lgkmcnt(0)
	v_add_f32_e32 v2, v2, v9
	s_or_b64 exec, exec, s[2:3]
	s_and_saveexec_b64 s[2:3], vcc
	s_cbranch_execz .LBB79_73
.LBB79_83:
	ds_read_b32 v9, v8 offset:384
	s_waitcnt lgkmcnt(0)
	v_add_f32_e32 v3, v3, v9
	s_or_b64 exec, exec, s[2:3]
	s_and_saveexec_b64 s[2:3], vcc
	s_cbranch_execz .LBB79_74
.LBB79_84:
	ds_read_b32 v9, v8 offset:512
	s_waitcnt lgkmcnt(0)
	v_add_f32_e32 v6, v6, v9
	s_or_b64 exec, exec, s[2:3]
	s_and_saveexec_b64 s[2:3], vcc
	s_cbranch_execnz .LBB79_75
	s_branch .LBB79_76
	.section	.rodata,"a",@progbits
	.p2align	6, 0x0
	.amdhsa_kernel _ZN4vllm25paged_attention_v1_kernelIttLi192ELi16ELi128ELNS_18Fp8KVCacheDataTypeE0ELb1EEEvPT_PKS2_PKT0_S8_ifPKiSA_iPKfiiiSC_SC_iiiii
		.amdhsa_group_segment_fixed_size 400
		.amdhsa_private_segment_fixed_size 0
		.amdhsa_kernarg_size 384
		.amdhsa_user_sgpr_count 2
		.amdhsa_user_sgpr_dispatch_ptr 0
		.amdhsa_user_sgpr_queue_ptr 0
		.amdhsa_user_sgpr_kernarg_segment_ptr 1
		.amdhsa_user_sgpr_dispatch_id 0
		.amdhsa_user_sgpr_kernarg_preload_length 0
		.amdhsa_user_sgpr_kernarg_preload_offset 0
		.amdhsa_user_sgpr_private_segment_size 0
		.amdhsa_uses_dynamic_stack 0
		.amdhsa_enable_private_segment 0
		.amdhsa_system_sgpr_workgroup_id_x 1
		.amdhsa_system_sgpr_workgroup_id_y 1
		.amdhsa_system_sgpr_workgroup_id_z 1
		.amdhsa_system_sgpr_workgroup_info 0
		.amdhsa_system_vgpr_workitem_id 0
		.amdhsa_next_free_vgpr 91
		.amdhsa_next_free_sgpr 45
		.amdhsa_accum_offset 92
		.amdhsa_reserve_vcc 1
		.amdhsa_float_round_mode_32 0
		.amdhsa_float_round_mode_16_64 0
		.amdhsa_float_denorm_mode_32 3
		.amdhsa_float_denorm_mode_16_64 3
		.amdhsa_dx10_clamp 1
		.amdhsa_ieee_mode 1
		.amdhsa_fp16_overflow 0
		.amdhsa_tg_split 0
		.amdhsa_exception_fp_ieee_invalid_op 0
		.amdhsa_exception_fp_denorm_src 0
		.amdhsa_exception_fp_ieee_div_zero 0
		.amdhsa_exception_fp_ieee_overflow 0
		.amdhsa_exception_fp_ieee_underflow 0
		.amdhsa_exception_fp_ieee_inexact 0
		.amdhsa_exception_int_div_zero 0
	.end_amdhsa_kernel
	.section	.text._ZN4vllm25paged_attention_v1_kernelIttLi192ELi16ELi128ELNS_18Fp8KVCacheDataTypeE0ELb1EEEvPT_PKS2_PKT0_S8_ifPKiSA_iPKfiiiSC_SC_iiiii,"axG",@progbits,_ZN4vllm25paged_attention_v1_kernelIttLi192ELi16ELi128ELNS_18Fp8KVCacheDataTypeE0ELb1EEEvPT_PKS2_PKT0_S8_ifPKiSA_iPKfiiiSC_SC_iiiii,comdat
.Lfunc_end79:
	.size	_ZN4vllm25paged_attention_v1_kernelIttLi192ELi16ELi128ELNS_18Fp8KVCacheDataTypeE0ELb1EEEvPT_PKS2_PKT0_S8_ifPKiSA_iPKfiiiSC_SC_iiiii, .Lfunc_end79-_ZN4vllm25paged_attention_v1_kernelIttLi192ELi16ELi128ELNS_18Fp8KVCacheDataTypeE0ELb1EEEvPT_PKS2_PKT0_S8_ifPKiSA_iPKfiiiSC_SC_iiiii
                                        ; -- End function
	.set _ZN4vllm25paged_attention_v1_kernelIttLi192ELi16ELi128ELNS_18Fp8KVCacheDataTypeE0ELb1EEEvPT_PKS2_PKT0_S8_ifPKiSA_iPKfiiiSC_SC_iiiii.num_vgpr, 91
	.set _ZN4vllm25paged_attention_v1_kernelIttLi192ELi16ELi128ELNS_18Fp8KVCacheDataTypeE0ELb1EEEvPT_PKS2_PKT0_S8_ifPKiSA_iPKfiiiSC_SC_iiiii.num_agpr, 0
	.set _ZN4vllm25paged_attention_v1_kernelIttLi192ELi16ELi128ELNS_18Fp8KVCacheDataTypeE0ELb1EEEvPT_PKS2_PKT0_S8_ifPKiSA_iPKfiiiSC_SC_iiiii.numbered_sgpr, 45
	.set _ZN4vllm25paged_attention_v1_kernelIttLi192ELi16ELi128ELNS_18Fp8KVCacheDataTypeE0ELb1EEEvPT_PKS2_PKT0_S8_ifPKiSA_iPKfiiiSC_SC_iiiii.num_named_barrier, 0
	.set _ZN4vllm25paged_attention_v1_kernelIttLi192ELi16ELi128ELNS_18Fp8KVCacheDataTypeE0ELb1EEEvPT_PKS2_PKT0_S8_ifPKiSA_iPKfiiiSC_SC_iiiii.private_seg_size, 0
	.set _ZN4vllm25paged_attention_v1_kernelIttLi192ELi16ELi128ELNS_18Fp8KVCacheDataTypeE0ELb1EEEvPT_PKS2_PKT0_S8_ifPKiSA_iPKfiiiSC_SC_iiiii.uses_vcc, 1
	.set _ZN4vllm25paged_attention_v1_kernelIttLi192ELi16ELi128ELNS_18Fp8KVCacheDataTypeE0ELb1EEEvPT_PKS2_PKT0_S8_ifPKiSA_iPKfiiiSC_SC_iiiii.uses_flat_scratch, 0
	.set _ZN4vllm25paged_attention_v1_kernelIttLi192ELi16ELi128ELNS_18Fp8KVCacheDataTypeE0ELb1EEEvPT_PKS2_PKT0_S8_ifPKiSA_iPKfiiiSC_SC_iiiii.has_dyn_sized_stack, 0
	.set _ZN4vllm25paged_attention_v1_kernelIttLi192ELi16ELi128ELNS_18Fp8KVCacheDataTypeE0ELb1EEEvPT_PKS2_PKT0_S8_ifPKiSA_iPKfiiiSC_SC_iiiii.has_recursion, 0
	.set _ZN4vllm25paged_attention_v1_kernelIttLi192ELi16ELi128ELNS_18Fp8KVCacheDataTypeE0ELb1EEEvPT_PKS2_PKT0_S8_ifPKiSA_iPKfiiiSC_SC_iiiii.has_indirect_call, 0
	.section	.AMDGPU.csdata,"",@progbits
; Kernel info:
; codeLenInByte = 9364
; TotalNumSgprs: 51
; NumVgprs: 91
; NumAgprs: 0
; TotalNumVgprs: 91
; ScratchSize: 0
; MemoryBound: 0
; FloatMode: 240
; IeeeMode: 1
; LDSByteSize: 400 bytes/workgroup (compile time only)
; SGPRBlocks: 6
; VGPRBlocks: 11
; NumSGPRsForWavesPerEU: 51
; NumVGPRsForWavesPerEU: 91
; AccumOffset: 92
; Occupancy: 5
; WaveLimiterHint : 1
; COMPUTE_PGM_RSRC2:SCRATCH_EN: 0
; COMPUTE_PGM_RSRC2:USER_SGPR: 2
; COMPUTE_PGM_RSRC2:TRAP_HANDLER: 0
; COMPUTE_PGM_RSRC2:TGID_X_EN: 1
; COMPUTE_PGM_RSRC2:TGID_Y_EN: 1
; COMPUTE_PGM_RSRC2:TGID_Z_EN: 1
; COMPUTE_PGM_RSRC2:TIDIG_COMP_CNT: 0
; COMPUTE_PGM_RSRC3_GFX90A:ACCUM_OFFSET: 22
; COMPUTE_PGM_RSRC3_GFX90A:TG_SPLIT: 0
	.section	.text._ZN4vllm25paged_attention_v1_kernelIttLi256ELi16ELi128ELNS_18Fp8KVCacheDataTypeE0ELb1EEEvPT_PKS2_PKT0_S8_ifPKiSA_iPKfiiiSC_SC_iiiii,"axG",@progbits,_ZN4vllm25paged_attention_v1_kernelIttLi256ELi16ELi128ELNS_18Fp8KVCacheDataTypeE0ELb1EEEvPT_PKS2_PKT0_S8_ifPKiSA_iPKfiiiSC_SC_iiiii,comdat
	.protected	_ZN4vllm25paged_attention_v1_kernelIttLi256ELi16ELi128ELNS_18Fp8KVCacheDataTypeE0ELb1EEEvPT_PKS2_PKT0_S8_ifPKiSA_iPKfiiiSC_SC_iiiii ; -- Begin function _ZN4vllm25paged_attention_v1_kernelIttLi256ELi16ELi128ELNS_18Fp8KVCacheDataTypeE0ELb1EEEvPT_PKS2_PKT0_S8_ifPKiSA_iPKfiiiSC_SC_iiiii
	.globl	_ZN4vllm25paged_attention_v1_kernelIttLi256ELi16ELi128ELNS_18Fp8KVCacheDataTypeE0ELb1EEEvPT_PKS2_PKT0_S8_ifPKiSA_iPKfiiiSC_SC_iiiii
	.p2align	8
	.type	_ZN4vllm25paged_attention_v1_kernelIttLi256ELi16ELi128ELNS_18Fp8KVCacheDataTypeE0ELb1EEEvPT_PKS2_PKT0_S8_ifPKiSA_iPKfiiiSC_SC_iiiii,@function
_ZN4vllm25paged_attention_v1_kernelIttLi256ELi16ELi128ELNS_18Fp8KVCacheDataTypeE0ELb1EEEvPT_PKS2_PKT0_S8_ifPKiSA_iPKfiiiSC_SC_iiiii: ; @_ZN4vllm25paged_attention_v1_kernelIttLi256ELi16ELi128ELNS_18Fp8KVCacheDataTypeE0ELb1EEEvPT_PKS2_PKT0_S8_ifPKiSA_iPKfiiiSC_SC_iiiii
; %bb.0:
	s_load_dword s5, s[0:1], 0x80
	s_load_dwordx2 s[6:7], s[0:1], 0x30
	s_load_dwordx2 s[30:31], s[0:1], 0x20
	s_mov_b32 s10, s3
	s_ashr_i32 s11, s3, 31
	s_lshl_b64 s[8:9], s[10:11], 2
	s_waitcnt lgkmcnt(0)
	s_add_u32 s6, s6, s8
	s_addc_u32 s7, s7, s9
	s_abs_i32 s3, s30
	v_cvt_f32_u32_e32 v1, s3
	s_sub_i32 s11, 0, s3
	s_abs_i32 s9, s5
	s_xor_b32 s8, s5, s30
	v_rcp_iflag_f32_e32 v1, v1
	s_ashr_i32 s8, s8, 31
	s_mov_b32 s42, 0
	v_mul_f32_e32 v1, 0x4f7ffffe, v1
	v_cvt_u32_f32_e32 v1, v1
	s_nop 0
	v_readfirstlane_b32 s12, v1
	s_mul_i32 s11, s11, s12
	s_mul_hi_u32 s11, s12, s11
	s_add_i32 s12, s12, s11
	s_mul_hi_u32 s11, s9, s12
	s_mul_i32 s12, s11, s3
	s_sub_i32 s9, s9, s12
	s_add_i32 s12, s11, 1
	s_sub_i32 s13, s9, s3
	s_cmp_ge_u32 s9, s3
	s_cselect_b32 s11, s12, s11
	s_cselect_b32 s9, s13, s9
	s_add_i32 s12, s11, 1
	s_cmp_ge_u32 s9, s3
	s_cselect_b32 s3, s12, s11
	s_xor_b32 s3, s3, s8
	s_sub_i32 s12, s3, s8
	s_abs_i32 s11, s12
	v_cvt_f32_u32_e32 v1, s11
	s_load_dwordx2 s[8:9], s[0:1], 0x40
	s_sub_i32 s3, 0, s11
	s_abs_i32 s22, s2
	v_rcp_iflag_f32_e32 v1, v1
	s_nop 0
	v_mul_f32_e32 v1, 0x4f7ffffe, v1
	v_cvt_u32_f32_e32 v1, v1
	s_nop 0
	v_readfirstlane_b32 s13, v1
	s_mul_i32 s3, s3, s13
	s_mul_hi_u32 s3, s13, s3
	s_add_i32 s13, s13, s3
	s_waitcnt lgkmcnt(0)
	s_cmp_eq_u64 s[8:9], 0
	s_mul_hi_u32 s23, s22, s13
	s_cbranch_scc1 .LBB80_2
; %bb.1:
	s_ashr_i32 s3, s2, 31
	s_lshl_b64 s[14:15], s[2:3], 2
	s_add_u32 s8, s8, s14
	s_addc_u32 s9, s9, s15
	s_load_dword s42, s[8:9], 0x0
.LBB80_2:
	s_load_dword s33, s[6:7], 0x0
	s_ashr_i32 s9, s12, 31
	s_load_dwordx4 s[12:15], s[0:1], 0x48
	s_movk_i32 s6, 0x80
	s_ashr_i32 s3, s2, 31
	v_and_b32_e32 v4, 3, v0
	s_lshl_b32 s20, s2, 8
	v_cmp_gt_u32_e32 vcc, s6, v0
	s_and_saveexec_b64 s[6:7], vcc
	s_cbranch_execz .LBB80_4
; %bb.3:
	s_load_dwordx2 s[16:17], s[0:1], 0x8
	s_waitcnt lgkmcnt(0)
	s_mul_i32 s18, s12, s10
	s_ashr_i32 s19, s18, 31
	s_lshl_b64 s[18:19], s[18:19], 1
	v_lshlrev_b32_e32 v1, 2, v0
	s_add_u32 s8, s16, s18
	s_addc_u32 s12, s17, s19
	s_ashr_i32 s21, s20, 31
	s_lshl_b64 s[16:17], s[20:21], 1
	s_add_u32 s16, s8, s16
	s_addc_u32 s17, s12, s17
	global_load_dword v1, v1, s[16:17]
	v_and_b32_e32 v2, 0x3fc, v0
	v_lshl_add_u32 v2, v4, 7, v2
	s_waitcnt vmcnt(0)
	ds_write_b32 v2, v1
.LBB80_4:
	s_or_b64 exec, exec, s[6:7]
	s_mul_i32 s6, s23, s11
	s_sub_i32 s6, s22, s6
	s_xor_b32 s3, s3, s9
	s_add_i32 s7, s23, 1
	s_sub_i32 s9, s6, s11
	s_load_dwordx4 s[16:19], s[0:1], 0x68
	s_load_dword s8, s[0:1], 0x78
	s_cmp_ge_u32 s6, s11
	s_cselect_b32 s7, s7, s23
	s_cselect_b32 s6, s9, s6
	s_add_i32 s9, s7, 1
	s_cmp_ge_u32 s6, s11
	s_cselect_b32 s6, s9, s7
	s_waitcnt lgkmcnt(0)
	s_abs_i32 s21, s19
	v_cvt_f32_u32_e32 v1, s21
	s_xor_b32 s6, s6, s3
	s_sub_i32 s3, s6, s3
	s_sub_i32 s6, 0, s21
	v_rcp_iflag_f32_e32 v1, v1
	s_add_i32 s11, s33, -1
	s_abs_i32 s9, s11
	v_mul_f32_e32 v1, 0x4f7ffffe, v1
	v_cvt_u32_f32_e32 v1, v1
	s_barrier
	v_readfirstlane_b32 s40, v1
	s_mul_i32 s6, s6, s40
	s_mul_hi_u32 s6, s40, s6
	s_add_i32 s40, s40, s6
	s_cmp_lt_i32 s8, 0
	s_mul_hi_u32 s12, s9, s40
	s_cbranch_scc0 .LBB80_6
; %bb.5:
	s_mul_i32 s6, s16, s30
	s_add_i32 s6, s3, s6
	s_mul_i32 s6, s6, s8
	s_sub_i32 s41, 1, s6
	s_mov_b64 s[6:7], 0
	s_branch .LBB80_7
.LBB80_6:
	s_mov_b64 s[6:7], -1
                                        ; implicit-def: $sgpr41
.LBB80_7:
	s_load_dwordx2 s[24:25], s[0:1], 0x28
	s_ashr_i32 s15, s11, 31
	s_andn2_b64 vcc, exec, s[6:7]
	s_ashr_i32 s19, s19, 31
	s_cbranch_vccnz .LBB80_9
; %bb.8:
	s_mul_i32 s6, s5, s16
	s_add_i32 s2, s6, s2
	s_mul_i32 s2, s2, s8
	s_add_i32 s41, s2, 1
.LBB80_9:
	s_load_dword s2, s[0:1], 0x38
	s_load_dwordx2 s[22:23], s[0:1], 0x0
	s_load_dwordx2 s[28:29], s[0:1], 0x18
	s_load_dword s11, s[0:1], 0x88
	s_xor_b32 s6, s15, s19
	s_waitcnt lgkmcnt(0)
	s_mul_i32 s26, s2, s10
	s_mul_i32 s2, s12, s21
	s_sub_i32 s2, s9, s2
	s_ashr_i32 s27, s26, 31
	s_add_i32 s7, s12, 1
	s_sub_i32 s8, s2, s21
	s_cmp_ge_u32 s2, s21
	s_cselect_b32 s7, s7, s12
	s_cselect_b32 s2, s8, s2
	s_add_i32 s8, s7, 1
	s_cmp_ge_u32 s2, s21
	s_cselect_b32 s2, s8, s7
	s_xor_b32 s2, s2, s6
	s_sub_i32 s12, s2, s6
	s_add_i32 s2, s33, 15
	s_ashr_i32 s6, s2, 31
	s_lshr_b32 s6, s6, 28
	s_add_i32 s2, s2, s6
	s_ashr_i32 s16, s2, 4
	v_lshrrev_b32_e32 v22, 6, v0
	v_cmp_gt_i32_e64 s[6:7], s16, v22
	v_mov_b32_e32 v9, 0xff7fffff
	s_mul_i32 s14, s3, s14
	v_lshrrev_b32_e32 v1, 4, v0
	v_lshlrev_b32_e32 v23, 4, v22
	v_mbcnt_lo_u32_b32 v6, -1, 0
	s_and_saveexec_b64 s[34:35], s[6:7]
	s_cbranch_execz .LBB80_21
; %bb.10:
	s_load_dwordx2 s[0:1], s[0:1], 0x10
	s_ashr_i32 s15, s14, 31
	s_sub_i32 s30, s12, s17
	s_lshl_b64 s[2:3], s[14:15], 1
	v_bfe_u32 v7, v0, 2, 4
	s_waitcnt lgkmcnt(0)
	s_add_u32 s0, s0, s2
	s_addc_u32 s1, s1, s3
	s_abs_i32 s15, s18
	v_cvt_f32_u32_e32 v5, s15
	v_lshlrev_b32_e32 v12, 4, v7
	v_mov_b32_e32 v13, 0
	v_lshl_add_u64 v[2:3], s[0:1], 0, v[12:13]
	v_rcp_iflag_f32_e32 v5, v5
	v_lshlrev_b32_e32 v8, 2, v0
	s_sub_i32 s0, 0, s15
	v_cmp_eq_u32_e32 vcc, 0, v4
	v_mul_f32_e32 v5, 0x4f7ffffe, v5
	v_cvt_u32_f32_e32 v5, v5
	v_and_b32_e32 v12, 12, v8
	v_lshlrev_b32_e32 v8, 7, v4
	v_lshl_add_u64 v[2:3], v[2:3], 0, v[12:13]
	v_mul_lo_u32 v4, s0, v5
	s_lshl_b64 s[0:1], s[26:27], 2
	s_add_u32 s0, s24, s0
	v_mul_hi_u32 v4, v5, v4
	v_and_b32_e32 v12, 60, v1
	s_addc_u32 s1, s25, s1
	v_subrev_u32_e32 v9, s33, v7
	v_add_u32_e32 v10, v5, v4
	v_lshl_add_u64 v[4:5], s[0:1], 0, v[12:13]
	v_add_u32_e32 v12, 1, v9
	v_lshlrev_b32_e32 v9, 2, v7
	v_lshl_or_b32 v9, v22, 6, v9
	v_mbcnt_hi_u32_b32 v15, -1, v6
	v_add_u32_e32 v13, 0x210, v9
	v_and_b32_e32 v9, 64, v15
	s_mov_b32 s43, s13
	v_cmp_neq_f32_e64 s[2:3], s42, 0
	v_lshlrev_b32_e32 v11, 4, v22
	v_mov_b32_e32 v14, 0xff7fffff
	s_mov_b64 s[36:37], 0
	s_movk_i32 s44, 0x1000
	v_add_u32_e32 v16, 64, v9
	v_xor_b32_e32 v17, 2, v15
	v_xor_b32_e32 v18, 1, v15
	v_mov_b32_e32 v9, 0xff7fffff
	v_mov_b32_e32 v19, v22
	s_branch .LBB80_13
.LBB80_11:                              ;   in Loop: Header=BB80_13 Depth=1
	s_or_b64 exec, exec, s[38:39]
.LBB80_12:                              ;   in Loop: Header=BB80_13 Depth=1
	s_or_b64 exec, exec, s[8:9]
	v_add_u32_e32 v19, 2, v19
	v_cmp_le_i32_e64 s[0:1], s16, v19
	v_lshl_add_u64 v[4:5], v[4:5], 0, 8
	v_add_u32_e32 v11, 32, v11
	s_or_b64 s[36:37], s[0:1], s[36:37]
	v_add_u32_e32 v13, 0x80, v13
	s_andn2_b64 exec, exec, s[36:37]
	s_cbranch_execz .LBB80_20
.LBB80_13:                              ; =>This Inner Loop Header: Depth=1
	v_mul_hi_u32 v20, v11, s40
	s_waitcnt lgkmcnt(0)
	v_mul_lo_u32 v21, v20, s21
	v_sub_u32_e32 v21, v11, v21
	v_add_u32_e32 v24, 1, v20
	v_cmp_le_u32_e64 s[0:1], s21, v21
	s_nop 1
	v_cndmask_b32_e64 v20, v20, v24, s[0:1]
	v_subrev_u32_e32 v24, s21, v21
	v_cndmask_b32_e64 v21, v21, v24, s[0:1]
	v_add_u32_e32 v24, 1, v20
	v_cmp_le_u32_e64 s[0:1], s21, v21
	s_nop 1
	v_cndmask_b32_e64 v20, v20, v24, s[0:1]
	v_xor_b32_e32 v20, s19, v20
	v_subrev_u32_e32 v20, s19, v20
	v_add_u32_e32 v21, s41, v20
	v_sub_u32_e32 v25, 0, v21
	v_ashrrev_i32_e32 v24, 31, v21
	v_max_i32_e32 v21, v21, v25
	v_mul_hi_u32 v25, v21, v10
	v_mul_lo_u32 v25, v25, s15
	v_sub_u32_e32 v21, v21, v25
	v_subrev_u32_e32 v25, s15, v21
	v_cmp_le_u32_e64 s[0:1], s15, v21
	v_cmp_ge_i32_e64 s[8:9], s30, v20
	s_nop 0
	v_cndmask_b32_e64 v21, v21, v25, s[0:1]
	v_subrev_u32_e32 v25, s15, v21
	v_cmp_le_u32_e64 s[0:1], s15, v21
	s_nop 1
	v_cndmask_b32_e64 v21, v21, v25, s[0:1]
	v_xor_b32_e32 v21, v21, v24
	v_sub_u32_e32 v21, v21, v24
	v_cmp_ne_u32_e64 s[0:1], 0, v21
	s_and_b64 s[0:1], s[0:1], s[8:9]
	s_and_saveexec_b64 s[8:9], s[0:1]
	s_xor_b64 s[0:1], exec, s[8:9]
	s_cbranch_execz .LBB80_17
; %bb.14:                               ;   in Loop: Header=BB80_13 Depth=1
	s_and_saveexec_b64 s[8:9], vcc
; %bb.15:                               ;   in Loop: Header=BB80_13 Depth=1
	ds_write_b32 v13, v14
; %bb.16:                               ;   in Loop: Header=BB80_13 Depth=1
	s_or_b64 exec, exec, s[8:9]
.LBB80_17:                              ;   in Loop: Header=BB80_13 Depth=1
	s_andn2_saveexec_b64 s[8:9], s[0:1]
	s_cbranch_execz .LBB80_12
; %bb.18:                               ;   in Loop: Header=BB80_13 Depth=1
	global_load_dword v20, v[4:5], off
	s_waitcnt vmcnt(0)
	v_mad_i64_i32 v[20:21], s[0:1], v20, s43, 0
	v_lshl_add_u64 v[20:21], v[20:21], 1, v[2:3]
	global_load_dword v40, v[20:21], off
	global_load_dword v41, v[20:21], off offset:256
	global_load_dword v42, v[20:21], off offset:512
	;; [unrolled: 1-line block ×4, first 2 shown]
	ds_read_b32 v24, v8
	global_load_dword v46, v[20:21], off offset:1280
	global_load_dword v47, v[20:21], off offset:1536
	;; [unrolled: 1-line block ×11, first 2 shown]
	v_add_co_u32_e64 v38, s[0:1], s44, v20
	s_waitcnt lgkmcnt(0)
	v_lshrrev_b32_e32 v48, 16, v24
	v_addc_co_u32_e64 v39, s[0:1], 0, v21, s[0:1]
	v_and_b32_e32 v51, 0xffff, v24
	global_load_dword v57, v[38:39], off
	global_load_dword v44, v[38:39], off offset:256
	global_load_dword v37, v[38:39], off offset:512
	;; [unrolled: 1-line block ×15, first 2 shown]
	;;#ASMSTART
	v_cvt_f32_f16 v61, v51;
	;;#ASMEND
	;;#ASMSTART
	v_cvt_f32_f16 v71, v48;
	;;#ASMEND
	v_cmp_lt_i32_e64 s[0:1], v17, v16
	s_waitcnt vmcnt(23)
	v_lshrrev_b32_e32 v81, 16, v50
	v_lshrrev_b32_e32 v38, 16, v40
	v_and_b32_e32 v39, 0xffff, v40
	;;#ASMSTART
	v_cvt_f32_f16 v62, v39;
	;;#ASMEND
	;;#ASMSTART
	v_cvt_f32_f16 v72, v38;
	;;#ASMEND
	ds_read_b32 v38, v8 offset:4
	v_lshrrev_b32_e32 v39, 16, v41
	v_and_b32_e32 v40, 0xffff, v41
	v_and_b32_e32 v50, 0xffff, v50
	s_waitcnt vmcnt(22)
	v_lshrrev_b32_e32 v82, 16, v55
	s_waitcnt lgkmcnt(0)
	v_lshrrev_b32_e32 v41, 16, v38
	v_and_b32_e32 v38, 0xffff, v38
	;;#ASMSTART
	v_cvt_f32_f16 v64, v38;
	;;#ASMEND
	;;#ASMSTART
	v_cvt_f32_f16 v73, v41;
	;;#ASMEND
	;;#ASMSTART
	v_cvt_f32_f16 v65, v40;
	;;#ASMEND
	;;#ASMSTART
	v_cvt_f32_f16 v74, v39;
	;;#ASMEND
	ds_read_b32 v38, v8 offset:8
	v_lshrrev_b32_e32 v39, 16, v42
	v_and_b32_e32 v40, 0xffff, v42
	v_and_b32_e32 v83, 0xffff, v55
	s_waitcnt vmcnt(20)
	v_lshrrev_b32_e32 v86, 16, v54
	s_waitcnt lgkmcnt(0)
	v_lshrrev_b32_e32 v41, 16, v38
	v_and_b32_e32 v38, 0xffff, v38
	;;#ASMSTART
	v_cvt_f32_f16 v77, v38;
	;;#ASMEND
	;;#ASMSTART
	v_cvt_f32_f16 v78, v41;
	;;#ASMEND
	;; [unrolled: 21-line block ×3, first 2 shown]
	;;#ASMSTART
	v_cvt_f32_f16 v76, v40;
	;;#ASMEND
	;;#ASMSTART
	v_cvt_f32_f16 v70, v39;
	;;#ASMEND
	ds_read_b32 v38, v8 offset:16
	v_lshrrev_b32_e32 v39, 16, v45
	v_and_b32_e32 v40, 0xffff, v45
	v_and_b32_e32 v89, 0xffff, v53
	v_lshrrev_b32_e32 v84, 16, v56
	s_waitcnt lgkmcnt(0)
	v_lshrrev_b32_e32 v41, 16, v38
	v_and_b32_e32 v38, 0xffff, v38
	;;#ASMSTART
	v_cvt_f32_f16 v67, v38;
	;;#ASMEND
	;;#ASMSTART
	v_cvt_f32_f16 v58, v41;
	;;#ASMEND
	;; [unrolled: 3-line block ×4, first 2 shown]
	ds_read_b32 v38, v8 offset:20
	v_lshrrev_b32_e32 v39, 16, v46
	v_and_b32_e32 v40, 0xffff, v46
	v_and_b32_e32 v85, 0xffff, v56
	s_waitcnt vmcnt(14)
	v_lshrrev_b32_e32 v90, 16, v44
	s_waitcnt lgkmcnt(0)
	v_lshrrev_b32_e32 v41, 16, v38
	v_and_b32_e32 v38, 0xffff, v38
	;;#ASMSTART
	v_cvt_f32_f16 v60, v38;
	;;#ASMEND
	;;#ASMSTART
	v_cvt_f32_f16 v51, v41;
	;;#ASMEND
	;; [unrolled: 3-line block ×4, first 2 shown]
	ds_read_b32 v38, v8 offset:24
	v_lshrrev_b32_e32 v39, 16, v47
	v_and_b32_e32 v40, 0xffff, v47
	s_waitcnt vmcnt(6)
	v_and_b32_e32 v91, 0xffff, v28
	s_waitcnt lgkmcnt(0)
	v_lshrrev_b32_e32 v41, 16, v38
	v_and_b32_e32 v38, 0xffff, v38
	;;#ASMSTART
	v_cvt_f32_f16 v45, v38;
	;;#ASMEND
	;;#ASMSTART
	v_cvt_f32_f16 v46, v41;
	;;#ASMEND
	;; [unrolled: 3-line block ×4, first 2 shown]
	ds_read_b32 v38, v8 offset:28
	v_and_b32_e32 v41, 0xffff, v49
	v_lshrrev_b32_e32 v39, 16, v49
	s_waitcnt lgkmcnt(0)
	v_lshrrev_b32_e32 v40, 16, v38
	v_and_b32_e32 v38, 0xffff, v38
	;;#ASMSTART
	v_cvt_f32_f16 v42, v38;
	;;#ASMEND
	;;#ASMSTART
	v_cvt_f32_f16 v40, v40;
	;;#ASMEND
	;;#ASMSTART
	v_cvt_f32_f16 v43, v41;
	;;#ASMEND
	;;#ASMSTART
	v_cvt_f32_f16 v41, v39;
	;;#ASMEND
	ds_read_b32 v38, v8 offset:32
	s_waitcnt lgkmcnt(0)
	v_lshrrev_b32_e32 v39, 16, v38
	v_and_b32_e32 v38, 0xffff, v38
	;;#ASMSTART
	v_cvt_f32_f16 v49, v38;
	;;#ASMEND
	;;#ASMSTART
	v_cvt_f32_f16 v38, v39;
	;;#ASMEND
	;;#ASMSTART
	v_cvt_f32_f16 v50, v50;
	;;#ASMEND
	;;#ASMSTART
	v_cvt_f32_f16 v39, v81;
	;;#ASMEND
	ds_read_b32 v55, v8 offset:36
	;; [unrolled: 16-line block ×3, first 2 shown]
	v_lshrrev_b32_e32 v82, 16, v32
	v_and_b32_e32 v83, 0xffff, v32
	v_mul_f32_e32 v32, v64, v65
	v_fmac_f32_e32 v32, v61, v62
	s_waitcnt lgkmcnt(0)
	v_lshrrev_b32_e32 v62, 16, v81
	v_and_b32_e32 v61, 0xffff, v81
	;;#ASMSTART
	v_cvt_f32_f16 v61, v61;
	;;#ASMEND
	;;#ASMSTART
	v_cvt_f32_f16 v62, v62;
	;;#ASMEND
	;;#ASMSTART
	v_cvt_f32_f16 v64, v85;
	;;#ASMEND
	;;#ASMSTART
	v_cvt_f32_f16 v65, v84;
	;;#ASMEND
	ds_read_b32 v81, v8 offset:44
	v_lshrrev_b32_e32 v84, 16, v35
	v_and_b32_e32 v85, 0xffff, v35
	v_mul_f32_e32 v35, v73, v74
	v_fmac_f32_e32 v35, v71, v72
	s_waitcnt lgkmcnt(0)
	v_lshrrev_b32_e32 v72, 16, v81
	v_and_b32_e32 v71, 0xffff, v81
	;;#ASMSTART
	v_cvt_f32_f16 v71, v71;
	;;#ASMEND
	;;#ASMSTART
	v_cvt_f32_f16 v72, v72;
	;;#ASMEND
	;; [unrolled: 3-line block ×4, first 2 shown]
	ds_read_b32 v81, v8 offset:48
	v_lshrrev_b32_e32 v86, 16, v66
	v_and_b32_e32 v87, 0xffff, v66
	v_fmac_f32_e32 v32, v77, v79
	v_fmac_f32_e32 v35, v78, v80
	s_waitcnt lgkmcnt(0)
	v_lshrrev_b32_e32 v77, 16, v81
	v_and_b32_e32 v66, 0xffff, v81
	;;#ASMSTART
	v_cvt_f32_f16 v66, v66;
	;;#ASMEND
	;;#ASMSTART
	v_cvt_f32_f16 v77, v77;
	;;#ASMEND
	;; [unrolled: 3-line block ×4, first 2 shown]
	ds_read_b32 v80, v8 offset:52
	v_lshrrev_b32_e32 v88, 16, v57
	v_and_b32_e32 v89, 0xffff, v57
	v_fmac_f32_e32 v32, v75, v76
	v_fmac_f32_e32 v32, v67, v68
	s_waitcnt lgkmcnt(0)
	v_lshrrev_b32_e32 v75, 16, v80
	v_and_b32_e32 v57, 0xffff, v80
	;;#ASMSTART
	v_cvt_f32_f16 v57, v57;
	;;#ASMEND
	;;#ASMSTART
	v_cvt_f32_f16 v75, v75;
	;;#ASMEND
	;;#ASMSTART
	v_cvt_f32_f16 v76, v83;
	;;#ASMEND
	;;#ASMSTART
	v_cvt_f32_f16 v80, v82;
	;;#ASMEND
	ds_read_b32 v81, v8 offset:56
	v_and_b32_e32 v82, 0xffff, v44
	v_fmac_f32_e32 v35, v69, v70
	v_lshrrev_b32_e32 v83, 16, v37
	v_fmac_f32_e32 v35, v58, v59
	s_waitcnt lgkmcnt(0)
	v_lshrrev_b32_e32 v67, 16, v81
	v_and_b32_e32 v44, 0xffff, v81
	;;#ASMSTART
	v_cvt_f32_f16 v44, v44;
	;;#ASMEND
	;;#ASMSTART
	v_cvt_f32_f16 v67, v67;
	;;#ASMEND
	;; [unrolled: 3-line block ×4, first 2 shown]
	ds_read_b32 v70, v8 offset:60
	v_and_b32_e32 v81, 0xffff, v37
	v_lshrrev_b32_e32 v84, 16, v36
	v_and_b32_e32 v85, 0xffff, v36
	v_fmac_f32_e32 v35, v51, v52
	s_waitcnt lgkmcnt(0)
	v_lshrrev_b32_e32 v37, 16, v70
	v_and_b32_e32 v36, 0xffff, v70
	;;#ASMSTART
	v_cvt_f32_f16 v36, v36;
	;;#ASMEND
	;;#ASMSTART
	v_cvt_f32_f16 v37, v37;
	;;#ASMEND
	;; [unrolled: 3-line block ×4, first 2 shown]
	ds_read_b32 v70, v8 offset:64
	v_lshrrev_b32_e32 v86, 16, v34
	v_and_b32_e32 v87, 0xffff, v34
	v_fmac_f32_e32 v32, v60, v63
	v_fmac_f32_e32 v32, v45, v47
	s_waitcnt lgkmcnt(0)
	v_lshrrev_b32_e32 v51, 16, v70
	v_and_b32_e32 v34, 0xffff, v70
	;;#ASMSTART
	v_cvt_f32_f16 v34, v34;
	;;#ASMEND
	;;#ASMSTART
	v_cvt_f32_f16 v51, v51;
	;;#ASMEND
	;; [unrolled: 3-line block ×4, first 2 shown]
	ds_read_b32 v63, v8 offset:68
	v_lshrrev_b32_e32 v70, 16, v33
	v_and_b32_e32 v88, 0xffff, v33
	v_fmac_f32_e32 v35, v46, v48
	v_and_b32_e32 v89, 0xffff, v31
	s_waitcnt lgkmcnt(0)
	v_lshrrev_b32_e32 v45, 16, v63
	v_and_b32_e32 v33, 0xffff, v63
	;;#ASMSTART
	v_cvt_f32_f16 v33, v33;
	;;#ASMEND
	;;#ASMSTART
	v_cvt_f32_f16 v45, v45;
	;;#ASMEND
	;; [unrolled: 3-line block ×4, first 2 shown]
	ds_read_b32 v48, v8 offset:72
	v_lshrrev_b32_e32 v82, 16, v31
	v_fmac_f32_e32 v32, v42, v43
	v_lshrrev_b32_e32 v90, 16, v30
	v_fmac_f32_e32 v35, v40, v41
	s_waitcnt lgkmcnt(0)
	v_lshrrev_b32_e32 v42, 16, v48
	v_and_b32_e32 v31, 0xffff, v48
	;;#ASMSTART
	v_cvt_f32_f16 v31, v31;
	;;#ASMEND
	;;#ASMSTART
	v_cvt_f32_f16 v42, v42;
	;;#ASMEND
	;; [unrolled: 3-line block ×4, first 2 shown]
	ds_read_b32 v63, v8 offset:76
	v_and_b32_e32 v81, 0xffff, v30
	v_fmac_f32_e32 v32, v49, v50
	v_lshrrev_b32_e32 v83, 16, v29
	v_fmac_f32_e32 v35, v38, v39
	s_waitcnt lgkmcnt(0)
	v_lshrrev_b32_e32 v40, 16, v63
	v_and_b32_e32 v30, 0xffff, v63
	;;#ASMSTART
	v_cvt_f32_f16 v30, v30;
	;;#ASMEND
	;;#ASMSTART
	v_cvt_f32_f16 v40, v40;
	;;#ASMEND
	;; [unrolled: 3-line block ×4, first 2 shown]
	ds_read_b32 v50, v8 offset:80
	v_and_b32_e32 v84, 0xffff, v29
	v_lshrrev_b32_e32 v85, 16, v28
	v_fmac_f32_e32 v32, v53, v55
	v_fmac_f32_e32 v35, v54, v56
	s_waitcnt lgkmcnt(0)
	v_lshrrev_b32_e32 v29, 16, v50
	v_and_b32_e32 v28, 0xffff, v50
	;;#ASMSTART
	v_cvt_f32_f16 v28, v28;
	;;#ASMEND
	;;#ASMSTART
	v_cvt_f32_f16 v29, v29;
	;;#ASMEND
	;;#ASMSTART
	v_cvt_f32_f16 v38, v87;
	;;#ASMEND
	;;#ASMSTART
	v_cvt_f32_f16 v39, v86;
	;;#ASMEND
	ds_read_b32 v50, v8 offset:84
	v_fmac_f32_e32 v32, v61, v64
	v_fmac_f32_e32 v35, v62, v65
	v_fmac_f32_e32 v32, v71, v73
	v_fmac_f32_e32 v32, v66, v78
	s_waitcnt lgkmcnt(0)
	v_lshrrev_b32_e32 v53, 16, v50
	v_and_b32_e32 v50, 0xffff, v50
	;;#ASMSTART
	v_cvt_f32_f16 v50, v50;
	;;#ASMEND
	;;#ASMSTART
	v_cvt_f32_f16 v53, v53;
	;;#ASMEND
	;;#ASMSTART
	v_cvt_f32_f16 v54, v88;
	;;#ASMEND
	;;#ASMSTART
	v_cvt_f32_f16 v55, v70;
	;;#ASMEND
	ds_read_b32 v56, v8 offset:88
	v_fmac_f32_e32 v32, v57, v76
	v_fmac_f32_e32 v32, v44, v68
	;; [unrolled: 20-line block ×6, first 2 shown]
	s_waitcnt vmcnt(5)
	v_lshrrev_b32_e32 v30, 16, v27
	v_and_b32_e32 v27, 0xffff, v27
	s_waitcnt lgkmcnt(0)
	v_lshrrev_b32_e32 v29, 16, v45
	v_and_b32_e32 v28, 0xffff, v45
	;;#ASMSTART
	v_cvt_f32_f16 v28, v28;
	;;#ASMEND
	;;#ASMSTART
	v_cvt_f32_f16 v29, v29;
	;;#ASMEND
	;;#ASMSTART
	v_cvt_f32_f16 v27, v27;
	;;#ASMEND
	;;#ASMSTART
	v_cvt_f32_f16 v30, v30;
	;;#ASMEND
	ds_read_b32 v38, v8 offset:108
	s_waitcnt vmcnt(4)
	v_lshrrev_b32_e32 v40, 16, v26
	v_and_b32_e32 v26, 0xffff, v26
	v_fmac_f32_e32 v32, v50, v54
	v_fmac_f32_e32 v35, v53, v55
	s_waitcnt lgkmcnt(0)
	v_lshrrev_b32_e32 v39, 16, v38
	v_and_b32_e32 v38, 0xffff, v38
	;;#ASMSTART
	v_cvt_f32_f16 v38, v38;
	;;#ASMEND
	;;#ASMSTART
	v_cvt_f32_f16 v39, v39;
	;;#ASMEND
	;;#ASMSTART
	v_cvt_f32_f16 v26, v26;
	;;#ASMEND
	;;#ASMSTART
	v_cvt_f32_f16 v40, v40;
	;;#ASMEND
	ds_read_b32 v41, v8 offset:112
	v_fmac_f32_e32 v32, v56, v62
	v_fmac_f32_e32 v35, v61, v63
	;; [unrolled: 1-line block ×6, first 2 shown]
	s_waitcnt lgkmcnt(0)
	v_lshrrev_b32_e32 v36, 16, v41
	v_and_b32_e32 v34, 0xffff, v41
	s_waitcnt vmcnt(3)
	v_lshrrev_b32_e32 v37, 16, v25
	v_and_b32_e32 v25, 0xffff, v25
	;;#ASMSTART
	v_cvt_f32_f16 v34, v34;
	;;#ASMEND
	;;#ASMSTART
	v_cvt_f32_f16 v36, v36;
	;;#ASMEND
	;;#ASMSTART
	v_cvt_f32_f16 v25, v25;
	;;#ASMEND
	;;#ASMSTART
	v_cvt_f32_f16 v37, v37;
	;;#ASMEND
	ds_read_b32 v41, v8 offset:116
	v_fmac_f32_e32 v32, v31, v42
	v_fmac_f32_e32 v35, v33, v43
	v_fmac_f32_e32 v32, v28, v27
	v_fmac_f32_e32 v35, v29, v30
	s_waitcnt lgkmcnt(0)
	v_lshrrev_b32_e32 v28, 16, v41
	v_and_b32_e32 v27, 0xffff, v41
	s_waitcnt vmcnt(2)
	v_lshrrev_b32_e32 v29, 16, v24
	v_and_b32_e32 v24, 0xffff, v24
	;;#ASMSTART
	v_cvt_f32_f16 v27, v27;
	;;#ASMEND
	;;#ASMSTART
	v_cvt_f32_f16 v28, v28;
	;;#ASMEND
	;;#ASMSTART
	v_cvt_f32_f16 v24, v24;
	;;#ASMEND
	;;#ASMSTART
	v_cvt_f32_f16 v29, v29;
	;;#ASMEND
	ds_read_b32 v30, v8 offset:120
	v_fmac_f32_e32 v32, v38, v26
	v_fmac_f32_e32 v32, v34, v25
	v_fmac_f32_e32 v35, v39, v40
	v_fmac_f32_e32 v35, v36, v37
	;; [unrolled: 23-line block ×3, first 2 shown]
	s_waitcnt lgkmcnt(0)
	v_and_b32_e32 v21, 0xffff, v31
	v_lshrrev_b32_e32 v24, 16, v31
	;;#ASMSTART
	v_cvt_f32_f16 v21, v21;
	;;#ASMEND
	s_waitcnt vmcnt(0)
	v_lshrrev_b32_e32 v25, 16, v20
	v_and_b32_e32 v20, 0xffff, v20
	;;#ASMSTART
	v_cvt_f32_f16 v24, v24;
	;;#ASMEND
	;;#ASMSTART
	v_cvt_f32_f16 v20, v20;
	;;#ASMEND
	;; [unrolled: 3-line block ×3, first 2 shown]
	s_nop 0
	v_fmac_f32_e32 v32, v21, v20
	v_fmac_f32_e32 v35, v24, v25
	v_cndmask_b32_e64 v21, v15, v17, s[0:1]
	v_add_f32_e32 v20, v32, v35
	v_lshlrev_b32_e32 v21, 2, v21
	ds_bpermute_b32 v21, v21, v20
	v_cmp_lt_i32_e64 s[0:1], v18, v16
	s_waitcnt lgkmcnt(0)
	v_add_f32_e32 v20, v20, v21
	v_cndmask_b32_e64 v21, v15, v18, s[0:1]
	v_lshlrev_b32_e32 v21, 2, v21
	ds_bpermute_b32 v21, v21, v20
	s_and_saveexec_b64 s[38:39], vcc
	s_cbranch_execz .LBB80_11
; %bb.19:                               ;   in Loop: Header=BB80_13 Depth=1
	v_add_u32_e32 v24, v12, v11
	v_cvt_f32_i32_e32 v24, v24
	s_waitcnt lgkmcnt(0)
	v_add_f32_e32 v20, v20, v21
	v_add_u32_e32 v25, v7, v11
	v_cmp_gt_i32_e64 s[0:1], s33, v25
	v_mul_f32_e32 v21, s42, v24
	v_cndmask_b32_e64 v21, 0, v21, s[2:3]
	v_fmac_f32_e32 v21, s31, v20
	v_cndmask_b32_e64 v20, 0, v21, s[0:1]
	ds_write_b32 v13, v20
	v_max_f32_e32 v20, v9, v9
	v_max_f32_e32 v20, v20, v21
	v_cndmask_b32_e64 v9, v9, v20, s[0:1]
	s_branch .LBB80_11
.LBB80_20:
	s_or_b64 exec, exec, s[36:37]
.LBB80_21:
	s_or_b64 exec, exec, s[34:35]
	v_mbcnt_hi_u32_b32 v2, -1, v6
	v_and_b32_e32 v10, 64, v2
	v_add_u32_e32 v3, 64, v10
	v_xor_b32_e32 v4, 32, v2
	v_cmp_lt_i32_e32 vcc, v4, v3
	v_xor_b32_e32 v7, 16, v2
	v_max_f32_e32 v6, v9, v9
	v_cndmask_b32_e32 v4, v2, v4, vcc
	v_lshlrev_b32_e32 v4, 2, v4
	ds_bpermute_b32 v5, v4, v9
	v_cmp_lt_i32_e32 vcc, v7, v3
	v_xor_b32_e32 v8, 8, v2
	v_xor_b32_e32 v9, 4, v2
	v_and_b32_e32 v24, 63, v0
	s_waitcnt lgkmcnt(0)
	v_max_f32_e32 v5, v5, v5
	v_max_f32_e32 v6, v6, v5
	v_cndmask_b32_e32 v5, v2, v7, vcc
	v_lshlrev_b32_e32 v5, 2, v5
	ds_bpermute_b32 v7, v5, v6
	v_cmp_lt_i32_e32 vcc, v8, v3
	s_waitcnt lgkmcnt(0)
	v_max_f32_e32 v7, v7, v7
	v_max_f32_e32 v6, v6, v7
	v_cndmask_b32_e32 v7, v2, v8, vcc
	v_lshlrev_b32_e32 v8, 2, v7
	ds_bpermute_b32 v7, v8, v6
	v_cmp_lt_i32_e32 vcc, v9, v3
	s_waitcnt lgkmcnt(0)
	v_max_f32_e32 v7, v7, v7
	v_max_f32_e32 v7, v6, v7
	v_cndmask_b32_e32 v6, v2, v9, vcc
	v_lshlrev_b32_e32 v9, 2, v6
	ds_bpermute_b32 v11, v9, v7
	v_cmp_eq_u32_e32 vcc, 0, v24
	v_lshlrev_b32_e32 v6, 2, v22
	s_and_saveexec_b64 s[0:1], vcc
	s_cbranch_execz .LBB80_23
; %bb.22:
	s_waitcnt lgkmcnt(0)
	v_max_f32_e32 v11, v11, v11
	v_max_f32_e32 v7, v7, v7
	v_max_f32_e32 v7, v7, v11
	ds_write_b32 v6, v7 offset:512
.LBB80_23:
	s_or_b64 exec, exec, s[0:1]
	v_cmp_gt_u32_e64 s[0:1], 2, v24
	s_waitcnt lgkmcnt(0)
	v_mov_b32_e32 v11, 0xff7fffff
	v_lshlrev_b32_e32 v7, 2, v24
	s_barrier
	s_and_saveexec_b64 s[2:3], s[0:1]
; %bb.24:
	ds_read_b32 v11, v7 offset:512
; %bb.25:
	s_or_b64 exec, exec, s[2:3]
	v_xor_b32_e32 v12, 1, v2
	v_cmp_lt_i32_e64 s[2:3], v12, v3
	v_lshlrev_b32_e32 v10, 2, v10
	s_nop 0
	v_cndmask_b32_e64 v12, v2, v12, s[2:3]
	v_lshlrev_b32_e32 v25, 2, v12
	s_waitcnt lgkmcnt(0)
	ds_bpermute_b32 v12, v25, v11
	v_max_f32_e32 v11, v11, v11
	s_lshl_b32 s2, s16, 4
	s_min_i32 s15, s2, s33
	v_cmp_gt_i32_e64 s[2:3], s15, v0
	s_waitcnt lgkmcnt(0)
	v_max_f32_e32 v12, v12, v12
	v_max_f32_e32 v11, v11, v12
	ds_bpermute_b32 v11, v10, v11
	v_mov_b32_e32 v10, 0
	s_and_saveexec_b64 s[30:31], s[2:3]
	s_cbranch_execz .LBB80_29
; %bb.26:
	v_mov_b32_e32 v10, 0x210
	v_lshl_add_u32 v12, v0, 2, v10
	v_mov_b32_e32 v10, 0
	s_mov_b64 s[34:35], 0
	v_mov_b32_e32 v13, v0
.LBB80_27:                              ; =>This Inner Loop Header: Depth=1
	ds_read_b32 v14, v12
	v_add_u32_e32 v13, 0x80, v13
	v_cmp_le_i32_e64 s[8:9], s15, v13
	s_or_b64 s[34:35], s[8:9], s[34:35]
	s_waitcnt lgkmcnt(0)
	v_sub_f32_e32 v14, v14, v11
	v_mul_f32_e32 v14, 0x3fb8aa3b, v14
	v_exp_f32_e32 v14, v14
	ds_write_b32 v12, v14
	v_add_f32_e32 v10, v10, v14
	v_add_u32_e32 v12, 0x200, v12
	s_andn2_b64 exec, exec, s[34:35]
	s_cbranch_execnz .LBB80_27
; %bb.28:
	s_or_b64 exec, exec, s[34:35]
.LBB80_29:
	s_or_b64 exec, exec, s[30:31]
	ds_bpermute_b32 v4, v4, v10
	s_waitcnt lgkmcnt(0)
	v_add_f32_e32 v4, v10, v4
	ds_bpermute_b32 v5, v5, v4
	s_waitcnt lgkmcnt(0)
	v_add_f32_e32 v4, v4, v5
	ds_bpermute_b32 v5, v8, v4
	v_xor_b32_e32 v8, 2, v2
	v_cmp_lt_i32_e64 s[8:9], v8, v3
	s_waitcnt lgkmcnt(0)
	v_add_f32_e32 v4, v4, v5
	ds_bpermute_b32 v5, v9, v4
	v_cndmask_b32_e64 v3, v2, v8, s[8:9]
	v_lshlrev_b32_e32 v3, 2, v3
	s_waitcnt lgkmcnt(0)
	v_add_f32_e32 v4, v4, v5
	ds_bpermute_b32 v3, v3, v4
	s_waitcnt lgkmcnt(0)
	v_add_f32_e32 v3, v4, v3
	ds_bpermute_b32 v4, v25, v3
	s_waitcnt lgkmcnt(0)
	v_add_f32_e32 v3, v3, v4
	s_and_saveexec_b64 s[8:9], vcc
; %bb.30:
	ds_write_b32 v6, v3 offset:520
; %bb.31:
	s_or_b64 exec, exec, s[8:9]
	s_waitcnt lgkmcnt(0)
	s_barrier
	s_and_saveexec_b64 s[8:9], s[0:1]
; %bb.32:
	ds_read_b32 v3, v7 offset:520
; %bb.33:
	s_or_b64 exec, exec, s[8:9]
	s_waitcnt lgkmcnt(0)
	ds_bpermute_b32 v4, v25, v3
	v_lshlrev_b32_e32 v2, 2, v2
	v_and_b32_e32 v2, 0x100, v2
	s_waitcnt lgkmcnt(0)
	v_add_f32_e32 v3, v3, v4
	ds_bpermute_b32 v2, v2, v3
	s_and_saveexec_b64 s[0:1], s[2:3]
	s_cbranch_execz .LBB80_46
; %bb.34:
	s_waitcnt lgkmcnt(0)
	v_add_f32_e32 v2, 0x358637bd, v2
	v_div_scale_f32 v3, s[2:3], v2, v2, 1.0
	v_rcp_f32_e32 v4, v3
	v_div_scale_f32 v5, vcc, 1.0, v2, 1.0
	s_movk_i32 s2, 0x7f
	v_fma_f32 v6, -v3, v4, 1.0
	v_fmac_f32_e32 v4, v6, v4
	v_mul_f32_e32 v6, v5, v4
	v_fma_f32 v7, -v3, v6, v5
	v_fmac_f32_e32 v6, v7, v4
	v_fma_f32 v3, -v3, v6, v5
	v_div_fmas_f32 v3, v3, v4, v6
	v_xad_u32 v4, v0, -1, s15
	v_div_fixup_f32 v2, v3, v2, 1.0
	v_cmp_lt_u32_e32 vcc, s2, v4
	s_mov_b64 s[8:9], -1
	v_mov_b32_e32 v3, v0
	s_and_saveexec_b64 s[2:3], vcc
	s_cbranch_execz .LBB80_43
; %bb.35:
	v_lshrrev_b32_e32 v4, 7, v4
	v_add_u32_e32 v6, -1, v4
	v_lshrrev_b32_e32 v5, 1, v6
	v_mov_b32_e32 v3, v2
	v_add_u32_e32 v5, 1, v5
	v_cmp_lt_u32_e32 vcc, 13, v6
	v_mov_b32_e32 v8, 0
	s_and_saveexec_b64 s[8:9], vcc
	s_cbranch_execz .LBB80_39
; %bb.36:
	v_mov_b32_e32 v7, 0x210
	v_and_b32_e32 v6, -8, v5
	v_lshl_add_u32 v7, v0, 2, v7
	s_mov_b32 s34, 0
	s_mov_b64 s[30:31], 0
.LBB80_37:                              ; =>This Inner Loop Header: Depth=1
	ds_read2st64_b32 v[8:9], v7 offset1:2
	ds_read2st64_b32 v[10:11], v7 offset0:4 offset1:6
	ds_read2st64_b32 v[12:13], v7 offset0:8 offset1:10
	;; [unrolled: 1-line block ×3, first 2 shown]
	v_add_u32_e32 v6, -8, v6
	s_waitcnt lgkmcnt(3)
	v_pk_mul_f32 v[8:9], v[2:3], v[8:9]
	s_waitcnt lgkmcnt(2)
	v_pk_mul_f32 v[10:11], v[2:3], v[10:11]
	ds_write2st64_b32 v7, v8, v9 offset1:2
	ds_write2st64_b32 v7, v10, v11 offset0:4 offset1:6
	ds_read2st64_b32 v[10:11], v7 offset0:16 offset1:18
	s_waitcnt lgkmcnt(4)
	v_pk_mul_f32 v[8:9], v[2:3], v[12:13]
	ds_write2st64_b32 v7, v8, v9 offset0:8 offset1:10
	s_waitcnt lgkmcnt(4)
	v_pk_mul_f32 v[8:9], v[2:3], v[14:15]
	ds_write2st64_b32 v7, v8, v9 offset0:12 offset1:14
	ds_read2st64_b32 v[8:9], v7 offset0:20 offset1:22
	s_waitcnt lgkmcnt(3)
	v_pk_mul_f32 v[10:11], v[2:3], v[10:11]
	ds_read2st64_b32 v[12:13], v7 offset0:24 offset1:26
	ds_write2st64_b32 v7, v10, v11 offset0:16 offset1:18
	ds_read2st64_b32 v[10:11], v7 offset0:28 offset1:30
	s_waitcnt lgkmcnt(3)
	v_pk_mul_f32 v[8:9], v[2:3], v[8:9]
	ds_write2st64_b32 v7, v8, v9 offset0:20 offset1:22
	s_waitcnt lgkmcnt(3)
	v_pk_mul_f32 v[8:9], v[2:3], v[12:13]
	ds_write2st64_b32 v7, v8, v9 offset0:24 offset1:26
	s_waitcnt lgkmcnt(2)
	v_pk_mul_f32 v[8:9], v[2:3], v[10:11]
	s_add_i32 s34, s34, 16
	v_cmp_eq_u32_e32 vcc, 0, v6
	ds_write2st64_b32 v7, v8, v9 offset0:28 offset1:30
	v_add_u32_e32 v7, 0x2000, v7
	s_or_b64 s[30:31], vcc, s[30:31]
	v_mov_b32_e32 v8, s34
	s_andn2_b64 exec, exec, s[30:31]
	s_cbranch_execnz .LBB80_37
; %bb.38:
	s_or_b64 exec, exec, s[30:31]
.LBB80_39:
	s_or_b64 exec, exec, s[8:9]
	v_and_b32_e32 v5, 7, v5
	v_cmp_ne_u32_e32 vcc, 0, v5
	s_and_saveexec_b64 s[8:9], vcc
	s_cbranch_execz .LBB80_42
; %bb.40:
	v_lshlrev_b32_e32 v6, 9, v8
	v_lshlrev_b32_e32 v7, 2, v0
	s_movk_i32 s30, 0x210
	v_add3_u32 v6, v6, v7, s30
	s_mov_b64 s[30:31], 0
.LBB80_41:                              ; =>This Inner Loop Header: Depth=1
	ds_read2st64_b32 v[8:9], v6 offset1:2
	v_add_u32_e32 v5, -1, v5
	v_cmp_eq_u32_e32 vcc, 0, v5
	s_or_b64 s[30:31], vcc, s[30:31]
	s_waitcnt lgkmcnt(0)
	v_pk_mul_f32 v[8:9], v[2:3], v[8:9]
	ds_write2st64_b32 v6, v8, v9 offset1:2
	v_add_u32_e32 v6, 0x400, v6
	s_andn2_b64 exec, exec, s[30:31]
	s_cbranch_execnz .LBB80_41
.LBB80_42:
	s_or_b64 exec, exec, s[8:9]
	v_add_u32_e32 v4, 1, v4
	v_and_b32_e32 v5, 0x3fffffe, v4
	v_cmp_ne_u32_e32 vcc, v4, v5
	v_lshl_add_u32 v3, v5, 7, v0
	s_orn2_b64 s[8:9], vcc, exec
.LBB80_43:
	s_or_b64 exec, exec, s[2:3]
	s_and_b64 exec, exec, s[8:9]
	s_cbranch_execz .LBB80_46
; %bb.44:
	v_mov_b32_e32 v4, 0x210
	v_lshl_add_u32 v4, v3, 2, v4
	s_mov_b64 s[2:3], 0
.LBB80_45:                              ; =>This Inner Loop Header: Depth=1
	ds_read_b32 v5, v4
	v_add_u32_e32 v3, 0x80, v3
	v_cmp_le_i32_e32 vcc, s15, v3
	s_or_b64 s[2:3], vcc, s[2:3]
	s_waitcnt lgkmcnt(0)
	v_mul_f32_e32 v5, v2, v5
	ds_write_b32 v4, v5
	v_add_u32_e32 v4, 0x200, v4
	s_andn2_b64 exec, exec, s[2:3]
	s_cbranch_execnz .LBB80_45
.LBB80_46:
	s_or_b64 exec, exec, s[0:1]
	v_mov_b32_e32 v7, 0
	v_and_b32_e32 v26, 1, v0
	v_mov_b32_e32 v6, v7
	v_mov_b32_e32 v9, v7
	;; [unrolled: 1-line block ×7, first 2 shown]
	s_waitcnt lgkmcnt(0)
	s_barrier
	s_and_saveexec_b64 s[2:3], s[6:7]
	s_cbranch_execz .LBB80_68
; %bb.47:
	s_ashr_i32 s15, s14, 31
	s_sub_i32 s17, s12, s17
	s_lshl_b64 s[0:1], s[14:15], 1
	s_add_u32 s0, s28, s0
	s_addc_u32 s1, s29, s1
	s_abs_i32 s14, s18
	v_cvt_f32_u32_e32 v3, s14
	v_lshlrev_b32_e32 v2, 3, v0
	v_and_b32_e32 v27, 8, v2
	v_mov_b32_e32 v15, 0
	v_rcp_iflag_f32_e32 v2, v3
	v_lshlrev_b32_e32 v3, 4, v0
	v_and_b32_e32 v14, 0x3f0, v3
	v_lshl_add_u64 v[16:17], s[0:1], 0, v[14:15]
	v_mul_f32_e32 v2, 0x4f7ffffe, v2
	v_cvt_u32_f32_e32 v2, v2
	s_sub_i32 s0, 0, s14
	s_add_i32 s18, s16, -1
	v_and_b32_e32 v14, 60, v1
	v_mul_lo_u32 v3, s0, v2
	s_lshl_b64 s[0:1], s[26:27], 2
	s_add_u32 s0, s24, s0
	v_lshlrev_b32_e32 v1, 5, v26
	v_mul_hi_u32 v3, v2, v3
	s_addc_u32 s1, s25, s1
	v_lshl_or_b32 v1, v22, 6, v1
	s_mov_b32 s15, s13
	s_mov_b32 s28, s33
	v_add_u32_e32 v28, v2, v3
	v_lshl_add_u64 v[18:19], s[0:1], 0, v[14:15]
	v_add_u32_e32 v29, 0x210, v1
	s_mov_b64 s[6:7], 0
	s_mov_b32 s24, 0xffff
	s_movk_i32 s25, 0x1000
	v_mov_b32_e32 v12, 0
	v_mov_b32_e32 v13, 0
	v_mov_b32_e32 v10, 0
	v_mov_b32_e32 v11, 0
	v_mov_b32_e32 v8, 0
	v_mov_b32_e32 v9, 0
	v_mov_b32_e32 v6, 0
	v_mov_b32_e32 v7, 0
	s_branch .LBB80_50
.LBB80_48:                              ;   in Loop: Header=BB80_50 Depth=1
	s_or_b64 exec, exec, s[12:13]
	v_lshlrev_b32_e32 v14, 16, v14
	v_lshlrev_b32_e32 v1, 16, v1
	v_and_or_b32 v2, v2, s24, v14
	v_and_or_b32 v1, v3, s24, v1
	v_lshlrev_b32_e32 v3, 16, v20
	v_add_f32_e32 v21, v54, v55
	v_and_or_b32 v3, v4, s24, v3
	;;#ASMSTART
	v_pk_mul_f16 v2, v39, v2;

	;;#ASMEND
	;;#ASMSTART
	v_pk_mul_f16 v1, v40, v1;

	;;#ASMEND
	v_add_f32_e32 v6, v6, v21
	v_add_f32_e32 v21, v52, v53
	;;#ASMSTART
	v_pk_mul_f16 v3, v41, v3;

	;;#ASMEND
	;;#ASMSTART
	v_pk_mul_f16 v4, v37, v5;

	;;#ASMEND
	;;#ASMSTART
	v_pk_add_f16 v1, v2, v1;

	;;#ASMEND
	v_add_f32_e32 v9, v9, v21
	v_add_f32_e32 v21, v50, v51
	;;#ASMSTART
	v_pk_add_f16 v1, v1, v3;

	;;#ASMEND
	v_add_f32_e32 v8, v8, v21
	v_add_f32_e32 v21, v48, v49
	;; [unrolled: 6-line block ×3, first 2 shown]
	v_lshrrev_b32_e32 v2, 16, v1
	v_and_b32_e32 v1, 0xffff, v1
	v_add_f32_e32 v10, v10, v21
	v_add_f32_e32 v21, v44, v45
	;;#ASMSTART
	v_cvt_f32_f16 v1, v1;
	;;#ASMEND
	v_add_f32_e32 v13, v13, v21
	v_add_f32_e32 v21, v42, v43
	;;#ASMSTART
	v_cvt_f32_f16 v2, v2;
	;;#ASMEND
	v_add_f32_e32 v12, v12, v21
	v_add_f32_e32 v1, v1, v2
	;; [unrolled: 1-line block ×3, first 2 shown]
.LBB80_49:                              ;   in Loop: Header=BB80_50 Depth=1
	s_or_b64 exec, exec, s[8:9]
	v_add_u32_e32 v22, 2, v22
	v_cmp_le_i32_e32 vcc, s16, v22
	v_lshl_add_u64 v[18:19], v[18:19], 0, 8
	v_add_u32_e32 v23, 32, v23
	s_or_b64 s[6:7], vcc, s[6:7]
	v_add_u32_e32 v29, 0x80, v29
	s_andn2_b64 exec, exec, s[6:7]
	s_cbranch_execz .LBB80_67
.LBB80_50:                              ; =>This Inner Loop Header: Depth=1
	v_mul_hi_u32 v1, v23, s40
	v_mul_lo_u32 v2, v1, s21
	v_sub_u32_e32 v2, v23, v2
	v_add_u32_e32 v3, 1, v1
	v_cmp_le_u32_e32 vcc, s21, v2
	s_nop 1
	v_cndmask_b32_e32 v1, v1, v3, vcc
	v_subrev_u32_e32 v3, s21, v2
	v_cndmask_b32_e32 v2, v2, v3, vcc
	v_add_u32_e32 v3, 1, v1
	v_cmp_le_u32_e32 vcc, s21, v2
	s_nop 1
	v_cndmask_b32_e32 v1, v1, v3, vcc
	v_xor_b32_e32 v1, s19, v1
	v_subrev_u32_e32 v1, s19, v1
	v_add_u32_e32 v2, s41, v1
	v_sub_u32_e32 v4, 0, v2
	v_ashrrev_i32_e32 v3, 31, v2
	v_max_i32_e32 v2, v2, v4
	v_mul_hi_u32 v4, v2, v28
	v_mul_lo_u32 v4, v4, s14
	v_sub_u32_e32 v2, v2, v4
	v_subrev_u32_e32 v4, s14, v2
	v_cmp_le_u32_e32 vcc, s14, v2
	v_cmp_lt_i32_e64 s[0:1], s17, v1
	s_nop 0
	v_cndmask_b32_e32 v2, v2, v4, vcc
	v_subrev_u32_e32 v4, s14, v2
	v_cmp_le_u32_e32 vcc, s14, v2
	s_nop 1
	v_cndmask_b32_e32 v2, v2, v4, vcc
	v_xor_b32_e32 v2, v2, v3
	v_sub_u32_e32 v2, v2, v3
	v_cmp_eq_u32_e32 vcc, 0, v2
	s_or_b64 s[0:1], vcc, s[0:1]
	s_and_saveexec_b64 s[8:9], s[0:1]
	s_cbranch_execz .LBB80_49
; %bb.51:                               ;   in Loop: Header=BB80_50 Depth=1
	global_load_dword v1, v[18:19], off
	ds_read2_b64 v[2:5], v29 offset1:1
	ds_read2_b64 v[30:33], v29 offset0:2 offset1:3
	s_waitcnt lgkmcnt(1)
	;;#ASMSTART
	v_cvt_f16_f32 v37, v2;

	;;#ASMEND
	;;#ASMSTART
	v_cvt_f16_f32 v39, v3;

	;;#ASMEND
	;; [unrolled: 4-line block ×4, first 2 shown]
	s_waitcnt lgkmcnt(0)
	;;#ASMSTART
	v_cvt_f16_f32 v42, v30;

	;;#ASMEND
	;;#ASMSTART
	v_cvt_f16_f32 v43, v31;

	;;#ASMEND
	;; [unrolled: 4-line block ×4, first 2 shown]
	v_add_u32_e32 v33, v27, v23
	v_add_u32_e32 v35, 2, v33
	;; [unrolled: 1-line block ×6, first 2 shown]
	v_or_b32_e32 v36, 3, v33
	v_or_b32_e32 v38, 1, v33
	s_waitcnt vmcnt(0)
	v_mad_i64_i32 v[2:3], s[0:1], v1, s15, 0
	v_lshl_add_u64 v[20:21], v[2:3], 1, v[16:17]
	global_load_dwordx4 v[2:5], v[20:21], off
	v_cmp_eq_u32_e64 s[0:1], s18, v22
	s_waitcnt vmcnt(0)
	v_lshrrev_b32_e32 v1, 16, v3
	v_lshrrev_b32_e32 v14, 16, v2
	;; [unrolled: 1-line block ×3, first 2 shown]
	s_and_saveexec_b64 s[12:13], s[0:1]
	s_cbranch_execz .LBB80_53
; %bb.52:                               ;   in Loop: Header=BB80_50 Depth=1
	v_cmp_gt_i32_e32 vcc, s33, v33
	s_nop 1
	v_cndmask_b32_e32 v2, 0, v2, vcc
	v_cmp_gt_i32_e32 vcc, s33, v35
	s_nop 1
	v_cndmask_b32_e32 v3, 0, v3, vcc
	;; [unrolled: 3-line block ×6, first 2 shown]
	v_cmp_gt_i32_e32 vcc, s33, v31
	s_nop 1
	v_cndmask_b32_sdwa v47, v15, v5, vcc dst_sel:DWORD dst_unused:UNUSED_PAD src0_sel:DWORD src1_sel:WORD_0
	v_and_b32_e32 v5, 0xffff0000, v5
	v_cmp_gt_i32_e32 vcc, s33, v30
	s_nop 1
	v_cndmask_b32_e32 v5, 0, v5, vcc
	v_or_b32_e32 v5, v47, v5
.LBB80_53:                              ;   in Loop: Header=BB80_50 Depth=1
	s_or_b64 exec, exec, s[12:13]
	v_and_b32_e32 v37, 0xffff, v37
	v_lshl_or_b32 v39, v39, 16, v37
	v_and_b32_e32 v37, 0xffff, v40
	v_lshlrev_b32_e32 v14, 16, v14
	v_lshlrev_b32_e32 v1, 16, v1
	v_lshl_or_b32 v40, v41, 16, v37
	v_and_b32_e32 v37, 0xffff, v42
	v_and_or_b32 v2, v2, s24, v14
	v_and_or_b32 v1, v3, s24, v1
	v_lshlrev_b32_e32 v3, 16, v46
	v_lshl_or_b32 v41, v43, 16, v37
	v_and_b32_e32 v37, 0xffff, v44
	v_and_or_b32 v3, v4, s24, v3
	;;#ASMSTART
	v_pk_mul_f16 v2, v39, v2;

	;;#ASMEND
	;;#ASMSTART
	v_pk_mul_f16 v1, v40, v1;

	;;#ASMEND
	v_lshl_or_b32 v37, v45, 16, v37
	;;#ASMSTART
	v_pk_mul_f16 v3, v41, v3;

	;;#ASMEND
	;;#ASMSTART
	v_pk_mul_f16 v4, v37, v5;

	;;#ASMEND
	;;#ASMSTART
	v_pk_add_f16 v1, v2, v1;

	;;#ASMEND
	s_nop 0
	;;#ASMSTART
	v_pk_add_f16 v1, v1, v3;

	;;#ASMEND
	s_nop 0
	;; [unrolled: 5-line block ×3, first 2 shown]
	v_lshrrev_b32_e32 v2, 16, v1
	v_and_b32_e32 v1, 0xffff, v1
	;;#ASMSTART
	v_cvt_f32_f16 v42, v1;
	;;#ASMEND
	;;#ASMSTART
	v_cvt_f32_f16 v43, v2;
	;;#ASMEND
	global_load_dwordx4 v[2:5], v[20:21], off offset:1024
	s_waitcnt vmcnt(0)
	v_lshrrev_b32_e32 v1, 16, v3
	v_lshrrev_b32_e32 v14, 16, v2
	;; [unrolled: 1-line block ×3, first 2 shown]
	s_and_saveexec_b64 s[12:13], s[0:1]
	s_cbranch_execz .LBB80_55
; %bb.54:                               ;   in Loop: Header=BB80_50 Depth=1
	v_cmp_gt_i32_e32 vcc, s33, v33
	s_nop 1
	v_cndmask_b32_e32 v2, 0, v2, vcc
	v_cmp_gt_i32_e32 vcc, s33, v35
	s_nop 1
	v_cndmask_b32_e32 v3, 0, v3, vcc
	;; [unrolled: 3-line block ×6, first 2 shown]
	v_cmp_gt_i32_e32 vcc, s33, v31
	s_nop 1
	v_cndmask_b32_sdwa v45, v15, v5, vcc dst_sel:DWORD dst_unused:UNUSED_PAD src0_sel:DWORD src1_sel:WORD_0
	v_and_b32_e32 v5, 0xffff0000, v5
	v_cmp_gt_i32_e32 vcc, s33, v30
	s_nop 1
	v_cndmask_b32_e32 v5, 0, v5, vcc
	v_or_b32_e32 v5, v45, v5
.LBB80_55:                              ;   in Loop: Header=BB80_50 Depth=1
	s_or_b64 exec, exec, s[12:13]
	v_lshlrev_b32_e32 v14, 16, v14
	v_lshlrev_b32_e32 v1, 16, v1
	v_and_or_b32 v2, v2, s24, v14
	v_and_or_b32 v1, v3, s24, v1
	v_lshlrev_b32_e32 v3, 16, v44
	v_and_or_b32 v3, v4, s24, v3
	;;#ASMSTART
	v_pk_mul_f16 v2, v39, v2;

	;;#ASMEND
	;;#ASMSTART
	v_pk_mul_f16 v1, v40, v1;

	;;#ASMEND
	;; [unrolled: 4-line block ×4, first 2 shown]
	s_nop 0
	;;#ASMSTART
	v_pk_add_f16 v1, v2, v1;

	;;#ASMEND
	s_nop 0
	;;#ASMSTART
	v_pk_add_f16 v1, v1, v3;

	;;#ASMEND
	;; [unrolled: 5-line block ×3, first 2 shown]
	s_nop 0
	v_lshrrev_b32_e32 v2, 16, v1
	v_and_b32_e32 v1, 0xffff, v1
	;;#ASMSTART
	v_cvt_f32_f16 v44, v1;
	;;#ASMEND
	;;#ASMSTART
	v_cvt_f32_f16 v45, v2;
	;;#ASMEND
	global_load_dwordx4 v[2:5], v[20:21], off offset:2048
	s_waitcnt vmcnt(0)
	v_lshrrev_b32_e32 v1, 16, v3
	v_lshrrev_b32_e32 v14, 16, v2
	;; [unrolled: 1-line block ×3, first 2 shown]
	s_and_saveexec_b64 s[12:13], s[0:1]
	s_cbranch_execz .LBB80_57
; %bb.56:                               ;   in Loop: Header=BB80_50 Depth=1
	v_cmp_gt_i32_e32 vcc, s33, v33
	s_nop 1
	v_cndmask_b32_e32 v2, 0, v2, vcc
	v_cmp_gt_i32_e32 vcc, s33, v35
	s_nop 1
	v_cndmask_b32_e32 v3, 0, v3, vcc
	;; [unrolled: 3-line block ×6, first 2 shown]
	v_cmp_gt_i32_e32 vcc, s33, v31
	s_nop 1
	v_cndmask_b32_sdwa v47, v15, v5, vcc dst_sel:DWORD dst_unused:UNUSED_PAD src0_sel:DWORD src1_sel:WORD_0
	v_and_b32_e32 v5, 0xffff0000, v5
	v_cmp_gt_i32_e32 vcc, s33, v30
	s_nop 1
	v_cndmask_b32_e32 v5, 0, v5, vcc
	v_or_b32_e32 v5, v47, v5
.LBB80_57:                              ;   in Loop: Header=BB80_50 Depth=1
	s_or_b64 exec, exec, s[12:13]
	v_lshlrev_b32_e32 v14, 16, v14
	v_lshlrev_b32_e32 v1, 16, v1
	v_and_or_b32 v2, v2, s24, v14
	v_and_or_b32 v1, v3, s24, v1
	v_lshlrev_b32_e32 v3, 16, v46
	v_and_or_b32 v3, v4, s24, v3
	;;#ASMSTART
	v_pk_mul_f16 v2, v39, v2;

	;;#ASMEND
	;;#ASMSTART
	v_pk_mul_f16 v1, v40, v1;

	;;#ASMEND
	;; [unrolled: 4-line block ×4, first 2 shown]
	s_nop 0
	;;#ASMSTART
	v_pk_add_f16 v1, v2, v1;

	;;#ASMEND
	s_nop 0
	;;#ASMSTART
	v_pk_add_f16 v1, v1, v3;

	;;#ASMEND
	;; [unrolled: 5-line block ×3, first 2 shown]
	s_nop 0
	v_lshrrev_b32_e32 v2, 16, v1
	v_and_b32_e32 v1, 0xffff, v1
	;;#ASMSTART
	v_cvt_f32_f16 v46, v1;
	;;#ASMEND
	;;#ASMSTART
	v_cvt_f32_f16 v47, v2;
	;;#ASMEND
	global_load_dwordx4 v[2:5], v[20:21], off offset:3072
	s_waitcnt vmcnt(0)
	v_lshrrev_b32_e32 v1, 16, v3
	v_lshrrev_b32_e32 v14, 16, v2
	;; [unrolled: 1-line block ×3, first 2 shown]
	s_and_saveexec_b64 s[12:13], s[0:1]
	s_cbranch_execz .LBB80_59
; %bb.58:                               ;   in Loop: Header=BB80_50 Depth=1
	v_cmp_gt_i32_e32 vcc, s33, v33
	s_nop 1
	v_cndmask_b32_e32 v2, 0, v2, vcc
	v_cmp_gt_i32_e32 vcc, s33, v35
	s_nop 1
	v_cndmask_b32_e32 v3, 0, v3, vcc
	;; [unrolled: 3-line block ×6, first 2 shown]
	v_cmp_gt_i32_e32 vcc, s33, v31
	s_nop 1
	v_cndmask_b32_sdwa v49, v15, v5, vcc dst_sel:DWORD dst_unused:UNUSED_PAD src0_sel:DWORD src1_sel:WORD_0
	v_and_b32_e32 v5, 0xffff0000, v5
	v_cmp_gt_i32_e32 vcc, s33, v30
	s_nop 1
	v_cndmask_b32_e32 v5, 0, v5, vcc
	v_or_b32_e32 v5, v49, v5
.LBB80_59:                              ;   in Loop: Header=BB80_50 Depth=1
	s_or_b64 exec, exec, s[12:13]
	v_lshlrev_b32_e32 v14, 16, v14
	v_lshlrev_b32_e32 v1, 16, v1
	v_and_or_b32 v2, v2, s24, v14
	v_and_or_b32 v1, v3, s24, v1
	v_lshlrev_b32_e32 v3, 16, v48
	v_and_or_b32 v3, v4, s24, v3
	;;#ASMSTART
	v_pk_mul_f16 v2, v39, v2;

	;;#ASMEND
	;;#ASMSTART
	v_pk_mul_f16 v1, v40, v1;

	;;#ASMEND
	;; [unrolled: 4-line block ×4, first 2 shown]
	v_add_co_u32_e32 v20, vcc, s25, v20
	;;#ASMSTART
	v_pk_add_f16 v1, v2, v1;

	;;#ASMEND
	s_nop 0
	;;#ASMSTART
	v_pk_add_f16 v1, v1, v3;

	;;#ASMEND
	s_nop 0
	v_addc_co_u32_e32 v21, vcc, 0, v21, vcc
	;;#ASMSTART
	v_pk_add_f16 v1, v1, v4;

	;;#ASMEND
	s_nop 0
	v_lshrrev_b32_e32 v2, 16, v1
	v_and_b32_e32 v1, 0xffff, v1
	;;#ASMSTART
	v_cvt_f32_f16 v48, v1;
	;;#ASMEND
	;;#ASMSTART
	v_cvt_f32_f16 v49, v2;
	;;#ASMEND
	global_load_dwordx4 v[2:5], v[20:21], off
	s_waitcnt vmcnt(0)
	v_lshrrev_b32_e32 v1, 16, v3
	v_lshrrev_b32_e32 v14, 16, v2
	;; [unrolled: 1-line block ×3, first 2 shown]
	s_and_saveexec_b64 s[12:13], s[0:1]
	s_cbranch_execz .LBB80_61
; %bb.60:                               ;   in Loop: Header=BB80_50 Depth=1
	v_cmp_gt_i32_e32 vcc, s33, v33
	s_nop 1
	v_cndmask_b32_e32 v2, 0, v2, vcc
	v_cmp_gt_i32_e32 vcc, s33, v35
	s_nop 1
	v_cndmask_b32_e32 v3, 0, v3, vcc
	;; [unrolled: 3-line block ×6, first 2 shown]
	v_cmp_gt_i32_e32 vcc, s33, v31
	s_nop 1
	v_cndmask_b32_sdwa v51, v15, v5, vcc dst_sel:DWORD dst_unused:UNUSED_PAD src0_sel:DWORD src1_sel:WORD_0
	v_and_b32_e32 v5, 0xffff0000, v5
	v_cmp_gt_i32_e32 vcc, s33, v30
	s_nop 1
	v_cndmask_b32_e32 v5, 0, v5, vcc
	v_or_b32_e32 v5, v51, v5
.LBB80_61:                              ;   in Loop: Header=BB80_50 Depth=1
	s_or_b64 exec, exec, s[12:13]
	v_lshlrev_b32_e32 v14, 16, v14
	v_lshlrev_b32_e32 v1, 16, v1
	v_and_or_b32 v2, v2, s24, v14
	v_and_or_b32 v1, v3, s24, v1
	v_lshlrev_b32_e32 v3, 16, v50
	v_and_or_b32 v3, v4, s24, v3
	;;#ASMSTART
	v_pk_mul_f16 v2, v39, v2;

	;;#ASMEND
	;;#ASMSTART
	v_pk_mul_f16 v1, v40, v1;

	;;#ASMEND
	;; [unrolled: 4-line block ×4, first 2 shown]
	s_nop 0
	;;#ASMSTART
	v_pk_add_f16 v1, v2, v1;

	;;#ASMEND
	s_nop 0
	;;#ASMSTART
	v_pk_add_f16 v1, v1, v3;

	;;#ASMEND
	s_nop 0
	;;#ASMSTART
	v_pk_add_f16 v1, v1, v4;

	;;#ASMEND
	s_nop 0
	v_lshrrev_b32_e32 v2, 16, v1
	v_and_b32_e32 v1, 0xffff, v1
	;;#ASMSTART
	v_cvt_f32_f16 v50, v1;
	;;#ASMEND
	;;#ASMSTART
	v_cvt_f32_f16 v51, v2;
	;;#ASMEND
	global_load_dwordx4 v[2:5], v[20:21], off offset:1024
	s_waitcnt vmcnt(0)
	v_lshrrev_b32_e32 v1, 16, v3
	v_lshrrev_b32_e32 v14, 16, v2
	;; [unrolled: 1-line block ×3, first 2 shown]
	s_and_saveexec_b64 s[12:13], s[0:1]
	s_cbranch_execz .LBB80_63
; %bb.62:                               ;   in Loop: Header=BB80_50 Depth=1
	v_cmp_gt_i32_e32 vcc, s33, v33
	s_nop 1
	v_cndmask_b32_e32 v2, 0, v2, vcc
	v_cmp_gt_i32_e32 vcc, s33, v35
	s_nop 1
	v_cndmask_b32_e32 v3, 0, v3, vcc
	;; [unrolled: 3-line block ×6, first 2 shown]
	v_cmp_gt_i32_e32 vcc, s33, v31
	s_nop 1
	v_cndmask_b32_sdwa v53, v15, v5, vcc dst_sel:DWORD dst_unused:UNUSED_PAD src0_sel:DWORD src1_sel:WORD_0
	v_and_b32_e32 v5, 0xffff0000, v5
	v_cmp_gt_i32_e32 vcc, s33, v30
	s_nop 1
	v_cndmask_b32_e32 v5, 0, v5, vcc
	v_or_b32_e32 v5, v53, v5
.LBB80_63:                              ;   in Loop: Header=BB80_50 Depth=1
	s_or_b64 exec, exec, s[12:13]
	v_lshlrev_b32_e32 v14, 16, v14
	v_lshlrev_b32_e32 v1, 16, v1
	v_and_or_b32 v2, v2, s24, v14
	v_and_or_b32 v1, v3, s24, v1
	v_lshlrev_b32_e32 v3, 16, v52
	v_and_or_b32 v3, v4, s24, v3
	;;#ASMSTART
	v_pk_mul_f16 v2, v39, v2;

	;;#ASMEND
	;;#ASMSTART
	v_pk_mul_f16 v1, v40, v1;

	;;#ASMEND
	;; [unrolled: 4-line block ×4, first 2 shown]
	s_nop 0
	;;#ASMSTART
	v_pk_add_f16 v1, v2, v1;

	;;#ASMEND
	s_nop 0
	;;#ASMSTART
	v_pk_add_f16 v1, v1, v3;

	;;#ASMEND
	;; [unrolled: 5-line block ×3, first 2 shown]
	s_nop 0
	v_lshrrev_b32_e32 v2, 16, v1
	v_and_b32_e32 v1, 0xffff, v1
	;;#ASMSTART
	v_cvt_f32_f16 v52, v1;
	;;#ASMEND
	;;#ASMSTART
	v_cvt_f32_f16 v53, v2;
	;;#ASMEND
	global_load_dwordx4 v[2:5], v[20:21], off offset:2048
	s_waitcnt vmcnt(0)
	v_lshrrev_b32_e32 v1, 16, v3
	v_lshrrev_b32_e32 v14, 16, v2
	;; [unrolled: 1-line block ×3, first 2 shown]
	s_and_saveexec_b64 s[12:13], s[0:1]
	s_cbranch_execz .LBB80_65
; %bb.64:                               ;   in Loop: Header=BB80_50 Depth=1
	v_cmp_gt_i32_e32 vcc, s33, v33
	s_nop 1
	v_cndmask_b32_e32 v2, 0, v2, vcc
	v_cmp_gt_i32_e32 vcc, s33, v35
	s_nop 1
	v_cndmask_b32_e32 v3, 0, v3, vcc
	;; [unrolled: 3-line block ×6, first 2 shown]
	v_cmp_gt_i32_e32 vcc, s33, v31
	s_nop 1
	v_cndmask_b32_sdwa v55, v15, v5, vcc dst_sel:DWORD dst_unused:UNUSED_PAD src0_sel:DWORD src1_sel:WORD_0
	v_and_b32_e32 v5, 0xffff0000, v5
	v_cmp_gt_i32_e32 vcc, s33, v30
	s_nop 1
	v_cndmask_b32_e32 v5, 0, v5, vcc
	v_or_b32_e32 v5, v55, v5
.LBB80_65:                              ;   in Loop: Header=BB80_50 Depth=1
	s_or_b64 exec, exec, s[12:13]
	v_lshlrev_b32_e32 v14, 16, v14
	v_lshlrev_b32_e32 v1, 16, v1
	v_and_or_b32 v2, v2, s24, v14
	v_and_or_b32 v1, v3, s24, v1
	v_lshlrev_b32_e32 v3, 16, v54
	v_and_or_b32 v3, v4, s24, v3
	;;#ASMSTART
	v_pk_mul_f16 v2, v39, v2;

	;;#ASMEND
	;;#ASMSTART
	v_pk_mul_f16 v1, v40, v1;

	;;#ASMEND
	;; [unrolled: 4-line block ×4, first 2 shown]
	s_nop 0
	;;#ASMSTART
	v_pk_add_f16 v1, v2, v1;

	;;#ASMEND
	s_nop 0
	;;#ASMSTART
	v_pk_add_f16 v1, v1, v3;

	;;#ASMEND
	;; [unrolled: 5-line block ×3, first 2 shown]
	s_nop 0
	v_lshrrev_b32_e32 v2, 16, v1
	v_and_b32_e32 v1, 0xffff, v1
	;;#ASMSTART
	v_cvt_f32_f16 v54, v1;
	;;#ASMEND
	;;#ASMSTART
	v_cvt_f32_f16 v55, v2;
	;;#ASMEND
	global_load_dwordx4 v[2:5], v[20:21], off offset:3072
	s_waitcnt vmcnt(0)
	v_lshrrev_b32_e32 v1, 16, v3
	v_lshrrev_b32_e32 v14, 16, v2
	;; [unrolled: 1-line block ×3, first 2 shown]
	s_and_saveexec_b64 s[12:13], s[0:1]
	s_cbranch_execz .LBB80_48
; %bb.66:                               ;   in Loop: Header=BB80_50 Depth=1
	v_cmp_gt_i32_e32 vcc, s33, v33
	s_nop 1
	v_cndmask_b32_e32 v2, 0, v2, vcc
	v_cmp_gt_i32_e32 vcc, s33, v35
	s_nop 1
	v_cndmask_b32_e32 v3, 0, v3, vcc
	;; [unrolled: 3-line block ×6, first 2 shown]
	v_cmp_gt_i32_e32 vcc, s33, v31
	s_nop 1
	v_cndmask_b32_sdwa v21, v15, v5, vcc dst_sel:DWORD dst_unused:UNUSED_PAD src0_sel:DWORD src1_sel:WORD_0
	v_and_b32_e32 v5, 0xffff0000, v5
	v_cmp_gt_i32_e32 vcc, s33, v30
	s_nop 1
	v_cndmask_b32_e32 v5, 0, v5, vcc
	v_or_b32_e32 v5, v21, v5
	s_branch .LBB80_48
.LBB80_67:
	s_or_b64 exec, exec, s[6:7]
.LBB80_68:
	s_or_b64 exec, exec, s[2:3]
	ds_bpermute_b32 v2, v25, v12
	ds_bpermute_b32 v3, v25, v13
	;; [unrolled: 1-line block ×6, first 2 shown]
	s_waitcnt lgkmcnt(4)
	v_pk_add_f32 v[12:13], v[12:13], v[2:3]
	v_and_b32_e32 v1, 0x3c1, v0
	s_waitcnt lgkmcnt(2)
	v_pk_add_f32 v[2:3], v[8:9], v[14:15]
	ds_bpermute_b32 v8, v25, v6
	ds_bpermute_b32 v9, v25, v7
	s_waitcnt lgkmcnt(2)
	v_pk_add_f32 v[4:5], v[10:11], v[4:5]
	v_cmp_ne_u32_e32 vcc, 64, v1
	s_waitcnt lgkmcnt(0)
	s_barrier
	s_and_saveexec_b64 s[0:1], vcc
	s_xor_b64 s[0:1], exec, s[0:1]
; %bb.69:
                                        ; implicit-def: $vgpr24
; %bb.70:
	s_or_saveexec_b64 s[0:1], s[0:1]
	v_pk_add_f32 v[6:7], v[6:7], v[8:9]
	s_xor_b64 exec, exec, s[0:1]
	s_cbranch_execz .LBB80_72
; %bb.71:
	v_mov_b32_e32 v8, 0x210
	v_lshl_add_u32 v8, v24, 1, v8
	ds_write2_b32 v8, v12, v13 offset1:32
	ds_write2_b32 v8, v4, v5 offset0:64 offset1:96
	ds_write2_b32 v8, v2, v3 offset0:128 offset1:160
	;; [unrolled: 1-line block ×3, first 2 shown]
.LBB80_72:
	s_or_b64 exec, exec, s[0:1]
	v_cmp_gt_u32_e32 vcc, 64, v0
	v_lshrrev_b32_e32 v0, 1, v0
	s_waitcnt lgkmcnt(0)
	s_barrier
	s_and_saveexec_b64 s[0:1], vcc
	s_cbranch_execz .LBB80_83
; %bb.73:
	v_mov_b32_e32 v8, 0x210
	v_cmp_eq_u32_e32 vcc, 0, v26
	v_lshl_add_u32 v8, v0, 2, v8
	s_and_saveexec_b64 s[2:3], vcc
	s_cbranch_execnz .LBB80_86
; %bb.74:
	s_or_b64 exec, exec, s[2:3]
	s_and_saveexec_b64 s[2:3], vcc
	s_cbranch_execnz .LBB80_87
.LBB80_75:
	s_or_b64 exec, exec, s[2:3]
	s_and_saveexec_b64 s[2:3], vcc
	s_cbranch_execnz .LBB80_88
.LBB80_76:
	s_or_b64 exec, exec, s[2:3]
	s_and_saveexec_b64 s[2:3], vcc
	s_cbranch_execnz .LBB80_89
.LBB80_77:
	s_or_b64 exec, exec, s[2:3]
	s_and_saveexec_b64 s[2:3], vcc
	s_cbranch_execnz .LBB80_90
.LBB80_78:
	s_or_b64 exec, exec, s[2:3]
	s_and_saveexec_b64 s[2:3], vcc
	s_cbranch_execnz .LBB80_91
.LBB80_79:
	s_or_b64 exec, exec, s[2:3]
	s_and_saveexec_b64 s[2:3], vcc
	s_cbranch_execnz .LBB80_92
.LBB80_80:
	s_or_b64 exec, exec, s[2:3]
	s_and_saveexec_b64 s[2:3], vcc
	s_cbranch_execz .LBB80_82
.LBB80_81:
	ds_read_b32 v8, v8 offset:896
	s_waitcnt lgkmcnt(0)
	v_add_f32_e32 v7, v7, v8
.LBB80_82:
	s_or_b64 exec, exec, s[2:3]
.LBB80_83:
	s_or_b64 exec, exec, s[0:1]
	v_cmp_eq_u32_e32 vcc, 0, v1
	s_barrier
	s_and_saveexec_b64 s[0:1], vcc
	s_cbranch_execz .LBB80_85
; %bb.84:
	s_mul_i32 s0, s10, s11
	s_mul_i32 s0, s0, s5
	s_lshl_b32 s0, s0, 8
	s_ashr_i32 s1, s0, 31
	s_lshl_b64 s[0:1], s[0:1], 1
	s_add_u32 s2, s22, s0
	s_mul_i32 s0, s11, s20
	s_addc_u32 s3, s23, s1
	s_ashr_i32 s1, s0, 31
	s_lshl_b64 s[0:1], s[0:1], 1
	s_add_u32 s2, s2, s0
	s_addc_u32 s3, s3, s1
	s_lshl_b32 s0, s4, 8
	s_ashr_i32 s1, s0, 31
	s_lshl_b64 s[0:1], s[0:1], 1
	s_add_u32 s0, s2, s0
	s_addc_u32 s1, s3, s1
	v_lshlrev_b32_e32 v0, 1, v0
	;;#ASMSTART
	v_cvt_f16_f32 v1, v12;

	;;#ASMEND
	global_store_short v0, v1, s[0:1]
	;;#ASMSTART
	v_cvt_f16_f32 v1, v13;

	;;#ASMEND
	global_store_short v0, v1, s[0:1] offset:64
	;;#ASMSTART
	v_cvt_f16_f32 v1, v4;

	;;#ASMEND
	global_store_short v0, v1, s[0:1] offset:128
	;;#ASMSTART
	v_cvt_f16_f32 v1, v5;

	;;#ASMEND
	global_store_short v0, v1, s[0:1] offset:192
	;;#ASMSTART
	v_cvt_f16_f32 v1, v2;

	;;#ASMEND
	global_store_short v0, v1, s[0:1] offset:256
	;;#ASMSTART
	v_cvt_f16_f32 v1, v3;

	;;#ASMEND
	global_store_short v0, v1, s[0:1] offset:320
	;;#ASMSTART
	v_cvt_f16_f32 v1, v6;

	;;#ASMEND
	global_store_short v0, v1, s[0:1] offset:384
	;;#ASMSTART
	v_cvt_f16_f32 v1, v7;

	;;#ASMEND
	global_store_short v0, v1, s[0:1] offset:448
.LBB80_85:
	s_endpgm
.LBB80_86:
	ds_read_b32 v9, v8
	s_waitcnt lgkmcnt(0)
	v_add_f32_e32 v12, v12, v9
	s_or_b64 exec, exec, s[2:3]
	s_and_saveexec_b64 s[2:3], vcc
	s_cbranch_execz .LBB80_75
.LBB80_87:
	ds_read_b32 v9, v8 offset:128
	s_waitcnt lgkmcnt(0)
	v_add_f32_e32 v13, v13, v9
	s_or_b64 exec, exec, s[2:3]
	s_and_saveexec_b64 s[2:3], vcc
	s_cbranch_execz .LBB80_76
.LBB80_88:
	ds_read_b32 v9, v8 offset:256
	s_waitcnt lgkmcnt(0)
	v_add_f32_e32 v4, v4, v9
	s_or_b64 exec, exec, s[2:3]
	s_and_saveexec_b64 s[2:3], vcc
	s_cbranch_execz .LBB80_77
.LBB80_89:
	ds_read_b32 v9, v8 offset:384
	s_waitcnt lgkmcnt(0)
	v_add_f32_e32 v5, v5, v9
	s_or_b64 exec, exec, s[2:3]
	s_and_saveexec_b64 s[2:3], vcc
	s_cbranch_execz .LBB80_78
.LBB80_90:
	ds_read_b32 v9, v8 offset:512
	s_waitcnt lgkmcnt(0)
	v_add_f32_e32 v2, v2, v9
	s_or_b64 exec, exec, s[2:3]
	s_and_saveexec_b64 s[2:3], vcc
	s_cbranch_execz .LBB80_79
.LBB80_91:
	ds_read_b32 v9, v8 offset:640
	s_waitcnt lgkmcnt(0)
	v_add_f32_e32 v3, v3, v9
	s_or_b64 exec, exec, s[2:3]
	s_and_saveexec_b64 s[2:3], vcc
	s_cbranch_execz .LBB80_80
.LBB80_92:
	ds_read_b32 v9, v8 offset:768
	s_waitcnt lgkmcnt(0)
	v_add_f32_e32 v6, v6, v9
	s_or_b64 exec, exec, s[2:3]
	s_and_saveexec_b64 s[2:3], vcc
	s_cbranch_execnz .LBB80_81
	s_branch .LBB80_82
	.section	.rodata,"a",@progbits
	.p2align	6, 0x0
	.amdhsa_kernel _ZN4vllm25paged_attention_v1_kernelIttLi256ELi16ELi128ELNS_18Fp8KVCacheDataTypeE0ELb1EEEvPT_PKS2_PKT0_S8_ifPKiSA_iPKfiiiSC_SC_iiiii
		.amdhsa_group_segment_fixed_size 528
		.amdhsa_private_segment_fixed_size 0
		.amdhsa_kernarg_size 384
		.amdhsa_user_sgpr_count 2
		.amdhsa_user_sgpr_dispatch_ptr 0
		.amdhsa_user_sgpr_queue_ptr 0
		.amdhsa_user_sgpr_kernarg_segment_ptr 1
		.amdhsa_user_sgpr_dispatch_id 0
		.amdhsa_user_sgpr_kernarg_preload_length 0
		.amdhsa_user_sgpr_kernarg_preload_offset 0
		.amdhsa_user_sgpr_private_segment_size 0
		.amdhsa_uses_dynamic_stack 0
		.amdhsa_enable_private_segment 0
		.amdhsa_system_sgpr_workgroup_id_x 1
		.amdhsa_system_sgpr_workgroup_id_y 1
		.amdhsa_system_sgpr_workgroup_id_z 1
		.amdhsa_system_sgpr_workgroup_info 0
		.amdhsa_system_vgpr_workitem_id 0
		.amdhsa_next_free_vgpr 92
		.amdhsa_next_free_sgpr 45
		.amdhsa_accum_offset 92
		.amdhsa_reserve_vcc 1
		.amdhsa_float_round_mode_32 0
		.amdhsa_float_round_mode_16_64 0
		.amdhsa_float_denorm_mode_32 3
		.amdhsa_float_denorm_mode_16_64 3
		.amdhsa_dx10_clamp 1
		.amdhsa_ieee_mode 1
		.amdhsa_fp16_overflow 0
		.amdhsa_tg_split 0
		.amdhsa_exception_fp_ieee_invalid_op 0
		.amdhsa_exception_fp_denorm_src 0
		.amdhsa_exception_fp_ieee_div_zero 0
		.amdhsa_exception_fp_ieee_overflow 0
		.amdhsa_exception_fp_ieee_underflow 0
		.amdhsa_exception_fp_ieee_inexact 0
		.amdhsa_exception_int_div_zero 0
	.end_amdhsa_kernel
	.section	.text._ZN4vllm25paged_attention_v1_kernelIttLi256ELi16ELi128ELNS_18Fp8KVCacheDataTypeE0ELb1EEEvPT_PKS2_PKT0_S8_ifPKiSA_iPKfiiiSC_SC_iiiii,"axG",@progbits,_ZN4vllm25paged_attention_v1_kernelIttLi256ELi16ELi128ELNS_18Fp8KVCacheDataTypeE0ELb1EEEvPT_PKS2_PKT0_S8_ifPKiSA_iPKfiiiSC_SC_iiiii,comdat
.Lfunc_end80:
	.size	_ZN4vllm25paged_attention_v1_kernelIttLi256ELi16ELi128ELNS_18Fp8KVCacheDataTypeE0ELb1EEEvPT_PKS2_PKT0_S8_ifPKiSA_iPKfiiiSC_SC_iiiii, .Lfunc_end80-_ZN4vllm25paged_attention_v1_kernelIttLi256ELi16ELi128ELNS_18Fp8KVCacheDataTypeE0ELb1EEEvPT_PKS2_PKT0_S8_ifPKiSA_iPKfiiiSC_SC_iiiii
                                        ; -- End function
	.set _ZN4vllm25paged_attention_v1_kernelIttLi256ELi16ELi128ELNS_18Fp8KVCacheDataTypeE0ELb1EEEvPT_PKS2_PKT0_S8_ifPKiSA_iPKfiiiSC_SC_iiiii.num_vgpr, 92
	.set _ZN4vllm25paged_attention_v1_kernelIttLi256ELi16ELi128ELNS_18Fp8KVCacheDataTypeE0ELb1EEEvPT_PKS2_PKT0_S8_ifPKiSA_iPKfiiiSC_SC_iiiii.num_agpr, 0
	.set _ZN4vllm25paged_attention_v1_kernelIttLi256ELi16ELi128ELNS_18Fp8KVCacheDataTypeE0ELb1EEEvPT_PKS2_PKT0_S8_ifPKiSA_iPKfiiiSC_SC_iiiii.numbered_sgpr, 45
	.set _ZN4vllm25paged_attention_v1_kernelIttLi256ELi16ELi128ELNS_18Fp8KVCacheDataTypeE0ELb1EEEvPT_PKS2_PKT0_S8_ifPKiSA_iPKfiiiSC_SC_iiiii.num_named_barrier, 0
	.set _ZN4vllm25paged_attention_v1_kernelIttLi256ELi16ELi128ELNS_18Fp8KVCacheDataTypeE0ELb1EEEvPT_PKS2_PKT0_S8_ifPKiSA_iPKfiiiSC_SC_iiiii.private_seg_size, 0
	.set _ZN4vllm25paged_attention_v1_kernelIttLi256ELi16ELi128ELNS_18Fp8KVCacheDataTypeE0ELb1EEEvPT_PKS2_PKT0_S8_ifPKiSA_iPKfiiiSC_SC_iiiii.uses_vcc, 1
	.set _ZN4vllm25paged_attention_v1_kernelIttLi256ELi16ELi128ELNS_18Fp8KVCacheDataTypeE0ELb1EEEvPT_PKS2_PKT0_S8_ifPKiSA_iPKfiiiSC_SC_iiiii.uses_flat_scratch, 0
	.set _ZN4vllm25paged_attention_v1_kernelIttLi256ELi16ELi128ELNS_18Fp8KVCacheDataTypeE0ELb1EEEvPT_PKS2_PKT0_S8_ifPKiSA_iPKfiiiSC_SC_iiiii.has_dyn_sized_stack, 0
	.set _ZN4vllm25paged_attention_v1_kernelIttLi256ELi16ELi128ELNS_18Fp8KVCacheDataTypeE0ELb1EEEvPT_PKS2_PKT0_S8_ifPKiSA_iPKfiiiSC_SC_iiiii.has_recursion, 0
	.set _ZN4vllm25paged_attention_v1_kernelIttLi256ELi16ELi128ELNS_18Fp8KVCacheDataTypeE0ELb1EEEvPT_PKS2_PKT0_S8_ifPKiSA_iPKfiiiSC_SC_iiiii.has_indirect_call, 0
	.section	.AMDGPU.csdata,"",@progbits
; Kernel info:
; codeLenInByte = 11132
; TotalNumSgprs: 51
; NumVgprs: 92
; NumAgprs: 0
; TotalNumVgprs: 92
; ScratchSize: 0
; MemoryBound: 0
; FloatMode: 240
; IeeeMode: 1
; LDSByteSize: 528 bytes/workgroup (compile time only)
; SGPRBlocks: 6
; VGPRBlocks: 11
; NumSGPRsForWavesPerEU: 51
; NumVGPRsForWavesPerEU: 92
; AccumOffset: 92
; Occupancy: 5
; WaveLimiterHint : 1
; COMPUTE_PGM_RSRC2:SCRATCH_EN: 0
; COMPUTE_PGM_RSRC2:USER_SGPR: 2
; COMPUTE_PGM_RSRC2:TRAP_HANDLER: 0
; COMPUTE_PGM_RSRC2:TGID_X_EN: 1
; COMPUTE_PGM_RSRC2:TGID_Y_EN: 1
; COMPUTE_PGM_RSRC2:TGID_Z_EN: 1
; COMPUTE_PGM_RSRC2:TIDIG_COMP_CNT: 0
; COMPUTE_PGM_RSRC3_GFX90A:ACCUM_OFFSET: 22
; COMPUTE_PGM_RSRC3_GFX90A:TG_SPLIT: 0
	.section	.text._ZN4vllm25paged_attention_v1_kernelIttLi32ELi16ELi128ELNS_18Fp8KVCacheDataTypeE0ELb0EEEvPT_PKS2_PKT0_S8_ifPKiSA_iPKfiiiSC_SC_iiiii,"axG",@progbits,_ZN4vllm25paged_attention_v1_kernelIttLi32ELi16ELi128ELNS_18Fp8KVCacheDataTypeE0ELb0EEEvPT_PKS2_PKT0_S8_ifPKiSA_iPKfiiiSC_SC_iiiii,comdat
	.protected	_ZN4vllm25paged_attention_v1_kernelIttLi32ELi16ELi128ELNS_18Fp8KVCacheDataTypeE0ELb0EEEvPT_PKS2_PKT0_S8_ifPKiSA_iPKfiiiSC_SC_iiiii ; -- Begin function _ZN4vllm25paged_attention_v1_kernelIttLi32ELi16ELi128ELNS_18Fp8KVCacheDataTypeE0ELb0EEEvPT_PKS2_PKT0_S8_ifPKiSA_iPKfiiiSC_SC_iiiii
	.globl	_ZN4vllm25paged_attention_v1_kernelIttLi32ELi16ELi128ELNS_18Fp8KVCacheDataTypeE0ELb0EEEvPT_PKS2_PKT0_S8_ifPKiSA_iPKfiiiSC_SC_iiiii
	.p2align	8
	.type	_ZN4vllm25paged_attention_v1_kernelIttLi32ELi16ELi128ELNS_18Fp8KVCacheDataTypeE0ELb0EEEvPT_PKS2_PKT0_S8_ifPKiSA_iPKfiiiSC_SC_iiiii,@function
_ZN4vllm25paged_attention_v1_kernelIttLi32ELi16ELi128ELNS_18Fp8KVCacheDataTypeE0ELb0EEEvPT_PKS2_PKT0_S8_ifPKiSA_iPKfiiiSC_SC_iiiii: ; @_ZN4vllm25paged_attention_v1_kernelIttLi32ELi16ELi128ELNS_18Fp8KVCacheDataTypeE0ELb0EEEvPT_PKS2_PKT0_S8_ifPKiSA_iPKfiiiSC_SC_iiiii
; %bb.0:
	s_load_dword s5, s[0:1], 0x80
	s_load_dwordx2 s[6:7], s[0:1], 0x30
	s_load_dwordx2 s[8:9], s[0:1], 0x20
	s_mov_b32 s10, s3
	s_ashr_i32 s11, s3, 31
	s_lshl_b64 s[12:13], s[10:11], 2
	s_waitcnt lgkmcnt(0)
	s_add_u32 s6, s6, s12
	s_addc_u32 s7, s7, s13
	s_abs_i32 s3, s8
	v_cvt_f32_u32_e32 v1, s3
	s_sub_i32 s12, 0, s3
	s_abs_i32 s11, s5
	s_xor_b32 s8, s5, s8
	v_rcp_iflag_f32_e32 v1, v1
	s_ashr_i32 s8, s8, 31
	v_mul_f32_e32 v1, 0x4f7ffffe, v1
	v_cvt_u32_f32_e32 v1, v1
	s_nop 0
	v_readfirstlane_b32 s13, v1
	s_mul_i32 s12, s12, s13
	s_mul_hi_u32 s12, s13, s12
	s_add_i32 s13, s13, s12
	s_mul_hi_u32 s12, s11, s13
	s_mul_i32 s13, s12, s3
	s_sub_i32 s11, s11, s13
	s_add_i32 s13, s12, 1
	s_sub_i32 s14, s11, s3
	s_cmp_ge_u32 s11, s3
	s_cselect_b32 s12, s13, s12
	s_cselect_b32 s11, s14, s11
	s_add_i32 s13, s12, 1
	s_cmp_ge_u32 s11, s3
	s_cselect_b32 s3, s13, s12
	s_xor_b32 s3, s3, s8
	s_sub_i32 s16, s3, s8
	s_abs_i32 s18, s16
	v_cvt_f32_u32_e32 v1, s18
	s_load_dwordx2 s[12:13], s[0:1], 0x40
	s_sub_i32 s3, 0, s18
	s_abs_i32 s19, s2
	v_rcp_iflag_f32_e32 v1, v1
	s_mov_b32 s8, 0
	v_mul_f32_e32 v1, 0x4f7ffffe, v1
	v_cvt_u32_f32_e32 v1, v1
	s_nop 0
	v_readfirstlane_b32 s11, v1
	s_mul_i32 s3, s3, s11
	s_mul_hi_u32 s3, s11, s3
	s_add_i32 s11, s11, s3
	s_waitcnt lgkmcnt(0)
	s_cmp_eq_u64 s[12:13], 0
	s_mul_hi_u32 s22, s19, s11
	s_cbranch_scc1 .LBB81_2
; %bb.1:
	s_ashr_i32 s3, s2, 31
	s_lshl_b64 s[14:15], s[2:3], 2
	s_add_u32 s12, s12, s14
	s_addc_u32 s13, s13, s15
	s_load_dword s8, s[12:13], 0x0
.LBB81_2:
	s_load_dword s11, s[6:7], 0x0
	s_nop 0
	s_load_dwordx4 s[12:15], s[0:1], 0x48
	s_ashr_i32 s6, s2, 31
	s_ashr_i32 s7, s16, 31
	v_and_b32_e32 v4, 3, v0
	s_lshl_b32 s16, s2, 5
	v_cmp_gt_u32_e32 vcc, 16, v0
	s_and_saveexec_b64 s[2:3], vcc
	s_cbranch_execz .LBB81_4
; %bb.3:
	s_load_dwordx2 s[20:21], s[0:1], 0x8
	s_waitcnt lgkmcnt(0)
	s_mul_i32 s24, s12, s10
	s_ashr_i32 s25, s24, 31
	s_lshl_b64 s[24:25], s[24:25], 1
	v_lshlrev_b32_e32 v1, 2, v0
	s_add_u32 s12, s20, s24
	s_addc_u32 s15, s21, s25
	s_ashr_i32 s17, s16, 31
	s_lshl_b64 s[20:21], s[16:17], 1
	s_add_u32 s20, s12, s20
	s_addc_u32 s21, s15, s21
	global_load_dword v1, v1, s[20:21]
	v_and_b32_e32 v2, 0x3fc, v0
	v_lshl_add_u32 v2, v4, 4, v2
	s_waitcnt vmcnt(0)
	ds_write_b32 v2, v1
.LBB81_4:
	s_or_b64 exec, exec, s[2:3]
	s_waitcnt lgkmcnt(0)
	s_add_i32 s3, s11, 15
	s_ashr_i32 s12, s3, 31
	s_lshr_b32 s12, s12, 28
	s_add_i32 s3, s3, s12
	s_ashr_i32 s17, s3, 4
	s_xor_b32 s3, s6, s7
	s_mul_i32 s6, s22, s18
	s_sub_i32 s6, s19, s6
	s_add_i32 s7, s22, 1
	s_sub_i32 s12, s6, s18
	s_load_dwordx2 s[20:21], s[0:1], 0x28
	s_load_dword s2, s[0:1], 0x38
	s_cmp_ge_u32 s6, s18
	s_cselect_b32 s7, s7, s22
	s_cselect_b32 s6, s12, s6
	s_add_i32 s12, s7, 1
	s_cmp_ge_u32 s6, s18
	s_cselect_b32 s6, s12, s7
	v_lshrrev_b32_e32 v12, 6, v0
	s_xor_b32 s6, s6, s3
	s_waitcnt lgkmcnt(0)
	s_mul_i32 s22, s2, s10
	s_sub_i32 s15, s6, s3
	s_ashr_i32 s23, s22, 31
	v_cmp_gt_i32_e64 s[6:7], s17, v12
	v_cmp_le_i32_e32 vcc, s17, v12
	v_mbcnt_lo_u32_b32 v14, -1, 0
	s_barrier
                                        ; implicit-def: $vgpr6
                                        ; implicit-def: $vgpr8
                                        ; implicit-def: $vgpr7
	s_and_saveexec_b64 s[2:3], vcc
	s_xor_b64 s[2:3], exec, s[2:3]
; %bb.5:
	v_mbcnt_hi_u32_b32 v6, -1, v14
	v_and_b32_e32 v8, 64, v6
	v_add_u32_e32 v7, 64, v8
                                        ; implicit-def: $vgpr4
                                        ; implicit-def: $vgpr14
; %bb.6:
	s_or_saveexec_b64 s[26:27], s[2:3]
	s_load_dwordx2 s[18:19], s[0:1], 0x0
	s_load_dwordx2 s[24:25], s[0:1], 0x18
	s_load_dword s12, s[0:1], 0x88
	v_mov_b32_e32 v9, 0xff7fffff
	s_mul_i32 s14, s15, s14
	v_lshrrev_b32_e32 v1, 4, v0
	s_xor_b64 exec, exec, s[26:27]
	s_cbranch_execz .LBB81_12
; %bb.7:
	s_load_dwordx2 s[0:1], s[0:1], 0x10
	s_ashr_i32 s15, s14, 31
	s_lshl_b64 s[2:3], s[14:15], 1
	v_bfe_u32 v5, v0, 2, 4
	v_lshlrev_b32_e32 v6, 4, v5
	s_waitcnt lgkmcnt(0)
	s_add_u32 s0, s0, s2
	s_addc_u32 s1, s1, s3
	v_mov_b32_e32 v7, 0
	v_lshl_add_u64 v[2:3], s[0:1], 0, v[6:7]
	v_lshlrev_b32_e32 v6, 2, v0
	s_sub_i32 s15, 1, s11
	s_lshl_b64 s[0:1], s[22:23], 2
	v_and_b32_e32 v6, 12, v6
	v_lshlrev_b32_e32 v10, 4, v4
	v_cmp_eq_u32_e32 vcc, 0, v4
	v_lshlrev_b32_e32 v4, 2, v5
	s_add_u32 s0, s20, s0
	v_lshl_add_u64 v[2:3], v[2:3], 0, v[6:7]
	v_lshl_or_b32 v4, v12, 6, v4
	v_and_b32_e32 v6, 60, v1
	s_addc_u32 s1, s21, s1
	v_lshl_or_b32 v11, v12, 4, v5
	v_add_u32_e32 v13, 0x50, v4
	v_lshl_add_u64 v[4:5], s[0:1], 0, v[6:7]
	v_mbcnt_hi_u32_b32 v6, -1, v14
	v_and_b32_e32 v8, 64, v6
	s_mov_b32 s33, s13
	v_cmp_neq_f32_e64 s[2:3], s8, 0
	v_mov_b32_e32 v9, 0xff7fffff
	s_mov_b64 s[28:29], 0
	v_add_u32_e32 v7, 64, v8
	v_xor_b32_e32 v14, 2, v6
	v_xor_b32_e32 v15, 1, v6
	v_mov_b32_e32 v16, v12
	s_branch .LBB81_9
.LBB81_8:                               ;   in Loop: Header=BB81_9 Depth=1
	s_or_b64 exec, exec, s[30:31]
	v_add_u32_e32 v16, 2, v16
	v_cmp_le_i32_e64 s[0:1], s17, v16
	v_add_u32_e32 v11, 32, v11
	v_add_u32_e32 v13, 0x80, v13
	s_or_b64 s[28:29], s[0:1], s[28:29]
	v_lshl_add_u64 v[4:5], v[4:5], 0, 8
	s_andn2_b64 exec, exec, s[28:29]
	s_cbranch_execz .LBB81_11
.LBB81_9:                               ; =>This Inner Loop Header: Depth=1
	global_load_dword v17, v[4:5], off
	s_waitcnt vmcnt(0) lgkmcnt(0)
	v_mad_i64_i32 v[18:19], s[0:1], v17, s33, 0
	v_lshl_add_u64 v[18:19], v[18:19], 1, v[2:3]
	global_load_dword v17, v[18:19], off
	global_load_dword v20, v[18:19], off offset:256
	global_load_dword v21, v[18:19], off offset:512
	;; [unrolled: 1-line block ×3, first 2 shown]
	ds_read_b32 v18, v10
	v_cmp_lt_i32_e64 s[0:1], v14, v7
	s_waitcnt lgkmcnt(0)
	v_lshrrev_b32_e32 v23, 16, v18
	v_and_b32_e32 v18, 0xffff, v18
	;;#ASMSTART
	v_cvt_f32_f16 v18, v18;
	;;#ASMEND
	;;#ASMSTART
	v_cvt_f32_f16 v23, v23;
	;;#ASMEND
	v_cndmask_b32_e64 v19, v6, v14, s[0:1]
	v_lshlrev_b32_e32 v19, 2, v19
	v_cmp_lt_i32_e64 s[0:1], v15, v7
	s_waitcnt vmcnt(3)
	v_lshrrev_b32_e32 v24, 16, v17
	v_and_b32_e32 v17, 0xffff, v17
	;;#ASMSTART
	v_cvt_f32_f16 v17, v17;
	;;#ASMEND
	;;#ASMSTART
	v_cvt_f32_f16 v24, v24;
	;;#ASMEND
	ds_read_b32 v25, v10 offset:4
	s_waitcnt vmcnt(2)
	v_lshrrev_b32_e32 v26, 16, v20
	v_and_b32_e32 v27, 0xffff, v20
	s_waitcnt vmcnt(1)
	v_lshrrev_b32_e32 v28, 16, v21
	v_and_b32_e32 v29, 0xffff, v21
	s_waitcnt lgkmcnt(0)
	v_lshrrev_b32_e32 v21, 16, v25
	v_and_b32_e32 v20, 0xffff, v25
	;;#ASMSTART
	v_cvt_f32_f16 v20, v20;
	;;#ASMEND
	;;#ASMSTART
	v_cvt_f32_f16 v21, v21;
	;;#ASMEND
	;; [unrolled: 3-line block ×4, first 2 shown]
	ds_read_b32 v27, v10 offset:8
	s_waitcnt vmcnt(0)
	v_lshrrev_b32_e32 v30, 16, v22
	v_and_b32_e32 v31, 0xffff, v22
	v_mul_f32_e32 v20, v20, v25
	v_mul_f32_e32 v21, v21, v26
	s_waitcnt lgkmcnt(0)
	v_lshrrev_b32_e32 v25, 16, v27
	v_and_b32_e32 v22, 0xffff, v27
	;;#ASMSTART
	v_cvt_f32_f16 v22, v22;
	;;#ASMEND
	;;#ASMSTART
	v_cvt_f32_f16 v25, v25;
	;;#ASMEND
	;;#ASMSTART
	v_cvt_f32_f16 v26, v29;
	;;#ASMEND
	;;#ASMSTART
	v_cvt_f32_f16 v27, v28;
	;;#ASMEND
	ds_read_b32 v28, v10 offset:12
	v_fmac_f32_e32 v20, v18, v17
	v_fmac_f32_e32 v21, v23, v24
	;; [unrolled: 1-line block ×4, first 2 shown]
	s_waitcnt lgkmcnt(0)
	v_lshrrev_b32_e32 v18, 16, v28
	v_and_b32_e32 v17, 0xffff, v28
	;;#ASMSTART
	v_cvt_f32_f16 v17, v17;
	;;#ASMEND
	;;#ASMSTART
	v_cvt_f32_f16 v18, v18;
	;;#ASMEND
	;; [unrolled: 3-line block ×4, first 2 shown]
	s_nop 0
	v_fmac_f32_e32 v20, v17, v22
	v_fmac_f32_e32 v21, v18, v23
	v_add_f32_e32 v17, v20, v21
	ds_bpermute_b32 v18, v19, v17
	v_cndmask_b32_e64 v19, v6, v15, s[0:1]
	s_waitcnt lgkmcnt(0)
	v_add_f32_e32 v17, v17, v18
	v_lshlrev_b32_e32 v18, 2, v19
	ds_bpermute_b32 v18, v18, v17
	s_and_saveexec_b64 s[30:31], vcc
	s_cbranch_execz .LBB81_8
; %bb.10:                               ;   in Loop: Header=BB81_9 Depth=1
	v_add_u32_e32 v19, s15, v11
	v_cvt_f32_i32_e32 v19, v19
	s_waitcnt lgkmcnt(0)
	v_add_f32_e32 v17, v17, v18
	v_cmp_gt_i32_e64 s[0:1], s11, v11
	v_max_f32_e32 v18, v9, v9
	v_mul_f32_e32 v19, s8, v19
	v_cndmask_b32_e64 v19, 0, v19, s[2:3]
	v_fmac_f32_e32 v19, s9, v17
	v_cndmask_b32_e64 v17, 0, v19, s[0:1]
	ds_write_b32 v13, v17
	v_max_f32_e32 v17, v18, v19
	v_cndmask_b32_e64 v9, v9, v17, s[0:1]
	s_branch .LBB81_8
.LBB81_11:
	s_or_b64 exec, exec, s[28:29]
.LBB81_12:
	s_or_b64 exec, exec, s[26:27]
	v_xor_b32_e32 v2, 32, v6
	v_cmp_lt_i32_e32 vcc, v2, v7
	v_xor_b32_e32 v5, 16, v6
	v_max_f32_e32 v4, v9, v9
	v_cndmask_b32_e32 v2, v6, v2, vcc
	v_lshlrev_b32_e32 v2, 2, v2
	ds_bpermute_b32 v3, v2, v9
	v_cmp_lt_i32_e32 vcc, v5, v7
	v_xor_b32_e32 v9, 8, v6
	v_xor_b32_e32 v10, 4, v6
	v_and_b32_e32 v13, 63, v0
	s_waitcnt lgkmcnt(0)
	v_max_f32_e32 v3, v3, v3
	v_max_f32_e32 v4, v4, v3
	v_cndmask_b32_e32 v3, v6, v5, vcc
	v_lshlrev_b32_e32 v3, 2, v3
	ds_bpermute_b32 v5, v3, v4
	v_cmp_lt_i32_e32 vcc, v9, v7
	s_waitcnt lgkmcnt(0)
	v_max_f32_e32 v5, v5, v5
	v_max_f32_e32 v4, v4, v5
	v_cndmask_b32_e32 v5, v6, v9, vcc
	v_lshlrev_b32_e32 v9, 2, v5
	ds_bpermute_b32 v5, v9, v4
	v_cmp_lt_i32_e32 vcc, v10, v7
	s_waitcnt lgkmcnt(0)
	v_max_f32_e32 v5, v5, v5
	v_max_f32_e32 v5, v4, v5
	v_cndmask_b32_e32 v4, v6, v10, vcc
	v_lshlrev_b32_e32 v10, 2, v4
	ds_bpermute_b32 v11, v10, v5
	v_cmp_eq_u32_e32 vcc, 0, v13
	v_lshlrev_b32_e32 v4, 2, v12
	s_and_saveexec_b64 s[0:1], vcc
	s_cbranch_execz .LBB81_14
; %bb.13:
	s_waitcnt lgkmcnt(0)
	v_max_f32_e32 v11, v11, v11
	v_max_f32_e32 v5, v5, v5
	;; [unrolled: 1-line block ×3, first 2 shown]
	ds_write_b32 v4, v5 offset:64
.LBB81_14:
	s_or_b64 exec, exec, s[0:1]
	v_cmp_gt_u32_e64 s[0:1], 2, v13
	s_waitcnt lgkmcnt(0)
	v_mov_b32_e32 v11, 0xff7fffff
	v_lshlrev_b32_e32 v5, 2, v13
	s_barrier
	s_and_saveexec_b64 s[2:3], s[0:1]
; %bb.15:
	ds_read_b32 v11, v5 offset:64
; %bb.16:
	s_or_b64 exec, exec, s[2:3]
	v_xor_b32_e32 v14, 1, v6
	v_cmp_lt_i32_e64 s[2:3], v14, v7
	v_lshlrev_b32_e32 v8, 2, v8
	s_nop 0
	v_cndmask_b32_e64 v14, v6, v14, s[2:3]
	v_lshlrev_b32_e32 v14, 2, v14
	s_waitcnt lgkmcnt(0)
	ds_bpermute_b32 v15, v14, v11
	v_max_f32_e32 v11, v11, v11
	s_lshl_b32 s2, s17, 4
	s_min_i32 s15, s2, s11
	v_cmp_gt_i32_e64 s[2:3], s15, v0
	s_waitcnt lgkmcnt(0)
	v_max_f32_e32 v15, v15, v15
	v_max_f32_e32 v11, v11, v15
	ds_bpermute_b32 v11, v8, v11
	v_mov_b32_e32 v8, 0
	s_and_saveexec_b64 s[26:27], s[2:3]
	s_cbranch_execz .LBB81_20
; %bb.17:
	v_mov_b32_e32 v8, 0x50
	v_lshl_add_u32 v15, v0, 2, v8
	v_mov_b32_e32 v8, 0
	s_mov_b64 s[28:29], 0
	v_mov_b32_e32 v16, v0
.LBB81_18:                              ; =>This Inner Loop Header: Depth=1
	ds_read_b32 v17, v15
	v_add_u32_e32 v16, 0x80, v16
	v_cmp_le_i32_e64 s[8:9], s15, v16
	s_or_b64 s[28:29], s[8:9], s[28:29]
	s_waitcnt lgkmcnt(0)
	v_sub_f32_e32 v17, v17, v11
	v_mul_f32_e32 v17, 0x3fb8aa3b, v17
	v_exp_f32_e32 v17, v17
	ds_write_b32 v15, v17
	v_add_f32_e32 v8, v8, v17
	v_add_u32_e32 v15, 0x200, v15
	s_andn2_b64 exec, exec, s[28:29]
	s_cbranch_execnz .LBB81_18
; %bb.19:
	s_or_b64 exec, exec, s[28:29]
.LBB81_20:
	s_or_b64 exec, exec, s[26:27]
	ds_bpermute_b32 v2, v2, v8
	s_waitcnt lgkmcnt(0)
	v_add_f32_e32 v2, v8, v2
	ds_bpermute_b32 v3, v3, v2
	v_xor_b32_e32 v8, 2, v6
	v_cmp_lt_i32_e64 s[8:9], v8, v7
	s_waitcnt lgkmcnt(0)
	v_add_f32_e32 v2, v2, v3
	ds_bpermute_b32 v3, v9, v2
	v_cndmask_b32_e64 v7, v6, v8, s[8:9]
	s_waitcnt lgkmcnt(0)
	v_add_f32_e32 v2, v2, v3
	ds_bpermute_b32 v3, v10, v2
	s_waitcnt lgkmcnt(0)
	v_add_f32_e32 v2, v2, v3
	v_lshlrev_b32_e32 v3, 2, v7
	ds_bpermute_b32 v3, v3, v2
	s_waitcnt lgkmcnt(0)
	v_add_f32_e32 v2, v2, v3
	ds_bpermute_b32 v3, v14, v2
	s_waitcnt lgkmcnt(0)
	v_add_f32_e32 v2, v2, v3
	s_and_saveexec_b64 s[8:9], vcc
; %bb.21:
	ds_write_b32 v4, v2 offset:72
; %bb.22:
	s_or_b64 exec, exec, s[8:9]
	s_waitcnt lgkmcnt(0)
	s_barrier
	s_and_saveexec_b64 s[8:9], s[0:1]
; %bb.23:
	ds_read_b32 v2, v5 offset:72
; %bb.24:
	s_or_b64 exec, exec, s[8:9]
	s_waitcnt lgkmcnt(0)
	ds_bpermute_b32 v3, v14, v2
	v_lshlrev_b32_e32 v4, 2, v6
	s_waitcnt lgkmcnt(0)
	v_add_f32_e32 v2, v2, v3
	v_and_b32_e32 v3, 0xffffff00, v4
	ds_bpermute_b32 v2, v3, v2
	s_and_saveexec_b64 s[0:1], s[2:3]
	s_cbranch_execz .LBB81_37
; %bb.25:
	s_waitcnt lgkmcnt(0)
	v_add_f32_e32 v2, 0x358637bd, v2
	v_div_scale_f32 v3, s[2:3], v2, v2, 1.0
	v_rcp_f32_e32 v4, v3
	v_div_scale_f32 v5, vcc, 1.0, v2, 1.0
	s_movk_i32 s2, 0x7f
	v_fma_f32 v6, -v3, v4, 1.0
	v_fmac_f32_e32 v4, v6, v4
	v_mul_f32_e32 v6, v5, v4
	v_fma_f32 v7, -v3, v6, v5
	v_fmac_f32_e32 v6, v7, v4
	v_fma_f32 v3, -v3, v6, v5
	v_div_fmas_f32 v3, v3, v4, v6
	v_xad_u32 v4, v0, -1, s15
	v_div_fixup_f32 v2, v3, v2, 1.0
	v_cmp_lt_u32_e32 vcc, s2, v4
	s_mov_b64 s[8:9], -1
	v_mov_b32_e32 v3, v0
	s_and_saveexec_b64 s[2:3], vcc
	s_cbranch_execz .LBB81_34
; %bb.26:
	v_lshrrev_b32_e32 v4, 7, v4
	v_add_u32_e32 v6, -1, v4
	v_lshrrev_b32_e32 v5, 1, v6
	v_mov_b32_e32 v3, v2
	v_add_u32_e32 v5, 1, v5
	v_cmp_lt_u32_e32 vcc, 13, v6
	v_mov_b32_e32 v8, 0
	s_and_saveexec_b64 s[8:9], vcc
	s_cbranch_execz .LBB81_30
; %bb.27:
	v_mov_b32_e32 v7, 0x50
	v_and_b32_e32 v6, -8, v5
	v_lshl_add_u32 v7, v0, 2, v7
	s_mov_b32 s28, 0
	s_mov_b64 s[26:27], 0
.LBB81_28:                              ; =>This Inner Loop Header: Depth=1
	ds_read2st64_b32 v[8:9], v7 offset1:2
	ds_read2st64_b32 v[10:11], v7 offset0:4 offset1:6
	ds_read2st64_b32 v[16:17], v7 offset0:8 offset1:10
	;; [unrolled: 1-line block ×3, first 2 shown]
	v_add_u32_e32 v6, -8, v6
	s_waitcnt lgkmcnt(3)
	v_pk_mul_f32 v[8:9], v[2:3], v[8:9]
	s_waitcnt lgkmcnt(2)
	v_pk_mul_f32 v[10:11], v[2:3], v[10:11]
	ds_write2st64_b32 v7, v8, v9 offset1:2
	ds_write2st64_b32 v7, v10, v11 offset0:4 offset1:6
	ds_read2st64_b32 v[10:11], v7 offset0:16 offset1:18
	s_waitcnt lgkmcnt(4)
	v_pk_mul_f32 v[8:9], v[2:3], v[16:17]
	ds_write2st64_b32 v7, v8, v9 offset0:8 offset1:10
	s_waitcnt lgkmcnt(4)
	v_pk_mul_f32 v[8:9], v[2:3], v[18:19]
	ds_write2st64_b32 v7, v8, v9 offset0:12 offset1:14
	ds_read2st64_b32 v[8:9], v7 offset0:20 offset1:22
	s_waitcnt lgkmcnt(3)
	v_pk_mul_f32 v[10:11], v[2:3], v[10:11]
	ds_read2st64_b32 v[16:17], v7 offset0:24 offset1:26
	ds_write2st64_b32 v7, v10, v11 offset0:16 offset1:18
	ds_read2st64_b32 v[10:11], v7 offset0:28 offset1:30
	s_waitcnt lgkmcnt(3)
	v_pk_mul_f32 v[8:9], v[2:3], v[8:9]
	ds_write2st64_b32 v7, v8, v9 offset0:20 offset1:22
	s_waitcnt lgkmcnt(3)
	v_pk_mul_f32 v[8:9], v[2:3], v[16:17]
	ds_write2st64_b32 v7, v8, v9 offset0:24 offset1:26
	s_waitcnt lgkmcnt(2)
	v_pk_mul_f32 v[8:9], v[2:3], v[10:11]
	s_add_i32 s28, s28, 16
	v_cmp_eq_u32_e32 vcc, 0, v6
	ds_write2st64_b32 v7, v8, v9 offset0:28 offset1:30
	v_add_u32_e32 v7, 0x2000, v7
	s_or_b64 s[26:27], vcc, s[26:27]
	v_mov_b32_e32 v8, s28
	s_andn2_b64 exec, exec, s[26:27]
	s_cbranch_execnz .LBB81_28
; %bb.29:
	s_or_b64 exec, exec, s[26:27]
.LBB81_30:
	s_or_b64 exec, exec, s[8:9]
	v_and_b32_e32 v5, 7, v5
	v_cmp_ne_u32_e32 vcc, 0, v5
	s_and_saveexec_b64 s[8:9], vcc
	s_cbranch_execz .LBB81_33
; %bb.31:
	v_lshlrev_b32_e32 v6, 9, v8
	v_lshlrev_b32_e32 v7, 2, v0
	s_movk_i32 s26, 0x50
	v_add3_u32 v6, v6, v7, s26
	s_mov_b64 s[26:27], 0
.LBB81_32:                              ; =>This Inner Loop Header: Depth=1
	ds_read2st64_b32 v[8:9], v6 offset1:2
	v_add_u32_e32 v5, -1, v5
	v_cmp_eq_u32_e32 vcc, 0, v5
	s_or_b64 s[26:27], vcc, s[26:27]
	s_waitcnt lgkmcnt(0)
	v_pk_mul_f32 v[8:9], v[2:3], v[8:9]
	ds_write2st64_b32 v6, v8, v9 offset1:2
	v_add_u32_e32 v6, 0x400, v6
	s_andn2_b64 exec, exec, s[26:27]
	s_cbranch_execnz .LBB81_32
.LBB81_33:
	s_or_b64 exec, exec, s[8:9]
	v_add_u32_e32 v4, 1, v4
	v_and_b32_e32 v5, 0x3fffffe, v4
	v_cmp_ne_u32_e32 vcc, v4, v5
	v_lshl_add_u32 v3, v5, 7, v0
	s_orn2_b64 s[8:9], vcc, exec
.LBB81_34:
	s_or_b64 exec, exec, s[2:3]
	s_and_b64 exec, exec, s[8:9]
	s_cbranch_execz .LBB81_37
; %bb.35:
	v_mov_b32_e32 v4, 0x50
	v_lshl_add_u32 v4, v3, 2, v4
	s_mov_b64 s[2:3], 0
.LBB81_36:                              ; =>This Inner Loop Header: Depth=1
	ds_read_b32 v5, v4
	v_add_u32_e32 v3, 0x80, v3
	v_cmp_le_i32_e32 vcc, s15, v3
	s_or_b64 s[2:3], vcc, s[2:3]
	s_waitcnt lgkmcnt(0)
	v_mul_f32_e32 v5, v2, v5
	ds_write_b32 v4, v5
	v_add_u32_e32 v4, 0x200, v4
	s_andn2_b64 exec, exec, s[2:3]
	s_cbranch_execnz .LBB81_36
.LBB81_37:
	s_or_b64 exec, exec, s[0:1]
	v_mov_b32_e32 v15, 0
	s_waitcnt lgkmcnt(0)
	s_barrier
	s_and_saveexec_b64 s[0:1], s[6:7]
	s_cbranch_execz .LBB81_43
; %bb.38:
	s_ashr_i32 s15, s14, 31
	s_lshl_b64 s[2:3], s[14:15], 1
	v_lshlrev_b32_e32 v2, 3, v0
	s_add_u32 s2, s24, s2
	v_lshlrev_b32_e32 v3, 4, v0
	v_and_b32_e32 v2, 8, v2
	s_addc_u32 s3, s25, s3
	v_and_b32_e32 v6, 0x3f0, v3
	v_mov_b32_e32 v7, 0
	v_lshl_add_u64 v[8:9], s[2:3], 0, v[6:7]
	s_add_i32 s9, s17, -1
	v_lshl_or_b32 v16, v12, 4, v2
	v_and_b32_e32 v2, 1, v0
	s_lshl_b64 s[2:3], s[22:23], 2
	v_lshlrev_b32_e32 v2, 5, v2
	s_add_u32 s2, s20, s2
	v_lshl_or_b32 v2, v12, 6, v2
	v_and_b32_e32 v6, 60, v1
	s_addc_u32 s3, s21, s3
	s_mov_b32 s8, s13
	s_mov_b32 s13, s11
	v_add_u32_e32 v17, 0x50, v2
	v_lshl_add_u64 v[10:11], s[2:3], 0, v[6:7]
	s_mov_b64 s[2:3], 0
	s_mov_b32 s14, 0xffff
	v_mov_b32_e32 v15, 0
	s_branch .LBB81_40
.LBB81_39:                              ;   in Loop: Header=BB81_40 Depth=1
	s_or_b64 exec, exec, s[6:7]
	v_and_b32_e32 v18, 0xffff, v18
	v_lshlrev_b32_e32 v6, 16, v6
	v_lshlrev_b32_e32 v1, 16, v1
	v_lshl_or_b32 v18, v19, 16, v18
	v_and_b32_e32 v19, 0xffff, v20
	v_and_or_b32 v2, v2, s14, v6
	v_and_or_b32 v1, v3, s14, v1
	v_lshlrev_b32_e32 v3, 16, v26
	v_lshl_or_b32 v19, v21, 16, v19
	v_and_b32_e32 v20, 0xffff, v22
	v_and_b32_e32 v21, 0xffff, v24
	v_and_or_b32 v3, v4, s14, v3
	;;#ASMSTART
	v_pk_mul_f16 v2, v18, v2;

	;;#ASMEND
	;;#ASMSTART
	v_pk_mul_f16 v1, v19, v1;

	;;#ASMEND
	v_lshl_or_b32 v20, v23, 16, v20
	v_lshl_or_b32 v21, v25, 16, v21
	;;#ASMSTART
	v_pk_mul_f16 v3, v20, v3;

	;;#ASMEND
	;;#ASMSTART
	v_pk_mul_f16 v4, v21, v5;

	;;#ASMEND
	;;#ASMSTART
	v_pk_add_f16 v1, v2, v1;

	;;#ASMEND
	v_add_u32_e32 v12, 2, v12
	;;#ASMSTART
	v_pk_add_f16 v1, v1, v3;

	;;#ASMEND
	v_cmp_le_i32_e32 vcc, s17, v12
	;;#ASMSTART
	v_pk_add_f16 v1, v1, v4;

	;;#ASMEND
	v_add_u32_e32 v16, 32, v16
	v_lshrrev_b32_e32 v2, 16, v1
	v_and_b32_e32 v1, 0xffff, v1
	;;#ASMSTART
	v_cvt_f32_f16 v1, v1;
	;;#ASMEND
	;;#ASMSTART
	v_cvt_f32_f16 v2, v2;
	;;#ASMEND
	v_add_u32_e32 v17, 0x80, v17
	v_add_f32_e32 v1, v1, v2
	v_add_f32_e32 v15, v15, v1
	s_or_b64 s[2:3], vcc, s[2:3]
	v_lshl_add_u64 v[10:11], v[10:11], 0, 8
	s_andn2_b64 exec, exec, s[2:3]
	s_cbranch_execz .LBB81_42
.LBB81_40:                              ; =>This Inner Loop Header: Depth=1
	global_load_dword v1, v[10:11], off
	ds_read2_b64 v[2:5], v17 offset1:1
	ds_read2_b64 v[22:25], v17 offset0:2 offset1:3
	v_cmp_eq_u32_e32 vcc, s9, v12
	s_waitcnt lgkmcnt(1)
	;;#ASMSTART
	v_cvt_f16_f32 v18, v2;

	;;#ASMEND
	;;#ASMSTART
	v_cvt_f16_f32 v19, v3;

	;;#ASMEND
	;; [unrolled: 4-line block ×4, first 2 shown]
	s_waitcnt lgkmcnt(0)
	;;#ASMSTART
	v_cvt_f16_f32 v22, v22;

	;;#ASMEND
	;;#ASMSTART
	v_cvt_f16_f32 v23, v23;

	;;#ASMEND
	;; [unrolled: 4-line block ×4, first 2 shown]
	s_waitcnt vmcnt(0)
	v_mad_i64_i32 v[2:3], s[6:7], v1, s8, 0
	v_lshl_add_u64 v[2:3], v[2:3], 1, v[8:9]
	global_load_dwordx4 v[2:5], v[2:3], off
	s_waitcnt vmcnt(0)
	v_lshrrev_b32_e32 v1, 16, v3
	v_lshrrev_b32_e32 v6, 16, v2
	;; [unrolled: 1-line block ×3, first 2 shown]
	s_and_saveexec_b64 s[6:7], vcc
	s_cbranch_execz .LBB81_39
; %bb.41:                               ;   in Loop: Header=BB81_40 Depth=1
	v_cmp_gt_i32_e32 vcc, s11, v16
	v_add_u32_e32 v29, 2, v16
	v_or_b32_e32 v27, 3, v16
	v_cndmask_b32_e32 v2, 0, v2, vcc
	v_cmp_gt_i32_e32 vcc, s11, v29
	v_or_b32_e32 v28, 1, v16
	s_nop 0
	v_cndmask_b32_e32 v3, 0, v3, vcc
	v_cmp_gt_i32_e32 vcc, s13, v27
	v_add_u32_e32 v27, 4, v16
	s_nop 0
	v_cndmask_b32_e32 v1, 0, v1, vcc
	v_cmp_gt_i32_e32 vcc, s11, v28
	v_add_u32_e32 v28, 7, v16
	;; [unrolled: 4-line block ×4, first 2 shown]
	s_nop 0
	v_cndmask_b32_e32 v26, 0, v26, vcc
	v_cmp_gt_i32_e32 vcc, s11, v27
	s_nop 1
	v_cndmask_b32_sdwa v27, v7, v5, vcc dst_sel:DWORD dst_unused:UNUSED_PAD src0_sel:DWORD src1_sel:WORD_0
	v_and_b32_e32 v5, 0xffff0000, v5
	v_cmp_gt_i32_e32 vcc, s11, v28
	s_nop 1
	v_cndmask_b32_e32 v5, 0, v5, vcc
	v_or_b32_e32 v5, v27, v5
	s_branch .LBB81_39
.LBB81_42:
	s_or_b64 exec, exec, s[2:3]
.LBB81_43:
	s_or_b64 exec, exec, s[0:1]
	ds_bpermute_b32 v1, v14, v15
	v_and_b32_e32 v2, 0x3c1, v0
	v_cmp_eq_u32_e32 vcc, 64, v2
	s_waitcnt lgkmcnt(0)
	s_barrier
	v_add_f32_e32 v1, v15, v1
	s_and_saveexec_b64 s[0:1], vcc
; %bb.44:
	v_mov_b32_e32 v3, 0x50
	v_lshl_add_u32 v3, v13, 1, v3
	ds_write_b32 v3, v1
; %bb.45:
	s_or_b64 exec, exec, s[0:1]
	v_lshrrev_b32_e32 v0, 1, v0
	v_cmp_eq_u32_e32 vcc, 0, v2
	s_waitcnt lgkmcnt(0)
	s_barrier
	s_and_saveexec_b64 s[0:1], vcc
	s_cbranch_execz .LBB81_47
; %bb.46:
	v_mov_b32_e32 v2, 0x50
	v_lshl_add_u32 v2, v0, 2, v2
	ds_read_b32 v2, v2
	s_waitcnt lgkmcnt(0)
	v_add_f32_e32 v1, v1, v2
.LBB81_47:
	s_or_b64 exec, exec, s[0:1]
	s_barrier
	s_and_saveexec_b64 s[0:1], vcc
	s_cbranch_execz .LBB81_49
; %bb.48:
	s_mul_i32 s0, s10, s12
	s_mul_i32 s0, s0, s5
	s_lshl_b32 s0, s0, 5
	s_ashr_i32 s1, s0, 31
	s_lshl_b64 s[0:1], s[0:1], 1
	s_add_u32 s2, s18, s0
	s_mul_i32 s0, s12, s16
	s_addc_u32 s3, s19, s1
	s_ashr_i32 s1, s0, 31
	s_lshl_b64 s[0:1], s[0:1], 1
	s_add_u32 s2, s2, s0
	s_addc_u32 s3, s3, s1
	s_lshl_b32 s0, s4, 5
	s_ashr_i32 s1, s0, 31
	s_lshl_b64 s[0:1], s[0:1], 1
	s_add_u32 s0, s2, s0
	s_addc_u32 s1, s3, s1
	v_lshlrev_b32_e32 v0, 1, v0
	;;#ASMSTART
	v_cvt_f16_f32 v1, v1;

	;;#ASMEND
	global_store_short v0, v1, s[0:1]
.LBB81_49:
	s_endpgm
	.section	.rodata,"a",@progbits
	.p2align	6, 0x0
	.amdhsa_kernel _ZN4vllm25paged_attention_v1_kernelIttLi32ELi16ELi128ELNS_18Fp8KVCacheDataTypeE0ELb0EEEvPT_PKS2_PKT0_S8_ifPKiSA_iPKfiiiSC_SC_iiiii
		.amdhsa_group_segment_fixed_size 80
		.amdhsa_private_segment_fixed_size 0
		.amdhsa_kernarg_size 384
		.amdhsa_user_sgpr_count 2
		.amdhsa_user_sgpr_dispatch_ptr 0
		.amdhsa_user_sgpr_queue_ptr 0
		.amdhsa_user_sgpr_kernarg_segment_ptr 1
		.amdhsa_user_sgpr_dispatch_id 0
		.amdhsa_user_sgpr_kernarg_preload_length 0
		.amdhsa_user_sgpr_kernarg_preload_offset 0
		.amdhsa_user_sgpr_private_segment_size 0
		.amdhsa_uses_dynamic_stack 0
		.amdhsa_enable_private_segment 0
		.amdhsa_system_sgpr_workgroup_id_x 1
		.amdhsa_system_sgpr_workgroup_id_y 1
		.amdhsa_system_sgpr_workgroup_id_z 1
		.amdhsa_system_sgpr_workgroup_info 0
		.amdhsa_system_vgpr_workitem_id 0
		.amdhsa_next_free_vgpr 32
		.amdhsa_next_free_sgpr 34
		.amdhsa_accum_offset 32
		.amdhsa_reserve_vcc 1
		.amdhsa_float_round_mode_32 0
		.amdhsa_float_round_mode_16_64 0
		.amdhsa_float_denorm_mode_32 3
		.amdhsa_float_denorm_mode_16_64 3
		.amdhsa_dx10_clamp 1
		.amdhsa_ieee_mode 1
		.amdhsa_fp16_overflow 0
		.amdhsa_tg_split 0
		.amdhsa_exception_fp_ieee_invalid_op 0
		.amdhsa_exception_fp_denorm_src 0
		.amdhsa_exception_fp_ieee_div_zero 0
		.amdhsa_exception_fp_ieee_overflow 0
		.amdhsa_exception_fp_ieee_underflow 0
		.amdhsa_exception_fp_ieee_inexact 0
		.amdhsa_exception_int_div_zero 0
	.end_amdhsa_kernel
	.section	.text._ZN4vllm25paged_attention_v1_kernelIttLi32ELi16ELi128ELNS_18Fp8KVCacheDataTypeE0ELb0EEEvPT_PKS2_PKT0_S8_ifPKiSA_iPKfiiiSC_SC_iiiii,"axG",@progbits,_ZN4vllm25paged_attention_v1_kernelIttLi32ELi16ELi128ELNS_18Fp8KVCacheDataTypeE0ELb0EEEvPT_PKS2_PKT0_S8_ifPKiSA_iPKfiiiSC_SC_iiiii,comdat
.Lfunc_end81:
	.size	_ZN4vllm25paged_attention_v1_kernelIttLi32ELi16ELi128ELNS_18Fp8KVCacheDataTypeE0ELb0EEEvPT_PKS2_PKT0_S8_ifPKiSA_iPKfiiiSC_SC_iiiii, .Lfunc_end81-_ZN4vllm25paged_attention_v1_kernelIttLi32ELi16ELi128ELNS_18Fp8KVCacheDataTypeE0ELb0EEEvPT_PKS2_PKT0_S8_ifPKiSA_iPKfiiiSC_SC_iiiii
                                        ; -- End function
	.set _ZN4vllm25paged_attention_v1_kernelIttLi32ELi16ELi128ELNS_18Fp8KVCacheDataTypeE0ELb0EEEvPT_PKS2_PKT0_S8_ifPKiSA_iPKfiiiSC_SC_iiiii.num_vgpr, 32
	.set _ZN4vllm25paged_attention_v1_kernelIttLi32ELi16ELi128ELNS_18Fp8KVCacheDataTypeE0ELb0EEEvPT_PKS2_PKT0_S8_ifPKiSA_iPKfiiiSC_SC_iiiii.num_agpr, 0
	.set _ZN4vllm25paged_attention_v1_kernelIttLi32ELi16ELi128ELNS_18Fp8KVCacheDataTypeE0ELb0EEEvPT_PKS2_PKT0_S8_ifPKiSA_iPKfiiiSC_SC_iiiii.numbered_sgpr, 34
	.set _ZN4vllm25paged_attention_v1_kernelIttLi32ELi16ELi128ELNS_18Fp8KVCacheDataTypeE0ELb0EEEvPT_PKS2_PKT0_S8_ifPKiSA_iPKfiiiSC_SC_iiiii.num_named_barrier, 0
	.set _ZN4vllm25paged_attention_v1_kernelIttLi32ELi16ELi128ELNS_18Fp8KVCacheDataTypeE0ELb0EEEvPT_PKS2_PKT0_S8_ifPKiSA_iPKfiiiSC_SC_iiiii.private_seg_size, 0
	.set _ZN4vllm25paged_attention_v1_kernelIttLi32ELi16ELi128ELNS_18Fp8KVCacheDataTypeE0ELb0EEEvPT_PKS2_PKT0_S8_ifPKiSA_iPKfiiiSC_SC_iiiii.uses_vcc, 1
	.set _ZN4vllm25paged_attention_v1_kernelIttLi32ELi16ELi128ELNS_18Fp8KVCacheDataTypeE0ELb0EEEvPT_PKS2_PKT0_S8_ifPKiSA_iPKfiiiSC_SC_iiiii.uses_flat_scratch, 0
	.set _ZN4vllm25paged_attention_v1_kernelIttLi32ELi16ELi128ELNS_18Fp8KVCacheDataTypeE0ELb0EEEvPT_PKS2_PKT0_S8_ifPKiSA_iPKfiiiSC_SC_iiiii.has_dyn_sized_stack, 0
	.set _ZN4vllm25paged_attention_v1_kernelIttLi32ELi16ELi128ELNS_18Fp8KVCacheDataTypeE0ELb0EEEvPT_PKS2_PKT0_S8_ifPKiSA_iPKfiiiSC_SC_iiiii.has_recursion, 0
	.set _ZN4vllm25paged_attention_v1_kernelIttLi32ELi16ELi128ELNS_18Fp8KVCacheDataTypeE0ELb0EEEvPT_PKS2_PKT0_S8_ifPKiSA_iPKfiiiSC_SC_iiiii.has_indirect_call, 0
	.section	.AMDGPU.csdata,"",@progbits
; Kernel info:
; codeLenInByte = 3896
; TotalNumSgprs: 40
; NumVgprs: 32
; NumAgprs: 0
; TotalNumVgprs: 32
; ScratchSize: 0
; MemoryBound: 0
; FloatMode: 240
; IeeeMode: 1
; LDSByteSize: 80 bytes/workgroup (compile time only)
; SGPRBlocks: 4
; VGPRBlocks: 3
; NumSGPRsForWavesPerEU: 40
; NumVGPRsForWavesPerEU: 32
; AccumOffset: 32
; Occupancy: 8
; WaveLimiterHint : 1
; COMPUTE_PGM_RSRC2:SCRATCH_EN: 0
; COMPUTE_PGM_RSRC2:USER_SGPR: 2
; COMPUTE_PGM_RSRC2:TRAP_HANDLER: 0
; COMPUTE_PGM_RSRC2:TGID_X_EN: 1
; COMPUTE_PGM_RSRC2:TGID_Y_EN: 1
; COMPUTE_PGM_RSRC2:TGID_Z_EN: 1
; COMPUTE_PGM_RSRC2:TIDIG_COMP_CNT: 0
; COMPUTE_PGM_RSRC3_GFX90A:ACCUM_OFFSET: 7
; COMPUTE_PGM_RSRC3_GFX90A:TG_SPLIT: 0
	.section	.text._ZN4vllm25paged_attention_v1_kernelIttLi64ELi16ELi128ELNS_18Fp8KVCacheDataTypeE0ELb0EEEvPT_PKS2_PKT0_S8_ifPKiSA_iPKfiiiSC_SC_iiiii,"axG",@progbits,_ZN4vllm25paged_attention_v1_kernelIttLi64ELi16ELi128ELNS_18Fp8KVCacheDataTypeE0ELb0EEEvPT_PKS2_PKT0_S8_ifPKiSA_iPKfiiiSC_SC_iiiii,comdat
	.protected	_ZN4vllm25paged_attention_v1_kernelIttLi64ELi16ELi128ELNS_18Fp8KVCacheDataTypeE0ELb0EEEvPT_PKS2_PKT0_S8_ifPKiSA_iPKfiiiSC_SC_iiiii ; -- Begin function _ZN4vllm25paged_attention_v1_kernelIttLi64ELi16ELi128ELNS_18Fp8KVCacheDataTypeE0ELb0EEEvPT_PKS2_PKT0_S8_ifPKiSA_iPKfiiiSC_SC_iiiii
	.globl	_ZN4vllm25paged_attention_v1_kernelIttLi64ELi16ELi128ELNS_18Fp8KVCacheDataTypeE0ELb0EEEvPT_PKS2_PKT0_S8_ifPKiSA_iPKfiiiSC_SC_iiiii
	.p2align	8
	.type	_ZN4vllm25paged_attention_v1_kernelIttLi64ELi16ELi128ELNS_18Fp8KVCacheDataTypeE0ELb0EEEvPT_PKS2_PKT0_S8_ifPKiSA_iPKfiiiSC_SC_iiiii,@function
_ZN4vllm25paged_attention_v1_kernelIttLi64ELi16ELi128ELNS_18Fp8KVCacheDataTypeE0ELb0EEEvPT_PKS2_PKT0_S8_ifPKiSA_iPKfiiiSC_SC_iiiii: ; @_ZN4vllm25paged_attention_v1_kernelIttLi64ELi16ELi128ELNS_18Fp8KVCacheDataTypeE0ELb0EEEvPT_PKS2_PKT0_S8_ifPKiSA_iPKfiiiSC_SC_iiiii
; %bb.0:
	s_load_dword s5, s[0:1], 0x80
	s_load_dwordx2 s[6:7], s[0:1], 0x30
	s_load_dwordx2 s[8:9], s[0:1], 0x20
	s_mov_b32 s10, s3
	s_ashr_i32 s11, s3, 31
	s_lshl_b64 s[12:13], s[10:11], 2
	s_waitcnt lgkmcnt(0)
	s_add_u32 s6, s6, s12
	s_addc_u32 s7, s7, s13
	s_abs_i32 s3, s8
	v_cvt_f32_u32_e32 v1, s3
	s_sub_i32 s12, 0, s3
	s_abs_i32 s11, s5
	s_xor_b32 s8, s5, s8
	v_rcp_iflag_f32_e32 v1, v1
	s_ashr_i32 s8, s8, 31
	v_mul_f32_e32 v1, 0x4f7ffffe, v1
	v_cvt_u32_f32_e32 v1, v1
	s_nop 0
	v_readfirstlane_b32 s13, v1
	s_mul_i32 s12, s12, s13
	s_mul_hi_u32 s12, s13, s12
	s_add_i32 s13, s13, s12
	s_mul_hi_u32 s12, s11, s13
	s_mul_i32 s13, s12, s3
	s_sub_i32 s11, s11, s13
	s_add_i32 s13, s12, 1
	s_sub_i32 s14, s11, s3
	s_cmp_ge_u32 s11, s3
	s_cselect_b32 s12, s13, s12
	s_cselect_b32 s11, s14, s11
	s_add_i32 s13, s12, 1
	s_cmp_ge_u32 s11, s3
	s_cselect_b32 s3, s13, s12
	s_xor_b32 s3, s3, s8
	s_sub_i32 s16, s3, s8
	s_abs_i32 s11, s16
	v_cvt_f32_u32_e32 v1, s11
	s_load_dwordx2 s[12:13], s[0:1], 0x40
	s_sub_i32 s3, 0, s11
	s_abs_i32 s18, s2
	v_rcp_iflag_f32_e32 v1, v1
	s_mov_b32 s8, 0
	v_mul_f32_e32 v1, 0x4f7ffffe, v1
	v_cvt_u32_f32_e32 v1, v1
	s_nop 0
	v_readfirstlane_b32 s14, v1
	s_mul_i32 s3, s3, s14
	s_mul_hi_u32 s3, s14, s3
	s_add_i32 s14, s14, s3
	s_waitcnt lgkmcnt(0)
	s_cmp_eq_u64 s[12:13], 0
	s_mul_hi_u32 s19, s18, s14
	s_cbranch_scc1 .LBB82_2
; %bb.1:
	s_ashr_i32 s3, s2, 31
	s_lshl_b64 s[14:15], s[2:3], 2
	s_add_u32 s12, s12, s14
	s_addc_u32 s13, s13, s15
	s_load_dword s8, s[12:13], 0x0
.LBB82_2:
	s_load_dword s33, s[6:7], 0x0
	s_nop 0
	s_load_dwordx4 s[12:15], s[0:1], 0x48
	s_ashr_i32 s6, s2, 31
	s_ashr_i32 s7, s16, 31
	v_and_b32_e32 v4, 3, v0
	s_lshl_b32 s16, s2, 6
	v_cmp_gt_u32_e32 vcc, 32, v0
	s_and_saveexec_b64 s[2:3], vcc
	s_cbranch_execz .LBB82_4
; %bb.3:
	s_load_dwordx2 s[20:21], s[0:1], 0x8
	s_waitcnt lgkmcnt(0)
	s_mul_i32 s22, s12, s10
	s_ashr_i32 s23, s22, 31
	s_lshl_b64 s[22:23], s[22:23], 1
	v_lshlrev_b32_e32 v1, 2, v0
	s_add_u32 s12, s20, s22
	s_addc_u32 s15, s21, s23
	s_ashr_i32 s17, s16, 31
	s_lshl_b64 s[20:21], s[16:17], 1
	s_add_u32 s20, s12, s20
	s_addc_u32 s21, s15, s21
	global_load_dword v1, v1, s[20:21]
	v_and_b32_e32 v2, 0x3fc, v0
	v_lshl_add_u32 v2, v4, 5, v2
	s_waitcnt vmcnt(0)
	ds_write_b32 v2, v1
.LBB82_4:
	s_or_b64 exec, exec, s[2:3]
	s_waitcnt lgkmcnt(0)
	s_add_i32 s3, s33, 15
	s_ashr_i32 s12, s3, 31
	s_lshr_b32 s12, s12, 28
	s_add_i32 s3, s3, s12
	s_ashr_i32 s12, s3, 4
	s_xor_b32 s3, s6, s7
	s_mul_i32 s6, s19, s11
	s_sub_i32 s6, s18, s6
	s_add_i32 s7, s19, 1
	s_sub_i32 s15, s6, s11
	s_load_dwordx2 s[20:21], s[0:1], 0x28
	s_load_dword s2, s[0:1], 0x38
	s_cmp_ge_u32 s6, s11
	s_cselect_b32 s7, s7, s19
	s_cselect_b32 s6, s15, s6
	s_add_i32 s15, s7, 1
	s_cmp_ge_u32 s6, s11
	s_cselect_b32 s6, s15, s7
	v_lshrrev_b32_e32 v16, 6, v0
	s_xor_b32 s6, s6, s3
	s_waitcnt lgkmcnt(0)
	s_mul_i32 s22, s2, s10
	s_sub_i32 s15, s6, s3
	s_ashr_i32 s23, s22, 31
	v_cmp_gt_i32_e64 s[6:7], s12, v16
	v_cmp_le_i32_e32 vcc, s12, v16
	v_mbcnt_lo_u32_b32 v13, -1, 0
	s_barrier
                                        ; implicit-def: $vgpr6
                                        ; implicit-def: $vgpr8
                                        ; implicit-def: $vgpr7
	s_and_saveexec_b64 s[2:3], vcc
	s_xor_b64 s[2:3], exec, s[2:3]
; %bb.5:
	v_mbcnt_hi_u32_b32 v6, -1, v13
	v_and_b32_e32 v8, 64, v6
	v_add_u32_e32 v7, 64, v8
                                        ; implicit-def: $vgpr4
                                        ; implicit-def: $vgpr13
; %bb.6:
	s_or_saveexec_b64 s[26:27], s[2:3]
	s_load_dwordx2 s[18:19], s[0:1], 0x0
	s_load_dwordx2 s[24:25], s[0:1], 0x18
	s_load_dword s11, s[0:1], 0x88
	v_mov_b32_e32 v9, 0xff7fffff
	s_mul_i32 s14, s15, s14
	v_lshrrev_b32_e32 v1, 4, v0
	s_xor_b64 exec, exec, s[26:27]
	s_cbranch_execz .LBB82_12
; %bb.7:
	s_load_dwordx2 s[0:1], s[0:1], 0x10
	s_ashr_i32 s15, s14, 31
	s_lshl_b64 s[2:3], s[14:15], 1
	v_bfe_u32 v5, v0, 2, 4
	v_lshlrev_b32_e32 v6, 4, v5
	s_waitcnt lgkmcnt(0)
	s_add_u32 s0, s0, s2
	s_addc_u32 s1, s1, s3
	v_mov_b32_e32 v7, 0
	v_lshl_add_u64 v[2:3], s[0:1], 0, v[6:7]
	v_lshlrev_b32_e32 v6, 2, v0
	s_sub_i32 s15, 1, s33
	s_lshl_b64 s[0:1], s[22:23], 2
	v_and_b32_e32 v6, 12, v6
	v_lshlrev_b32_e32 v10, 5, v4
	v_cmp_eq_u32_e32 vcc, 0, v4
	v_lshlrev_b32_e32 v4, 2, v5
	s_add_u32 s0, s20, s0
	v_lshl_add_u64 v[2:3], v[2:3], 0, v[6:7]
	v_lshl_or_b32 v4, v16, 6, v4
	v_and_b32_e32 v6, 60, v1
	s_addc_u32 s1, s21, s1
	v_lshl_or_b32 v11, v16, 4, v5
	v_add_u32_e32 v12, 0x90, v4
	v_lshl_add_u64 v[4:5], s[0:1], 0, v[6:7]
	v_mbcnt_hi_u32_b32 v6, -1, v13
	v_and_b32_e32 v8, 64, v6
	s_mov_b32 s17, s13
	v_cmp_neq_f32_e64 s[2:3], s8, 0
	v_mov_b32_e32 v9, 0xff7fffff
	s_mov_b64 s[28:29], 0
	v_add_u32_e32 v7, 64, v8
	v_xor_b32_e32 v13, 2, v6
	v_xor_b32_e32 v14, 1, v6
	v_mov_b32_e32 v15, v16
	s_branch .LBB82_9
.LBB82_8:                               ;   in Loop: Header=BB82_9 Depth=1
	s_or_b64 exec, exec, s[30:31]
	v_add_u32_e32 v15, 2, v15
	v_cmp_le_i32_e64 s[0:1], s12, v15
	v_add_u32_e32 v11, 32, v11
	v_add_u32_e32 v12, 0x80, v12
	s_or_b64 s[28:29], s[0:1], s[28:29]
	v_lshl_add_u64 v[4:5], v[4:5], 0, 8
	s_andn2_b64 exec, exec, s[28:29]
	s_cbranch_execz .LBB82_11
.LBB82_9:                               ; =>This Inner Loop Header: Depth=1
	global_load_dword v17, v[4:5], off
	s_waitcnt vmcnt(0) lgkmcnt(0)
	v_mad_i64_i32 v[18:19], s[0:1], v17, s17, 0
	v_lshl_add_u64 v[18:19], v[18:19], 1, v[2:3]
	global_load_dword v17, v[18:19], off
	global_load_dword v20, v[18:19], off offset:256
	global_load_dword v21, v[18:19], off offset:512
	;; [unrolled: 1-line block ×7, first 2 shown]
	ds_read_b32 v18, v10
	v_cmp_lt_i32_e64 s[0:1], v13, v7
	s_waitcnt lgkmcnt(0)
	v_lshrrev_b32_e32 v27, 16, v18
	v_and_b32_e32 v18, 0xffff, v18
	;;#ASMSTART
	v_cvt_f32_f16 v18, v18;
	;;#ASMEND
	;;#ASMSTART
	v_cvt_f32_f16 v27, v27;
	;;#ASMEND
	v_cndmask_b32_e64 v19, v6, v13, s[0:1]
	v_lshlrev_b32_e32 v19, 2, v19
	v_cmp_lt_i32_e64 s[0:1], v14, v7
	s_waitcnt vmcnt(7)
	v_lshrrev_b32_e32 v28, 16, v17
	v_and_b32_e32 v17, 0xffff, v17
	;;#ASMSTART
	v_cvt_f32_f16 v17, v17;
	;;#ASMEND
	;;#ASMSTART
	v_cvt_f32_f16 v28, v28;
	;;#ASMEND
	ds_read_b32 v29, v10 offset:4
	s_waitcnt vmcnt(6)
	v_lshrrev_b32_e32 v30, 16, v20
	v_and_b32_e32 v31, 0xffff, v20
	s_waitcnt vmcnt(5)
	v_lshrrev_b32_e32 v32, 16, v21
	v_and_b32_e32 v33, 0xffff, v21
	s_waitcnt lgkmcnt(0)
	v_lshrrev_b32_e32 v21, 16, v29
	v_and_b32_e32 v20, 0xffff, v29
	;;#ASMSTART
	v_cvt_f32_f16 v20, v20;
	;;#ASMEND
	;;#ASMSTART
	v_cvt_f32_f16 v21, v21;
	;;#ASMEND
	;;#ASMSTART
	v_cvt_f32_f16 v29, v31;
	;;#ASMEND
	;;#ASMSTART
	v_cvt_f32_f16 v30, v30;
	;;#ASMEND
	ds_read_b32 v31, v10 offset:8
	s_waitcnt vmcnt(4)
	v_lshrrev_b32_e32 v34, 16, v22
	v_and_b32_e32 v35, 0xffff, v22
	s_waitcnt vmcnt(3)
	v_lshrrev_b32_e32 v36, 16, v23
	v_and_b32_e32 v37, 0xffff, v23
	s_waitcnt lgkmcnt(0)
	v_lshrrev_b32_e32 v23, 16, v31
	v_and_b32_e32 v22, 0xffff, v31
	;;#ASMSTART
	v_cvt_f32_f16 v22, v22;
	;;#ASMEND
	;;#ASMSTART
	v_cvt_f32_f16 v23, v23;
	;;#ASMEND
	;; [unrolled: 22-line block ×3, first 2 shown]
	;;#ASMSTART
	v_cvt_f32_f16 v33, v35;
	;;#ASMEND
	;;#ASMSTART
	v_cvt_f32_f16 v34, v34;
	;;#ASMEND
	ds_read_b32 v35, v10 offset:16
	s_waitcnt vmcnt(0)
	v_lshrrev_b32_e32 v42, 16, v26
	v_and_b32_e32 v43, 0xffff, v26
	v_mul_f32_e32 v20, v20, v29
	v_mul_f32_e32 v21, v21, v30
	s_waitcnt lgkmcnt(0)
	v_lshrrev_b32_e32 v29, 16, v35
	v_and_b32_e32 v26, 0xffff, v35
	;;#ASMSTART
	v_cvt_f32_f16 v26, v26;
	;;#ASMEND
	;;#ASMSTART
	v_cvt_f32_f16 v29, v29;
	;;#ASMEND
	;;#ASMSTART
	v_cvt_f32_f16 v30, v37;
	;;#ASMEND
	;;#ASMSTART
	v_cvt_f32_f16 v35, v36;
	;;#ASMEND
	ds_read_b32 v36, v10 offset:20
	v_fmac_f32_e32 v20, v18, v17
	v_fmac_f32_e32 v21, v27, v28
	v_fmac_f32_e32 v20, v22, v31
	v_fmac_f32_e32 v21, v23, v32
	s_waitcnt lgkmcnt(0)
	v_lshrrev_b32_e32 v18, 16, v36
	v_and_b32_e32 v17, 0xffff, v36
	;;#ASMSTART
	v_cvt_f32_f16 v17, v17;
	;;#ASMEND
	;;#ASMSTART
	v_cvt_f32_f16 v18, v18;
	;;#ASMEND
	;;#ASMSTART
	v_cvt_f32_f16 v22, v39;
	;;#ASMEND
	;;#ASMSTART
	v_cvt_f32_f16 v23, v38;
	;;#ASMEND
	ds_read_b32 v27, v10 offset:24
	v_fmac_f32_e32 v20, v24, v33
	v_fmac_f32_e32 v21, v25, v34
	v_fmac_f32_e32 v20, v26, v30
	v_fmac_f32_e32 v21, v29, v35
	;; [unrolled: 20-line block ×3, first 2 shown]
	s_waitcnt lgkmcnt(0)
	v_lshrrev_b32_e32 v18, 16, v28
	v_and_b32_e32 v17, 0xffff, v28
	;;#ASMSTART
	v_cvt_f32_f16 v17, v17;
	;;#ASMEND
	;;#ASMSTART
	v_cvt_f32_f16 v18, v18;
	;;#ASMEND
	;; [unrolled: 3-line block ×4, first 2 shown]
	s_nop 0
	v_fmac_f32_e32 v20, v17, v22
	v_fmac_f32_e32 v21, v18, v23
	v_add_f32_e32 v17, v20, v21
	ds_bpermute_b32 v18, v19, v17
	v_cndmask_b32_e64 v19, v6, v14, s[0:1]
	s_waitcnt lgkmcnt(0)
	v_add_f32_e32 v17, v17, v18
	v_lshlrev_b32_e32 v18, 2, v19
	ds_bpermute_b32 v18, v18, v17
	s_and_saveexec_b64 s[30:31], vcc
	s_cbranch_execz .LBB82_8
; %bb.10:                               ;   in Loop: Header=BB82_9 Depth=1
	v_add_u32_e32 v19, s15, v11
	v_cvt_f32_i32_e32 v19, v19
	s_waitcnt lgkmcnt(0)
	v_add_f32_e32 v17, v17, v18
	v_cmp_gt_i32_e64 s[0:1], s33, v11
	v_max_f32_e32 v18, v9, v9
	v_mul_f32_e32 v19, s8, v19
	v_cndmask_b32_e64 v19, 0, v19, s[2:3]
	v_fmac_f32_e32 v19, s9, v17
	v_cndmask_b32_e64 v17, 0, v19, s[0:1]
	ds_write_b32 v12, v17
	v_max_f32_e32 v17, v18, v19
	v_cndmask_b32_e64 v9, v9, v17, s[0:1]
	s_branch .LBB82_8
.LBB82_11:
	s_or_b64 exec, exec, s[28:29]
.LBB82_12:
	s_or_b64 exec, exec, s[26:27]
	v_xor_b32_e32 v2, 32, v6
	v_cmp_lt_i32_e32 vcc, v2, v7
	v_xor_b32_e32 v5, 16, v6
	v_max_f32_e32 v4, v9, v9
	v_cndmask_b32_e32 v2, v6, v2, vcc
	v_lshlrev_b32_e32 v2, 2, v2
	ds_bpermute_b32 v3, v2, v9
	v_cmp_lt_i32_e32 vcc, v5, v7
	v_xor_b32_e32 v9, 8, v6
	v_xor_b32_e32 v10, 4, v6
	v_and_b32_e32 v17, 63, v0
	s_waitcnt lgkmcnt(0)
	v_max_f32_e32 v3, v3, v3
	v_max_f32_e32 v4, v4, v3
	v_cndmask_b32_e32 v3, v6, v5, vcc
	v_lshlrev_b32_e32 v3, 2, v3
	ds_bpermute_b32 v5, v3, v4
	v_cmp_lt_i32_e32 vcc, v9, v7
	s_waitcnt lgkmcnt(0)
	v_max_f32_e32 v5, v5, v5
	v_max_f32_e32 v4, v4, v5
	v_cndmask_b32_e32 v5, v6, v9, vcc
	v_lshlrev_b32_e32 v9, 2, v5
	ds_bpermute_b32 v5, v9, v4
	v_cmp_lt_i32_e32 vcc, v10, v7
	s_waitcnt lgkmcnt(0)
	v_max_f32_e32 v5, v5, v5
	v_max_f32_e32 v5, v4, v5
	v_cndmask_b32_e32 v4, v6, v10, vcc
	v_lshlrev_b32_e32 v10, 2, v4
	ds_bpermute_b32 v11, v10, v5
	v_cmp_eq_u32_e32 vcc, 0, v17
	v_lshlrev_b32_e32 v4, 2, v16
	s_and_saveexec_b64 s[0:1], vcc
	s_cbranch_execz .LBB82_14
; %bb.13:
	s_waitcnt lgkmcnt(0)
	v_max_f32_e32 v11, v11, v11
	v_max_f32_e32 v5, v5, v5
	;; [unrolled: 1-line block ×3, first 2 shown]
	ds_write_b32 v4, v5 offset:128
.LBB82_14:
	s_or_b64 exec, exec, s[0:1]
	v_cmp_gt_u32_e64 s[0:1], 2, v17
	s_waitcnt lgkmcnt(0)
	v_mov_b32_e32 v11, 0xff7fffff
	v_lshlrev_b32_e32 v5, 2, v17
	s_barrier
	s_and_saveexec_b64 s[2:3], s[0:1]
; %bb.15:
	ds_read_b32 v11, v5 offset:128
; %bb.16:
	s_or_b64 exec, exec, s[2:3]
	v_xor_b32_e32 v12, 1, v6
	v_cmp_lt_i32_e64 s[2:3], v12, v7
	v_lshlrev_b32_e32 v8, 2, v8
	s_nop 0
	v_cndmask_b32_e64 v12, v6, v12, s[2:3]
	v_lshlrev_b32_e32 v18, 2, v12
	s_waitcnt lgkmcnt(0)
	ds_bpermute_b32 v12, v18, v11
	v_max_f32_e32 v11, v11, v11
	s_lshl_b32 s2, s12, 4
	s_min_i32 s15, s2, s33
	v_cmp_gt_i32_e64 s[2:3], s15, v0
	s_waitcnt lgkmcnt(0)
	v_max_f32_e32 v12, v12, v12
	v_max_f32_e32 v11, v11, v12
	ds_bpermute_b32 v11, v8, v11
	v_mov_b32_e32 v8, 0
	s_and_saveexec_b64 s[26:27], s[2:3]
	s_cbranch_execz .LBB82_20
; %bb.17:
	v_mov_b32_e32 v8, 0x90
	v_lshl_add_u32 v12, v0, 2, v8
	v_mov_b32_e32 v8, 0
	s_mov_b64 s[28:29], 0
	v_mov_b32_e32 v13, v0
.LBB82_18:                              ; =>This Inner Loop Header: Depth=1
	ds_read_b32 v14, v12
	v_add_u32_e32 v13, 0x80, v13
	v_cmp_le_i32_e64 s[8:9], s15, v13
	s_or_b64 s[28:29], s[8:9], s[28:29]
	s_waitcnt lgkmcnt(0)
	v_sub_f32_e32 v14, v14, v11
	v_mul_f32_e32 v14, 0x3fb8aa3b, v14
	v_exp_f32_e32 v14, v14
	ds_write_b32 v12, v14
	v_add_f32_e32 v8, v8, v14
	v_add_u32_e32 v12, 0x200, v12
	s_andn2_b64 exec, exec, s[28:29]
	s_cbranch_execnz .LBB82_18
; %bb.19:
	s_or_b64 exec, exec, s[28:29]
.LBB82_20:
	s_or_b64 exec, exec, s[26:27]
	ds_bpermute_b32 v2, v2, v8
	s_waitcnt lgkmcnt(0)
	v_add_f32_e32 v2, v8, v2
	ds_bpermute_b32 v3, v3, v2
	v_xor_b32_e32 v8, 2, v6
	v_cmp_lt_i32_e64 s[8:9], v8, v7
	s_waitcnt lgkmcnt(0)
	v_add_f32_e32 v2, v2, v3
	ds_bpermute_b32 v3, v9, v2
	v_cndmask_b32_e64 v7, v6, v8, s[8:9]
	s_waitcnt lgkmcnt(0)
	v_add_f32_e32 v2, v2, v3
	ds_bpermute_b32 v3, v10, v2
	s_waitcnt lgkmcnt(0)
	v_add_f32_e32 v2, v2, v3
	v_lshlrev_b32_e32 v3, 2, v7
	ds_bpermute_b32 v3, v3, v2
	s_waitcnt lgkmcnt(0)
	v_add_f32_e32 v2, v2, v3
	ds_bpermute_b32 v3, v18, v2
	s_waitcnt lgkmcnt(0)
	v_add_f32_e32 v2, v2, v3
	s_and_saveexec_b64 s[8:9], vcc
; %bb.21:
	ds_write_b32 v4, v2 offset:136
; %bb.22:
	s_or_b64 exec, exec, s[8:9]
	s_waitcnt lgkmcnt(0)
	s_barrier
	s_and_saveexec_b64 s[8:9], s[0:1]
; %bb.23:
	ds_read_b32 v2, v5 offset:136
; %bb.24:
	s_or_b64 exec, exec, s[8:9]
	s_waitcnt lgkmcnt(0)
	ds_bpermute_b32 v3, v18, v2
	v_lshlrev_b32_e32 v4, 2, v6
	s_waitcnt lgkmcnt(0)
	v_add_f32_e32 v2, v2, v3
	v_and_b32_e32 v3, 0xffffff00, v4
	ds_bpermute_b32 v2, v3, v2
	s_and_saveexec_b64 s[0:1], s[2:3]
	s_cbranch_execz .LBB82_37
; %bb.25:
	s_waitcnt lgkmcnt(0)
	v_add_f32_e32 v2, 0x358637bd, v2
	v_div_scale_f32 v3, s[2:3], v2, v2, 1.0
	v_rcp_f32_e32 v4, v3
	v_div_scale_f32 v5, vcc, 1.0, v2, 1.0
	s_movk_i32 s2, 0x7f
	v_fma_f32 v6, -v3, v4, 1.0
	v_fmac_f32_e32 v4, v6, v4
	v_mul_f32_e32 v6, v5, v4
	v_fma_f32 v7, -v3, v6, v5
	v_fmac_f32_e32 v6, v7, v4
	v_fma_f32 v3, -v3, v6, v5
	v_div_fmas_f32 v3, v3, v4, v6
	v_xad_u32 v4, v0, -1, s15
	v_div_fixup_f32 v2, v3, v2, 1.0
	v_cmp_lt_u32_e32 vcc, s2, v4
	s_mov_b64 s[8:9], -1
	v_mov_b32_e32 v3, v0
	s_and_saveexec_b64 s[2:3], vcc
	s_cbranch_execz .LBB82_34
; %bb.26:
	v_lshrrev_b32_e32 v4, 7, v4
	v_add_u32_e32 v6, -1, v4
	v_lshrrev_b32_e32 v5, 1, v6
	v_mov_b32_e32 v3, v2
	v_add_u32_e32 v5, 1, v5
	v_cmp_lt_u32_e32 vcc, 13, v6
	v_mov_b32_e32 v8, 0
	s_and_saveexec_b64 s[8:9], vcc
	s_cbranch_execz .LBB82_30
; %bb.27:
	v_mov_b32_e32 v7, 0x90
	v_and_b32_e32 v6, -8, v5
	v_lshl_add_u32 v7, v0, 2, v7
	s_mov_b32 s17, 0
	s_mov_b64 s[26:27], 0
.LBB82_28:                              ; =>This Inner Loop Header: Depth=1
	ds_read2st64_b32 v[8:9], v7 offset1:2
	ds_read2st64_b32 v[10:11], v7 offset0:4 offset1:6
	ds_read2st64_b32 v[12:13], v7 offset0:8 offset1:10
	;; [unrolled: 1-line block ×3, first 2 shown]
	v_add_u32_e32 v6, -8, v6
	s_waitcnt lgkmcnt(3)
	v_pk_mul_f32 v[8:9], v[2:3], v[8:9]
	s_waitcnt lgkmcnt(2)
	v_pk_mul_f32 v[10:11], v[2:3], v[10:11]
	ds_write2st64_b32 v7, v8, v9 offset1:2
	ds_write2st64_b32 v7, v10, v11 offset0:4 offset1:6
	ds_read2st64_b32 v[10:11], v7 offset0:16 offset1:18
	s_waitcnt lgkmcnt(4)
	v_pk_mul_f32 v[8:9], v[2:3], v[12:13]
	ds_write2st64_b32 v7, v8, v9 offset0:8 offset1:10
	s_waitcnt lgkmcnt(4)
	v_pk_mul_f32 v[8:9], v[2:3], v[14:15]
	ds_write2st64_b32 v7, v8, v9 offset0:12 offset1:14
	ds_read2st64_b32 v[8:9], v7 offset0:20 offset1:22
	s_waitcnt lgkmcnt(3)
	v_pk_mul_f32 v[10:11], v[2:3], v[10:11]
	ds_read2st64_b32 v[12:13], v7 offset0:24 offset1:26
	ds_write2st64_b32 v7, v10, v11 offset0:16 offset1:18
	ds_read2st64_b32 v[10:11], v7 offset0:28 offset1:30
	s_waitcnt lgkmcnt(3)
	v_pk_mul_f32 v[8:9], v[2:3], v[8:9]
	ds_write2st64_b32 v7, v8, v9 offset0:20 offset1:22
	s_waitcnt lgkmcnt(3)
	v_pk_mul_f32 v[8:9], v[2:3], v[12:13]
	ds_write2st64_b32 v7, v8, v9 offset0:24 offset1:26
	s_waitcnt lgkmcnt(2)
	v_pk_mul_f32 v[8:9], v[2:3], v[10:11]
	s_add_i32 s17, s17, 16
	v_cmp_eq_u32_e32 vcc, 0, v6
	ds_write2st64_b32 v7, v8, v9 offset0:28 offset1:30
	v_add_u32_e32 v7, 0x2000, v7
	s_or_b64 s[26:27], vcc, s[26:27]
	v_mov_b32_e32 v8, s17
	s_andn2_b64 exec, exec, s[26:27]
	s_cbranch_execnz .LBB82_28
; %bb.29:
	s_or_b64 exec, exec, s[26:27]
.LBB82_30:
	s_or_b64 exec, exec, s[8:9]
	v_and_b32_e32 v5, 7, v5
	v_cmp_ne_u32_e32 vcc, 0, v5
	s_and_saveexec_b64 s[8:9], vcc
	s_cbranch_execz .LBB82_33
; %bb.31:
	v_lshlrev_b32_e32 v6, 9, v8
	v_lshlrev_b32_e32 v7, 2, v0
	s_movk_i32 s17, 0x90
	v_add3_u32 v6, v6, v7, s17
	s_mov_b64 s[26:27], 0
.LBB82_32:                              ; =>This Inner Loop Header: Depth=1
	ds_read2st64_b32 v[8:9], v6 offset1:2
	v_add_u32_e32 v5, -1, v5
	v_cmp_eq_u32_e32 vcc, 0, v5
	s_or_b64 s[26:27], vcc, s[26:27]
	s_waitcnt lgkmcnt(0)
	v_pk_mul_f32 v[8:9], v[2:3], v[8:9]
	ds_write2st64_b32 v6, v8, v9 offset1:2
	v_add_u32_e32 v6, 0x400, v6
	s_andn2_b64 exec, exec, s[26:27]
	s_cbranch_execnz .LBB82_32
.LBB82_33:
	s_or_b64 exec, exec, s[8:9]
	v_add_u32_e32 v4, 1, v4
	v_and_b32_e32 v5, 0x3fffffe, v4
	v_cmp_ne_u32_e32 vcc, v4, v5
	v_lshl_add_u32 v3, v5, 7, v0
	s_orn2_b64 s[8:9], vcc, exec
.LBB82_34:
	s_or_b64 exec, exec, s[2:3]
	s_and_b64 exec, exec, s[8:9]
	s_cbranch_execz .LBB82_37
; %bb.35:
	v_mov_b32_e32 v4, 0x90
	v_lshl_add_u32 v4, v3, 2, v4
	s_mov_b64 s[2:3], 0
.LBB82_36:                              ; =>This Inner Loop Header: Depth=1
	ds_read_b32 v5, v4
	v_add_u32_e32 v3, 0x80, v3
	v_cmp_le_i32_e32 vcc, s15, v3
	s_or_b64 s[2:3], vcc, s[2:3]
	s_waitcnt lgkmcnt(0)
	v_mul_f32_e32 v5, v2, v5
	ds_write_b32 v4, v5
	v_add_u32_e32 v4, 0x200, v4
	s_andn2_b64 exec, exec, s[2:3]
	s_cbranch_execnz .LBB82_36
.LBB82_37:
	s_or_b64 exec, exec, s[0:1]
	v_mov_b32_e32 v7, 0
	v_and_b32_e32 v19, 1, v0
	v_mov_b32_e32 v6, 0
	s_waitcnt lgkmcnt(0)
	s_barrier
	s_and_saveexec_b64 s[2:3], s[6:7]
	s_cbranch_execz .LBB82_45
; %bb.38:
	s_ashr_i32 s15, s14, 31
	s_lshl_b64 s[0:1], s[14:15], 1
	s_add_u32 s0, s24, s0
	v_lshlrev_b32_e32 v3, 4, v0
	v_lshlrev_b32_e32 v2, 3, v0
	s_addc_u32 s1, s25, s1
	v_and_b32_e32 v8, 0x3f0, v3
	v_mov_b32_e32 v9, 0
	v_and_b32_e32 v2, 8, v2
	s_add_i32 s14, s12, -1
	v_lshl_add_u64 v[10:11], s[0:1], 0, v[8:9]
	s_lshl_b64 s[0:1], s[22:23], 2
	v_lshl_or_b32 v20, v16, 4, v2
	v_lshlrev_b32_e32 v2, 5, v19
	s_add_u32 s0, s20, s0
	v_lshl_or_b32 v2, v16, 6, v2
	v_and_b32_e32 v8, 60, v1
	s_addc_u32 s1, s21, s1
	s_mov_b32 s15, s33
	v_add_u32_e32 v21, 0x90, v2
	v_lshl_add_u64 v[12:13], s[0:1], 0, v[8:9]
	s_mov_b64 s[6:7], 0
	s_mov_b32 s17, 0xffff
	v_mov_b32_e32 v7, 0
	v_mov_b32_e32 v6, 0
	s_branch .LBB82_40
.LBB82_39:                              ;   in Loop: Header=BB82_40 Depth=1
	s_or_b64 exec, exec, s[8:9]
	v_lshlrev_b32_e32 v8, 16, v8
	v_lshlrev_b32_e32 v1, 16, v1
	v_and_or_b32 v2, v2, s17, v8
	v_and_or_b32 v1, v3, s17, v1
	v_lshlrev_b32_e32 v3, 16, v14
	v_and_or_b32 v3, v4, s17, v3
	;;#ASMSTART
	v_pk_mul_f16 v2, v29, v2;

	;;#ASMEND
	;;#ASMSTART
	v_pk_mul_f16 v1, v30, v1;

	;;#ASMEND
	;; [unrolled: 4-line block ×4, first 2 shown]
	v_add_u32_e32 v16, 2, v16
	;;#ASMSTART
	v_pk_add_f16 v1, v2, v1;

	;;#ASMEND
	v_add_f32_e32 v15, v33, v34
	;;#ASMSTART
	v_pk_add_f16 v1, v1, v3;

	;;#ASMEND
	v_cmp_le_i32_e32 vcc, s12, v16
	;;#ASMSTART
	v_pk_add_f16 v1, v1, v4;

	;;#ASMEND
	v_add_f32_e32 v6, v6, v15
	v_lshrrev_b32_e32 v2, 16, v1
	v_and_b32_e32 v1, 0xffff, v1
	;;#ASMSTART
	v_cvt_f32_f16 v1, v1;
	;;#ASMEND
	;;#ASMSTART
	v_cvt_f32_f16 v2, v2;
	;;#ASMEND
	v_add_u32_e32 v20, 32, v20
	v_add_f32_e32 v1, v1, v2
	v_add_f32_e32 v7, v7, v1
	v_add_u32_e32 v21, 0x80, v21
	s_or_b64 s[6:7], vcc, s[6:7]
	v_lshl_add_u64 v[12:13], v[12:13], 0, 8
	s_andn2_b64 exec, exec, s[6:7]
	s_cbranch_execz .LBB82_44
.LBB82_40:                              ; =>This Inner Loop Header: Depth=1
	global_load_dword v1, v[12:13], off
	ds_read2_b64 v[2:5], v21 offset1:1
	ds_read2_b64 v[22:25], v21 offset0:2 offset1:3
	v_add_u32_e32 v26, 2, v20
	v_or_b32_e32 v27, 3, v20
	s_waitcnt lgkmcnt(1)
	;;#ASMSTART
	v_cvt_f16_f32 v29, v2;

	;;#ASMEND
	;;#ASMSTART
	v_cvt_f16_f32 v30, v3;

	;;#ASMEND
	;;#ASMSTART
	v_cvt_f16_f32 v31, v4;

	;;#ASMEND
	;;#ASMSTART
	v_cvt_f16_f32 v32, v5;

	;;#ASMEND
	s_waitcnt lgkmcnt(0)
	;;#ASMSTART
	v_cvt_f16_f32 v33, v22;

	;;#ASMEND
	;;#ASMSTART
	v_cvt_f16_f32 v34, v23;

	;;#ASMEND
	;; [unrolled: 4-line block ×4, first 2 shown]
	v_add_u32_e32 v25, 4, v20
	v_add_u32_e32 v24, 5, v20
	;; [unrolled: 1-line block ×4, first 2 shown]
	v_or_b32_e32 v28, 1, v20
	s_waitcnt vmcnt(0)
	v_mad_i64_i32 v[2:3], s[0:1], v1, s13, 0
	v_lshl_add_u64 v[14:15], v[2:3], 1, v[10:11]
	global_load_dwordx4 v[2:5], v[14:15], off
	v_cmp_eq_u32_e64 s[0:1], s14, v16
	s_waitcnt vmcnt(0)
	v_lshrrev_b32_e32 v1, 16, v3
	v_lshrrev_b32_e32 v8, 16, v2
	;; [unrolled: 1-line block ×3, first 2 shown]
	s_and_saveexec_b64 s[8:9], s[0:1]
	s_cbranch_execz .LBB82_42
; %bb.41:                               ;   in Loop: Header=BB82_40 Depth=1
	v_cmp_gt_i32_e32 vcc, s33, v20
	s_nop 1
	v_cndmask_b32_e32 v2, 0, v2, vcc
	v_cmp_gt_i32_e32 vcc, s33, v26
	s_nop 1
	v_cndmask_b32_e32 v3, 0, v3, vcc
	;; [unrolled: 3-line block ×6, first 2 shown]
	v_cmp_gt_i32_e32 vcc, s33, v23
	s_nop 1
	v_cndmask_b32_sdwa v38, v9, v5, vcc dst_sel:DWORD dst_unused:UNUSED_PAD src0_sel:DWORD src1_sel:WORD_0
	v_and_b32_e32 v5, 0xffff0000, v5
	v_cmp_gt_i32_e32 vcc, s33, v22
	s_nop 1
	v_cndmask_b32_e32 v5, 0, v5, vcc
	v_or_b32_e32 v5, v38, v5
.LBB82_42:                              ;   in Loop: Header=BB82_40 Depth=1
	s_or_b64 exec, exec, s[8:9]
	v_and_b32_e32 v29, 0xffff, v29
	v_lshlrev_b32_e32 v8, 16, v8
	v_lshlrev_b32_e32 v1, 16, v1
	v_lshl_or_b32 v29, v30, 16, v29
	v_and_b32_e32 v30, 0xffff, v31
	v_and_or_b32 v2, v2, s17, v8
	v_and_or_b32 v1, v3, s17, v1
	v_lshlrev_b32_e32 v3, 16, v37
	v_lshl_or_b32 v30, v32, 16, v30
	v_and_b32_e32 v31, 0xffff, v33
	v_and_b32_e32 v32, 0xffff, v35
	v_and_or_b32 v3, v4, s17, v3
	;;#ASMSTART
	v_pk_mul_f16 v2, v29, v2;

	;;#ASMEND
	;;#ASMSTART
	v_pk_mul_f16 v1, v30, v1;

	;;#ASMEND
	v_lshl_or_b32 v31, v34, 16, v31
	v_lshl_or_b32 v32, v36, 16, v32
	;;#ASMSTART
	v_pk_mul_f16 v3, v31, v3;

	;;#ASMEND
	;;#ASMSTART
	v_pk_mul_f16 v4, v32, v5;

	;;#ASMEND
	;;#ASMSTART
	v_pk_add_f16 v1, v2, v1;

	;;#ASMEND
	s_nop 0
	;;#ASMSTART
	v_pk_add_f16 v1, v1, v3;

	;;#ASMEND
	s_nop 0
	;; [unrolled: 5-line block ×3, first 2 shown]
	v_lshrrev_b32_e32 v2, 16, v1
	v_and_b32_e32 v1, 0xffff, v1
	;;#ASMSTART
	v_cvt_f32_f16 v33, v1;
	;;#ASMEND
	;;#ASMSTART
	v_cvt_f32_f16 v34, v2;
	;;#ASMEND
	global_load_dwordx4 v[2:5], v[14:15], off offset:1024
	s_waitcnt vmcnt(0)
	v_lshrrev_b32_e32 v1, 16, v3
	v_lshrrev_b32_e32 v8, 16, v2
	v_lshrrev_b32_e32 v14, 16, v4
	s_and_saveexec_b64 s[8:9], s[0:1]
	s_cbranch_execz .LBB82_39
; %bb.43:                               ;   in Loop: Header=BB82_40 Depth=1
	v_cmp_gt_i32_e32 vcc, s33, v20
	s_nop 1
	v_cndmask_b32_e32 v2, 0, v2, vcc
	v_cmp_gt_i32_e32 vcc, s33, v26
	s_nop 1
	v_cndmask_b32_e32 v3, 0, v3, vcc
	;; [unrolled: 3-line block ×6, first 2 shown]
	v_cmp_gt_i32_e32 vcc, s33, v23
	s_nop 1
	v_cndmask_b32_sdwa v15, v9, v5, vcc dst_sel:DWORD dst_unused:UNUSED_PAD src0_sel:DWORD src1_sel:WORD_0
	v_and_b32_e32 v5, 0xffff0000, v5
	v_cmp_gt_i32_e32 vcc, s33, v22
	s_nop 1
	v_cndmask_b32_e32 v5, 0, v5, vcc
	v_or_b32_e32 v5, v15, v5
	s_branch .LBB82_39
.LBB82_44:
	s_or_b64 exec, exec, s[6:7]
.LBB82_45:
	s_or_b64 exec, exec, s[2:3]
	ds_bpermute_b32 v2, v18, v6
	ds_bpermute_b32 v3, v18, v7
	v_and_b32_e32 v1, 0x3c1, v0
	v_cmp_eq_u32_e32 vcc, 64, v1
	s_waitcnt lgkmcnt(0)
	s_barrier
	v_pk_add_f32 v[2:3], v[6:7], v[2:3]
	s_and_saveexec_b64 s[0:1], vcc
; %bb.46:
	v_mov_b32_e32 v4, 0x90
	v_lshl_add_u32 v4, v17, 1, v4
	ds_write2_b32 v4, v2, v3 offset1:32
; %bb.47:
	s_or_b64 exec, exec, s[0:1]
	v_cmp_gt_u32_e32 vcc, 64, v0
	v_lshrrev_b32_e32 v0, 1, v0
	s_waitcnt lgkmcnt(0)
	s_barrier
	s_and_saveexec_b64 s[0:1], vcc
	s_cbranch_execz .LBB82_53
; %bb.48:
	v_mov_b32_e32 v4, 0x90
	v_cmp_eq_u32_e32 vcc, 0, v19
	v_lshl_add_u32 v4, v0, 2, v4
	s_and_saveexec_b64 s[2:3], vcc
	s_cbranch_execz .LBB82_50
; %bb.49:
	ds_read_b32 v5, v4
	s_waitcnt lgkmcnt(0)
	v_add_f32_e32 v2, v2, v5
.LBB82_50:
	s_or_b64 exec, exec, s[2:3]
	s_and_saveexec_b64 s[2:3], vcc
	s_cbranch_execz .LBB82_52
; %bb.51:
	ds_read_b32 v4, v4 offset:128
	s_waitcnt lgkmcnt(0)
	v_add_f32_e32 v3, v3, v4
.LBB82_52:
	s_or_b64 exec, exec, s[2:3]
.LBB82_53:
	s_or_b64 exec, exec, s[0:1]
	v_cmp_eq_u32_e32 vcc, 0, v1
	s_barrier
	s_and_saveexec_b64 s[0:1], vcc
	s_cbranch_execz .LBB82_55
; %bb.54:
	s_mul_i32 s0, s10, s11
	s_mul_i32 s0, s0, s5
	s_lshl_b32 s0, s0, 6
	s_ashr_i32 s1, s0, 31
	s_lshl_b64 s[0:1], s[0:1], 1
	s_add_u32 s2, s18, s0
	s_mul_i32 s0, s11, s16
	s_addc_u32 s3, s19, s1
	s_ashr_i32 s1, s0, 31
	s_lshl_b64 s[0:1], s[0:1], 1
	s_add_u32 s2, s2, s0
	s_addc_u32 s3, s3, s1
	s_lshl_b32 s0, s4, 6
	s_ashr_i32 s1, s0, 31
	s_lshl_b64 s[0:1], s[0:1], 1
	s_add_u32 s0, s2, s0
	s_addc_u32 s1, s3, s1
	v_lshlrev_b32_e32 v0, 1, v0
	;;#ASMSTART
	v_cvt_f16_f32 v1, v2;

	;;#ASMEND
	global_store_short v0, v1, s[0:1]
	;;#ASMSTART
	v_cvt_f16_f32 v1, v3;

	;;#ASMEND
	global_store_short v0, v1, s[0:1] offset:64
.LBB82_55:
	s_endpgm
	.section	.rodata,"a",@progbits
	.p2align	6, 0x0
	.amdhsa_kernel _ZN4vllm25paged_attention_v1_kernelIttLi64ELi16ELi128ELNS_18Fp8KVCacheDataTypeE0ELb0EEEvPT_PKS2_PKT0_S8_ifPKiSA_iPKfiiiSC_SC_iiiii
		.amdhsa_group_segment_fixed_size 144
		.amdhsa_private_segment_fixed_size 0
		.amdhsa_kernarg_size 384
		.amdhsa_user_sgpr_count 2
		.amdhsa_user_sgpr_dispatch_ptr 0
		.amdhsa_user_sgpr_queue_ptr 0
		.amdhsa_user_sgpr_kernarg_segment_ptr 1
		.amdhsa_user_sgpr_dispatch_id 0
		.amdhsa_user_sgpr_kernarg_preload_length 0
		.amdhsa_user_sgpr_kernarg_preload_offset 0
		.amdhsa_user_sgpr_private_segment_size 0
		.amdhsa_uses_dynamic_stack 0
		.amdhsa_enable_private_segment 0
		.amdhsa_system_sgpr_workgroup_id_x 1
		.amdhsa_system_sgpr_workgroup_id_y 1
		.amdhsa_system_sgpr_workgroup_id_z 1
		.amdhsa_system_sgpr_workgroup_info 0
		.amdhsa_system_vgpr_workitem_id 0
		.amdhsa_next_free_vgpr 44
		.amdhsa_next_free_sgpr 34
		.amdhsa_accum_offset 44
		.amdhsa_reserve_vcc 1
		.amdhsa_float_round_mode_32 0
		.amdhsa_float_round_mode_16_64 0
		.amdhsa_float_denorm_mode_32 3
		.amdhsa_float_denorm_mode_16_64 3
		.amdhsa_dx10_clamp 1
		.amdhsa_ieee_mode 1
		.amdhsa_fp16_overflow 0
		.amdhsa_tg_split 0
		.amdhsa_exception_fp_ieee_invalid_op 0
		.amdhsa_exception_fp_denorm_src 0
		.amdhsa_exception_fp_ieee_div_zero 0
		.amdhsa_exception_fp_ieee_overflow 0
		.amdhsa_exception_fp_ieee_underflow 0
		.amdhsa_exception_fp_ieee_inexact 0
		.amdhsa_exception_int_div_zero 0
	.end_amdhsa_kernel
	.section	.text._ZN4vllm25paged_attention_v1_kernelIttLi64ELi16ELi128ELNS_18Fp8KVCacheDataTypeE0ELb0EEEvPT_PKS2_PKT0_S8_ifPKiSA_iPKfiiiSC_SC_iiiii,"axG",@progbits,_ZN4vllm25paged_attention_v1_kernelIttLi64ELi16ELi128ELNS_18Fp8KVCacheDataTypeE0ELb0EEEvPT_PKS2_PKT0_S8_ifPKiSA_iPKfiiiSC_SC_iiiii,comdat
.Lfunc_end82:
	.size	_ZN4vllm25paged_attention_v1_kernelIttLi64ELi16ELi128ELNS_18Fp8KVCacheDataTypeE0ELb0EEEvPT_PKS2_PKT0_S8_ifPKiSA_iPKfiiiSC_SC_iiiii, .Lfunc_end82-_ZN4vllm25paged_attention_v1_kernelIttLi64ELi16ELi128ELNS_18Fp8KVCacheDataTypeE0ELb0EEEvPT_PKS2_PKT0_S8_ifPKiSA_iPKfiiiSC_SC_iiiii
                                        ; -- End function
	.set _ZN4vllm25paged_attention_v1_kernelIttLi64ELi16ELi128ELNS_18Fp8KVCacheDataTypeE0ELb0EEEvPT_PKS2_PKT0_S8_ifPKiSA_iPKfiiiSC_SC_iiiii.num_vgpr, 44
	.set _ZN4vllm25paged_attention_v1_kernelIttLi64ELi16ELi128ELNS_18Fp8KVCacheDataTypeE0ELb0EEEvPT_PKS2_PKT0_S8_ifPKiSA_iPKfiiiSC_SC_iiiii.num_agpr, 0
	.set _ZN4vllm25paged_attention_v1_kernelIttLi64ELi16ELi128ELNS_18Fp8KVCacheDataTypeE0ELb0EEEvPT_PKS2_PKT0_S8_ifPKiSA_iPKfiiiSC_SC_iiiii.numbered_sgpr, 34
	.set _ZN4vllm25paged_attention_v1_kernelIttLi64ELi16ELi128ELNS_18Fp8KVCacheDataTypeE0ELb0EEEvPT_PKS2_PKT0_S8_ifPKiSA_iPKfiiiSC_SC_iiiii.num_named_barrier, 0
	.set _ZN4vllm25paged_attention_v1_kernelIttLi64ELi16ELi128ELNS_18Fp8KVCacheDataTypeE0ELb0EEEvPT_PKS2_PKT0_S8_ifPKiSA_iPKfiiiSC_SC_iiiii.private_seg_size, 0
	.set _ZN4vllm25paged_attention_v1_kernelIttLi64ELi16ELi128ELNS_18Fp8KVCacheDataTypeE0ELb0EEEvPT_PKS2_PKT0_S8_ifPKiSA_iPKfiiiSC_SC_iiiii.uses_vcc, 1
	.set _ZN4vllm25paged_attention_v1_kernelIttLi64ELi16ELi128ELNS_18Fp8KVCacheDataTypeE0ELb0EEEvPT_PKS2_PKT0_S8_ifPKiSA_iPKfiiiSC_SC_iiiii.uses_flat_scratch, 0
	.set _ZN4vllm25paged_attention_v1_kernelIttLi64ELi16ELi128ELNS_18Fp8KVCacheDataTypeE0ELb0EEEvPT_PKS2_PKT0_S8_ifPKiSA_iPKfiiiSC_SC_iiiii.has_dyn_sized_stack, 0
	.set _ZN4vllm25paged_attention_v1_kernelIttLi64ELi16ELi128ELNS_18Fp8KVCacheDataTypeE0ELb0EEEvPT_PKS2_PKT0_S8_ifPKiSA_iPKfiiiSC_SC_iiiii.has_recursion, 0
	.set _ZN4vllm25paged_attention_v1_kernelIttLi64ELi16ELi128ELNS_18Fp8KVCacheDataTypeE0ELb0EEEvPT_PKS2_PKT0_S8_ifPKiSA_iPKfiiiSC_SC_iiiii.has_indirect_call, 0
	.section	.AMDGPU.csdata,"",@progbits
; Kernel info:
; codeLenInByte = 4832
; TotalNumSgprs: 40
; NumVgprs: 44
; NumAgprs: 0
; TotalNumVgprs: 44
; ScratchSize: 0
; MemoryBound: 0
; FloatMode: 240
; IeeeMode: 1
; LDSByteSize: 144 bytes/workgroup (compile time only)
; SGPRBlocks: 4
; VGPRBlocks: 5
; NumSGPRsForWavesPerEU: 40
; NumVGPRsForWavesPerEU: 44
; AccumOffset: 44
; Occupancy: 8
; WaveLimiterHint : 1
; COMPUTE_PGM_RSRC2:SCRATCH_EN: 0
; COMPUTE_PGM_RSRC2:USER_SGPR: 2
; COMPUTE_PGM_RSRC2:TRAP_HANDLER: 0
; COMPUTE_PGM_RSRC2:TGID_X_EN: 1
; COMPUTE_PGM_RSRC2:TGID_Y_EN: 1
; COMPUTE_PGM_RSRC2:TGID_Z_EN: 1
; COMPUTE_PGM_RSRC2:TIDIG_COMP_CNT: 0
; COMPUTE_PGM_RSRC3_GFX90A:ACCUM_OFFSET: 10
; COMPUTE_PGM_RSRC3_GFX90A:TG_SPLIT: 0
	.section	.text._ZN4vllm25paged_attention_v1_kernelIttLi80ELi16ELi128ELNS_18Fp8KVCacheDataTypeE0ELb0EEEvPT_PKS2_PKT0_S8_ifPKiSA_iPKfiiiSC_SC_iiiii,"axG",@progbits,_ZN4vllm25paged_attention_v1_kernelIttLi80ELi16ELi128ELNS_18Fp8KVCacheDataTypeE0ELb0EEEvPT_PKS2_PKT0_S8_ifPKiSA_iPKfiiiSC_SC_iiiii,comdat
	.protected	_ZN4vllm25paged_attention_v1_kernelIttLi80ELi16ELi128ELNS_18Fp8KVCacheDataTypeE0ELb0EEEvPT_PKS2_PKT0_S8_ifPKiSA_iPKfiiiSC_SC_iiiii ; -- Begin function _ZN4vllm25paged_attention_v1_kernelIttLi80ELi16ELi128ELNS_18Fp8KVCacheDataTypeE0ELb0EEEvPT_PKS2_PKT0_S8_ifPKiSA_iPKfiiiSC_SC_iiiii
	.globl	_ZN4vllm25paged_attention_v1_kernelIttLi80ELi16ELi128ELNS_18Fp8KVCacheDataTypeE0ELb0EEEvPT_PKS2_PKT0_S8_ifPKiSA_iPKfiiiSC_SC_iiiii
	.p2align	8
	.type	_ZN4vllm25paged_attention_v1_kernelIttLi80ELi16ELi128ELNS_18Fp8KVCacheDataTypeE0ELb0EEEvPT_PKS2_PKT0_S8_ifPKiSA_iPKfiiiSC_SC_iiiii,@function
_ZN4vllm25paged_attention_v1_kernelIttLi80ELi16ELi128ELNS_18Fp8KVCacheDataTypeE0ELb0EEEvPT_PKS2_PKT0_S8_ifPKiSA_iPKfiiiSC_SC_iiiii: ; @_ZN4vllm25paged_attention_v1_kernelIttLi80ELi16ELi128ELNS_18Fp8KVCacheDataTypeE0ELb0EEEvPT_PKS2_PKT0_S8_ifPKiSA_iPKfiiiSC_SC_iiiii
; %bb.0:
	s_load_dword s5, s[0:1], 0x80
	s_load_dwordx2 s[6:7], s[0:1], 0x30
	s_load_dwordx2 s[8:9], s[0:1], 0x20
	s_mov_b32 s10, s3
	s_ashr_i32 s11, s3, 31
	s_lshl_b64 s[12:13], s[10:11], 2
	s_waitcnt lgkmcnt(0)
	s_add_u32 s6, s6, s12
	s_addc_u32 s7, s7, s13
	s_abs_i32 s3, s8
	v_cvt_f32_u32_e32 v1, s3
	s_sub_i32 s12, 0, s3
	s_abs_i32 s11, s5
	s_xor_b32 s8, s5, s8
	v_rcp_iflag_f32_e32 v1, v1
	s_ashr_i32 s8, s8, 31
	v_mul_f32_e32 v1, 0x4f7ffffe, v1
	v_cvt_u32_f32_e32 v1, v1
	s_nop 0
	v_readfirstlane_b32 s13, v1
	s_mul_i32 s12, s12, s13
	s_mul_hi_u32 s12, s13, s12
	s_add_i32 s13, s13, s12
	s_mul_hi_u32 s12, s11, s13
	s_mul_i32 s13, s12, s3
	s_sub_i32 s11, s11, s13
	s_add_i32 s13, s12, 1
	s_sub_i32 s14, s11, s3
	s_cmp_ge_u32 s11, s3
	s_cselect_b32 s12, s13, s12
	s_cselect_b32 s11, s14, s11
	s_add_i32 s13, s12, 1
	s_cmp_ge_u32 s11, s3
	s_cselect_b32 s3, s13, s12
	s_xor_b32 s3, s3, s8
	s_sub_i32 s16, s3, s8
	s_abs_i32 s11, s16
	v_cvt_f32_u32_e32 v1, s11
	s_load_dwordx2 s[12:13], s[0:1], 0x40
	s_sub_i32 s3, 0, s11
	s_abs_i32 s18, s2
	v_rcp_iflag_f32_e32 v1, v1
	s_mov_b32 s8, 0
	v_mul_f32_e32 v1, 0x4f7ffffe, v1
	v_cvt_u32_f32_e32 v1, v1
	s_nop 0
	v_readfirstlane_b32 s14, v1
	s_mul_i32 s3, s3, s14
	s_mul_hi_u32 s3, s14, s3
	s_add_i32 s14, s14, s3
	s_waitcnt lgkmcnt(0)
	s_cmp_eq_u64 s[12:13], 0
	s_mul_hi_u32 s19, s18, s14
	s_cbranch_scc1 .LBB83_2
; %bb.1:
	s_ashr_i32 s3, s2, 31
	s_lshl_b64 s[14:15], s[2:3], 2
	s_add_u32 s12, s12, s14
	s_addc_u32 s13, s13, s15
	s_load_dword s8, s[12:13], 0x0
.LBB83_2:
	s_load_dword s33, s[6:7], 0x0
	s_nop 0
	s_load_dwordx4 s[12:15], s[0:1], 0x48
	s_ashr_i32 s6, s2, 31
	s_ashr_i32 s7, s16, 31
	v_and_b32_e32 v4, 3, v0
	s_mul_i32 s16, s2, 0x50
	v_cmp_gt_u32_e32 vcc, 40, v0
	s_and_saveexec_b64 s[2:3], vcc
	s_cbranch_execz .LBB83_4
; %bb.3:
	s_load_dwordx2 s[20:21], s[0:1], 0x8
	s_waitcnt lgkmcnt(0)
	s_mul_i32 s22, s12, s10
	s_ashr_i32 s23, s22, 31
	s_lshl_b64 s[22:23], s[22:23], 1
	v_lshlrev_b32_e32 v1, 2, v0
	s_add_u32 s12, s20, s22
	s_addc_u32 s15, s21, s23
	s_ashr_i32 s17, s16, 31
	s_lshl_b64 s[20:21], s[16:17], 1
	s_add_u32 s20, s12, s20
	s_addc_u32 s21, s15, s21
	global_load_dword v1, v1, s[20:21]
	v_and_b32_e32 v2, 0x3fc, v0
	v_mad_u32_u24 v2, v4, 40, v2
	s_waitcnt vmcnt(0)
	ds_write_b32 v2, v1
.LBB83_4:
	s_or_b64 exec, exec, s[2:3]
	s_waitcnt lgkmcnt(0)
	s_add_i32 s3, s33, 15
	s_ashr_i32 s12, s3, 31
	s_lshr_b32 s12, s12, 28
	s_add_i32 s3, s3, s12
	s_ashr_i32 s17, s3, 4
	s_xor_b32 s3, s6, s7
	s_mul_i32 s6, s19, s11
	s_sub_i32 s6, s18, s6
	s_add_i32 s7, s19, 1
	s_sub_i32 s12, s6, s11
	s_load_dwordx2 s[20:21], s[0:1], 0x28
	s_load_dword s2, s[0:1], 0x38
	s_cmp_ge_u32 s6, s11
	s_cselect_b32 s7, s7, s19
	s_cselect_b32 s6, s12, s6
	s_add_i32 s12, s7, 1
	s_cmp_ge_u32 s6, s11
	s_cselect_b32 s6, s12, s7
	v_lshrrev_b32_e32 v19, 6, v0
	s_xor_b32 s6, s6, s3
	s_waitcnt lgkmcnt(0)
	s_mul_i32 s22, s2, s10
	s_sub_i32 s12, s6, s3
	s_ashr_i32 s23, s22, 31
	v_cmp_le_i32_e64 s[6:7], s17, v19
	v_mbcnt_lo_u32_b32 v13, -1, 0
	s_barrier
                                        ; implicit-def: $vgpr6
                                        ; implicit-def: $vgpr8
                                        ; implicit-def: $vgpr7
	s_and_saveexec_b64 s[2:3], s[6:7]
	s_xor_b64 s[2:3], exec, s[2:3]
; %bb.5:
	v_mbcnt_hi_u32_b32 v6, -1, v13
	v_and_b32_e32 v8, 64, v6
	v_add_u32_e32 v7, 64, v8
                                        ; implicit-def: $vgpr4
                                        ; implicit-def: $vgpr13
; %bb.6:
	s_or_saveexec_b64 s[26:27], s[2:3]
	s_load_dwordx2 s[18:19], s[0:1], 0x0
	s_load_dwordx2 s[24:25], s[0:1], 0x18
	s_load_dword s11, s[0:1], 0x88
	v_mov_b32_e32 v9, 0xff7fffff
	s_mul_i32 s14, s12, s14
	v_lshrrev_b32_e32 v1, 4, v0
	s_xor_b64 exec, exec, s[26:27]
	s_cbranch_execz .LBB83_12
; %bb.7:
	s_load_dwordx2 s[0:1], s[0:1], 0x10
	s_ashr_i32 s15, s14, 31
	s_lshl_b64 s[2:3], s[14:15], 1
	v_bfe_u32 v5, v0, 2, 4
	v_lshlrev_b32_e32 v6, 4, v5
	s_waitcnt lgkmcnt(0)
	s_add_u32 s0, s0, s2
	s_addc_u32 s1, s1, s3
	v_mov_b32_e32 v7, 0
	v_lshl_add_u64 v[2:3], s[0:1], 0, v[6:7]
	v_lshlrev_b32_e32 v6, 2, v0
	s_sub_i32 s15, 1, s33
	s_lshl_b64 s[0:1], s[22:23], 2
	v_and_b32_e32 v6, 12, v6
	v_mul_u32_u24_e32 v10, 40, v4
	v_cmp_eq_u32_e32 vcc, 0, v4
	v_lshlrev_b32_e32 v4, 2, v5
	s_add_u32 s0, s20, s0
	v_lshl_add_u64 v[2:3], v[2:3], 0, v[6:7]
	v_lshl_or_b32 v4, v19, 6, v4
	v_and_b32_e32 v6, 60, v1
	s_addc_u32 s1, s21, s1
	v_lshl_or_b32 v11, v19, 4, v5
	v_add_u32_e32 v12, 0xb0, v4
	v_lshl_add_u64 v[4:5], s[0:1], 0, v[6:7]
	v_mbcnt_hi_u32_b32 v6, -1, v13
	v_and_b32_e32 v8, 64, v6
	s_mov_b32 s12, s13
	v_cmp_neq_f32_e64 s[2:3], s8, 0
	v_mov_b32_e32 v9, 0xff7fffff
	s_mov_b64 s[28:29], 0
	v_add_u32_e32 v7, 64, v8
	v_xor_b32_e32 v13, 2, v6
	v_xor_b32_e32 v14, 1, v6
	v_mov_b32_e32 v15, v19
	s_branch .LBB83_9
.LBB83_8:                               ;   in Loop: Header=BB83_9 Depth=1
	s_or_b64 exec, exec, s[30:31]
	v_add_u32_e32 v15, 2, v15
	v_cmp_le_i32_e64 s[0:1], s17, v15
	v_add_u32_e32 v11, 32, v11
	v_add_u32_e32 v12, 0x80, v12
	s_or_b64 s[28:29], s[0:1], s[28:29]
	v_lshl_add_u64 v[4:5], v[4:5], 0, 8
	s_andn2_b64 exec, exec, s[28:29]
	s_cbranch_execz .LBB83_11
.LBB83_9:                               ; =>This Inner Loop Header: Depth=1
	global_load_dword v16, v[4:5], off
	s_waitcnt vmcnt(0) lgkmcnt(0)
	v_mad_i64_i32 v[16:17], s[0:1], v16, s12, 0
	v_lshl_add_u64 v[16:17], v[16:17], 1, v[2:3]
	global_load_dword v18, v[16:17], off
	global_load_dword v20, v[16:17], off offset:256
	global_load_dword v21, v[16:17], off offset:512
	;; [unrolled: 1-line block ×9, first 2 shown]
	ds_read_b32 v16, v10
	v_cmp_lt_i32_e64 s[0:1], v13, v7
	s_waitcnt lgkmcnt(0)
	v_lshrrev_b32_e32 v29, 16, v16
	v_and_b32_e32 v16, 0xffff, v16
	;;#ASMSTART
	v_cvt_f32_f16 v16, v16;
	;;#ASMEND
	;;#ASMSTART
	v_cvt_f32_f16 v29, v29;
	;;#ASMEND
	v_cndmask_b32_e64 v17, v6, v13, s[0:1]
	v_lshlrev_b32_e32 v17, 2, v17
	v_cmp_lt_i32_e64 s[0:1], v14, v7
	s_waitcnt vmcnt(9)
	v_lshrrev_b32_e32 v30, 16, v18
	v_and_b32_e32 v18, 0xffff, v18
	;;#ASMSTART
	v_cvt_f32_f16 v18, v18;
	;;#ASMEND
	;;#ASMSTART
	v_cvt_f32_f16 v30, v30;
	;;#ASMEND
	ds_read_b32 v31, v10 offset:4
	s_waitcnt vmcnt(8)
	v_lshrrev_b32_e32 v32, 16, v20
	v_and_b32_e32 v33, 0xffff, v20
	s_waitcnt vmcnt(7)
	v_lshrrev_b32_e32 v34, 16, v21
	v_and_b32_e32 v35, 0xffff, v21
	s_waitcnt lgkmcnt(0)
	v_lshrrev_b32_e32 v21, 16, v31
	v_and_b32_e32 v20, 0xffff, v31
	;;#ASMSTART
	v_cvt_f32_f16 v20, v20;
	;;#ASMEND
	;;#ASMSTART
	v_cvt_f32_f16 v21, v21;
	;;#ASMEND
	;;#ASMSTART
	v_cvt_f32_f16 v31, v33;
	;;#ASMEND
	;;#ASMSTART
	v_cvt_f32_f16 v32, v32;
	;;#ASMEND
	ds_read_b32 v33, v10 offset:8
	s_waitcnt vmcnt(6)
	v_lshrrev_b32_e32 v36, 16, v22
	v_and_b32_e32 v37, 0xffff, v22
	s_waitcnt vmcnt(5)
	v_lshrrev_b32_e32 v38, 16, v23
	v_and_b32_e32 v39, 0xffff, v23
	s_waitcnt lgkmcnt(0)
	v_lshrrev_b32_e32 v23, 16, v33
	v_and_b32_e32 v22, 0xffff, v33
	;;#ASMSTART
	v_cvt_f32_f16 v22, v22;
	;;#ASMEND
	;;#ASMSTART
	v_cvt_f32_f16 v23, v23;
	;;#ASMEND
	;; [unrolled: 22-line block ×4, first 2 shown]
	;;#ASMSTART
	v_cvt_f32_f16 v37, v39;
	;;#ASMEND
	;;#ASMSTART
	v_cvt_f32_f16 v38, v38;
	;;#ASMEND
	ds_read_b32 v39, v10 offset:20
	s_waitcnt vmcnt(0)
	v_lshrrev_b32_e32 v48, 16, v28
	v_and_b32_e32 v49, 0xffff, v28
	v_mul_f32_e32 v20, v20, v31
	v_mul_f32_e32 v21, v21, v32
	s_waitcnt lgkmcnt(0)
	v_lshrrev_b32_e32 v31, 16, v39
	v_and_b32_e32 v28, 0xffff, v39
	;;#ASMSTART
	v_cvt_f32_f16 v28, v28;
	;;#ASMEND
	;;#ASMSTART
	v_cvt_f32_f16 v31, v31;
	;;#ASMEND
	;;#ASMSTART
	v_cvt_f32_f16 v32, v41;
	;;#ASMEND
	;;#ASMSTART
	v_cvt_f32_f16 v39, v40;
	;;#ASMEND
	ds_read_b32 v40, v10 offset:24
	v_fmac_f32_e32 v20, v16, v18
	v_fmac_f32_e32 v21, v29, v30
	v_fmac_f32_e32 v20, v22, v33
	v_fmac_f32_e32 v21, v23, v34
	s_waitcnt lgkmcnt(0)
	v_lshrrev_b32_e32 v18, 16, v40
	v_and_b32_e32 v16, 0xffff, v40
	;;#ASMSTART
	v_cvt_f32_f16 v16, v16;
	;;#ASMEND
	;;#ASMSTART
	v_cvt_f32_f16 v18, v18;
	;;#ASMEND
	;;#ASMSTART
	v_cvt_f32_f16 v22, v43;
	;;#ASMEND
	;;#ASMSTART
	v_cvt_f32_f16 v23, v42;
	;;#ASMEND
	ds_read_b32 v29, v10 offset:28
	v_fmac_f32_e32 v20, v24, v35
	v_fmac_f32_e32 v21, v25, v36
	v_fmac_f32_e32 v20, v26, v37
	v_fmac_f32_e32 v21, v27, v38
	s_waitcnt lgkmcnt(0)
	v_lshrrev_b32_e32 v25, 16, v29
	v_and_b32_e32 v24, 0xffff, v29
	;;#ASMSTART
	v_cvt_f32_f16 v24, v24;
	;;#ASMEND
	;;#ASMSTART
	v_cvt_f32_f16 v25, v25;
	;;#ASMEND
	;;#ASMSTART
	v_cvt_f32_f16 v26, v45;
	;;#ASMEND
	;;#ASMSTART
	v_cvt_f32_f16 v27, v44;
	;;#ASMEND
	ds_read_b32 v29, v10 offset:32
	v_fmac_f32_e32 v20, v28, v32
	v_fmac_f32_e32 v21, v31, v39
	v_fmac_f32_e32 v20, v16, v22
	v_fmac_f32_e32 v21, v18, v23
	s_waitcnt lgkmcnt(0)
	v_lshrrev_b32_e32 v18, 16, v29
	v_and_b32_e32 v16, 0xffff, v29
	;;#ASMSTART
	v_cvt_f32_f16 v16, v16;
	;;#ASMEND
	;;#ASMSTART
	v_cvt_f32_f16 v18, v18;
	;;#ASMEND
	;;#ASMSTART
	v_cvt_f32_f16 v22, v47;
	;;#ASMEND
	;;#ASMSTART
	v_cvt_f32_f16 v23, v46;
	;;#ASMEND
	ds_read_b32 v28, v10 offset:36
	v_fmac_f32_e32 v20, v24, v26
	v_fmac_f32_e32 v21, v25, v27
	v_fmac_f32_e32 v20, v16, v22
	v_fmac_f32_e32 v21, v18, v23
	s_waitcnt lgkmcnt(0)
	v_lshrrev_b32_e32 v18, 16, v28
	v_and_b32_e32 v16, 0xffff, v28
	;;#ASMSTART
	v_cvt_f32_f16 v16, v16;
	;;#ASMEND
	;;#ASMSTART
	v_cvt_f32_f16 v18, v18;
	;;#ASMEND
	;; [unrolled: 3-line block ×4, first 2 shown]
	s_nop 0
	v_fmac_f32_e32 v20, v16, v22
	v_fmac_f32_e32 v21, v18, v23
	v_add_f32_e32 v16, v20, v21
	ds_bpermute_b32 v17, v17, v16
	v_cndmask_b32_e64 v18, v6, v14, s[0:1]
	s_waitcnt lgkmcnt(0)
	v_add_f32_e32 v16, v16, v17
	v_lshlrev_b32_e32 v17, 2, v18
	ds_bpermute_b32 v17, v17, v16
	s_and_saveexec_b64 s[30:31], vcc
	s_cbranch_execz .LBB83_8
; %bb.10:                               ;   in Loop: Header=BB83_9 Depth=1
	v_add_u32_e32 v18, s15, v11
	v_cvt_f32_i32_e32 v18, v18
	s_waitcnt lgkmcnt(0)
	v_add_f32_e32 v16, v16, v17
	v_cmp_gt_i32_e64 s[0:1], s33, v11
	v_max_f32_e32 v17, v9, v9
	v_mul_f32_e32 v18, s8, v18
	v_cndmask_b32_e64 v18, 0, v18, s[2:3]
	v_fmac_f32_e32 v18, s9, v16
	v_cndmask_b32_e64 v16, 0, v18, s[0:1]
	ds_write_b32 v12, v16
	v_max_f32_e32 v16, v17, v18
	v_cndmask_b32_e64 v9, v9, v16, s[0:1]
	s_branch .LBB83_8
.LBB83_11:
	s_or_b64 exec, exec, s[28:29]
.LBB83_12:
	s_or_b64 exec, exec, s[26:27]
	v_xor_b32_e32 v2, 32, v6
	v_cmp_lt_i32_e32 vcc, v2, v7
	v_xor_b32_e32 v5, 16, v6
	v_max_f32_e32 v4, v9, v9
	v_cndmask_b32_e32 v2, v6, v2, vcc
	v_lshlrev_b32_e32 v2, 2, v2
	ds_bpermute_b32 v3, v2, v9
	v_cmp_lt_i32_e32 vcc, v5, v7
	v_xor_b32_e32 v9, 8, v6
	v_xor_b32_e32 v11, 4, v6
	s_waitcnt lgkmcnt(0)
	v_max_f32_e32 v3, v3, v3
	v_max_f32_e32 v4, v4, v3
	v_cndmask_b32_e32 v3, v6, v5, vcc
	v_lshlrev_b32_e32 v3, 2, v3
	ds_bpermute_b32 v5, v3, v4
	v_cmp_lt_i32_e32 vcc, v9, v7
	s_waitcnt lgkmcnt(0)
	v_max_f32_e32 v5, v5, v5
	v_max_f32_e32 v4, v4, v5
	v_cndmask_b32_e32 v5, v6, v9, vcc
	v_lshlrev_b32_e32 v10, 2, v5
	ds_bpermute_b32 v5, v10, v4
	v_cmp_lt_i32_e32 vcc, v11, v7
	s_waitcnt lgkmcnt(0)
	v_max_f32_e32 v5, v5, v5
	v_max_f32_e32 v9, v4, v5
	v_cndmask_b32_e32 v4, v6, v11, vcc
	v_lshlrev_b32_e32 v11, 2, v4
	ds_bpermute_b32 v12, v11, v9
	v_and_b32_e32 v4, 63, v0
	v_cmp_eq_u32_e32 vcc, 0, v4
	v_lshlrev_b32_e32 v5, 2, v19
	s_and_saveexec_b64 s[0:1], vcc
	s_cbranch_execz .LBB83_14
; %bb.13:
	s_waitcnt lgkmcnt(0)
	v_max_f32_e32 v12, v12, v12
	v_max_f32_e32 v9, v9, v9
	;; [unrolled: 1-line block ×3, first 2 shown]
	ds_write_b32 v5, v9 offset:160
.LBB83_14:
	s_or_b64 exec, exec, s[0:1]
	v_cmp_gt_u32_e64 s[0:1], 2, v4
	s_waitcnt lgkmcnt(0)
	v_mov_b32_e32 v12, 0xff7fffff
	v_lshlrev_b32_e32 v9, 2, v4
	s_barrier
	s_and_saveexec_b64 s[2:3], s[0:1]
; %bb.15:
	ds_read_b32 v12, v9 offset:160
; %bb.16:
	s_or_b64 exec, exec, s[2:3]
	v_xor_b32_e32 v13, 1, v6
	v_cmp_lt_i32_e64 s[2:3], v13, v7
	v_lshlrev_b32_e32 v8, 2, v8
	s_nop 0
	v_cndmask_b32_e64 v13, v6, v13, s[2:3]
	v_lshlrev_b32_e32 v20, 2, v13
	s_waitcnt lgkmcnt(0)
	ds_bpermute_b32 v13, v20, v12
	v_max_f32_e32 v12, v12, v12
	s_lshl_b32 s2, s17, 4
	s_min_i32 s12, s2, s33
	v_cmp_gt_i32_e64 s[2:3], s12, v0
	s_waitcnt lgkmcnt(0)
	v_max_f32_e32 v13, v13, v13
	v_max_f32_e32 v12, v12, v13
	ds_bpermute_b32 v12, v8, v12
	v_mov_b32_e32 v8, 0
	s_and_saveexec_b64 s[26:27], s[2:3]
	s_cbranch_execz .LBB83_20
; %bb.17:
	v_mov_b32_e32 v8, 0xb0
	v_lshl_add_u32 v13, v0, 2, v8
	v_mov_b32_e32 v8, 0
	s_mov_b64 s[28:29], 0
	v_mov_b32_e32 v14, v0
.LBB83_18:                              ; =>This Inner Loop Header: Depth=1
	ds_read_b32 v15, v13
	v_add_u32_e32 v14, 0x80, v14
	v_cmp_le_i32_e64 s[8:9], s12, v14
	s_or_b64 s[28:29], s[8:9], s[28:29]
	s_waitcnt lgkmcnt(0)
	v_sub_f32_e32 v15, v15, v12
	v_mul_f32_e32 v15, 0x3fb8aa3b, v15
	v_exp_f32_e32 v15, v15
	ds_write_b32 v13, v15
	v_add_f32_e32 v8, v8, v15
	v_add_u32_e32 v13, 0x200, v13
	s_andn2_b64 exec, exec, s[28:29]
	s_cbranch_execnz .LBB83_18
; %bb.19:
	s_or_b64 exec, exec, s[28:29]
.LBB83_20:
	s_or_b64 exec, exec, s[26:27]
	ds_bpermute_b32 v2, v2, v8
	s_waitcnt lgkmcnt(0)
	v_add_f32_e32 v2, v8, v2
	ds_bpermute_b32 v3, v3, v2
	v_xor_b32_e32 v8, 2, v6
	v_cmp_lt_i32_e64 s[8:9], v8, v7
	s_waitcnt lgkmcnt(0)
	v_add_f32_e32 v2, v2, v3
	ds_bpermute_b32 v3, v10, v2
	v_cndmask_b32_e64 v7, v6, v8, s[8:9]
	s_waitcnt lgkmcnt(0)
	v_add_f32_e32 v2, v2, v3
	ds_bpermute_b32 v3, v11, v2
	s_waitcnt lgkmcnt(0)
	v_add_f32_e32 v2, v2, v3
	v_lshlrev_b32_e32 v3, 2, v7
	ds_bpermute_b32 v3, v3, v2
	s_waitcnt lgkmcnt(0)
	v_add_f32_e32 v2, v2, v3
	ds_bpermute_b32 v3, v20, v2
	s_waitcnt lgkmcnt(0)
	v_add_f32_e32 v2, v2, v3
	s_and_saveexec_b64 s[8:9], vcc
; %bb.21:
	ds_write_b32 v5, v2 offset:168
; %bb.22:
	s_or_b64 exec, exec, s[8:9]
	s_waitcnt lgkmcnt(0)
	s_barrier
	s_and_saveexec_b64 s[8:9], s[0:1]
; %bb.23:
	ds_read_b32 v2, v9 offset:168
; %bb.24:
	s_or_b64 exec, exec, s[8:9]
	s_waitcnt lgkmcnt(0)
	ds_bpermute_b32 v3, v20, v2
	v_lshlrev_b32_e32 v5, 2, v6
	s_waitcnt lgkmcnt(0)
	v_add_f32_e32 v2, v2, v3
	v_and_b32_e32 v3, 0xffffff00, v5
	ds_bpermute_b32 v2, v3, v2
	s_and_saveexec_b64 s[0:1], s[2:3]
	s_cbranch_execz .LBB83_37
; %bb.25:
	s_waitcnt lgkmcnt(0)
	v_add_f32_e32 v2, 0x358637bd, v2
	v_div_scale_f32 v3, s[2:3], v2, v2, 1.0
	v_rcp_f32_e32 v5, v3
	v_div_scale_f32 v6, vcc, 1.0, v2, 1.0
	s_movk_i32 s2, 0x7f
	v_fma_f32 v7, -v3, v5, 1.0
	v_fmac_f32_e32 v5, v7, v5
	v_mul_f32_e32 v7, v6, v5
	v_fma_f32 v8, -v3, v7, v6
	v_fmac_f32_e32 v7, v8, v5
	v_fma_f32 v3, -v3, v7, v6
	v_div_fmas_f32 v3, v3, v5, v7
	v_xad_u32 v5, v0, -1, s12
	v_div_fixup_f32 v2, v3, v2, 1.0
	v_cmp_lt_u32_e32 vcc, s2, v5
	s_mov_b64 s[8:9], -1
	v_mov_b32_e32 v3, v0
	s_and_saveexec_b64 s[2:3], vcc
	s_cbranch_execz .LBB83_34
; %bb.26:
	v_lshrrev_b32_e32 v5, 7, v5
	v_add_u32_e32 v7, -1, v5
	v_lshrrev_b32_e32 v6, 1, v7
	v_mov_b32_e32 v3, v2
	v_add_u32_e32 v6, 1, v6
	v_cmp_lt_u32_e32 vcc, 13, v7
	v_mov_b32_e32 v9, 0
	s_and_saveexec_b64 s[8:9], vcc
	s_cbranch_execz .LBB83_30
; %bb.27:
	v_mov_b32_e32 v8, 0xb0
	v_and_b32_e32 v7, -8, v6
	v_lshl_add_u32 v8, v0, 2, v8
	s_mov_b32 s15, 0
	s_mov_b64 s[26:27], 0
.LBB83_28:                              ; =>This Inner Loop Header: Depth=1
	ds_read2st64_b32 v[10:11], v8 offset1:2
	ds_read2st64_b32 v[12:13], v8 offset0:4 offset1:6
	ds_read2st64_b32 v[14:15], v8 offset0:8 offset1:10
	;; [unrolled: 1-line block ×3, first 2 shown]
	v_add_u32_e32 v7, -8, v7
	s_waitcnt lgkmcnt(3)
	v_pk_mul_f32 v[10:11], v[2:3], v[10:11]
	s_waitcnt lgkmcnt(2)
	v_pk_mul_f32 v[12:13], v[2:3], v[12:13]
	ds_write2st64_b32 v8, v10, v11 offset1:2
	ds_write2st64_b32 v8, v12, v13 offset0:4 offset1:6
	ds_read2st64_b32 v[12:13], v8 offset0:16 offset1:18
	s_waitcnt lgkmcnt(4)
	v_pk_mul_f32 v[10:11], v[2:3], v[14:15]
	ds_write2st64_b32 v8, v10, v11 offset0:8 offset1:10
	s_waitcnt lgkmcnt(4)
	v_pk_mul_f32 v[10:11], v[2:3], v[16:17]
	ds_write2st64_b32 v8, v10, v11 offset0:12 offset1:14
	ds_read2st64_b32 v[10:11], v8 offset0:20 offset1:22
	s_waitcnt lgkmcnt(3)
	v_pk_mul_f32 v[12:13], v[2:3], v[12:13]
	ds_read2st64_b32 v[14:15], v8 offset0:24 offset1:26
	ds_write2st64_b32 v8, v12, v13 offset0:16 offset1:18
	ds_read2st64_b32 v[12:13], v8 offset0:28 offset1:30
	s_waitcnt lgkmcnt(3)
	v_pk_mul_f32 v[10:11], v[2:3], v[10:11]
	ds_write2st64_b32 v8, v10, v11 offset0:20 offset1:22
	s_waitcnt lgkmcnt(3)
	v_pk_mul_f32 v[10:11], v[2:3], v[14:15]
	ds_write2st64_b32 v8, v10, v11 offset0:24 offset1:26
	s_waitcnt lgkmcnt(2)
	v_pk_mul_f32 v[10:11], v[2:3], v[12:13]
	s_add_i32 s15, s15, 16
	v_cmp_eq_u32_e32 vcc, 0, v7
	ds_write2st64_b32 v8, v10, v11 offset0:28 offset1:30
	v_add_u32_e32 v8, 0x2000, v8
	s_or_b64 s[26:27], vcc, s[26:27]
	v_mov_b32_e32 v9, s15
	s_andn2_b64 exec, exec, s[26:27]
	s_cbranch_execnz .LBB83_28
; %bb.29:
	s_or_b64 exec, exec, s[26:27]
.LBB83_30:
	s_or_b64 exec, exec, s[8:9]
	v_and_b32_e32 v6, 7, v6
	v_cmp_ne_u32_e32 vcc, 0, v6
	s_and_saveexec_b64 s[8:9], vcc
	s_cbranch_execz .LBB83_33
; %bb.31:
	v_lshlrev_b32_e32 v7, 9, v9
	v_lshlrev_b32_e32 v8, 2, v0
	s_movk_i32 s15, 0xb0
	v_add3_u32 v7, v7, v8, s15
	s_mov_b64 s[26:27], 0
.LBB83_32:                              ; =>This Inner Loop Header: Depth=1
	ds_read2st64_b32 v[8:9], v7 offset1:2
	v_add_u32_e32 v6, -1, v6
	v_cmp_eq_u32_e32 vcc, 0, v6
	s_or_b64 s[26:27], vcc, s[26:27]
	s_waitcnt lgkmcnt(0)
	v_pk_mul_f32 v[8:9], v[2:3], v[8:9]
	ds_write2st64_b32 v7, v8, v9 offset1:2
	v_add_u32_e32 v7, 0x400, v7
	s_andn2_b64 exec, exec, s[26:27]
	s_cbranch_execnz .LBB83_32
.LBB83_33:
	s_or_b64 exec, exec, s[8:9]
	v_add_u32_e32 v5, 1, v5
	v_and_b32_e32 v6, 0x3fffffe, v5
	v_cmp_ne_u32_e32 vcc, v5, v6
	v_lshl_add_u32 v3, v6, 7, v0
	s_orn2_b64 s[8:9], vcc, exec
.LBB83_34:
	s_or_b64 exec, exec, s[2:3]
	s_and_b64 exec, exec, s[8:9]
	s_cbranch_execz .LBB83_37
; %bb.35:
	v_mov_b32_e32 v5, 0xb0
	v_lshl_add_u32 v5, v3, 2, v5
	s_mov_b64 s[2:3], 0
.LBB83_36:                              ; =>This Inner Loop Header: Depth=1
	ds_read_b32 v6, v5
	v_add_u32_e32 v3, 0x80, v3
	v_cmp_le_i32_e32 vcc, s12, v3
	s_or_b64 s[2:3], vcc, s[2:3]
	s_waitcnt lgkmcnt(0)
	v_mul_f32_e32 v6, v2, v6
	ds_write_b32 v5, v6
	v_add_u32_e32 v5, 0x200, v5
	s_andn2_b64 exec, exec, s[2:3]
	s_cbranch_execnz .LBB83_36
.LBB83_37:
	s_or_b64 exec, exec, s[0:1]
	v_lshrrev_b32_e32 v21, 1, v4
	s_waitcnt lgkmcnt(0)
	s_barrier
	s_and_saveexec_b64 s[0:1], s[6:7]
	s_xor_b64 s[0:1], exec, s[0:1]
; %bb.38:
	v_lshrrev_b32_e32 v21, 1, v4
                                        ; implicit-def: $vgpr19
                                        ; implicit-def: $vgpr1
; %bb.39:
	s_or_saveexec_b64 s[6:7], s[0:1]
	v_mov_b32_e32 v7, 0
	v_and_b32_e32 v22, 1, v0
	v_mov_b32_e32 v6, 0
	v_mov_b32_e32 v23, 0
	s_xor_b64 exec, exec, s[6:7]
	s_cbranch_execz .LBB83_51
; %bb.40:
	s_ashr_i32 s15, s14, 31
	s_lshl_b64 s[0:1], s[14:15], 1
	v_lshlrev_b32_e32 v2, 3, v0
	s_add_u32 s8, s24, s0
	v_and_b32_e32 v3, 8, v2
	s_addc_u32 s9, s25, s1
	s_add_i32 s24, s17, -1
	v_or_b32_e32 v4, 64, v21
	s_movk_i32 s0, 0x50
	s_lshl_b64 s[2:3], s[22:23], 2
	v_lshl_or_b32 v2, v21, 4, v3
	v_cmp_gt_u32_e64 s[0:1], s0, v4
	v_lshl_or_b32 v4, v4, 4, v3
	v_lshl_or_b32 v24, v19, 4, v3
	v_lshlrev_b32_e32 v3, 5, v22
	s_add_u32 s2, s20, s2
	v_mov_b32_e32 v9, 0
	v_lshl_or_b32 v3, v19, 6, v3
	v_and_b32_e32 v8, 60, v1
	s_addc_u32 s3, s21, s3
	s_mov_b32 s26, s13
	s_mov_b32 s25, s33
	v_add_u32_e32 v25, 0xb0, v3
	v_lshl_add_u64 v[10:11], s[2:3], 0, v[8:9]
	s_mov_b64 s[12:13], 0
	v_lshlrev_b32_e32 v12, 1, v2
	v_mov_b32_e32 v13, v9
	s_mov_b32 s22, 0xffff
	v_lshlrev_b32_e32 v8, 1, v4
	v_mov_b32_e32 v23, v9
	v_mov_b32_e32 v7, v9
	;; [unrolled: 1-line block ×3, first 2 shown]
	s_branch .LBB83_43
.LBB83_41:                              ;   in Loop: Header=BB83_43 Depth=1
	s_or_b64 exec, exec, s[20:21]
	v_lshlrev_b32_e32 v14, 16, v14
	v_lshlrev_b32_e32 v1, 16, v1
	v_and_or_b32 v2, v2, s22, v14
	v_and_or_b32 v1, v3, s22, v1
	v_lshlrev_b32_e32 v3, 16, v15
	v_and_or_b32 v3, v4, s22, v3
	;;#ASMSTART
	v_pk_mul_f16 v2, v28, v2;

	;;#ASMEND
	;;#ASMSTART
	v_pk_mul_f16 v1, v29, v1;

	;;#ASMEND
	;; [unrolled: 4-line block ×4, first 2 shown]
	s_nop 0
	;;#ASMSTART
	v_pk_add_f16 v1, v2, v1;

	;;#ASMEND
	s_nop 0
	;;#ASMSTART
	v_pk_add_f16 v1, v1, v3;

	;;#ASMEND
	;; [unrolled: 5-line block ×3, first 2 shown]
	s_nop 0
	v_lshrrev_b32_e32 v2, 16, v1
	v_and_b32_e32 v1, 0xffff, v1
	;;#ASMSTART
	v_cvt_f32_f16 v1, v1;
	;;#ASMEND
	;;#ASMSTART
	v_cvt_f32_f16 v2, v2;
	;;#ASMEND
	s_nop 0
	v_add_f32_e32 v1, v1, v2
	v_add_f32_e32 v23, v23, v1
.LBB83_42:                              ;   in Loop: Header=BB83_43 Depth=1
	s_or_b64 exec, exec, s[14:15]
	v_add_f32_e32 v1, v16, v17
	v_add_u32_e32 v19, 2, v19
	v_add_f32_e32 v7, v7, v1
	v_add_f32_e32 v1, v18, v26
	v_cmp_le_i32_e32 vcc, s17, v19
	v_add_f32_e32 v6, v6, v1
	v_add_u32_e32 v24, 32, v24
	v_add_u32_e32 v25, 0x80, v25
	s_or_b64 s[12:13], vcc, s[12:13]
	v_lshl_add_u64 v[10:11], v[10:11], 0, 8
	s_andn2_b64 exec, exec, s[12:13]
	s_cbranch_execz .LBB83_50
.LBB83_43:                              ; =>This Inner Loop Header: Depth=1
	global_load_dword v1, v[10:11], off
	ds_read2_b64 v[2:5], v25 offset1:1
	ds_read2_b64 v[14:17], v25 offset0:2 offset1:3
	s_waitcnt lgkmcnt(1)
	;;#ASMSTART
	v_cvt_f16_f32 v26, v2;

	;;#ASMEND
	;;#ASMSTART
	v_cvt_f16_f32 v27, v3;

	;;#ASMEND
	;; [unrolled: 4-line block ×4, first 2 shown]
	s_waitcnt lgkmcnt(0)
	;;#ASMSTART
	v_cvt_f16_f32 v31, v14;

	;;#ASMEND
	;;#ASMSTART
	v_cvt_f16_f32 v32, v15;

	;;#ASMEND
	;; [unrolled: 4-line block ×4, first 2 shown]
	s_waitcnt vmcnt(0)
	v_mad_i64_i32 v[2:3], s[2:3], v1, s26, 0
	v_lshl_add_u64 v[14:15], v[2:3], 1, s[8:9]
	v_lshl_add_u64 v[16:17], v[14:15], 0, v[12:13]
	global_load_dwordx4 v[2:5], v[16:17], off
	v_cmp_eq_u32_e64 s[2:3], s24, v19
	s_waitcnt vmcnt(0)
	v_lshrrev_b32_e32 v1, 16, v3
	v_lshrrev_b32_e32 v18, 16, v2
	;; [unrolled: 1-line block ×3, first 2 shown]
	s_and_saveexec_b64 s[14:15], s[2:3]
	s_cbranch_execz .LBB83_45
; %bb.44:                               ;   in Loop: Header=BB83_43 Depth=1
	v_cmp_gt_i32_e32 vcc, s33, v24
	v_add_u32_e32 v37, 2, v24
	v_or_b32_e32 v28, 3, v24
	v_cndmask_b32_e32 v2, 0, v2, vcc
	v_cmp_gt_i32_e32 vcc, s33, v37
	v_or_b32_e32 v36, 1, v24
	s_nop 0
	v_cndmask_b32_e32 v3, 0, v3, vcc
	v_cmp_gt_i32_e32 vcc, s25, v28
	v_add_u32_e32 v28, 4, v24
	s_nop 0
	v_cndmask_b32_e32 v1, 0, v1, vcc
	v_cmp_gt_i32_e32 vcc, s33, v36
	v_add_u32_e32 v36, 7, v24
	;; [unrolled: 4-line block ×4, first 2 shown]
	s_nop 0
	v_cndmask_b32_e32 v35, 0, v35, vcc
	v_cmp_gt_i32_e32 vcc, s33, v28
	s_nop 1
	v_cndmask_b32_sdwa v28, v9, v5, vcc dst_sel:DWORD dst_unused:UNUSED_PAD src0_sel:DWORD src1_sel:WORD_0
	v_and_b32_e32 v5, 0xffff0000, v5
	v_cmp_gt_i32_e32 vcc, s33, v36
	s_nop 1
	v_cndmask_b32_e32 v5, 0, v5, vcc
	v_or_b32_e32 v5, v28, v5
.LBB83_45:                              ;   in Loop: Header=BB83_43 Depth=1
	s_or_b64 exec, exec, s[14:15]
	v_and_b32_e32 v26, 0xffff, v26
	v_lshl_or_b32 v28, v27, 16, v26
	v_and_b32_e32 v26, 0xffff, v29
	v_lshlrev_b32_e32 v18, 16, v18
	v_lshlrev_b32_e32 v1, 16, v1
	v_lshl_or_b32 v29, v30, 16, v26
	v_and_b32_e32 v26, 0xffff, v31
	v_and_or_b32 v2, v2, s22, v18
	v_and_or_b32 v1, v3, s22, v1
	v_lshlrev_b32_e32 v3, 16, v35
	v_lshl_or_b32 v30, v32, 16, v26
	v_and_b32_e32 v26, 0xffff, v33
	v_and_or_b32 v3, v4, s22, v3
	;;#ASMSTART
	v_pk_mul_f16 v2, v28, v2;

	;;#ASMEND
	;;#ASMSTART
	v_pk_mul_f16 v1, v29, v1;

	;;#ASMEND
	v_lshl_or_b32 v27, v34, 16, v26
	;;#ASMSTART
	v_pk_mul_f16 v3, v30, v3;

	;;#ASMEND
	;;#ASMSTART
	v_pk_mul_f16 v4, v27, v5;

	;;#ASMEND
	;;#ASMSTART
	v_pk_add_f16 v1, v2, v1;

	;;#ASMEND
	s_nop 0
	;;#ASMSTART
	v_pk_add_f16 v1, v1, v3;

	;;#ASMEND
	s_nop 0
	;; [unrolled: 5-line block ×3, first 2 shown]
	v_lshrrev_b32_e32 v2, 16, v1
	v_and_b32_e32 v1, 0xffff, v1
	;;#ASMSTART
	v_cvt_f32_f16 v18, v1;
	;;#ASMEND
	;;#ASMSTART
	v_cvt_f32_f16 v26, v2;
	;;#ASMEND
	global_load_dwordx4 v[2:5], v[16:17], off offset:1024
	s_waitcnt vmcnt(0)
	v_lshrrev_b32_e32 v1, 16, v3
	v_lshrrev_b32_e32 v16, 16, v2
	v_lshrrev_b32_e32 v17, 16, v4
	s_and_saveexec_b64 s[14:15], s[2:3]
	s_cbranch_execz .LBB83_47
; %bb.46:                               ;   in Loop: Header=BB83_43 Depth=1
	v_cmp_gt_i32_e32 vcc, s33, v24
	v_add_u32_e32 v33, 2, v24
	v_or_b32_e32 v31, 3, v24
	v_cndmask_b32_e32 v2, 0, v2, vcc
	v_cmp_gt_i32_e32 vcc, s33, v33
	v_or_b32_e32 v32, 1, v24
	s_nop 0
	v_cndmask_b32_e32 v3, 0, v3, vcc
	v_cmp_gt_i32_e32 vcc, s25, v31
	v_add_u32_e32 v31, 4, v24
	s_nop 0
	v_cndmask_b32_e32 v1, 0, v1, vcc
	v_cmp_gt_i32_e32 vcc, s33, v32
	v_add_u32_e32 v32, 7, v24
	;; [unrolled: 4-line block ×4, first 2 shown]
	s_nop 0
	v_cndmask_b32_e32 v17, 0, v17, vcc
	v_cmp_gt_i32_e32 vcc, s33, v31
	s_nop 1
	v_cndmask_b32_sdwa v31, v9, v5, vcc dst_sel:DWORD dst_unused:UNUSED_PAD src0_sel:DWORD src1_sel:WORD_0
	v_and_b32_e32 v5, 0xffff0000, v5
	v_cmp_gt_i32_e32 vcc, s33, v32
	s_nop 1
	v_cndmask_b32_e32 v5, 0, v5, vcc
	v_or_b32_e32 v5, v31, v5
.LBB83_47:                              ;   in Loop: Header=BB83_43 Depth=1
	s_or_b64 exec, exec, s[14:15]
	v_lshlrev_b32_e32 v16, 16, v16
	v_lshlrev_b32_e32 v1, 16, v1
	v_and_or_b32 v2, v2, s22, v16
	v_and_or_b32 v1, v3, s22, v1
	v_lshlrev_b32_e32 v3, 16, v17
	v_and_or_b32 v3, v4, s22, v3
	;;#ASMSTART
	v_pk_mul_f16 v2, v28, v2;

	;;#ASMEND
	;;#ASMSTART
	v_pk_mul_f16 v1, v29, v1;

	;;#ASMEND
	;; [unrolled: 4-line block ×4, first 2 shown]
	s_nop 0
	;;#ASMSTART
	v_pk_add_f16 v1, v2, v1;

	;;#ASMEND
	s_nop 0
	;;#ASMSTART
	v_pk_add_f16 v1, v1, v3;

	;;#ASMEND
	s_nop 0
	;;#ASMSTART
	v_pk_add_f16 v1, v1, v4;

	;;#ASMEND
	s_nop 0
	v_lshrrev_b32_e32 v2, 16, v1
	v_and_b32_e32 v1, 0xffff, v1
	;;#ASMSTART
	v_cvt_f32_f16 v16, v1;
	;;#ASMEND
	;;#ASMSTART
	v_cvt_f32_f16 v17, v2;
	;;#ASMEND
	s_and_saveexec_b64 s[14:15], s[0:1]
	s_cbranch_execz .LBB83_42
; %bb.48:                               ;   in Loop: Header=BB83_43 Depth=1
	v_lshl_add_u64 v[2:3], v[14:15], 0, v[8:9]
	global_load_dwordx4 v[2:5], v[2:3], off
	s_waitcnt vmcnt(0)
	v_lshrrev_b32_e32 v1, 16, v3
	v_lshrrev_b32_e32 v14, 16, v2
	;; [unrolled: 1-line block ×3, first 2 shown]
	s_and_saveexec_b64 s[20:21], s[2:3]
	s_cbranch_execz .LBB83_41
; %bb.49:                               ;   in Loop: Header=BB83_43 Depth=1
	v_cmp_gt_i32_e32 vcc, s33, v24
	v_add_u32_e32 v33, 2, v24
	v_or_b32_e32 v31, 3, v24
	v_cndmask_b32_e32 v2, 0, v2, vcc
	v_cmp_gt_i32_e32 vcc, s33, v33
	v_or_b32_e32 v32, 1, v24
	s_nop 0
	v_cndmask_b32_e32 v3, 0, v3, vcc
	v_cmp_gt_i32_e32 vcc, s25, v31
	v_add_u32_e32 v31, 4, v24
	s_nop 0
	v_cndmask_b32_e32 v1, 0, v1, vcc
	v_cmp_gt_i32_e32 vcc, s33, v32
	v_add_u32_e32 v32, 7, v24
	s_nop 0
	v_cndmask_b32_e32 v14, 0, v14, vcc
	v_cmp_gt_i32_e32 vcc, s33, v31
	v_add_u32_e32 v31, 5, v24
	s_nop 0
	v_cndmask_b32_e32 v4, 0, v4, vcc
	v_cmp_gt_i32_e32 vcc, s33, v31
	v_add_u32_e32 v31, 6, v24
	s_nop 0
	v_cndmask_b32_e32 v15, 0, v15, vcc
	v_cmp_gt_i32_e32 vcc, s33, v31
	s_nop 1
	v_cndmask_b32_sdwa v31, v9, v5, vcc dst_sel:DWORD dst_unused:UNUSED_PAD src0_sel:DWORD src1_sel:WORD_0
	v_and_b32_e32 v5, 0xffff0000, v5
	v_cmp_gt_i32_e32 vcc, s33, v32
	s_nop 1
	v_cndmask_b32_e32 v5, 0, v5, vcc
	v_or_b32_e32 v5, v31, v5
	s_branch .LBB83_41
.LBB83_50:
	s_or_b64 exec, exec, s[12:13]
.LBB83_51:
	s_or_b64 exec, exec, s[6:7]
	ds_bpermute_b32 v2, v20, v6
	ds_bpermute_b32 v3, v20, v7
	;; [unrolled: 1-line block ×3, first 2 shown]
	v_and_b32_e32 v4, 0x3c0, v0
	v_cmp_eq_u32_e64 s[0:1], 64, v4
	v_cmp_eq_u32_e32 vcc, 0, v22
	s_waitcnt lgkmcnt(1)
	v_pk_add_f32 v[2:3], v[6:7], v[2:3]
	s_waitcnt lgkmcnt(0)
	v_add_f32_e32 v1, v23, v1
	s_barrier
	s_and_saveexec_b64 s[2:3], s[0:1]
	s_cbranch_execz .LBB83_56
; %bb.52:
	s_and_saveexec_b64 s[0:1], vcc
; %bb.53:
	v_mov_b32_e32 v4, 0xb0
	v_lshl_add_u32 v4, v21, 2, v4
	ds_write2_b32 v4, v2, v3 offset1:32
; %bb.54:
	s_or_b64 exec, exec, s[0:1]
	v_or_b32_e32 v4, 64, v21
	s_movk_i32 s0, 0x50
	v_cmp_gt_u32_e64 s[0:1], s0, v4
	s_and_b64 s[0:1], vcc, s[0:1]
	s_and_b64 exec, exec, s[0:1]
; %bb.55:
	v_mov_b32_e32 v4, 0xb0
	v_lshl_add_u32 v4, v21, 2, v4
	ds_write_b32 v4, v1 offset:256
.LBB83_56:
	s_or_b64 exec, exec, s[2:3]
	v_cmp_gt_u32_e64 s[0:1], 64, v0
	v_lshrrev_b32_e32 v0, 1, v0
	s_waitcnt lgkmcnt(0)
	s_barrier
	s_and_saveexec_b64 s[6:7], s[0:1]
	s_cbranch_execz .LBB83_64
; %bb.57:
	s_and_saveexec_b64 s[2:3], vcc
	s_cbranch_execz .LBB83_59
; %bb.58:
	v_mov_b32_e32 v4, 0xb0
	v_lshl_add_u32 v4, v0, 2, v4
	ds_read_b32 v4, v4
	s_waitcnt lgkmcnt(0)
	v_add_f32_e32 v2, v2, v4
.LBB83_59:
	s_or_b64 exec, exec, s[2:3]
	v_or_b32_e32 v4, 32, v0
	s_movk_i32 s8, 0x50
	v_cmp_gt_u32_e64 s[2:3], s8, v4
	s_and_b64 s[12:13], vcc, s[2:3]
	s_and_saveexec_b64 s[2:3], s[12:13]
	s_cbranch_execz .LBB83_61
; %bb.60:
	v_mov_b32_e32 v4, 0xb0
	v_lshl_add_u32 v4, v0, 2, v4
	ds_read_b32 v4, v4 offset:128
	s_waitcnt lgkmcnt(0)
	v_add_f32_e32 v3, v3, v4
.LBB83_61:
	s_or_b64 exec, exec, s[2:3]
	v_or_b32_e32 v4, 64, v0
	v_cmp_gt_u32_e64 s[2:3], s8, v4
	s_and_b64 s[8:9], vcc, s[2:3]
	s_and_saveexec_b64 s[2:3], s[8:9]
	s_cbranch_execz .LBB83_63
; %bb.62:
	v_mov_b32_e32 v4, 0xb0
	v_lshl_add_u32 v4, v0, 2, v4
	ds_read_b32 v4, v4 offset:256
	s_waitcnt lgkmcnt(0)
	v_add_f32_e32 v1, v1, v4
.LBB83_63:
	s_or_b64 exec, exec, s[2:3]
.LBB83_64:
	s_or_b64 exec, exec, s[6:7]
	s_barrier
	s_and_saveexec_b64 s[2:3], s[0:1]
	s_cbranch_execz .LBB83_71
; %bb.65:
	s_mul_i32 s0, s10, s11
	s_mul_i32 s0, s0, s5
	s_mulk_i32 s0, 0x50
	s_ashr_i32 s1, s0, 31
	s_lshl_b64 s[0:1], s[0:1], 1
	s_add_u32 s2, s18, s0
	s_mul_i32 s0, s11, s16
	s_addc_u32 s3, s19, s1
	s_ashr_i32 s1, s0, 31
	s_lshl_b64 s[0:1], s[0:1], 1
	s_add_u32 s2, s2, s0
	s_mul_i32 s0, s4, 0x50
	s_addc_u32 s3, s3, s1
	s_ashr_i32 s1, s0, 31
	s_lshl_b64 s[0:1], s[0:1], 1
	s_add_u32 s2, s2, s0
	s_movk_i32 s5, 0x50
	s_addc_u32 s3, s3, s1
	v_lshlrev_b32_e32 v4, 1, v0
	s_and_saveexec_b64 s[0:1], vcc
	s_cbranch_execz .LBB83_67
; %bb.66:
	;;#ASMSTART
	v_cvt_f16_f32 v2, v2;

	;;#ASMEND
	global_store_short v4, v2, s[2:3]
.LBB83_67:
	s_or_b64 exec, exec, s[0:1]
	v_or_b32_e32 v2, 32, v0
	v_cmp_gt_u32_e64 s[0:1], s5, v2
	s_and_b64 s[4:5], vcc, s[0:1]
	s_and_saveexec_b64 s[0:1], s[4:5]
	s_cbranch_execz .LBB83_69
; %bb.68:
	;;#ASMSTART
	v_cvt_f16_f32 v2, v3;

	;;#ASMEND
	global_store_short v4, v2, s[2:3] offset:64
.LBB83_69:
	s_or_b64 exec, exec, s[0:1]
	v_or_b32_e32 v0, 64, v0
	s_movk_i32 s0, 0x50
	v_cmp_gt_u32_e64 s[0:1], s0, v0
	s_and_b64 s[0:1], vcc, s[0:1]
	s_and_b64 exec, exec, s[0:1]
	s_cbranch_execz .LBB83_71
; %bb.70:
	;;#ASMSTART
	v_cvt_f16_f32 v0, v1;

	;;#ASMEND
	global_store_short v4, v0, s[2:3] offset:128
.LBB83_71:
	s_endpgm
	.section	.rodata,"a",@progbits
	.p2align	6, 0x0
	.amdhsa_kernel _ZN4vllm25paged_attention_v1_kernelIttLi80ELi16ELi128ELNS_18Fp8KVCacheDataTypeE0ELb0EEEvPT_PKS2_PKT0_S8_ifPKiSA_iPKfiiiSC_SC_iiiii
		.amdhsa_group_segment_fixed_size 176
		.amdhsa_private_segment_fixed_size 0
		.amdhsa_kernarg_size 384
		.amdhsa_user_sgpr_count 2
		.amdhsa_user_sgpr_dispatch_ptr 0
		.amdhsa_user_sgpr_queue_ptr 0
		.amdhsa_user_sgpr_kernarg_segment_ptr 1
		.amdhsa_user_sgpr_dispatch_id 0
		.amdhsa_user_sgpr_kernarg_preload_length 0
		.amdhsa_user_sgpr_kernarg_preload_offset 0
		.amdhsa_user_sgpr_private_segment_size 0
		.amdhsa_uses_dynamic_stack 0
		.amdhsa_enable_private_segment 0
		.amdhsa_system_sgpr_workgroup_id_x 1
		.amdhsa_system_sgpr_workgroup_id_y 1
		.amdhsa_system_sgpr_workgroup_id_z 1
		.amdhsa_system_sgpr_workgroup_info 0
		.amdhsa_system_vgpr_workitem_id 0
		.amdhsa_next_free_vgpr 50
		.amdhsa_next_free_sgpr 34
		.amdhsa_accum_offset 52
		.amdhsa_reserve_vcc 1
		.amdhsa_float_round_mode_32 0
		.amdhsa_float_round_mode_16_64 0
		.amdhsa_float_denorm_mode_32 3
		.amdhsa_float_denorm_mode_16_64 3
		.amdhsa_dx10_clamp 1
		.amdhsa_ieee_mode 1
		.amdhsa_fp16_overflow 0
		.amdhsa_tg_split 0
		.amdhsa_exception_fp_ieee_invalid_op 0
		.amdhsa_exception_fp_denorm_src 0
		.amdhsa_exception_fp_ieee_div_zero 0
		.amdhsa_exception_fp_ieee_overflow 0
		.amdhsa_exception_fp_ieee_underflow 0
		.amdhsa_exception_fp_ieee_inexact 0
		.amdhsa_exception_int_div_zero 0
	.end_amdhsa_kernel
	.section	.text._ZN4vllm25paged_attention_v1_kernelIttLi80ELi16ELi128ELNS_18Fp8KVCacheDataTypeE0ELb0EEEvPT_PKS2_PKT0_S8_ifPKiSA_iPKfiiiSC_SC_iiiii,"axG",@progbits,_ZN4vllm25paged_attention_v1_kernelIttLi80ELi16ELi128ELNS_18Fp8KVCacheDataTypeE0ELb0EEEvPT_PKS2_PKT0_S8_ifPKiSA_iPKfiiiSC_SC_iiiii,comdat
.Lfunc_end83:
	.size	_ZN4vllm25paged_attention_v1_kernelIttLi80ELi16ELi128ELNS_18Fp8KVCacheDataTypeE0ELb0EEEvPT_PKS2_PKT0_S8_ifPKiSA_iPKfiiiSC_SC_iiiii, .Lfunc_end83-_ZN4vllm25paged_attention_v1_kernelIttLi80ELi16ELi128ELNS_18Fp8KVCacheDataTypeE0ELb0EEEvPT_PKS2_PKT0_S8_ifPKiSA_iPKfiiiSC_SC_iiiii
                                        ; -- End function
	.set _ZN4vllm25paged_attention_v1_kernelIttLi80ELi16ELi128ELNS_18Fp8KVCacheDataTypeE0ELb0EEEvPT_PKS2_PKT0_S8_ifPKiSA_iPKfiiiSC_SC_iiiii.num_vgpr, 50
	.set _ZN4vllm25paged_attention_v1_kernelIttLi80ELi16ELi128ELNS_18Fp8KVCacheDataTypeE0ELb0EEEvPT_PKS2_PKT0_S8_ifPKiSA_iPKfiiiSC_SC_iiiii.num_agpr, 0
	.set _ZN4vllm25paged_attention_v1_kernelIttLi80ELi16ELi128ELNS_18Fp8KVCacheDataTypeE0ELb0EEEvPT_PKS2_PKT0_S8_ifPKiSA_iPKfiiiSC_SC_iiiii.numbered_sgpr, 34
	.set _ZN4vllm25paged_attention_v1_kernelIttLi80ELi16ELi128ELNS_18Fp8KVCacheDataTypeE0ELb0EEEvPT_PKS2_PKT0_S8_ifPKiSA_iPKfiiiSC_SC_iiiii.num_named_barrier, 0
	.set _ZN4vllm25paged_attention_v1_kernelIttLi80ELi16ELi128ELNS_18Fp8KVCacheDataTypeE0ELb0EEEvPT_PKS2_PKT0_S8_ifPKiSA_iPKfiiiSC_SC_iiiii.private_seg_size, 0
	.set _ZN4vllm25paged_attention_v1_kernelIttLi80ELi16ELi128ELNS_18Fp8KVCacheDataTypeE0ELb0EEEvPT_PKS2_PKT0_S8_ifPKiSA_iPKfiiiSC_SC_iiiii.uses_vcc, 1
	.set _ZN4vllm25paged_attention_v1_kernelIttLi80ELi16ELi128ELNS_18Fp8KVCacheDataTypeE0ELb0EEEvPT_PKS2_PKT0_S8_ifPKiSA_iPKfiiiSC_SC_iiiii.uses_flat_scratch, 0
	.set _ZN4vllm25paged_attention_v1_kernelIttLi80ELi16ELi128ELNS_18Fp8KVCacheDataTypeE0ELb0EEEvPT_PKS2_PKT0_S8_ifPKiSA_iPKfiiiSC_SC_iiiii.has_dyn_sized_stack, 0
	.set _ZN4vllm25paged_attention_v1_kernelIttLi80ELi16ELi128ELNS_18Fp8KVCacheDataTypeE0ELb0EEEvPT_PKS2_PKT0_S8_ifPKiSA_iPKfiiiSC_SC_iiiii.has_recursion, 0
	.set _ZN4vllm25paged_attention_v1_kernelIttLi80ELi16ELi128ELNS_18Fp8KVCacheDataTypeE0ELb0EEEvPT_PKS2_PKT0_S8_ifPKiSA_iPKfiiiSC_SC_iiiii.has_indirect_call, 0
	.section	.AMDGPU.csdata,"",@progbits
; Kernel info:
; codeLenInByte = 5860
; TotalNumSgprs: 40
; NumVgprs: 50
; NumAgprs: 0
; TotalNumVgprs: 50
; ScratchSize: 0
; MemoryBound: 0
; FloatMode: 240
; IeeeMode: 1
; LDSByteSize: 176 bytes/workgroup (compile time only)
; SGPRBlocks: 4
; VGPRBlocks: 6
; NumSGPRsForWavesPerEU: 40
; NumVGPRsForWavesPerEU: 50
; AccumOffset: 52
; Occupancy: 8
; WaveLimiterHint : 1
; COMPUTE_PGM_RSRC2:SCRATCH_EN: 0
; COMPUTE_PGM_RSRC2:USER_SGPR: 2
; COMPUTE_PGM_RSRC2:TRAP_HANDLER: 0
; COMPUTE_PGM_RSRC2:TGID_X_EN: 1
; COMPUTE_PGM_RSRC2:TGID_Y_EN: 1
; COMPUTE_PGM_RSRC2:TGID_Z_EN: 1
; COMPUTE_PGM_RSRC2:TIDIG_COMP_CNT: 0
; COMPUTE_PGM_RSRC3_GFX90A:ACCUM_OFFSET: 12
; COMPUTE_PGM_RSRC3_GFX90A:TG_SPLIT: 0
	.section	.text._ZN4vllm25paged_attention_v1_kernelIttLi96ELi16ELi128ELNS_18Fp8KVCacheDataTypeE0ELb0EEEvPT_PKS2_PKT0_S8_ifPKiSA_iPKfiiiSC_SC_iiiii,"axG",@progbits,_ZN4vllm25paged_attention_v1_kernelIttLi96ELi16ELi128ELNS_18Fp8KVCacheDataTypeE0ELb0EEEvPT_PKS2_PKT0_S8_ifPKiSA_iPKfiiiSC_SC_iiiii,comdat
	.protected	_ZN4vllm25paged_attention_v1_kernelIttLi96ELi16ELi128ELNS_18Fp8KVCacheDataTypeE0ELb0EEEvPT_PKS2_PKT0_S8_ifPKiSA_iPKfiiiSC_SC_iiiii ; -- Begin function _ZN4vllm25paged_attention_v1_kernelIttLi96ELi16ELi128ELNS_18Fp8KVCacheDataTypeE0ELb0EEEvPT_PKS2_PKT0_S8_ifPKiSA_iPKfiiiSC_SC_iiiii
	.globl	_ZN4vllm25paged_attention_v1_kernelIttLi96ELi16ELi128ELNS_18Fp8KVCacheDataTypeE0ELb0EEEvPT_PKS2_PKT0_S8_ifPKiSA_iPKfiiiSC_SC_iiiii
	.p2align	8
	.type	_ZN4vllm25paged_attention_v1_kernelIttLi96ELi16ELi128ELNS_18Fp8KVCacheDataTypeE0ELb0EEEvPT_PKS2_PKT0_S8_ifPKiSA_iPKfiiiSC_SC_iiiii,@function
_ZN4vllm25paged_attention_v1_kernelIttLi96ELi16ELi128ELNS_18Fp8KVCacheDataTypeE0ELb0EEEvPT_PKS2_PKT0_S8_ifPKiSA_iPKfiiiSC_SC_iiiii: ; @_ZN4vllm25paged_attention_v1_kernelIttLi96ELi16ELi128ELNS_18Fp8KVCacheDataTypeE0ELb0EEEvPT_PKS2_PKT0_S8_ifPKiSA_iPKfiiiSC_SC_iiiii
; %bb.0:
	s_load_dword s5, s[0:1], 0x80
	s_load_dwordx2 s[6:7], s[0:1], 0x30
	s_load_dwordx2 s[8:9], s[0:1], 0x20
	s_mov_b32 s10, s3
	s_ashr_i32 s11, s3, 31
	s_lshl_b64 s[12:13], s[10:11], 2
	s_waitcnt lgkmcnt(0)
	s_add_u32 s6, s6, s12
	s_addc_u32 s7, s7, s13
	s_abs_i32 s3, s8
	v_cvt_f32_u32_e32 v1, s3
	s_sub_i32 s12, 0, s3
	s_abs_i32 s11, s5
	s_xor_b32 s8, s5, s8
	v_rcp_iflag_f32_e32 v1, v1
	s_ashr_i32 s8, s8, 31
	v_mul_f32_e32 v1, 0x4f7ffffe, v1
	v_cvt_u32_f32_e32 v1, v1
	s_nop 0
	v_readfirstlane_b32 s13, v1
	s_mul_i32 s12, s12, s13
	s_mul_hi_u32 s12, s13, s12
	s_add_i32 s13, s13, s12
	s_mul_hi_u32 s12, s11, s13
	s_mul_i32 s13, s12, s3
	s_sub_i32 s11, s11, s13
	s_add_i32 s13, s12, 1
	s_sub_i32 s14, s11, s3
	s_cmp_ge_u32 s11, s3
	s_cselect_b32 s12, s13, s12
	s_cselect_b32 s11, s14, s11
	s_add_i32 s13, s12, 1
	s_cmp_ge_u32 s11, s3
	s_cselect_b32 s3, s13, s12
	s_xor_b32 s3, s3, s8
	s_sub_i32 s16, s3, s8
	s_abs_i32 s11, s16
	v_cvt_f32_u32_e32 v1, s11
	s_load_dwordx2 s[12:13], s[0:1], 0x40
	s_sub_i32 s3, 0, s11
	s_abs_i32 s18, s2
	v_rcp_iflag_f32_e32 v1, v1
	s_mov_b32 s8, 0
	v_mul_f32_e32 v1, 0x4f7ffffe, v1
	v_cvt_u32_f32_e32 v1, v1
	s_nop 0
	v_readfirstlane_b32 s14, v1
	s_mul_i32 s3, s3, s14
	s_mul_hi_u32 s3, s14, s3
	s_add_i32 s14, s14, s3
	s_waitcnt lgkmcnt(0)
	s_cmp_eq_u64 s[12:13], 0
	s_mul_hi_u32 s19, s18, s14
	s_cbranch_scc1 .LBB84_2
; %bb.1:
	s_ashr_i32 s3, s2, 31
	s_lshl_b64 s[14:15], s[2:3], 2
	s_add_u32 s12, s12, s14
	s_addc_u32 s13, s13, s15
	s_load_dword s8, s[12:13], 0x0
.LBB84_2:
	s_load_dword s33, s[6:7], 0x0
	s_nop 0
	s_load_dwordx4 s[12:15], s[0:1], 0x48
	s_ashr_i32 s6, s2, 31
	s_ashr_i32 s7, s16, 31
	v_and_b32_e32 v4, 3, v0
	s_mul_i32 s16, s2, 0x60
	v_cmp_gt_u32_e32 vcc, 48, v0
	s_and_saveexec_b64 s[2:3], vcc
	s_cbranch_execz .LBB84_4
; %bb.3:
	s_load_dwordx2 s[20:21], s[0:1], 0x8
	s_waitcnt lgkmcnt(0)
	s_mul_i32 s22, s12, s10
	s_ashr_i32 s23, s22, 31
	s_lshl_b64 s[22:23], s[22:23], 1
	v_lshlrev_b32_e32 v1, 2, v0
	s_add_u32 s12, s20, s22
	s_addc_u32 s15, s21, s23
	s_ashr_i32 s17, s16, 31
	s_lshl_b64 s[20:21], s[16:17], 1
	s_add_u32 s20, s12, s20
	s_addc_u32 s21, s15, s21
	global_load_dword v1, v1, s[20:21]
	v_and_b32_e32 v2, 0x3fc, v0
	v_mad_u32_u24 v2, v4, 48, v2
	s_waitcnt vmcnt(0)
	ds_write_b32 v2, v1
.LBB84_4:
	s_or_b64 exec, exec, s[2:3]
	s_waitcnt lgkmcnt(0)
	s_add_i32 s3, s33, 15
	s_ashr_i32 s12, s3, 31
	s_lshr_b32 s12, s12, 28
	s_add_i32 s3, s3, s12
	s_ashr_i32 s12, s3, 4
	s_xor_b32 s3, s6, s7
	s_mul_i32 s6, s19, s11
	s_sub_i32 s6, s18, s6
	s_add_i32 s7, s19, 1
	s_sub_i32 s15, s6, s11
	s_load_dwordx2 s[20:21], s[0:1], 0x28
	s_load_dword s2, s[0:1], 0x38
	s_cmp_ge_u32 s6, s11
	s_cselect_b32 s7, s7, s19
	s_cselect_b32 s6, s15, s6
	s_add_i32 s15, s7, 1
	s_cmp_ge_u32 s6, s11
	s_cselect_b32 s6, s15, s7
	v_lshrrev_b32_e32 v16, 6, v0
	s_xor_b32 s6, s6, s3
	s_waitcnt lgkmcnt(0)
	s_mul_i32 s22, s2, s10
	s_sub_i32 s15, s6, s3
	s_ashr_i32 s23, s22, 31
	v_cmp_gt_i32_e64 s[6:7], s12, v16
	v_cmp_le_i32_e32 vcc, s12, v16
	v_mbcnt_lo_u32_b32 v13, -1, 0
	s_barrier
                                        ; implicit-def: $vgpr6
                                        ; implicit-def: $vgpr8
                                        ; implicit-def: $vgpr7
	s_and_saveexec_b64 s[2:3], vcc
	s_xor_b64 s[2:3], exec, s[2:3]
; %bb.5:
	v_mbcnt_hi_u32_b32 v6, -1, v13
	v_and_b32_e32 v8, 64, v6
	v_add_u32_e32 v7, 64, v8
                                        ; implicit-def: $vgpr4
                                        ; implicit-def: $vgpr13
; %bb.6:
	s_or_saveexec_b64 s[26:27], s[2:3]
	s_load_dwordx2 s[18:19], s[0:1], 0x0
	s_load_dwordx2 s[24:25], s[0:1], 0x18
	s_load_dword s11, s[0:1], 0x88
	v_mov_b32_e32 v9, 0xff7fffff
	s_mul_i32 s14, s15, s14
	v_lshrrev_b32_e32 v1, 4, v0
	s_xor_b64 exec, exec, s[26:27]
	s_cbranch_execz .LBB84_12
; %bb.7:
	s_load_dwordx2 s[0:1], s[0:1], 0x10
	s_ashr_i32 s15, s14, 31
	s_lshl_b64 s[2:3], s[14:15], 1
	v_bfe_u32 v5, v0, 2, 4
	v_lshlrev_b32_e32 v6, 4, v5
	s_waitcnt lgkmcnt(0)
	s_add_u32 s0, s0, s2
	s_addc_u32 s1, s1, s3
	v_mov_b32_e32 v7, 0
	v_lshl_add_u64 v[2:3], s[0:1], 0, v[6:7]
	v_lshlrev_b32_e32 v6, 2, v0
	s_sub_i32 s15, 1, s33
	s_lshl_b64 s[0:1], s[22:23], 2
	v_and_b32_e32 v6, 12, v6
	v_mul_u32_u24_e32 v10, 48, v4
	v_cmp_eq_u32_e32 vcc, 0, v4
	v_lshlrev_b32_e32 v4, 2, v5
	s_add_u32 s0, s20, s0
	v_lshl_add_u64 v[2:3], v[2:3], 0, v[6:7]
	v_lshl_or_b32 v4, v16, 6, v4
	v_and_b32_e32 v6, 60, v1
	s_addc_u32 s1, s21, s1
	v_lshl_or_b32 v11, v16, 4, v5
	v_add_u32_e32 v12, 0xd0, v4
	v_lshl_add_u64 v[4:5], s[0:1], 0, v[6:7]
	v_mbcnt_hi_u32_b32 v6, -1, v13
	v_and_b32_e32 v8, 64, v6
	s_mov_b32 s17, s13
	v_cmp_neq_f32_e64 s[2:3], s8, 0
	v_mov_b32_e32 v9, 0xff7fffff
	s_mov_b64 s[28:29], 0
	v_add_u32_e32 v7, 64, v8
	v_xor_b32_e32 v13, 2, v6
	v_xor_b32_e32 v14, 1, v6
	v_mov_b32_e32 v15, v16
	s_branch .LBB84_9
.LBB84_8:                               ;   in Loop: Header=BB84_9 Depth=1
	s_or_b64 exec, exec, s[30:31]
	v_add_u32_e32 v15, 2, v15
	v_cmp_le_i32_e64 s[0:1], s12, v15
	v_add_u32_e32 v11, 32, v11
	v_add_u32_e32 v12, 0x80, v12
	s_or_b64 s[28:29], s[0:1], s[28:29]
	v_lshl_add_u64 v[4:5], v[4:5], 0, 8
	s_andn2_b64 exec, exec, s[28:29]
	s_cbranch_execz .LBB84_11
.LBB84_9:                               ; =>This Inner Loop Header: Depth=1
	global_load_dword v17, v[4:5], off
	s_waitcnt vmcnt(0) lgkmcnt(0)
	v_mad_i64_i32 v[18:19], s[0:1], v17, s17, 0
	v_lshl_add_u64 v[20:21], v[18:19], 1, v[2:3]
	global_load_dword v22, v[20:21], off
	global_load_dword v23, v[20:21], off offset:256
	global_load_dword v24, v[20:21], off offset:512
	;; [unrolled: 1-line block ×11, first 2 shown]
	ds_read_b32 v20, v10
	v_cmp_lt_i32_e64 s[0:1], v13, v7
	s_waitcnt lgkmcnt(0)
	v_lshrrev_b32_e32 v31, 16, v20
	v_and_b32_e32 v20, 0xffff, v20
	;;#ASMSTART
	v_cvt_f32_f16 v20, v20;
	;;#ASMEND
	;;#ASMSTART
	v_cvt_f32_f16 v31, v31;
	;;#ASMEND
	v_cndmask_b32_e64 v21, v6, v13, s[0:1]
	v_lshlrev_b32_e32 v21, 2, v21
	v_cmp_lt_i32_e64 s[0:1], v14, v7
	s_waitcnt vmcnt(11)
	v_lshrrev_b32_e32 v32, 16, v22
	v_and_b32_e32 v22, 0xffff, v22
	;;#ASMSTART
	v_cvt_f32_f16 v22, v22;
	;;#ASMEND
	;;#ASMSTART
	v_cvt_f32_f16 v32, v32;
	;;#ASMEND
	ds_read_b32 v33, v10 offset:4
	s_waitcnt vmcnt(10)
	v_lshrrev_b32_e32 v34, 16, v23
	v_and_b32_e32 v35, 0xffff, v23
	s_waitcnt vmcnt(9)
	v_lshrrev_b32_e32 v36, 16, v24
	v_and_b32_e32 v37, 0xffff, v24
	s_waitcnt lgkmcnt(0)
	v_lshrrev_b32_e32 v24, 16, v33
	v_and_b32_e32 v23, 0xffff, v33
	;;#ASMSTART
	v_cvt_f32_f16 v23, v23;
	;;#ASMEND
	;;#ASMSTART
	v_cvt_f32_f16 v24, v24;
	;;#ASMEND
	;;#ASMSTART
	v_cvt_f32_f16 v33, v35;
	;;#ASMEND
	;;#ASMSTART
	v_cvt_f32_f16 v34, v34;
	;;#ASMEND
	ds_read_b32 v35, v10 offset:8
	s_waitcnt vmcnt(8)
	v_lshrrev_b32_e32 v38, 16, v25
	v_and_b32_e32 v39, 0xffff, v25
	s_waitcnt vmcnt(7)
	v_lshrrev_b32_e32 v40, 16, v26
	v_and_b32_e32 v41, 0xffff, v26
	s_waitcnt lgkmcnt(0)
	v_lshrrev_b32_e32 v26, 16, v35
	v_and_b32_e32 v25, 0xffff, v35
	;;#ASMSTART
	v_cvt_f32_f16 v25, v25;
	;;#ASMEND
	;;#ASMSTART
	v_cvt_f32_f16 v26, v26;
	;;#ASMEND
	;; [unrolled: 22-line block ×5, first 2 shown]
	;;#ASMSTART
	v_cvt_f32_f16 v41, v43;
	;;#ASMEND
	;;#ASMSTART
	v_cvt_f32_f16 v42, v42;
	;;#ASMEND
	ds_read_b32 v43, v10 offset:24
	s_waitcnt vmcnt(0)
	v_lshrrev_b32_e32 v54, 16, v17
	v_and_b32_e32 v55, 0xffff, v17
	v_mul_f32_e32 v17, v23, v33
	v_mul_f32_e32 v23, v24, v34
	s_waitcnt lgkmcnt(0)
	v_lshrrev_b32_e32 v33, 16, v43
	v_and_b32_e32 v24, 0xffff, v43
	;;#ASMSTART
	v_cvt_f32_f16 v24, v24;
	;;#ASMEND
	;;#ASMSTART
	v_cvt_f32_f16 v33, v33;
	;;#ASMEND
	;;#ASMSTART
	v_cvt_f32_f16 v34, v45;
	;;#ASMEND
	;;#ASMSTART
	v_cvt_f32_f16 v43, v44;
	;;#ASMEND
	ds_read_b32 v44, v10 offset:28
	v_fmac_f32_e32 v17, v20, v22
	v_fmac_f32_e32 v23, v31, v32
	v_fmac_f32_e32 v17, v25, v35
	v_fmac_f32_e32 v23, v26, v36
	s_waitcnt lgkmcnt(0)
	v_lshrrev_b32_e32 v22, 16, v44
	v_and_b32_e32 v20, 0xffff, v44
	;;#ASMSTART
	v_cvt_f32_f16 v20, v20;
	;;#ASMEND
	;;#ASMSTART
	v_cvt_f32_f16 v22, v22;
	;;#ASMEND
	;;#ASMSTART
	v_cvt_f32_f16 v25, v47;
	;;#ASMEND
	;;#ASMSTART
	v_cvt_f32_f16 v26, v46;
	;;#ASMEND
	ds_read_b32 v31, v10 offset:32
	v_fmac_f32_e32 v17, v27, v37
	v_fmac_f32_e32 v23, v28, v38
	v_fmac_f32_e32 v17, v29, v39
	v_fmac_f32_e32 v23, v30, v40
	;; [unrolled: 20-line block ×5, first 2 shown]
	s_waitcnt lgkmcnt(0)
	v_lshrrev_b32_e32 v19, 16, v27
	v_and_b32_e32 v18, 0xffff, v27
	;;#ASMSTART
	v_cvt_f32_f16 v18, v18;
	;;#ASMEND
	;;#ASMSTART
	v_cvt_f32_f16 v19, v19;
	;;#ASMEND
	;; [unrolled: 3-line block ×4, first 2 shown]
	s_nop 0
	v_fmac_f32_e32 v17, v18, v20
	v_fmac_f32_e32 v23, v19, v22
	v_add_f32_e32 v17, v17, v23
	ds_bpermute_b32 v18, v21, v17
	v_cndmask_b32_e64 v19, v6, v14, s[0:1]
	s_waitcnt lgkmcnt(0)
	v_add_f32_e32 v17, v17, v18
	v_lshlrev_b32_e32 v18, 2, v19
	ds_bpermute_b32 v18, v18, v17
	s_and_saveexec_b64 s[30:31], vcc
	s_cbranch_execz .LBB84_8
; %bb.10:                               ;   in Loop: Header=BB84_9 Depth=1
	v_add_u32_e32 v19, s15, v11
	v_cvt_f32_i32_e32 v19, v19
	s_waitcnt lgkmcnt(0)
	v_add_f32_e32 v17, v17, v18
	v_cmp_gt_i32_e64 s[0:1], s33, v11
	v_max_f32_e32 v18, v9, v9
	v_mul_f32_e32 v19, s8, v19
	v_cndmask_b32_e64 v19, 0, v19, s[2:3]
	v_fmac_f32_e32 v19, s9, v17
	v_cndmask_b32_e64 v17, 0, v19, s[0:1]
	ds_write_b32 v12, v17
	v_max_f32_e32 v17, v18, v19
	v_cndmask_b32_e64 v9, v9, v17, s[0:1]
	s_branch .LBB84_8
.LBB84_11:
	s_or_b64 exec, exec, s[28:29]
.LBB84_12:
	s_or_b64 exec, exec, s[26:27]
	v_xor_b32_e32 v2, 32, v6
	v_cmp_lt_i32_e32 vcc, v2, v7
	v_xor_b32_e32 v5, 16, v6
	v_max_f32_e32 v4, v9, v9
	v_cndmask_b32_e32 v2, v6, v2, vcc
	v_lshlrev_b32_e32 v2, 2, v2
	ds_bpermute_b32 v3, v2, v9
	v_cmp_lt_i32_e32 vcc, v5, v7
	v_xor_b32_e32 v9, 8, v6
	v_xor_b32_e32 v10, 4, v6
	v_and_b32_e32 v17, 63, v0
	s_waitcnt lgkmcnt(0)
	v_max_f32_e32 v3, v3, v3
	v_max_f32_e32 v4, v4, v3
	v_cndmask_b32_e32 v3, v6, v5, vcc
	v_lshlrev_b32_e32 v3, 2, v3
	ds_bpermute_b32 v5, v3, v4
	v_cmp_lt_i32_e32 vcc, v9, v7
	s_waitcnt lgkmcnt(0)
	v_max_f32_e32 v5, v5, v5
	v_max_f32_e32 v4, v4, v5
	v_cndmask_b32_e32 v5, v6, v9, vcc
	v_lshlrev_b32_e32 v9, 2, v5
	ds_bpermute_b32 v5, v9, v4
	v_cmp_lt_i32_e32 vcc, v10, v7
	s_waitcnt lgkmcnt(0)
	v_max_f32_e32 v5, v5, v5
	v_max_f32_e32 v5, v4, v5
	v_cndmask_b32_e32 v4, v6, v10, vcc
	v_lshlrev_b32_e32 v10, 2, v4
	ds_bpermute_b32 v11, v10, v5
	v_cmp_eq_u32_e32 vcc, 0, v17
	v_lshlrev_b32_e32 v4, 2, v16
	s_and_saveexec_b64 s[0:1], vcc
	s_cbranch_execz .LBB84_14
; %bb.13:
	s_waitcnt lgkmcnt(0)
	v_max_f32_e32 v11, v11, v11
	v_max_f32_e32 v5, v5, v5
	;; [unrolled: 1-line block ×3, first 2 shown]
	ds_write_b32 v4, v5 offset:192
.LBB84_14:
	s_or_b64 exec, exec, s[0:1]
	v_cmp_gt_u32_e64 s[0:1], 2, v17
	s_waitcnt lgkmcnt(0)
	v_mov_b32_e32 v11, 0xff7fffff
	v_lshlrev_b32_e32 v5, 2, v17
	s_barrier
	s_and_saveexec_b64 s[2:3], s[0:1]
; %bb.15:
	ds_read_b32 v11, v5 offset:192
; %bb.16:
	s_or_b64 exec, exec, s[2:3]
	v_xor_b32_e32 v12, 1, v6
	v_cmp_lt_i32_e64 s[2:3], v12, v7
	v_lshlrev_b32_e32 v8, 2, v8
	s_nop 0
	v_cndmask_b32_e64 v12, v6, v12, s[2:3]
	v_lshlrev_b32_e32 v18, 2, v12
	s_waitcnt lgkmcnt(0)
	ds_bpermute_b32 v12, v18, v11
	v_max_f32_e32 v11, v11, v11
	s_lshl_b32 s2, s12, 4
	s_min_i32 s15, s2, s33
	v_cmp_gt_i32_e64 s[2:3], s15, v0
	s_waitcnt lgkmcnt(0)
	v_max_f32_e32 v12, v12, v12
	v_max_f32_e32 v11, v11, v12
	ds_bpermute_b32 v11, v8, v11
	v_mov_b32_e32 v8, 0
	s_and_saveexec_b64 s[26:27], s[2:3]
	s_cbranch_execz .LBB84_20
; %bb.17:
	v_mov_b32_e32 v8, 0xd0
	v_lshl_add_u32 v12, v0, 2, v8
	v_mov_b32_e32 v8, 0
	s_mov_b64 s[28:29], 0
	v_mov_b32_e32 v13, v0
.LBB84_18:                              ; =>This Inner Loop Header: Depth=1
	ds_read_b32 v14, v12
	v_add_u32_e32 v13, 0x80, v13
	v_cmp_le_i32_e64 s[8:9], s15, v13
	s_or_b64 s[28:29], s[8:9], s[28:29]
	s_waitcnt lgkmcnt(0)
	v_sub_f32_e32 v14, v14, v11
	v_mul_f32_e32 v14, 0x3fb8aa3b, v14
	v_exp_f32_e32 v14, v14
	ds_write_b32 v12, v14
	v_add_f32_e32 v8, v8, v14
	v_add_u32_e32 v12, 0x200, v12
	s_andn2_b64 exec, exec, s[28:29]
	s_cbranch_execnz .LBB84_18
; %bb.19:
	s_or_b64 exec, exec, s[28:29]
.LBB84_20:
	s_or_b64 exec, exec, s[26:27]
	ds_bpermute_b32 v2, v2, v8
	s_waitcnt lgkmcnt(0)
	v_add_f32_e32 v2, v8, v2
	ds_bpermute_b32 v3, v3, v2
	v_xor_b32_e32 v8, 2, v6
	v_cmp_lt_i32_e64 s[8:9], v8, v7
	s_waitcnt lgkmcnt(0)
	v_add_f32_e32 v2, v2, v3
	ds_bpermute_b32 v3, v9, v2
	v_cndmask_b32_e64 v7, v6, v8, s[8:9]
	s_waitcnt lgkmcnt(0)
	v_add_f32_e32 v2, v2, v3
	ds_bpermute_b32 v3, v10, v2
	s_waitcnt lgkmcnt(0)
	v_add_f32_e32 v2, v2, v3
	v_lshlrev_b32_e32 v3, 2, v7
	ds_bpermute_b32 v3, v3, v2
	s_waitcnt lgkmcnt(0)
	v_add_f32_e32 v2, v2, v3
	ds_bpermute_b32 v3, v18, v2
	s_waitcnt lgkmcnt(0)
	v_add_f32_e32 v2, v2, v3
	s_and_saveexec_b64 s[8:9], vcc
; %bb.21:
	ds_write_b32 v4, v2 offset:200
; %bb.22:
	s_or_b64 exec, exec, s[8:9]
	s_waitcnt lgkmcnt(0)
	s_barrier
	s_and_saveexec_b64 s[8:9], s[0:1]
; %bb.23:
	ds_read_b32 v2, v5 offset:200
; %bb.24:
	s_or_b64 exec, exec, s[8:9]
	s_waitcnt lgkmcnt(0)
	ds_bpermute_b32 v3, v18, v2
	v_lshlrev_b32_e32 v4, 2, v6
	s_waitcnt lgkmcnt(0)
	v_add_f32_e32 v2, v2, v3
	v_and_b32_e32 v3, 0xffffff00, v4
	ds_bpermute_b32 v2, v3, v2
	s_and_saveexec_b64 s[0:1], s[2:3]
	s_cbranch_execz .LBB84_37
; %bb.25:
	s_waitcnt lgkmcnt(0)
	v_add_f32_e32 v2, 0x358637bd, v2
	v_div_scale_f32 v3, s[2:3], v2, v2, 1.0
	v_rcp_f32_e32 v4, v3
	v_div_scale_f32 v5, vcc, 1.0, v2, 1.0
	s_movk_i32 s2, 0x7f
	v_fma_f32 v6, -v3, v4, 1.0
	v_fmac_f32_e32 v4, v6, v4
	v_mul_f32_e32 v6, v5, v4
	v_fma_f32 v7, -v3, v6, v5
	v_fmac_f32_e32 v6, v7, v4
	v_fma_f32 v3, -v3, v6, v5
	v_div_fmas_f32 v3, v3, v4, v6
	v_xad_u32 v4, v0, -1, s15
	v_div_fixup_f32 v2, v3, v2, 1.0
	v_cmp_lt_u32_e32 vcc, s2, v4
	s_mov_b64 s[8:9], -1
	v_mov_b32_e32 v3, v0
	s_and_saveexec_b64 s[2:3], vcc
	s_cbranch_execz .LBB84_34
; %bb.26:
	v_lshrrev_b32_e32 v4, 7, v4
	v_add_u32_e32 v6, -1, v4
	v_lshrrev_b32_e32 v5, 1, v6
	v_mov_b32_e32 v3, v2
	v_add_u32_e32 v5, 1, v5
	v_cmp_lt_u32_e32 vcc, 13, v6
	v_mov_b32_e32 v8, 0
	s_and_saveexec_b64 s[8:9], vcc
	s_cbranch_execz .LBB84_30
; %bb.27:
	v_mov_b32_e32 v7, 0xd0
	v_and_b32_e32 v6, -8, v5
	v_lshl_add_u32 v7, v0, 2, v7
	s_mov_b32 s17, 0
	s_mov_b64 s[26:27], 0
.LBB84_28:                              ; =>This Inner Loop Header: Depth=1
	ds_read2st64_b32 v[8:9], v7 offset1:2
	ds_read2st64_b32 v[10:11], v7 offset0:4 offset1:6
	ds_read2st64_b32 v[12:13], v7 offset0:8 offset1:10
	ds_read2st64_b32 v[14:15], v7 offset0:12 offset1:14
	v_add_u32_e32 v6, -8, v6
	s_waitcnt lgkmcnt(3)
	v_pk_mul_f32 v[8:9], v[2:3], v[8:9]
	s_waitcnt lgkmcnt(2)
	v_pk_mul_f32 v[10:11], v[2:3], v[10:11]
	ds_write2st64_b32 v7, v8, v9 offset1:2
	ds_write2st64_b32 v7, v10, v11 offset0:4 offset1:6
	ds_read2st64_b32 v[10:11], v7 offset0:16 offset1:18
	s_waitcnt lgkmcnt(4)
	v_pk_mul_f32 v[8:9], v[2:3], v[12:13]
	ds_write2st64_b32 v7, v8, v9 offset0:8 offset1:10
	s_waitcnt lgkmcnt(4)
	v_pk_mul_f32 v[8:9], v[2:3], v[14:15]
	ds_write2st64_b32 v7, v8, v9 offset0:12 offset1:14
	ds_read2st64_b32 v[8:9], v7 offset0:20 offset1:22
	s_waitcnt lgkmcnt(3)
	v_pk_mul_f32 v[10:11], v[2:3], v[10:11]
	ds_read2st64_b32 v[12:13], v7 offset0:24 offset1:26
	ds_write2st64_b32 v7, v10, v11 offset0:16 offset1:18
	ds_read2st64_b32 v[10:11], v7 offset0:28 offset1:30
	s_waitcnt lgkmcnt(3)
	v_pk_mul_f32 v[8:9], v[2:3], v[8:9]
	ds_write2st64_b32 v7, v8, v9 offset0:20 offset1:22
	s_waitcnt lgkmcnt(3)
	v_pk_mul_f32 v[8:9], v[2:3], v[12:13]
	ds_write2st64_b32 v7, v8, v9 offset0:24 offset1:26
	s_waitcnt lgkmcnt(2)
	v_pk_mul_f32 v[8:9], v[2:3], v[10:11]
	s_add_i32 s17, s17, 16
	v_cmp_eq_u32_e32 vcc, 0, v6
	ds_write2st64_b32 v7, v8, v9 offset0:28 offset1:30
	v_add_u32_e32 v7, 0x2000, v7
	s_or_b64 s[26:27], vcc, s[26:27]
	v_mov_b32_e32 v8, s17
	s_andn2_b64 exec, exec, s[26:27]
	s_cbranch_execnz .LBB84_28
; %bb.29:
	s_or_b64 exec, exec, s[26:27]
.LBB84_30:
	s_or_b64 exec, exec, s[8:9]
	v_and_b32_e32 v5, 7, v5
	v_cmp_ne_u32_e32 vcc, 0, v5
	s_and_saveexec_b64 s[8:9], vcc
	s_cbranch_execz .LBB84_33
; %bb.31:
	v_lshlrev_b32_e32 v6, 9, v8
	v_lshlrev_b32_e32 v7, 2, v0
	s_movk_i32 s17, 0xd0
	v_add3_u32 v6, v6, v7, s17
	s_mov_b64 s[26:27], 0
.LBB84_32:                              ; =>This Inner Loop Header: Depth=1
	ds_read2st64_b32 v[8:9], v6 offset1:2
	v_add_u32_e32 v5, -1, v5
	v_cmp_eq_u32_e32 vcc, 0, v5
	s_or_b64 s[26:27], vcc, s[26:27]
	s_waitcnt lgkmcnt(0)
	v_pk_mul_f32 v[8:9], v[2:3], v[8:9]
	ds_write2st64_b32 v6, v8, v9 offset1:2
	v_add_u32_e32 v6, 0x400, v6
	s_andn2_b64 exec, exec, s[26:27]
	s_cbranch_execnz .LBB84_32
.LBB84_33:
	s_or_b64 exec, exec, s[8:9]
	v_add_u32_e32 v4, 1, v4
	v_and_b32_e32 v5, 0x3fffffe, v4
	v_cmp_ne_u32_e32 vcc, v4, v5
	v_lshl_add_u32 v3, v5, 7, v0
	s_orn2_b64 s[8:9], vcc, exec
.LBB84_34:
	s_or_b64 exec, exec, s[2:3]
	s_and_b64 exec, exec, s[8:9]
	s_cbranch_execz .LBB84_37
; %bb.35:
	v_mov_b32_e32 v4, 0xd0
	v_lshl_add_u32 v4, v3, 2, v4
	s_mov_b64 s[2:3], 0
.LBB84_36:                              ; =>This Inner Loop Header: Depth=1
	ds_read_b32 v5, v4
	v_add_u32_e32 v3, 0x80, v3
	v_cmp_le_i32_e32 vcc, s15, v3
	s_or_b64 s[2:3], vcc, s[2:3]
	s_waitcnt lgkmcnt(0)
	v_mul_f32_e32 v5, v2, v5
	ds_write_b32 v4, v5
	v_add_u32_e32 v4, 0x200, v4
	s_andn2_b64 exec, exec, s[2:3]
	s_cbranch_execnz .LBB84_36
.LBB84_37:
	s_or_b64 exec, exec, s[0:1]
	v_mov_b32_e32 v7, 0
	v_and_b32_e32 v19, 1, v0
	v_mov_b32_e32 v6, 0
	v_mov_b32_e32 v20, 0
	s_waitcnt lgkmcnt(0)
	s_barrier
	s_and_saveexec_b64 s[2:3], s[6:7]
	s_cbranch_execz .LBB84_47
; %bb.38:
	s_ashr_i32 s15, s14, 31
	s_lshl_b64 s[0:1], s[14:15], 1
	s_add_u32 s0, s24, s0
	v_lshlrev_b32_e32 v3, 4, v0
	v_lshlrev_b32_e32 v2, 3, v0
	s_addc_u32 s1, s25, s1
	v_and_b32_e32 v8, 0x3f0, v3
	v_mov_b32_e32 v9, 0
	v_and_b32_e32 v2, 8, v2
	s_add_i32 s14, s12, -1
	v_lshl_add_u64 v[10:11], s[0:1], 0, v[8:9]
	s_lshl_b64 s[0:1], s[22:23], 2
	v_lshl_or_b32 v21, v16, 4, v2
	v_lshlrev_b32_e32 v2, 5, v19
	s_add_u32 s0, s20, s0
	v_lshl_or_b32 v2, v16, 6, v2
	v_and_b32_e32 v8, 60, v1
	s_addc_u32 s1, s21, s1
	s_mov_b32 s15, s33
	v_add_u32_e32 v22, 0xd0, v2
	v_lshl_add_u64 v[12:13], s[0:1], 0, v[8:9]
	s_mov_b64 s[6:7], 0
	s_mov_b32 s17, 0xffff
	v_mov_b32_e32 v20, 0
	v_mov_b32_e32 v7, 0
	;; [unrolled: 1-line block ×3, first 2 shown]
	s_branch .LBB84_40
.LBB84_39:                              ;   in Loop: Header=BB84_40 Depth=1
	s_or_b64 exec, exec, s[8:9]
	v_lshlrev_b32_e32 v8, 16, v8
	v_lshlrev_b32_e32 v1, 16, v1
	v_and_or_b32 v2, v2, s17, v8
	v_and_or_b32 v1, v3, s17, v1
	v_lshlrev_b32_e32 v3, 16, v14
	v_and_or_b32 v3, v4, s17, v3
	;;#ASMSTART
	v_pk_mul_f16 v2, v30, v2;

	;;#ASMEND
	;;#ASMSTART
	v_pk_mul_f16 v1, v31, v1;

	;;#ASMEND
	;; [unrolled: 4-line block ×4, first 2 shown]
	v_add_f32_e32 v15, v36, v37
	;;#ASMSTART
	v_pk_add_f16 v1, v2, v1;

	;;#ASMEND
	v_add_u32_e32 v16, 2, v16
	;;#ASMSTART
	v_pk_add_f16 v1, v1, v3;

	;;#ASMEND
	v_add_f32_e32 v7, v7, v15
	;;#ASMSTART
	v_pk_add_f16 v1, v1, v4;

	;;#ASMEND
	v_add_f32_e32 v15, v34, v35
	v_lshrrev_b32_e32 v2, 16, v1
	v_and_b32_e32 v1, 0xffff, v1
	;;#ASMSTART
	v_cvt_f32_f16 v1, v1;
	;;#ASMEND
	;;#ASMSTART
	v_cvt_f32_f16 v2, v2;
	;;#ASMEND
	v_cmp_le_i32_e32 vcc, s12, v16
	v_add_f32_e32 v1, v1, v2
	v_add_f32_e32 v6, v6, v15
	;; [unrolled: 1-line block ×3, first 2 shown]
	v_add_u32_e32 v21, 32, v21
	v_add_u32_e32 v22, 0x80, v22
	s_or_b64 s[6:7], vcc, s[6:7]
	v_lshl_add_u64 v[12:13], v[12:13], 0, 8
	s_andn2_b64 exec, exec, s[6:7]
	s_cbranch_execz .LBB84_46
.LBB84_40:                              ; =>This Inner Loop Header: Depth=1
	global_load_dword v1, v[12:13], off
	ds_read2_b64 v[2:5], v22 offset1:1
	ds_read2_b64 v[24:27], v22 offset0:2 offset1:3
	v_add_u32_e32 v23, 7, v21
	v_or_b32_e32 v28, 3, v21
	s_waitcnt lgkmcnt(1)
	;;#ASMSTART
	v_cvt_f16_f32 v30, v2;

	;;#ASMEND
	;;#ASMSTART
	v_cvt_f16_f32 v31, v3;

	;;#ASMEND
	;; [unrolled: 4-line block ×4, first 2 shown]
	s_waitcnt lgkmcnt(0)
	;;#ASMSTART
	v_cvt_f16_f32 v34, v24;

	;;#ASMEND
	;;#ASMSTART
	v_cvt_f16_f32 v35, v25;

	;;#ASMEND
	;;#ASMSTART
	v_cvt_f16_f32 v36, v26;

	;;#ASMEND
	;;#ASMSTART
	v_cvt_f16_f32 v37, v27;

	;;#ASMEND
	v_add_u32_e32 v27, 2, v21
	v_add_u32_e32 v26, 4, v21
	;; [unrolled: 1-line block ×4, first 2 shown]
	v_or_b32_e32 v29, 1, v21
	s_waitcnt vmcnt(0)
	v_mad_i64_i32 v[2:3], s[0:1], v1, s13, 0
	v_lshl_add_u64 v[14:15], v[2:3], 1, v[10:11]
	global_load_dwordx4 v[2:5], v[14:15], off
	v_cmp_eq_u32_e64 s[0:1], s14, v16
	s_waitcnt vmcnt(0)
	v_lshrrev_b32_e32 v1, 16, v3
	v_lshrrev_b32_e32 v8, 16, v2
	;; [unrolled: 1-line block ×3, first 2 shown]
	s_and_saveexec_b64 s[8:9], s[0:1]
	s_cbranch_execz .LBB84_42
; %bb.41:                               ;   in Loop: Header=BB84_40 Depth=1
	v_cmp_gt_i32_e32 vcc, s33, v21
	s_nop 1
	v_cndmask_b32_e32 v2, 0, v2, vcc
	v_cmp_gt_i32_e32 vcc, s33, v27
	s_nop 1
	v_cndmask_b32_e32 v3, 0, v3, vcc
	;; [unrolled: 3-line block ×6, first 2 shown]
	v_cmp_gt_i32_e32 vcc, s33, v24
	s_nop 1
	v_cndmask_b32_sdwa v39, v9, v5, vcc dst_sel:DWORD dst_unused:UNUSED_PAD src0_sel:DWORD src1_sel:WORD_0
	v_and_b32_e32 v5, 0xffff0000, v5
	v_cmp_gt_i32_e32 vcc, s33, v23
	s_nop 1
	v_cndmask_b32_e32 v5, 0, v5, vcc
	v_or_b32_e32 v5, v39, v5
.LBB84_42:                              ;   in Loop: Header=BB84_40 Depth=1
	s_or_b64 exec, exec, s[8:9]
	v_and_b32_e32 v30, 0xffff, v30
	v_lshlrev_b32_e32 v8, 16, v8
	v_lshlrev_b32_e32 v1, 16, v1
	v_lshl_or_b32 v30, v31, 16, v30
	v_and_b32_e32 v31, 0xffff, v32
	v_and_or_b32 v2, v2, s17, v8
	v_and_or_b32 v1, v3, s17, v1
	v_lshlrev_b32_e32 v3, 16, v38
	v_lshl_or_b32 v31, v33, 16, v31
	v_and_b32_e32 v32, 0xffff, v34
	v_and_b32_e32 v33, 0xffff, v36
	v_and_or_b32 v3, v4, s17, v3
	;;#ASMSTART
	v_pk_mul_f16 v2, v30, v2;

	;;#ASMEND
	;;#ASMSTART
	v_pk_mul_f16 v1, v31, v1;

	;;#ASMEND
	v_lshl_or_b32 v32, v35, 16, v32
	v_lshl_or_b32 v33, v37, 16, v33
	;;#ASMSTART
	v_pk_mul_f16 v3, v32, v3;

	;;#ASMEND
	;;#ASMSTART
	v_pk_mul_f16 v4, v33, v5;

	;;#ASMEND
	;;#ASMSTART
	v_pk_add_f16 v1, v2, v1;

	;;#ASMEND
	s_nop 0
	;;#ASMSTART
	v_pk_add_f16 v1, v1, v3;

	;;#ASMEND
	s_nop 0
	;; [unrolled: 5-line block ×3, first 2 shown]
	v_lshrrev_b32_e32 v2, 16, v1
	v_and_b32_e32 v1, 0xffff, v1
	;;#ASMSTART
	v_cvt_f32_f16 v34, v1;
	;;#ASMEND
	;;#ASMSTART
	v_cvt_f32_f16 v35, v2;
	;;#ASMEND
	global_load_dwordx4 v[2:5], v[14:15], off offset:1024
	s_waitcnt vmcnt(0)
	v_lshrrev_b32_e32 v1, 16, v3
	v_lshrrev_b32_e32 v8, 16, v2
	;; [unrolled: 1-line block ×3, first 2 shown]
	s_and_saveexec_b64 s[8:9], s[0:1]
	s_cbranch_execz .LBB84_44
; %bb.43:                               ;   in Loop: Header=BB84_40 Depth=1
	v_cmp_gt_i32_e32 vcc, s33, v21
	s_nop 1
	v_cndmask_b32_e32 v2, 0, v2, vcc
	v_cmp_gt_i32_e32 vcc, s33, v27
	s_nop 1
	v_cndmask_b32_e32 v3, 0, v3, vcc
	;; [unrolled: 3-line block ×6, first 2 shown]
	v_cmp_gt_i32_e32 vcc, s33, v24
	s_nop 1
	v_cndmask_b32_sdwa v37, v9, v5, vcc dst_sel:DWORD dst_unused:UNUSED_PAD src0_sel:DWORD src1_sel:WORD_0
	v_and_b32_e32 v5, 0xffff0000, v5
	v_cmp_gt_i32_e32 vcc, s33, v23
	s_nop 1
	v_cndmask_b32_e32 v5, 0, v5, vcc
	v_or_b32_e32 v5, v37, v5
.LBB84_44:                              ;   in Loop: Header=BB84_40 Depth=1
	s_or_b64 exec, exec, s[8:9]
	v_lshlrev_b32_e32 v8, 16, v8
	v_lshlrev_b32_e32 v1, 16, v1
	v_and_or_b32 v2, v2, s17, v8
	v_and_or_b32 v1, v3, s17, v1
	v_lshlrev_b32_e32 v3, 16, v36
	v_and_or_b32 v3, v4, s17, v3
	;;#ASMSTART
	v_pk_mul_f16 v2, v30, v2;

	;;#ASMEND
	;;#ASMSTART
	v_pk_mul_f16 v1, v31, v1;

	;;#ASMEND
	;; [unrolled: 4-line block ×4, first 2 shown]
	s_nop 0
	;;#ASMSTART
	v_pk_add_f16 v1, v2, v1;

	;;#ASMEND
	s_nop 0
	;;#ASMSTART
	v_pk_add_f16 v1, v1, v3;

	;;#ASMEND
	;; [unrolled: 5-line block ×3, first 2 shown]
	s_nop 0
	v_lshrrev_b32_e32 v2, 16, v1
	v_and_b32_e32 v1, 0xffff, v1
	;;#ASMSTART
	v_cvt_f32_f16 v36, v1;
	;;#ASMEND
	;;#ASMSTART
	v_cvt_f32_f16 v37, v2;
	;;#ASMEND
	global_load_dwordx4 v[2:5], v[14:15], off offset:2048
	s_waitcnt vmcnt(0)
	v_lshrrev_b32_e32 v1, 16, v3
	v_lshrrev_b32_e32 v8, 16, v2
	;; [unrolled: 1-line block ×3, first 2 shown]
	s_and_saveexec_b64 s[8:9], s[0:1]
	s_cbranch_execz .LBB84_39
; %bb.45:                               ;   in Loop: Header=BB84_40 Depth=1
	v_cmp_gt_i32_e32 vcc, s33, v21
	s_nop 1
	v_cndmask_b32_e32 v2, 0, v2, vcc
	v_cmp_gt_i32_e32 vcc, s33, v27
	s_nop 1
	v_cndmask_b32_e32 v3, 0, v3, vcc
	;; [unrolled: 3-line block ×6, first 2 shown]
	v_cmp_gt_i32_e32 vcc, s33, v24
	s_nop 1
	v_cndmask_b32_sdwa v15, v9, v5, vcc dst_sel:DWORD dst_unused:UNUSED_PAD src0_sel:DWORD src1_sel:WORD_0
	v_and_b32_e32 v5, 0xffff0000, v5
	v_cmp_gt_i32_e32 vcc, s33, v23
	s_nop 1
	v_cndmask_b32_e32 v5, 0, v5, vcc
	v_or_b32_e32 v5, v15, v5
	s_branch .LBB84_39
.LBB84_46:
	s_or_b64 exec, exec, s[6:7]
.LBB84_47:
	s_or_b64 exec, exec, s[2:3]
	ds_bpermute_b32 v2, v18, v6
	ds_bpermute_b32 v3, v18, v7
	;; [unrolled: 1-line block ×3, first 2 shown]
	v_and_b32_e32 v4, 0x3c1, v0
	v_cmp_ne_u32_e32 vcc, 64, v4
	s_waitcnt lgkmcnt(0)
	v_pk_add_f32 v[2:3], v[6:7], v[2:3]
	s_barrier
	s_and_saveexec_b64 s[0:1], vcc
	s_xor_b64 s[0:1], exec, s[0:1]
; %bb.48:
                                        ; implicit-def: $vgpr17
; %bb.49:
	s_or_saveexec_b64 s[0:1], s[0:1]
	v_add_f32_e32 v1, v20, v1
	s_xor_b64 exec, exec, s[0:1]
	s_cbranch_execz .LBB84_51
; %bb.50:
	v_mov_b32_e32 v5, 0xd0
	v_lshl_add_u32 v5, v17, 1, v5
	ds_write2_b32 v5, v2, v3 offset1:32
	ds_write_b32 v5, v1 offset:256
.LBB84_51:
	s_or_b64 exec, exec, s[0:1]
	v_cmp_gt_u32_e32 vcc, 64, v0
	v_lshrrev_b32_e32 v0, 1, v0
	s_waitcnt lgkmcnt(0)
	s_barrier
	s_and_saveexec_b64 s[0:1], vcc
	s_cbranch_execz .LBB84_57
; %bb.52:
	v_mov_b32_e32 v5, 0xd0
	v_cmp_eq_u32_e32 vcc, 0, v19
	v_lshl_add_u32 v5, v0, 2, v5
	s_and_saveexec_b64 s[2:3], vcc
	s_cbranch_execnz .LBB84_60
; %bb.53:
	s_or_b64 exec, exec, s[2:3]
	s_and_saveexec_b64 s[2:3], vcc
	s_cbranch_execnz .LBB84_61
.LBB84_54:
	s_or_b64 exec, exec, s[2:3]
	s_and_saveexec_b64 s[2:3], vcc
	s_cbranch_execz .LBB84_56
.LBB84_55:
	ds_read_b32 v5, v5 offset:256
	s_waitcnt lgkmcnt(0)
	v_add_f32_e32 v1, v1, v5
.LBB84_56:
	s_or_b64 exec, exec, s[2:3]
.LBB84_57:
	s_or_b64 exec, exec, s[0:1]
	v_cmp_eq_u32_e32 vcc, 0, v4
	s_barrier
	s_and_saveexec_b64 s[0:1], vcc
	s_cbranch_execz .LBB84_59
; %bb.58:
	s_mul_i32 s0, s10, s11
	s_mul_i32 s0, s0, s5
	s_mulk_i32 s0, 0x60
	s_ashr_i32 s1, s0, 31
	s_lshl_b64 s[0:1], s[0:1], 1
	s_add_u32 s2, s18, s0
	s_mul_i32 s0, s11, s16
	s_addc_u32 s3, s19, s1
	s_ashr_i32 s1, s0, 31
	s_lshl_b64 s[0:1], s[0:1], 1
	s_add_u32 s2, s2, s0
	s_mul_i32 s0, s4, 0x60
	s_addc_u32 s3, s3, s1
	s_ashr_i32 s1, s0, 31
	s_lshl_b64 s[0:1], s[0:1], 1
	s_add_u32 s0, s2, s0
	s_addc_u32 s1, s3, s1
	v_lshlrev_b32_e32 v0, 1, v0
	;;#ASMSTART
	v_cvt_f16_f32 v2, v2;

	;;#ASMEND
	global_store_short v0, v2, s[0:1]
	;;#ASMSTART
	v_cvt_f16_f32 v2, v3;

	;;#ASMEND
	global_store_short v0, v2, s[0:1] offset:64
	;;#ASMSTART
	v_cvt_f16_f32 v1, v1;

	;;#ASMEND
	global_store_short v0, v1, s[0:1] offset:128
.LBB84_59:
	s_endpgm
.LBB84_60:
	ds_read_b32 v6, v5
	s_waitcnt lgkmcnt(0)
	v_add_f32_e32 v2, v2, v6
	s_or_b64 exec, exec, s[2:3]
	s_and_saveexec_b64 s[2:3], vcc
	s_cbranch_execz .LBB84_54
.LBB84_61:
	ds_read_b32 v6, v5 offset:128
	s_waitcnt lgkmcnt(0)
	v_add_f32_e32 v3, v3, v6
	s_or_b64 exec, exec, s[2:3]
	s_and_saveexec_b64 s[2:3], vcc
	s_cbranch_execnz .LBB84_55
	s_branch .LBB84_56
	.section	.rodata,"a",@progbits
	.p2align	6, 0x0
	.amdhsa_kernel _ZN4vllm25paged_attention_v1_kernelIttLi96ELi16ELi128ELNS_18Fp8KVCacheDataTypeE0ELb0EEEvPT_PKS2_PKT0_S8_ifPKiSA_iPKfiiiSC_SC_iiiii
		.amdhsa_group_segment_fixed_size 208
		.amdhsa_private_segment_fixed_size 0
		.amdhsa_kernarg_size 384
		.amdhsa_user_sgpr_count 2
		.amdhsa_user_sgpr_dispatch_ptr 0
		.amdhsa_user_sgpr_queue_ptr 0
		.amdhsa_user_sgpr_kernarg_segment_ptr 1
		.amdhsa_user_sgpr_dispatch_id 0
		.amdhsa_user_sgpr_kernarg_preload_length 0
		.amdhsa_user_sgpr_kernarg_preload_offset 0
		.amdhsa_user_sgpr_private_segment_size 0
		.amdhsa_uses_dynamic_stack 0
		.amdhsa_enable_private_segment 0
		.amdhsa_system_sgpr_workgroup_id_x 1
		.amdhsa_system_sgpr_workgroup_id_y 1
		.amdhsa_system_sgpr_workgroup_id_z 1
		.amdhsa_system_sgpr_workgroup_info 0
		.amdhsa_system_vgpr_workitem_id 0
		.amdhsa_next_free_vgpr 56
		.amdhsa_next_free_sgpr 34
		.amdhsa_accum_offset 56
		.amdhsa_reserve_vcc 1
		.amdhsa_float_round_mode_32 0
		.amdhsa_float_round_mode_16_64 0
		.amdhsa_float_denorm_mode_32 3
		.amdhsa_float_denorm_mode_16_64 3
		.amdhsa_dx10_clamp 1
		.amdhsa_ieee_mode 1
		.amdhsa_fp16_overflow 0
		.amdhsa_tg_split 0
		.amdhsa_exception_fp_ieee_invalid_op 0
		.amdhsa_exception_fp_denorm_src 0
		.amdhsa_exception_fp_ieee_div_zero 0
		.amdhsa_exception_fp_ieee_overflow 0
		.amdhsa_exception_fp_ieee_underflow 0
		.amdhsa_exception_fp_ieee_inexact 0
		.amdhsa_exception_int_div_zero 0
	.end_amdhsa_kernel
	.section	.text._ZN4vllm25paged_attention_v1_kernelIttLi96ELi16ELi128ELNS_18Fp8KVCacheDataTypeE0ELb0EEEvPT_PKS2_PKT0_S8_ifPKiSA_iPKfiiiSC_SC_iiiii,"axG",@progbits,_ZN4vllm25paged_attention_v1_kernelIttLi96ELi16ELi128ELNS_18Fp8KVCacheDataTypeE0ELb0EEEvPT_PKS2_PKT0_S8_ifPKiSA_iPKfiiiSC_SC_iiiii,comdat
.Lfunc_end84:
	.size	_ZN4vllm25paged_attention_v1_kernelIttLi96ELi16ELi128ELNS_18Fp8KVCacheDataTypeE0ELb0EEEvPT_PKS2_PKT0_S8_ifPKiSA_iPKfiiiSC_SC_iiiii, .Lfunc_end84-_ZN4vllm25paged_attention_v1_kernelIttLi96ELi16ELi128ELNS_18Fp8KVCacheDataTypeE0ELb0EEEvPT_PKS2_PKT0_S8_ifPKiSA_iPKfiiiSC_SC_iiiii
                                        ; -- End function
	.set _ZN4vllm25paged_attention_v1_kernelIttLi96ELi16ELi128ELNS_18Fp8KVCacheDataTypeE0ELb0EEEvPT_PKS2_PKT0_S8_ifPKiSA_iPKfiiiSC_SC_iiiii.num_vgpr, 56
	.set _ZN4vllm25paged_attention_v1_kernelIttLi96ELi16ELi128ELNS_18Fp8KVCacheDataTypeE0ELb0EEEvPT_PKS2_PKT0_S8_ifPKiSA_iPKfiiiSC_SC_iiiii.num_agpr, 0
	.set _ZN4vllm25paged_attention_v1_kernelIttLi96ELi16ELi128ELNS_18Fp8KVCacheDataTypeE0ELb0EEEvPT_PKS2_PKT0_S8_ifPKiSA_iPKfiiiSC_SC_iiiii.numbered_sgpr, 34
	.set _ZN4vllm25paged_attention_v1_kernelIttLi96ELi16ELi128ELNS_18Fp8KVCacheDataTypeE0ELb0EEEvPT_PKS2_PKT0_S8_ifPKiSA_iPKfiiiSC_SC_iiiii.num_named_barrier, 0
	.set _ZN4vllm25paged_attention_v1_kernelIttLi96ELi16ELi128ELNS_18Fp8KVCacheDataTypeE0ELb0EEEvPT_PKS2_PKT0_S8_ifPKiSA_iPKfiiiSC_SC_iiiii.private_seg_size, 0
	.set _ZN4vllm25paged_attention_v1_kernelIttLi96ELi16ELi128ELNS_18Fp8KVCacheDataTypeE0ELb0EEEvPT_PKS2_PKT0_S8_ifPKiSA_iPKfiiiSC_SC_iiiii.uses_vcc, 1
	.set _ZN4vllm25paged_attention_v1_kernelIttLi96ELi16ELi128ELNS_18Fp8KVCacheDataTypeE0ELb0EEEvPT_PKS2_PKT0_S8_ifPKiSA_iPKfiiiSC_SC_iiiii.uses_flat_scratch, 0
	.set _ZN4vllm25paged_attention_v1_kernelIttLi96ELi16ELi128ELNS_18Fp8KVCacheDataTypeE0ELb0EEEvPT_PKS2_PKT0_S8_ifPKiSA_iPKfiiiSC_SC_iiiii.has_dyn_sized_stack, 0
	.set _ZN4vllm25paged_attention_v1_kernelIttLi96ELi16ELi128ELNS_18Fp8KVCacheDataTypeE0ELb0EEEvPT_PKS2_PKT0_S8_ifPKiSA_iPKfiiiSC_SC_iiiii.has_recursion, 0
	.set _ZN4vllm25paged_attention_v1_kernelIttLi96ELi16ELi128ELNS_18Fp8KVCacheDataTypeE0ELb0EEEvPT_PKS2_PKT0_S8_ifPKiSA_iPKfiiiSC_SC_iiiii.has_indirect_call, 0
	.section	.AMDGPU.csdata,"",@progbits
; Kernel info:
; codeLenInByte = 5808
; TotalNumSgprs: 40
; NumVgprs: 56
; NumAgprs: 0
; TotalNumVgprs: 56
; ScratchSize: 0
; MemoryBound: 0
; FloatMode: 240
; IeeeMode: 1
; LDSByteSize: 208 bytes/workgroup (compile time only)
; SGPRBlocks: 4
; VGPRBlocks: 6
; NumSGPRsForWavesPerEU: 40
; NumVGPRsForWavesPerEU: 56
; AccumOffset: 56
; Occupancy: 8
; WaveLimiterHint : 1
; COMPUTE_PGM_RSRC2:SCRATCH_EN: 0
; COMPUTE_PGM_RSRC2:USER_SGPR: 2
; COMPUTE_PGM_RSRC2:TRAP_HANDLER: 0
; COMPUTE_PGM_RSRC2:TGID_X_EN: 1
; COMPUTE_PGM_RSRC2:TGID_Y_EN: 1
; COMPUTE_PGM_RSRC2:TGID_Z_EN: 1
; COMPUTE_PGM_RSRC2:TIDIG_COMP_CNT: 0
; COMPUTE_PGM_RSRC3_GFX90A:ACCUM_OFFSET: 13
; COMPUTE_PGM_RSRC3_GFX90A:TG_SPLIT: 0
	.section	.text._ZN4vllm25paged_attention_v1_kernelIttLi112ELi16ELi128ELNS_18Fp8KVCacheDataTypeE0ELb0EEEvPT_PKS2_PKT0_S8_ifPKiSA_iPKfiiiSC_SC_iiiii,"axG",@progbits,_ZN4vllm25paged_attention_v1_kernelIttLi112ELi16ELi128ELNS_18Fp8KVCacheDataTypeE0ELb0EEEvPT_PKS2_PKT0_S8_ifPKiSA_iPKfiiiSC_SC_iiiii,comdat
	.protected	_ZN4vllm25paged_attention_v1_kernelIttLi112ELi16ELi128ELNS_18Fp8KVCacheDataTypeE0ELb0EEEvPT_PKS2_PKT0_S8_ifPKiSA_iPKfiiiSC_SC_iiiii ; -- Begin function _ZN4vllm25paged_attention_v1_kernelIttLi112ELi16ELi128ELNS_18Fp8KVCacheDataTypeE0ELb0EEEvPT_PKS2_PKT0_S8_ifPKiSA_iPKfiiiSC_SC_iiiii
	.globl	_ZN4vllm25paged_attention_v1_kernelIttLi112ELi16ELi128ELNS_18Fp8KVCacheDataTypeE0ELb0EEEvPT_PKS2_PKT0_S8_ifPKiSA_iPKfiiiSC_SC_iiiii
	.p2align	8
	.type	_ZN4vllm25paged_attention_v1_kernelIttLi112ELi16ELi128ELNS_18Fp8KVCacheDataTypeE0ELb0EEEvPT_PKS2_PKT0_S8_ifPKiSA_iPKfiiiSC_SC_iiiii,@function
_ZN4vllm25paged_attention_v1_kernelIttLi112ELi16ELi128ELNS_18Fp8KVCacheDataTypeE0ELb0EEEvPT_PKS2_PKT0_S8_ifPKiSA_iPKfiiiSC_SC_iiiii: ; @_ZN4vllm25paged_attention_v1_kernelIttLi112ELi16ELi128ELNS_18Fp8KVCacheDataTypeE0ELb0EEEvPT_PKS2_PKT0_S8_ifPKiSA_iPKfiiiSC_SC_iiiii
; %bb.0:
	s_load_dword s5, s[0:1], 0x80
	s_load_dwordx2 s[6:7], s[0:1], 0x30
	s_load_dwordx2 s[8:9], s[0:1], 0x20
	s_mov_b32 s10, s3
	s_ashr_i32 s11, s3, 31
	s_lshl_b64 s[12:13], s[10:11], 2
	s_waitcnt lgkmcnt(0)
	s_add_u32 s6, s6, s12
	s_addc_u32 s7, s7, s13
	s_abs_i32 s3, s8
	v_cvt_f32_u32_e32 v1, s3
	s_sub_i32 s12, 0, s3
	s_abs_i32 s11, s5
	s_xor_b32 s8, s5, s8
	v_rcp_iflag_f32_e32 v1, v1
	s_ashr_i32 s8, s8, 31
	v_mul_f32_e32 v1, 0x4f7ffffe, v1
	v_cvt_u32_f32_e32 v1, v1
	s_nop 0
	v_readfirstlane_b32 s13, v1
	s_mul_i32 s12, s12, s13
	s_mul_hi_u32 s12, s13, s12
	s_add_i32 s13, s13, s12
	s_mul_hi_u32 s12, s11, s13
	s_mul_i32 s13, s12, s3
	s_sub_i32 s11, s11, s13
	s_add_i32 s13, s12, 1
	s_sub_i32 s14, s11, s3
	s_cmp_ge_u32 s11, s3
	s_cselect_b32 s12, s13, s12
	s_cselect_b32 s11, s14, s11
	s_add_i32 s13, s12, 1
	s_cmp_ge_u32 s11, s3
	s_cselect_b32 s3, s13, s12
	s_xor_b32 s3, s3, s8
	s_sub_i32 s16, s3, s8
	s_abs_i32 s11, s16
	v_cvt_f32_u32_e32 v1, s11
	s_load_dwordx2 s[12:13], s[0:1], 0x40
	s_sub_i32 s3, 0, s11
	s_abs_i32 s18, s2
	v_rcp_iflag_f32_e32 v1, v1
	s_mov_b32 s8, 0
	v_mul_f32_e32 v1, 0x4f7ffffe, v1
	v_cvt_u32_f32_e32 v1, v1
	s_nop 0
	v_readfirstlane_b32 s14, v1
	s_mul_i32 s3, s3, s14
	s_mul_hi_u32 s3, s14, s3
	s_add_i32 s14, s14, s3
	s_waitcnt lgkmcnt(0)
	s_cmp_eq_u64 s[12:13], 0
	s_mul_hi_u32 s19, s18, s14
	s_cbranch_scc1 .LBB85_2
; %bb.1:
	s_ashr_i32 s3, s2, 31
	s_lshl_b64 s[14:15], s[2:3], 2
	s_add_u32 s12, s12, s14
	s_addc_u32 s13, s13, s15
	s_load_dword s8, s[12:13], 0x0
.LBB85_2:
	s_load_dword s33, s[6:7], 0x0
	s_nop 0
	s_load_dwordx4 s[12:15], s[0:1], 0x48
	s_ashr_i32 s6, s2, 31
	s_ashr_i32 s7, s16, 31
	v_and_b32_e32 v4, 3, v0
	s_mul_i32 s16, s2, 0x70
	v_cmp_gt_u32_e32 vcc, 56, v0
	s_and_saveexec_b64 s[2:3], vcc
	s_cbranch_execz .LBB85_4
; %bb.3:
	s_load_dwordx2 s[20:21], s[0:1], 0x8
	s_waitcnt lgkmcnt(0)
	s_mul_i32 s22, s12, s10
	s_ashr_i32 s23, s22, 31
	s_lshl_b64 s[22:23], s[22:23], 1
	v_lshlrev_b32_e32 v1, 2, v0
	s_add_u32 s12, s20, s22
	s_addc_u32 s15, s21, s23
	s_ashr_i32 s17, s16, 31
	s_lshl_b64 s[20:21], s[16:17], 1
	s_add_u32 s20, s12, s20
	s_addc_u32 s21, s15, s21
	global_load_dword v1, v1, s[20:21]
	v_and_b32_e32 v2, 0x3fc, v0
	v_mad_u32_u24 v2, v4, 56, v2
	s_waitcnt vmcnt(0)
	ds_write_b32 v2, v1
.LBB85_4:
	s_or_b64 exec, exec, s[2:3]
	s_waitcnt lgkmcnt(0)
	s_add_i32 s3, s33, 15
	s_ashr_i32 s12, s3, 31
	s_lshr_b32 s12, s12, 28
	s_add_i32 s3, s3, s12
	s_ashr_i32 s17, s3, 4
	s_xor_b32 s3, s6, s7
	s_mul_i32 s6, s19, s11
	s_sub_i32 s6, s18, s6
	s_add_i32 s7, s19, 1
	s_sub_i32 s12, s6, s11
	s_load_dwordx2 s[20:21], s[0:1], 0x28
	s_load_dword s2, s[0:1], 0x38
	s_cmp_ge_u32 s6, s11
	s_cselect_b32 s7, s7, s19
	s_cselect_b32 s6, s12, s6
	s_add_i32 s12, s7, 1
	s_cmp_ge_u32 s6, s11
	s_cselect_b32 s6, s12, s7
	v_lshrrev_b32_e32 v21, 6, v0
	s_xor_b32 s6, s6, s3
	s_waitcnt lgkmcnt(0)
	s_mul_i32 s22, s2, s10
	s_sub_i32 s12, s6, s3
	s_ashr_i32 s23, s22, 31
	v_cmp_le_i32_e64 s[6:7], s17, v21
	v_mbcnt_lo_u32_b32 v13, -1, 0
	s_barrier
                                        ; implicit-def: $vgpr6
                                        ; implicit-def: $vgpr8
                                        ; implicit-def: $vgpr7
	s_and_saveexec_b64 s[2:3], s[6:7]
	s_xor_b64 s[2:3], exec, s[2:3]
; %bb.5:
	v_mbcnt_hi_u32_b32 v6, -1, v13
	v_and_b32_e32 v8, 64, v6
	v_add_u32_e32 v7, 64, v8
                                        ; implicit-def: $vgpr4
                                        ; implicit-def: $vgpr13
; %bb.6:
	s_or_saveexec_b64 s[26:27], s[2:3]
	s_load_dwordx2 s[18:19], s[0:1], 0x0
	s_load_dwordx2 s[24:25], s[0:1], 0x18
	s_load_dword s11, s[0:1], 0x88
	v_mov_b32_e32 v9, 0xff7fffff
	s_mul_i32 s14, s12, s14
	v_lshrrev_b32_e32 v1, 4, v0
	s_xor_b64 exec, exec, s[26:27]
	s_cbranch_execz .LBB85_12
; %bb.7:
	s_load_dwordx2 s[0:1], s[0:1], 0x10
	s_ashr_i32 s15, s14, 31
	s_lshl_b64 s[2:3], s[14:15], 1
	v_bfe_u32 v5, v0, 2, 4
	v_lshlrev_b32_e32 v6, 4, v5
	s_waitcnt lgkmcnt(0)
	s_add_u32 s0, s0, s2
	s_addc_u32 s1, s1, s3
	v_mov_b32_e32 v7, 0
	v_lshl_add_u64 v[2:3], s[0:1], 0, v[6:7]
	v_lshlrev_b32_e32 v6, 2, v0
	s_sub_i32 s15, 1, s33
	s_lshl_b64 s[0:1], s[22:23], 2
	v_and_b32_e32 v6, 12, v6
	v_mul_u32_u24_e32 v10, 56, v4
	v_cmp_eq_u32_e32 vcc, 0, v4
	v_lshlrev_b32_e32 v4, 2, v5
	s_add_u32 s0, s20, s0
	v_lshl_add_u64 v[2:3], v[2:3], 0, v[6:7]
	v_lshl_or_b32 v4, v21, 6, v4
	v_and_b32_e32 v6, 60, v1
	s_addc_u32 s1, s21, s1
	v_lshl_or_b32 v11, v21, 4, v5
	v_add_u32_e32 v12, 0xf0, v4
	v_lshl_add_u64 v[4:5], s[0:1], 0, v[6:7]
	v_mbcnt_hi_u32_b32 v6, -1, v13
	v_and_b32_e32 v8, 64, v6
	s_mov_b32 s12, s13
	v_cmp_neq_f32_e64 s[2:3], s8, 0
	v_mov_b32_e32 v9, 0xff7fffff
	s_mov_b64 s[28:29], 0
	v_add_u32_e32 v7, 64, v8
	v_xor_b32_e32 v13, 2, v6
	v_xor_b32_e32 v14, 1, v6
	v_mov_b32_e32 v15, v21
	s_branch .LBB85_9
.LBB85_8:                               ;   in Loop: Header=BB85_9 Depth=1
	s_or_b64 exec, exec, s[30:31]
	v_add_u32_e32 v15, 2, v15
	v_cmp_le_i32_e64 s[0:1], s17, v15
	v_add_u32_e32 v11, 32, v11
	v_add_u32_e32 v12, 0x80, v12
	s_or_b64 s[28:29], s[0:1], s[28:29]
	v_lshl_add_u64 v[4:5], v[4:5], 0, 8
	s_andn2_b64 exec, exec, s[28:29]
	s_cbranch_execz .LBB85_11
.LBB85_9:                               ; =>This Inner Loop Header: Depth=1
	global_load_dword v16, v[4:5], off
	s_waitcnt vmcnt(0) lgkmcnt(0)
	v_mad_i64_i32 v[16:17], s[0:1], v16, s12, 0
	v_lshl_add_u64 v[32:33], v[16:17], 1, v[2:3]
	global_load_dword v30, v[32:33], off
	global_load_dword v29, v[32:33], off offset:256
	global_load_dword v28, v[32:33], off offset:512
	;; [unrolled: 1-line block ×13, first 2 shown]
	ds_read_b32 v31, v10
	v_cmp_lt_i32_e64 s[0:1], v13, v7
	s_waitcnt lgkmcnt(0)
	v_lshrrev_b32_e32 v33, 16, v31
	v_and_b32_e32 v31, 0xffff, v31
	;;#ASMSTART
	v_cvt_f32_f16 v31, v31;
	;;#ASMEND
	;;#ASMSTART
	v_cvt_f32_f16 v33, v33;
	;;#ASMEND
	v_cndmask_b32_e64 v32, v6, v13, s[0:1]
	v_lshlrev_b32_e32 v32, 2, v32
	v_cmp_lt_i32_e64 s[0:1], v14, v7
	s_waitcnt vmcnt(13)
	v_lshrrev_b32_e32 v34, 16, v30
	v_and_b32_e32 v30, 0xffff, v30
	;;#ASMSTART
	v_cvt_f32_f16 v30, v30;
	;;#ASMEND
	;;#ASMSTART
	v_cvt_f32_f16 v34, v34;
	;;#ASMEND
	ds_read_b32 v35, v10 offset:4
	s_waitcnt vmcnt(12)
	v_lshrrev_b32_e32 v36, 16, v29
	v_and_b32_e32 v37, 0xffff, v29
	s_waitcnt vmcnt(11)
	v_lshrrev_b32_e32 v38, 16, v28
	v_and_b32_e32 v39, 0xffff, v28
	s_waitcnt lgkmcnt(0)
	v_lshrrev_b32_e32 v29, 16, v35
	v_and_b32_e32 v28, 0xffff, v35
	;;#ASMSTART
	v_cvt_f32_f16 v28, v28;
	;;#ASMEND
	;;#ASMSTART
	v_cvt_f32_f16 v29, v29;
	;;#ASMEND
	;;#ASMSTART
	v_cvt_f32_f16 v35, v37;
	;;#ASMEND
	;;#ASMSTART
	v_cvt_f32_f16 v36, v36;
	;;#ASMEND
	ds_read_b32 v37, v10 offset:8
	s_waitcnt vmcnt(10)
	v_lshrrev_b32_e32 v40, 16, v27
	v_and_b32_e32 v41, 0xffff, v27
	s_waitcnt vmcnt(9)
	v_lshrrev_b32_e32 v42, 16, v26
	v_and_b32_e32 v43, 0xffff, v26
	s_waitcnt lgkmcnt(0)
	v_lshrrev_b32_e32 v27, 16, v37
	v_and_b32_e32 v26, 0xffff, v37
	;;#ASMSTART
	v_cvt_f32_f16 v26, v26;
	;;#ASMEND
	;;#ASMSTART
	v_cvt_f32_f16 v27, v27;
	;;#ASMEND
	;; [unrolled: 22-line block ×6, first 2 shown]
	;;#ASMSTART
	v_cvt_f32_f16 v45, v47;
	;;#ASMEND
	;;#ASMSTART
	v_cvt_f32_f16 v46, v46;
	;;#ASMEND
	ds_read_b32 v47, v10 offset:28
	s_waitcnt vmcnt(0)
	v_lshrrev_b32_e32 v60, 16, v16
	v_and_b32_e32 v61, 0xffff, v16
	v_mul_f32_e32 v16, v28, v35
	v_mul_f32_e32 v28, v29, v36
	s_waitcnt lgkmcnt(0)
	v_lshrrev_b32_e32 v35, 16, v47
	v_and_b32_e32 v29, 0xffff, v47
	;;#ASMSTART
	v_cvt_f32_f16 v29, v29;
	;;#ASMEND
	;;#ASMSTART
	v_cvt_f32_f16 v35, v35;
	;;#ASMEND
	;;#ASMSTART
	v_cvt_f32_f16 v36, v49;
	;;#ASMEND
	;;#ASMSTART
	v_cvt_f32_f16 v47, v48;
	;;#ASMEND
	ds_read_b32 v48, v10 offset:32
	v_fmac_f32_e32 v16, v31, v30
	v_fmac_f32_e32 v28, v33, v34
	v_fmac_f32_e32 v16, v26, v37
	v_fmac_f32_e32 v28, v27, v38
	s_waitcnt lgkmcnt(0)
	v_lshrrev_b32_e32 v27, 16, v48
	v_and_b32_e32 v26, 0xffff, v48
	;;#ASMSTART
	v_cvt_f32_f16 v26, v26;
	;;#ASMEND
	;;#ASMSTART
	v_cvt_f32_f16 v27, v27;
	;;#ASMEND
	;;#ASMSTART
	v_cvt_f32_f16 v30, v51;
	;;#ASMEND
	;;#ASMSTART
	v_cvt_f32_f16 v31, v50;
	;;#ASMEND
	ds_read_b32 v33, v10 offset:36
	v_fmac_f32_e32 v16, v24, v39
	v_fmac_f32_e32 v28, v25, v40
	v_fmac_f32_e32 v16, v22, v41
	v_fmac_f32_e32 v28, v23, v42
	;; [unrolled: 20-line block ×6, first 2 shown]
	s_waitcnt lgkmcnt(0)
	v_lshrrev_b32_e32 v18, 16, v22
	v_and_b32_e32 v17, 0xffff, v22
	;;#ASMSTART
	v_cvt_f32_f16 v17, v17;
	;;#ASMEND
	;;#ASMSTART
	v_cvt_f32_f16 v18, v18;
	;;#ASMEND
	;; [unrolled: 3-line block ×4, first 2 shown]
	s_nop 0
	v_fmac_f32_e32 v16, v17, v19
	v_fmac_f32_e32 v28, v18, v20
	v_add_f32_e32 v16, v16, v28
	ds_bpermute_b32 v17, v32, v16
	v_cndmask_b32_e64 v18, v6, v14, s[0:1]
	s_waitcnt lgkmcnt(0)
	v_add_f32_e32 v16, v16, v17
	v_lshlrev_b32_e32 v17, 2, v18
	ds_bpermute_b32 v17, v17, v16
	s_and_saveexec_b64 s[30:31], vcc
	s_cbranch_execz .LBB85_8
; %bb.10:                               ;   in Loop: Header=BB85_9 Depth=1
	v_add_u32_e32 v18, s15, v11
	v_cvt_f32_i32_e32 v18, v18
	s_waitcnt lgkmcnt(0)
	v_add_f32_e32 v16, v16, v17
	v_cmp_gt_i32_e64 s[0:1], s33, v11
	v_max_f32_e32 v17, v9, v9
	v_mul_f32_e32 v18, s8, v18
	v_cndmask_b32_e64 v18, 0, v18, s[2:3]
	v_fmac_f32_e32 v18, s9, v16
	v_cndmask_b32_e64 v16, 0, v18, s[0:1]
	ds_write_b32 v12, v16
	v_max_f32_e32 v16, v17, v18
	v_cndmask_b32_e64 v9, v9, v16, s[0:1]
	s_branch .LBB85_8
.LBB85_11:
	s_or_b64 exec, exec, s[28:29]
.LBB85_12:
	s_or_b64 exec, exec, s[26:27]
	v_xor_b32_e32 v2, 32, v6
	v_cmp_lt_i32_e32 vcc, v2, v7
	v_xor_b32_e32 v5, 16, v6
	v_max_f32_e32 v4, v9, v9
	v_cndmask_b32_e32 v2, v6, v2, vcc
	v_lshlrev_b32_e32 v2, 2, v2
	ds_bpermute_b32 v3, v2, v9
	v_cmp_lt_i32_e32 vcc, v5, v7
	v_xor_b32_e32 v9, 8, v6
	v_xor_b32_e32 v11, 4, v6
	s_waitcnt lgkmcnt(0)
	v_max_f32_e32 v3, v3, v3
	v_max_f32_e32 v4, v4, v3
	v_cndmask_b32_e32 v3, v6, v5, vcc
	v_lshlrev_b32_e32 v3, 2, v3
	ds_bpermute_b32 v5, v3, v4
	v_cmp_lt_i32_e32 vcc, v9, v7
	s_waitcnt lgkmcnt(0)
	v_max_f32_e32 v5, v5, v5
	v_max_f32_e32 v4, v4, v5
	v_cndmask_b32_e32 v5, v6, v9, vcc
	v_lshlrev_b32_e32 v10, 2, v5
	ds_bpermute_b32 v5, v10, v4
	v_cmp_lt_i32_e32 vcc, v11, v7
	s_waitcnt lgkmcnt(0)
	v_max_f32_e32 v5, v5, v5
	v_max_f32_e32 v9, v4, v5
	v_cndmask_b32_e32 v4, v6, v11, vcc
	v_lshlrev_b32_e32 v11, 2, v4
	ds_bpermute_b32 v12, v11, v9
	v_and_b32_e32 v4, 63, v0
	v_cmp_eq_u32_e32 vcc, 0, v4
	v_lshlrev_b32_e32 v5, 2, v21
	s_and_saveexec_b64 s[0:1], vcc
	s_cbranch_execz .LBB85_14
; %bb.13:
	s_waitcnt lgkmcnt(0)
	v_max_f32_e32 v12, v12, v12
	v_max_f32_e32 v9, v9, v9
	v_max_f32_e32 v9, v9, v12
	ds_write_b32 v5, v9 offset:224
.LBB85_14:
	s_or_b64 exec, exec, s[0:1]
	v_cmp_gt_u32_e64 s[0:1], 2, v4
	s_waitcnt lgkmcnt(0)
	v_mov_b32_e32 v12, 0xff7fffff
	v_lshlrev_b32_e32 v9, 2, v4
	s_barrier
	s_and_saveexec_b64 s[2:3], s[0:1]
; %bb.15:
	ds_read_b32 v12, v9 offset:224
; %bb.16:
	s_or_b64 exec, exec, s[2:3]
	v_xor_b32_e32 v13, 1, v6
	v_cmp_lt_i32_e64 s[2:3], v13, v7
	v_lshlrev_b32_e32 v8, 2, v8
	s_nop 0
	v_cndmask_b32_e64 v13, v6, v13, s[2:3]
	v_lshlrev_b32_e32 v22, 2, v13
	s_waitcnt lgkmcnt(0)
	ds_bpermute_b32 v13, v22, v12
	v_max_f32_e32 v12, v12, v12
	s_lshl_b32 s2, s17, 4
	s_min_i32 s12, s2, s33
	v_cmp_gt_i32_e64 s[2:3], s12, v0
	s_waitcnt lgkmcnt(0)
	v_max_f32_e32 v13, v13, v13
	v_max_f32_e32 v12, v12, v13
	ds_bpermute_b32 v12, v8, v12
	v_mov_b32_e32 v8, 0
	s_and_saveexec_b64 s[26:27], s[2:3]
	s_cbranch_execz .LBB85_20
; %bb.17:
	v_mov_b32_e32 v8, 0xf0
	v_lshl_add_u32 v13, v0, 2, v8
	v_mov_b32_e32 v8, 0
	s_mov_b64 s[28:29], 0
	v_mov_b32_e32 v14, v0
.LBB85_18:                              ; =>This Inner Loop Header: Depth=1
	ds_read_b32 v15, v13
	v_add_u32_e32 v14, 0x80, v14
	v_cmp_le_i32_e64 s[8:9], s12, v14
	s_or_b64 s[28:29], s[8:9], s[28:29]
	s_waitcnt lgkmcnt(0)
	v_sub_f32_e32 v15, v15, v12
	v_mul_f32_e32 v15, 0x3fb8aa3b, v15
	v_exp_f32_e32 v15, v15
	ds_write_b32 v13, v15
	v_add_f32_e32 v8, v8, v15
	v_add_u32_e32 v13, 0x200, v13
	s_andn2_b64 exec, exec, s[28:29]
	s_cbranch_execnz .LBB85_18
; %bb.19:
	s_or_b64 exec, exec, s[28:29]
.LBB85_20:
	s_or_b64 exec, exec, s[26:27]
	ds_bpermute_b32 v2, v2, v8
	s_waitcnt lgkmcnt(0)
	v_add_f32_e32 v2, v8, v2
	ds_bpermute_b32 v3, v3, v2
	v_xor_b32_e32 v8, 2, v6
	v_cmp_lt_i32_e64 s[8:9], v8, v7
	s_waitcnt lgkmcnt(0)
	v_add_f32_e32 v2, v2, v3
	ds_bpermute_b32 v3, v10, v2
	v_cndmask_b32_e64 v7, v6, v8, s[8:9]
	s_waitcnt lgkmcnt(0)
	v_add_f32_e32 v2, v2, v3
	ds_bpermute_b32 v3, v11, v2
	s_waitcnt lgkmcnt(0)
	v_add_f32_e32 v2, v2, v3
	v_lshlrev_b32_e32 v3, 2, v7
	ds_bpermute_b32 v3, v3, v2
	s_waitcnt lgkmcnt(0)
	v_add_f32_e32 v2, v2, v3
	ds_bpermute_b32 v3, v22, v2
	s_waitcnt lgkmcnt(0)
	v_add_f32_e32 v2, v2, v3
	s_and_saveexec_b64 s[8:9], vcc
; %bb.21:
	ds_write_b32 v5, v2 offset:232
; %bb.22:
	s_or_b64 exec, exec, s[8:9]
	s_waitcnt lgkmcnt(0)
	s_barrier
	s_and_saveexec_b64 s[8:9], s[0:1]
; %bb.23:
	ds_read_b32 v2, v9 offset:232
; %bb.24:
	s_or_b64 exec, exec, s[8:9]
	s_waitcnt lgkmcnt(0)
	ds_bpermute_b32 v3, v22, v2
	v_lshlrev_b32_e32 v5, 2, v6
	s_waitcnt lgkmcnt(0)
	v_add_f32_e32 v2, v2, v3
	v_and_b32_e32 v3, 0xffffff00, v5
	ds_bpermute_b32 v2, v3, v2
	s_and_saveexec_b64 s[0:1], s[2:3]
	s_cbranch_execz .LBB85_37
; %bb.25:
	s_waitcnt lgkmcnt(0)
	v_add_f32_e32 v2, 0x358637bd, v2
	v_div_scale_f32 v3, s[2:3], v2, v2, 1.0
	v_rcp_f32_e32 v5, v3
	v_div_scale_f32 v6, vcc, 1.0, v2, 1.0
	s_movk_i32 s2, 0x7f
	v_fma_f32 v7, -v3, v5, 1.0
	v_fmac_f32_e32 v5, v7, v5
	v_mul_f32_e32 v7, v6, v5
	v_fma_f32 v8, -v3, v7, v6
	v_fmac_f32_e32 v7, v8, v5
	v_fma_f32 v3, -v3, v7, v6
	v_div_fmas_f32 v3, v3, v5, v7
	v_xad_u32 v5, v0, -1, s12
	v_div_fixup_f32 v2, v3, v2, 1.0
	v_cmp_lt_u32_e32 vcc, s2, v5
	s_mov_b64 s[8:9], -1
	v_mov_b32_e32 v3, v0
	s_and_saveexec_b64 s[2:3], vcc
	s_cbranch_execz .LBB85_34
; %bb.26:
	v_lshrrev_b32_e32 v5, 7, v5
	v_add_u32_e32 v7, -1, v5
	v_lshrrev_b32_e32 v6, 1, v7
	v_mov_b32_e32 v3, v2
	v_add_u32_e32 v6, 1, v6
	v_cmp_lt_u32_e32 vcc, 13, v7
	v_mov_b32_e32 v9, 0
	s_and_saveexec_b64 s[8:9], vcc
	s_cbranch_execz .LBB85_30
; %bb.27:
	v_mov_b32_e32 v8, 0xf0
	v_and_b32_e32 v7, -8, v6
	v_lshl_add_u32 v8, v0, 2, v8
	s_mov_b32 s15, 0
	s_mov_b64 s[26:27], 0
.LBB85_28:                              ; =>This Inner Loop Header: Depth=1
	ds_read2st64_b32 v[10:11], v8 offset1:2
	ds_read2st64_b32 v[12:13], v8 offset0:4 offset1:6
	ds_read2st64_b32 v[14:15], v8 offset0:8 offset1:10
	;; [unrolled: 1-line block ×3, first 2 shown]
	v_add_u32_e32 v7, -8, v7
	s_waitcnt lgkmcnt(3)
	v_pk_mul_f32 v[10:11], v[2:3], v[10:11]
	s_waitcnt lgkmcnt(2)
	v_pk_mul_f32 v[12:13], v[2:3], v[12:13]
	ds_write2st64_b32 v8, v10, v11 offset1:2
	ds_write2st64_b32 v8, v12, v13 offset0:4 offset1:6
	ds_read2st64_b32 v[12:13], v8 offset0:16 offset1:18
	s_waitcnt lgkmcnt(4)
	v_pk_mul_f32 v[10:11], v[2:3], v[14:15]
	ds_write2st64_b32 v8, v10, v11 offset0:8 offset1:10
	s_waitcnt lgkmcnt(4)
	v_pk_mul_f32 v[10:11], v[2:3], v[16:17]
	ds_write2st64_b32 v8, v10, v11 offset0:12 offset1:14
	ds_read2st64_b32 v[10:11], v8 offset0:20 offset1:22
	s_waitcnt lgkmcnt(3)
	v_pk_mul_f32 v[12:13], v[2:3], v[12:13]
	ds_read2st64_b32 v[14:15], v8 offset0:24 offset1:26
	ds_write2st64_b32 v8, v12, v13 offset0:16 offset1:18
	ds_read2st64_b32 v[12:13], v8 offset0:28 offset1:30
	s_waitcnt lgkmcnt(3)
	v_pk_mul_f32 v[10:11], v[2:3], v[10:11]
	ds_write2st64_b32 v8, v10, v11 offset0:20 offset1:22
	s_waitcnt lgkmcnt(3)
	v_pk_mul_f32 v[10:11], v[2:3], v[14:15]
	ds_write2st64_b32 v8, v10, v11 offset0:24 offset1:26
	s_waitcnt lgkmcnt(2)
	v_pk_mul_f32 v[10:11], v[2:3], v[12:13]
	s_add_i32 s15, s15, 16
	v_cmp_eq_u32_e32 vcc, 0, v7
	ds_write2st64_b32 v8, v10, v11 offset0:28 offset1:30
	v_add_u32_e32 v8, 0x2000, v8
	s_or_b64 s[26:27], vcc, s[26:27]
	v_mov_b32_e32 v9, s15
	s_andn2_b64 exec, exec, s[26:27]
	s_cbranch_execnz .LBB85_28
; %bb.29:
	s_or_b64 exec, exec, s[26:27]
.LBB85_30:
	s_or_b64 exec, exec, s[8:9]
	v_and_b32_e32 v6, 7, v6
	v_cmp_ne_u32_e32 vcc, 0, v6
	s_and_saveexec_b64 s[8:9], vcc
	s_cbranch_execz .LBB85_33
; %bb.31:
	v_lshlrev_b32_e32 v7, 9, v9
	v_lshlrev_b32_e32 v8, 2, v0
	s_movk_i32 s15, 0xf0
	v_add3_u32 v7, v7, v8, s15
	s_mov_b64 s[26:27], 0
.LBB85_32:                              ; =>This Inner Loop Header: Depth=1
	ds_read2st64_b32 v[8:9], v7 offset1:2
	v_add_u32_e32 v6, -1, v6
	v_cmp_eq_u32_e32 vcc, 0, v6
	s_or_b64 s[26:27], vcc, s[26:27]
	s_waitcnt lgkmcnt(0)
	v_pk_mul_f32 v[8:9], v[2:3], v[8:9]
	ds_write2st64_b32 v7, v8, v9 offset1:2
	v_add_u32_e32 v7, 0x400, v7
	s_andn2_b64 exec, exec, s[26:27]
	s_cbranch_execnz .LBB85_32
.LBB85_33:
	s_or_b64 exec, exec, s[8:9]
	v_add_u32_e32 v5, 1, v5
	v_and_b32_e32 v6, 0x3fffffe, v5
	v_cmp_ne_u32_e32 vcc, v5, v6
	v_lshl_add_u32 v3, v6, 7, v0
	s_orn2_b64 s[8:9], vcc, exec
.LBB85_34:
	s_or_b64 exec, exec, s[2:3]
	s_and_b64 exec, exec, s[8:9]
	s_cbranch_execz .LBB85_37
; %bb.35:
	v_mov_b32_e32 v5, 0xf0
	v_lshl_add_u32 v5, v3, 2, v5
	s_mov_b64 s[2:3], 0
.LBB85_36:                              ; =>This Inner Loop Header: Depth=1
	ds_read_b32 v6, v5
	v_add_u32_e32 v3, 0x80, v3
	v_cmp_le_i32_e32 vcc, s12, v3
	s_or_b64 s[2:3], vcc, s[2:3]
	s_waitcnt lgkmcnt(0)
	v_mul_f32_e32 v6, v2, v6
	ds_write_b32 v5, v6
	v_add_u32_e32 v5, 0x200, v5
	s_andn2_b64 exec, exec, s[2:3]
	s_cbranch_execnz .LBB85_36
.LBB85_37:
	s_or_b64 exec, exec, s[0:1]
	v_lshrrev_b32_e32 v23, 1, v4
	s_waitcnt lgkmcnt(0)
	s_barrier
	s_and_saveexec_b64 s[0:1], s[6:7]
	s_xor_b64 s[0:1], exec, s[0:1]
; %bb.38:
	v_lshrrev_b32_e32 v23, 1, v4
                                        ; implicit-def: $vgpr21
                                        ; implicit-def: $vgpr1
; %bb.39:
	s_or_saveexec_b64 s[6:7], s[0:1]
	v_mov_b32_e32 v7, 0
	v_and_b32_e32 v24, 1, v0
	v_mov_b32_e32 v6, 0
	v_mov_b32_e32 v9, 0
	v_mov_b32_e32 v8, 0
	s_xor_b64 exec, exec, s[6:7]
	s_cbranch_execz .LBB85_53
; %bb.40:
	s_ashr_i32 s15, s14, 31
	s_lshl_b64 s[0:1], s[14:15], 1
	v_lshlrev_b32_e32 v2, 3, v0
	s_add_u32 s8, s24, s0
	v_and_b32_e32 v3, 8, v2
	s_addc_u32 s9, s25, s1
	s_add_i32 s24, s17, -1
	v_or_b32_e32 v4, 0x60, v23
	s_movk_i32 s0, 0x70
	s_lshl_b64 s[2:3], s[22:23], 2
	v_lshl_or_b32 v2, v23, 4, v3
	v_cmp_gt_u32_e64 s[0:1], s0, v4
	v_lshl_or_b32 v4, v4, 4, v3
	v_lshl_or_b32 v25, v21, 4, v3
	v_lshlrev_b32_e32 v3, 5, v24
	s_add_u32 s2, s20, s2
	v_mov_b32_e32 v11, 0
	v_lshl_or_b32 v3, v21, 6, v3
	v_and_b32_e32 v10, 60, v1
	s_addc_u32 s3, s21, s3
	s_mov_b32 s26, s13
	s_mov_b32 s25, s33
	v_add_u32_e32 v26, 0xf0, v3
	v_lshl_add_u64 v[12:13], s[2:3], 0, v[10:11]
	s_mov_b64 s[12:13], 0
	v_lshlrev_b32_e32 v14, 1, v2
	v_mov_b32_e32 v15, v11
	s_mov_b32 s22, 0xffff
	v_lshlrev_b32_e32 v10, 1, v4
	v_mov_b32_e32 v7, v11
	v_mov_b32_e32 v6, v11
	;; [unrolled: 1-line block ×4, first 2 shown]
	s_branch .LBB85_43
.LBB85_41:                              ;   in Loop: Header=BB85_43 Depth=1
	s_or_b64 exec, exec, s[20:21]
	v_lshlrev_b32_e32 v16, 16, v16
	v_lshlrev_b32_e32 v1, 16, v1
	v_and_or_b32 v2, v2, s22, v16
	v_and_or_b32 v1, v3, s22, v1
	v_lshlrev_b32_e32 v3, 16, v17
	v_and_or_b32 v3, v4, s22, v3
	;;#ASMSTART
	v_pk_mul_f16 v2, v30, v2;

	;;#ASMEND
	;;#ASMSTART
	v_pk_mul_f16 v1, v31, v1;

	;;#ASMEND
	;; [unrolled: 4-line block ×4, first 2 shown]
	s_nop 0
	;;#ASMSTART
	v_pk_add_f16 v1, v2, v1;

	;;#ASMEND
	s_nop 0
	;;#ASMSTART
	v_pk_add_f16 v1, v1, v3;

	;;#ASMEND
	;; [unrolled: 5-line block ×3, first 2 shown]
	s_nop 0
	v_lshrrev_b32_e32 v2, 16, v1
	v_and_b32_e32 v1, 0xffff, v1
	;;#ASMSTART
	v_cvt_f32_f16 v1, v1;
	;;#ASMEND
	;;#ASMSTART
	v_cvt_f32_f16 v2, v2;
	;;#ASMEND
	s_nop 0
	v_add_f32_e32 v1, v1, v2
	v_add_f32_e32 v7, v7, v1
.LBB85_42:                              ;   in Loop: Header=BB85_43 Depth=1
	s_or_b64 exec, exec, s[14:15]
	v_add_f32_e32 v1, v18, v19
	v_add_f32_e32 v6, v6, v1
	;; [unrolled: 1-line block ×3, first 2 shown]
	v_add_u32_e32 v21, 2, v21
	v_add_f32_e32 v9, v9, v1
	v_add_f32_e32 v1, v27, v28
	v_cmp_le_i32_e32 vcc, s17, v21
	v_add_f32_e32 v8, v8, v1
	v_add_u32_e32 v25, 32, v25
	v_add_u32_e32 v26, 0x80, v26
	s_or_b64 s[12:13], vcc, s[12:13]
	v_lshl_add_u64 v[12:13], v[12:13], 0, 8
	s_andn2_b64 exec, exec, s[12:13]
	s_cbranch_execz .LBB85_52
.LBB85_43:                              ; =>This Inner Loop Header: Depth=1
	global_load_dword v1, v[12:13], off
	ds_read2_b64 v[2:5], v26 offset1:1
	ds_read2_b64 v[16:19], v26 offset0:2 offset1:3
	s_waitcnt lgkmcnt(1)
	;;#ASMSTART
	v_cvt_f16_f32 v27, v2;

	;;#ASMEND
	;;#ASMSTART
	v_cvt_f16_f32 v28, v3;

	;;#ASMEND
	;; [unrolled: 4-line block ×4, first 2 shown]
	s_waitcnt lgkmcnt(0)
	;;#ASMSTART
	v_cvt_f16_f32 v32, v16;

	;;#ASMEND
	;;#ASMSTART
	v_cvt_f16_f32 v33, v17;

	;;#ASMEND
	;; [unrolled: 4-line block ×4, first 2 shown]
	s_waitcnt vmcnt(0)
	v_mad_i64_i32 v[2:3], s[2:3], v1, s26, 0
	v_lshl_add_u64 v[16:17], v[2:3], 1, s[8:9]
	v_lshl_add_u64 v[18:19], v[16:17], 0, v[14:15]
	global_load_dwordx4 v[2:5], v[18:19], off
	v_cmp_eq_u32_e64 s[2:3], s24, v21
	s_waitcnt vmcnt(0)
	v_lshrrev_b32_e32 v1, 16, v3
	v_lshrrev_b32_e32 v20, 16, v2
	;; [unrolled: 1-line block ×3, first 2 shown]
	s_and_saveexec_b64 s[14:15], s[2:3]
	s_cbranch_execz .LBB85_45
; %bb.44:                               ;   in Loop: Header=BB85_43 Depth=1
	v_cmp_gt_i32_e32 vcc, s33, v25
	v_add_u32_e32 v38, 2, v25
	v_or_b32_e32 v30, 3, v25
	v_cndmask_b32_e32 v2, 0, v2, vcc
	v_cmp_gt_i32_e32 vcc, s33, v38
	v_or_b32_e32 v37, 1, v25
	s_nop 0
	v_cndmask_b32_e32 v3, 0, v3, vcc
	v_cmp_gt_i32_e32 vcc, s25, v30
	v_add_u32_e32 v30, 4, v25
	s_nop 0
	v_cndmask_b32_e32 v1, 0, v1, vcc
	v_cmp_gt_i32_e32 vcc, s33, v37
	v_add_u32_e32 v37, 7, v25
	;; [unrolled: 4-line block ×4, first 2 shown]
	s_nop 0
	v_cndmask_b32_e32 v36, 0, v36, vcc
	v_cmp_gt_i32_e32 vcc, s33, v30
	s_nop 1
	v_cndmask_b32_sdwa v30, v11, v5, vcc dst_sel:DWORD dst_unused:UNUSED_PAD src0_sel:DWORD src1_sel:WORD_0
	v_and_b32_e32 v5, 0xffff0000, v5
	v_cmp_gt_i32_e32 vcc, s33, v37
	s_nop 1
	v_cndmask_b32_e32 v5, 0, v5, vcc
	v_or_b32_e32 v5, v30, v5
.LBB85_45:                              ;   in Loop: Header=BB85_43 Depth=1
	s_or_b64 exec, exec, s[14:15]
	v_and_b32_e32 v27, 0xffff, v27
	v_lshl_or_b32 v30, v28, 16, v27
	v_and_b32_e32 v27, 0xffff, v29
	v_lshlrev_b32_e32 v20, 16, v20
	v_lshlrev_b32_e32 v1, 16, v1
	v_lshl_or_b32 v31, v31, 16, v27
	v_and_b32_e32 v27, 0xffff, v32
	v_and_or_b32 v2, v2, s22, v20
	v_and_or_b32 v1, v3, s22, v1
	v_lshlrev_b32_e32 v3, 16, v36
	v_lshl_or_b32 v32, v33, 16, v27
	v_and_b32_e32 v27, 0xffff, v34
	v_and_or_b32 v3, v4, s22, v3
	;;#ASMSTART
	v_pk_mul_f16 v2, v30, v2;

	;;#ASMEND
	;;#ASMSTART
	v_pk_mul_f16 v1, v31, v1;

	;;#ASMEND
	v_lshl_or_b32 v29, v35, 16, v27
	;;#ASMSTART
	v_pk_mul_f16 v3, v32, v3;

	;;#ASMEND
	;;#ASMSTART
	v_pk_mul_f16 v4, v29, v5;

	;;#ASMEND
	;;#ASMSTART
	v_pk_add_f16 v1, v2, v1;

	;;#ASMEND
	s_nop 0
	;;#ASMSTART
	v_pk_add_f16 v1, v1, v3;

	;;#ASMEND
	s_nop 0
	;; [unrolled: 5-line block ×3, first 2 shown]
	v_lshrrev_b32_e32 v2, 16, v1
	v_and_b32_e32 v1, 0xffff, v1
	;;#ASMSTART
	v_cvt_f32_f16 v27, v1;
	;;#ASMEND
	;;#ASMSTART
	v_cvt_f32_f16 v28, v2;
	;;#ASMEND
	global_load_dwordx4 v[2:5], v[18:19], off offset:1024
	s_waitcnt vmcnt(0)
	v_lshrrev_b32_e32 v1, 16, v3
	v_lshrrev_b32_e32 v20, 16, v2
	;; [unrolled: 1-line block ×3, first 2 shown]
	s_and_saveexec_b64 s[14:15], s[2:3]
	s_cbranch_execz .LBB85_47
; %bb.46:                               ;   in Loop: Header=BB85_43 Depth=1
	v_cmp_gt_i32_e32 vcc, s33, v25
	v_add_u32_e32 v36, 2, v25
	v_or_b32_e32 v34, 3, v25
	v_cndmask_b32_e32 v2, 0, v2, vcc
	v_cmp_gt_i32_e32 vcc, s33, v36
	v_or_b32_e32 v35, 1, v25
	s_nop 0
	v_cndmask_b32_e32 v3, 0, v3, vcc
	v_cmp_gt_i32_e32 vcc, s25, v34
	v_add_u32_e32 v34, 4, v25
	s_nop 0
	v_cndmask_b32_e32 v1, 0, v1, vcc
	v_cmp_gt_i32_e32 vcc, s33, v35
	v_add_u32_e32 v35, 7, v25
	s_nop 0
	v_cndmask_b32_e32 v20, 0, v20, vcc
	v_cmp_gt_i32_e32 vcc, s33, v34
	v_add_u32_e32 v34, 5, v25
	s_nop 0
	v_cndmask_b32_e32 v4, 0, v4, vcc
	v_cmp_gt_i32_e32 vcc, s33, v34
	v_add_u32_e32 v34, 6, v25
	s_nop 0
	v_cndmask_b32_e32 v33, 0, v33, vcc
	v_cmp_gt_i32_e32 vcc, s33, v34
	s_nop 1
	v_cndmask_b32_sdwa v34, v11, v5, vcc dst_sel:DWORD dst_unused:UNUSED_PAD src0_sel:DWORD src1_sel:WORD_0
	v_and_b32_e32 v5, 0xffff0000, v5
	v_cmp_gt_i32_e32 vcc, s33, v35
	s_nop 1
	v_cndmask_b32_e32 v5, 0, v5, vcc
	v_or_b32_e32 v5, v34, v5
.LBB85_47:                              ;   in Loop: Header=BB85_43 Depth=1
	s_or_b64 exec, exec, s[14:15]
	v_lshlrev_b32_e32 v20, 16, v20
	v_lshlrev_b32_e32 v1, 16, v1
	v_and_or_b32 v2, v2, s22, v20
	v_and_or_b32 v1, v3, s22, v1
	v_lshlrev_b32_e32 v3, 16, v33
	v_and_or_b32 v3, v4, s22, v3
	;;#ASMSTART
	v_pk_mul_f16 v2, v30, v2;

	;;#ASMEND
	;;#ASMSTART
	v_pk_mul_f16 v1, v31, v1;

	;;#ASMEND
	;; [unrolled: 4-line block ×4, first 2 shown]
	s_nop 0
	;;#ASMSTART
	v_pk_add_f16 v1, v2, v1;

	;;#ASMEND
	s_nop 0
	;;#ASMSTART
	v_pk_add_f16 v1, v1, v3;

	;;#ASMEND
	;; [unrolled: 5-line block ×3, first 2 shown]
	s_nop 0
	v_lshrrev_b32_e32 v2, 16, v1
	v_and_b32_e32 v1, 0xffff, v1
	;;#ASMSTART
	v_cvt_f32_f16 v20, v1;
	;;#ASMEND
	;;#ASMSTART
	v_cvt_f32_f16 v33, v2;
	;;#ASMEND
	global_load_dwordx4 v[2:5], v[18:19], off offset:2048
	s_waitcnt vmcnt(0)
	v_lshrrev_b32_e32 v1, 16, v3
	v_lshrrev_b32_e32 v18, 16, v2
	;; [unrolled: 1-line block ×3, first 2 shown]
	s_and_saveexec_b64 s[14:15], s[2:3]
	s_cbranch_execz .LBB85_49
; %bb.48:                               ;   in Loop: Header=BB85_43 Depth=1
	v_cmp_gt_i32_e32 vcc, s33, v25
	v_add_u32_e32 v36, 2, v25
	v_or_b32_e32 v34, 3, v25
	v_cndmask_b32_e32 v2, 0, v2, vcc
	v_cmp_gt_i32_e32 vcc, s33, v36
	v_or_b32_e32 v35, 1, v25
	s_nop 0
	v_cndmask_b32_e32 v3, 0, v3, vcc
	v_cmp_gt_i32_e32 vcc, s25, v34
	v_add_u32_e32 v34, 4, v25
	s_nop 0
	v_cndmask_b32_e32 v1, 0, v1, vcc
	v_cmp_gt_i32_e32 vcc, s33, v35
	v_add_u32_e32 v35, 7, v25
	;; [unrolled: 4-line block ×4, first 2 shown]
	s_nop 0
	v_cndmask_b32_e32 v19, 0, v19, vcc
	v_cmp_gt_i32_e32 vcc, s33, v34
	s_nop 1
	v_cndmask_b32_sdwa v34, v11, v5, vcc dst_sel:DWORD dst_unused:UNUSED_PAD src0_sel:DWORD src1_sel:WORD_0
	v_and_b32_e32 v5, 0xffff0000, v5
	v_cmp_gt_i32_e32 vcc, s33, v35
	s_nop 1
	v_cndmask_b32_e32 v5, 0, v5, vcc
	v_or_b32_e32 v5, v34, v5
.LBB85_49:                              ;   in Loop: Header=BB85_43 Depth=1
	s_or_b64 exec, exec, s[14:15]
	v_lshlrev_b32_e32 v18, 16, v18
	v_lshlrev_b32_e32 v1, 16, v1
	v_and_or_b32 v2, v2, s22, v18
	v_and_or_b32 v1, v3, s22, v1
	v_lshlrev_b32_e32 v3, 16, v19
	v_and_or_b32 v3, v4, s22, v3
	;;#ASMSTART
	v_pk_mul_f16 v2, v30, v2;

	;;#ASMEND
	;;#ASMSTART
	v_pk_mul_f16 v1, v31, v1;

	;;#ASMEND
	;; [unrolled: 4-line block ×4, first 2 shown]
	s_nop 0
	;;#ASMSTART
	v_pk_add_f16 v1, v2, v1;

	;;#ASMEND
	s_nop 0
	;;#ASMSTART
	v_pk_add_f16 v1, v1, v3;

	;;#ASMEND
	;; [unrolled: 5-line block ×3, first 2 shown]
	s_nop 0
	v_lshrrev_b32_e32 v2, 16, v1
	v_and_b32_e32 v1, 0xffff, v1
	;;#ASMSTART
	v_cvt_f32_f16 v18, v1;
	;;#ASMEND
	;;#ASMSTART
	v_cvt_f32_f16 v19, v2;
	;;#ASMEND
	s_and_saveexec_b64 s[14:15], s[0:1]
	s_cbranch_execz .LBB85_42
; %bb.50:                               ;   in Loop: Header=BB85_43 Depth=1
	v_lshl_add_u64 v[2:3], v[16:17], 0, v[10:11]
	global_load_dwordx4 v[2:5], v[2:3], off
	s_waitcnt vmcnt(0)
	v_lshrrev_b32_e32 v1, 16, v3
	v_lshrrev_b32_e32 v16, 16, v2
	;; [unrolled: 1-line block ×3, first 2 shown]
	s_and_saveexec_b64 s[20:21], s[2:3]
	s_cbranch_execz .LBB85_41
; %bb.51:                               ;   in Loop: Header=BB85_43 Depth=1
	v_cmp_gt_i32_e32 vcc, s33, v25
	v_add_u32_e32 v36, 2, v25
	v_or_b32_e32 v34, 3, v25
	v_cndmask_b32_e32 v2, 0, v2, vcc
	v_cmp_gt_i32_e32 vcc, s33, v36
	v_or_b32_e32 v35, 1, v25
	s_nop 0
	v_cndmask_b32_e32 v3, 0, v3, vcc
	v_cmp_gt_i32_e32 vcc, s25, v34
	v_add_u32_e32 v34, 4, v25
	s_nop 0
	v_cndmask_b32_e32 v1, 0, v1, vcc
	v_cmp_gt_i32_e32 vcc, s33, v35
	v_add_u32_e32 v35, 7, v25
	;; [unrolled: 4-line block ×4, first 2 shown]
	s_nop 0
	v_cndmask_b32_e32 v17, 0, v17, vcc
	v_cmp_gt_i32_e32 vcc, s33, v34
	s_nop 1
	v_cndmask_b32_sdwa v34, v11, v5, vcc dst_sel:DWORD dst_unused:UNUSED_PAD src0_sel:DWORD src1_sel:WORD_0
	v_and_b32_e32 v5, 0xffff0000, v5
	v_cmp_gt_i32_e32 vcc, s33, v35
	s_nop 1
	v_cndmask_b32_e32 v5, 0, v5, vcc
	v_or_b32_e32 v5, v34, v5
	s_branch .LBB85_41
.LBB85_52:
	s_or_b64 exec, exec, s[12:13]
.LBB85_53:
	s_or_b64 exec, exec, s[6:7]
	ds_bpermute_b32 v2, v22, v8
	ds_bpermute_b32 v3, v22, v9
	;; [unrolled: 1-line block ×4, first 2 shown]
	v_and_b32_e32 v1, 0x3c0, v0
	v_cmp_eq_u32_e64 s[0:1], 64, v1
	s_waitcnt lgkmcnt(2)
	v_pk_add_f32 v[4:5], v[8:9], v[2:3]
	v_cmp_eq_u32_e32 vcc, 0, v24
	s_waitcnt lgkmcnt(0)
	v_pk_add_f32 v[2:3], v[6:7], v[10:11]
	s_barrier
	s_and_saveexec_b64 s[2:3], s[0:1]
	s_cbranch_execz .LBB85_58
; %bb.54:
	s_and_saveexec_b64 s[0:1], vcc
	s_cbranch_execz .LBB85_56
; %bb.55:
	v_mov_b32_e32 v1, 0xf0
	v_lshl_add_u32 v1, v23, 2, v1
	ds_write2_b32 v1, v4, v5 offset1:32
	ds_write_b32 v1, v2 offset:256
.LBB85_56:
	s_or_b64 exec, exec, s[0:1]
	v_or_b32_e32 v1, 0x60, v23
	s_movk_i32 s0, 0x70
	v_cmp_gt_u32_e64 s[0:1], s0, v1
	s_and_b64 s[0:1], vcc, s[0:1]
	s_and_b64 exec, exec, s[0:1]
; %bb.57:
	v_mov_b32_e32 v1, 0xf0
	v_lshl_add_u32 v1, v23, 2, v1
	ds_write_b32 v1, v3 offset:384
.LBB85_58:
	s_or_b64 exec, exec, s[2:3]
	v_cmp_gt_u32_e64 s[0:1], 64, v0
	v_lshrrev_b32_e32 v0, 1, v0
	s_waitcnt lgkmcnt(0)
	s_barrier
	s_and_saveexec_b64 s[6:7], s[0:1]
	s_cbranch_execz .LBB85_68
; %bb.59:
	s_and_saveexec_b64 s[2:3], vcc
	s_cbranch_execz .LBB85_61
; %bb.60:
	v_mov_b32_e32 v1, 0xf0
	v_lshl_add_u32 v1, v0, 2, v1
	ds_read_b32 v1, v1
	s_waitcnt lgkmcnt(0)
	v_add_f32_e32 v4, v4, v1
.LBB85_61:
	s_or_b64 exec, exec, s[2:3]
	v_or_b32_e32 v1, 32, v0
	s_movk_i32 s8, 0x70
	v_cmp_gt_u32_e64 s[2:3], s8, v1
	s_and_b64 s[12:13], vcc, s[2:3]
	s_and_saveexec_b64 s[2:3], s[12:13]
	s_cbranch_execz .LBB85_63
; %bb.62:
	v_mov_b32_e32 v1, 0xf0
	v_lshl_add_u32 v1, v0, 2, v1
	ds_read_b32 v1, v1 offset:128
	s_waitcnt lgkmcnt(0)
	v_add_f32_e32 v5, v5, v1
.LBB85_63:
	s_or_b64 exec, exec, s[2:3]
	v_or_b32_e32 v1, 64, v0
	v_cmp_gt_u32_e64 s[2:3], s8, v1
	s_and_b64 s[8:9], vcc, s[2:3]
	s_and_saveexec_b64 s[2:3], s[8:9]
	s_cbranch_execz .LBB85_65
; %bb.64:
	v_mov_b32_e32 v1, 0xf0
	v_lshl_add_u32 v1, v0, 2, v1
	ds_read_b32 v1, v1 offset:256
	s_waitcnt lgkmcnt(0)
	v_add_f32_e32 v2, v2, v1
.LBB85_65:
	s_or_b64 exec, exec, s[2:3]
	v_or_b32_e32 v1, 0x60, v0
	s_movk_i32 s2, 0x70
	v_cmp_gt_u32_e64 s[2:3], s2, v1
	s_and_b64 s[8:9], vcc, s[2:3]
	s_and_saveexec_b64 s[2:3], s[8:9]
	s_cbranch_execz .LBB85_67
; %bb.66:
	v_mov_b32_e32 v1, 0xf0
	v_lshl_add_u32 v1, v0, 2, v1
	ds_read_b32 v1, v1 offset:384
	s_waitcnt lgkmcnt(0)
	v_add_f32_e32 v3, v3, v1
.LBB85_67:
	s_or_b64 exec, exec, s[2:3]
.LBB85_68:
	s_or_b64 exec, exec, s[6:7]
	s_barrier
	s_and_saveexec_b64 s[2:3], s[0:1]
	s_cbranch_execz .LBB85_77
; %bb.69:
	s_mul_i32 s0, s10, s11
	s_mul_i32 s0, s0, s5
	s_mulk_i32 s0, 0x70
	s_ashr_i32 s1, s0, 31
	s_lshl_b64 s[0:1], s[0:1], 1
	s_add_u32 s2, s18, s0
	s_mul_i32 s0, s11, s16
	s_addc_u32 s3, s19, s1
	s_ashr_i32 s1, s0, 31
	s_lshl_b64 s[0:1], s[0:1], 1
	s_add_u32 s2, s2, s0
	s_mul_i32 s0, s4, 0x70
	s_addc_u32 s3, s3, s1
	s_ashr_i32 s1, s0, 31
	s_lshl_b64 s[0:1], s[0:1], 1
	s_add_u32 s2, s2, s0
	s_movk_i32 s5, 0x70
	s_addc_u32 s3, s3, s1
	v_lshlrev_b32_e32 v1, 1, v0
	s_and_saveexec_b64 s[0:1], vcc
	s_cbranch_execz .LBB85_71
; %bb.70:
	;;#ASMSTART
	v_cvt_f16_f32 v4, v4;

	;;#ASMEND
	global_store_short v1, v4, s[2:3]
.LBB85_71:
	s_or_b64 exec, exec, s[0:1]
	v_or_b32_e32 v4, 32, v0
	v_cmp_gt_u32_e64 s[0:1], s5, v4
	s_and_b64 s[4:5], vcc, s[0:1]
	s_and_saveexec_b64 s[0:1], s[4:5]
	s_cbranch_execz .LBB85_73
; %bb.72:
	;;#ASMSTART
	v_cvt_f16_f32 v4, v5;

	;;#ASMEND
	global_store_short v1, v4, s[2:3] offset:64
.LBB85_73:
	s_or_b64 exec, exec, s[0:1]
	v_or_b32_e32 v4, 64, v0
	s_movk_i32 s4, 0x70
	v_cmp_gt_u32_e64 s[0:1], s4, v4
	s_and_b64 s[6:7], vcc, s[0:1]
	s_and_saveexec_b64 s[0:1], s[6:7]
	s_cbranch_execz .LBB85_75
; %bb.74:
	;;#ASMSTART
	v_cvt_f16_f32 v2, v2;

	;;#ASMEND
	global_store_short v1, v2, s[2:3] offset:128
.LBB85_75:
	s_or_b64 exec, exec, s[0:1]
	v_or_b32_e32 v0, 0x60, v0
	v_cmp_gt_u32_e64 s[0:1], s4, v0
	s_and_b64 s[0:1], vcc, s[0:1]
	s_and_b64 exec, exec, s[0:1]
	s_cbranch_execz .LBB85_77
; %bb.76:
	;;#ASMSTART
	v_cvt_f16_f32 v0, v3;

	;;#ASMEND
	global_store_short v1, v0, s[2:3] offset:192
.LBB85_77:
	s_endpgm
	.section	.rodata,"a",@progbits
	.p2align	6, 0x0
	.amdhsa_kernel _ZN4vllm25paged_attention_v1_kernelIttLi112ELi16ELi128ELNS_18Fp8KVCacheDataTypeE0ELb0EEEvPT_PKS2_PKT0_S8_ifPKiSA_iPKfiiiSC_SC_iiiii
		.amdhsa_group_segment_fixed_size 240
		.amdhsa_private_segment_fixed_size 0
		.amdhsa_kernarg_size 384
		.amdhsa_user_sgpr_count 2
		.amdhsa_user_sgpr_dispatch_ptr 0
		.amdhsa_user_sgpr_queue_ptr 0
		.amdhsa_user_sgpr_kernarg_segment_ptr 1
		.amdhsa_user_sgpr_dispatch_id 0
		.amdhsa_user_sgpr_kernarg_preload_length 0
		.amdhsa_user_sgpr_kernarg_preload_offset 0
		.amdhsa_user_sgpr_private_segment_size 0
		.amdhsa_uses_dynamic_stack 0
		.amdhsa_enable_private_segment 0
		.amdhsa_system_sgpr_workgroup_id_x 1
		.amdhsa_system_sgpr_workgroup_id_y 1
		.amdhsa_system_sgpr_workgroup_id_z 1
		.amdhsa_system_sgpr_workgroup_info 0
		.amdhsa_system_vgpr_workitem_id 0
		.amdhsa_next_free_vgpr 62
		.amdhsa_next_free_sgpr 34
		.amdhsa_accum_offset 64
		.amdhsa_reserve_vcc 1
		.amdhsa_float_round_mode_32 0
		.amdhsa_float_round_mode_16_64 0
		.amdhsa_float_denorm_mode_32 3
		.amdhsa_float_denorm_mode_16_64 3
		.amdhsa_dx10_clamp 1
		.amdhsa_ieee_mode 1
		.amdhsa_fp16_overflow 0
		.amdhsa_tg_split 0
		.amdhsa_exception_fp_ieee_invalid_op 0
		.amdhsa_exception_fp_denorm_src 0
		.amdhsa_exception_fp_ieee_div_zero 0
		.amdhsa_exception_fp_ieee_overflow 0
		.amdhsa_exception_fp_ieee_underflow 0
		.amdhsa_exception_fp_ieee_inexact 0
		.amdhsa_exception_int_div_zero 0
	.end_amdhsa_kernel
	.section	.text._ZN4vllm25paged_attention_v1_kernelIttLi112ELi16ELi128ELNS_18Fp8KVCacheDataTypeE0ELb0EEEvPT_PKS2_PKT0_S8_ifPKiSA_iPKfiiiSC_SC_iiiii,"axG",@progbits,_ZN4vllm25paged_attention_v1_kernelIttLi112ELi16ELi128ELNS_18Fp8KVCacheDataTypeE0ELb0EEEvPT_PKS2_PKT0_S8_ifPKiSA_iPKfiiiSC_SC_iiiii,comdat
.Lfunc_end85:
	.size	_ZN4vllm25paged_attention_v1_kernelIttLi112ELi16ELi128ELNS_18Fp8KVCacheDataTypeE0ELb0EEEvPT_PKS2_PKT0_S8_ifPKiSA_iPKfiiiSC_SC_iiiii, .Lfunc_end85-_ZN4vllm25paged_attention_v1_kernelIttLi112ELi16ELi128ELNS_18Fp8KVCacheDataTypeE0ELb0EEEvPT_PKS2_PKT0_S8_ifPKiSA_iPKfiiiSC_SC_iiiii
                                        ; -- End function
	.set _ZN4vllm25paged_attention_v1_kernelIttLi112ELi16ELi128ELNS_18Fp8KVCacheDataTypeE0ELb0EEEvPT_PKS2_PKT0_S8_ifPKiSA_iPKfiiiSC_SC_iiiii.num_vgpr, 62
	.set _ZN4vllm25paged_attention_v1_kernelIttLi112ELi16ELi128ELNS_18Fp8KVCacheDataTypeE0ELb0EEEvPT_PKS2_PKT0_S8_ifPKiSA_iPKfiiiSC_SC_iiiii.num_agpr, 0
	.set _ZN4vllm25paged_attention_v1_kernelIttLi112ELi16ELi128ELNS_18Fp8KVCacheDataTypeE0ELb0EEEvPT_PKS2_PKT0_S8_ifPKiSA_iPKfiiiSC_SC_iiiii.numbered_sgpr, 34
	.set _ZN4vllm25paged_attention_v1_kernelIttLi112ELi16ELi128ELNS_18Fp8KVCacheDataTypeE0ELb0EEEvPT_PKS2_PKT0_S8_ifPKiSA_iPKfiiiSC_SC_iiiii.num_named_barrier, 0
	.set _ZN4vllm25paged_attention_v1_kernelIttLi112ELi16ELi128ELNS_18Fp8KVCacheDataTypeE0ELb0EEEvPT_PKS2_PKT0_S8_ifPKiSA_iPKfiiiSC_SC_iiiii.private_seg_size, 0
	.set _ZN4vllm25paged_attention_v1_kernelIttLi112ELi16ELi128ELNS_18Fp8KVCacheDataTypeE0ELb0EEEvPT_PKS2_PKT0_S8_ifPKiSA_iPKfiiiSC_SC_iiiii.uses_vcc, 1
	.set _ZN4vllm25paged_attention_v1_kernelIttLi112ELi16ELi128ELNS_18Fp8KVCacheDataTypeE0ELb0EEEvPT_PKS2_PKT0_S8_ifPKiSA_iPKfiiiSC_SC_iiiii.uses_flat_scratch, 0
	.set _ZN4vllm25paged_attention_v1_kernelIttLi112ELi16ELi128ELNS_18Fp8KVCacheDataTypeE0ELb0EEEvPT_PKS2_PKT0_S8_ifPKiSA_iPKfiiiSC_SC_iiiii.has_dyn_sized_stack, 0
	.set _ZN4vllm25paged_attention_v1_kernelIttLi112ELi16ELi128ELNS_18Fp8KVCacheDataTypeE0ELb0EEEvPT_PKS2_PKT0_S8_ifPKiSA_iPKfiiiSC_SC_iiiii.has_recursion, 0
	.set _ZN4vllm25paged_attention_v1_kernelIttLi112ELi16ELi128ELNS_18Fp8KVCacheDataTypeE0ELb0EEEvPT_PKS2_PKT0_S8_ifPKiSA_iPKfiiiSC_SC_iiiii.has_indirect_call, 0
	.section	.AMDGPU.csdata,"",@progbits
; Kernel info:
; codeLenInByte = 6892
; TotalNumSgprs: 40
; NumVgprs: 62
; NumAgprs: 0
; TotalNumVgprs: 62
; ScratchSize: 0
; MemoryBound: 0
; FloatMode: 240
; IeeeMode: 1
; LDSByteSize: 240 bytes/workgroup (compile time only)
; SGPRBlocks: 4
; VGPRBlocks: 7
; NumSGPRsForWavesPerEU: 40
; NumVGPRsForWavesPerEU: 62
; AccumOffset: 64
; Occupancy: 8
; WaveLimiterHint : 1
; COMPUTE_PGM_RSRC2:SCRATCH_EN: 0
; COMPUTE_PGM_RSRC2:USER_SGPR: 2
; COMPUTE_PGM_RSRC2:TRAP_HANDLER: 0
; COMPUTE_PGM_RSRC2:TGID_X_EN: 1
; COMPUTE_PGM_RSRC2:TGID_Y_EN: 1
; COMPUTE_PGM_RSRC2:TGID_Z_EN: 1
; COMPUTE_PGM_RSRC2:TIDIG_COMP_CNT: 0
; COMPUTE_PGM_RSRC3_GFX90A:ACCUM_OFFSET: 15
; COMPUTE_PGM_RSRC3_GFX90A:TG_SPLIT: 0
	.section	.text._ZN4vllm25paged_attention_v1_kernelIttLi120ELi16ELi128ELNS_18Fp8KVCacheDataTypeE0ELb0EEEvPT_PKS2_PKT0_S8_ifPKiSA_iPKfiiiSC_SC_iiiii,"axG",@progbits,_ZN4vllm25paged_attention_v1_kernelIttLi120ELi16ELi128ELNS_18Fp8KVCacheDataTypeE0ELb0EEEvPT_PKS2_PKT0_S8_ifPKiSA_iPKfiiiSC_SC_iiiii,comdat
	.protected	_ZN4vllm25paged_attention_v1_kernelIttLi120ELi16ELi128ELNS_18Fp8KVCacheDataTypeE0ELb0EEEvPT_PKS2_PKT0_S8_ifPKiSA_iPKfiiiSC_SC_iiiii ; -- Begin function _ZN4vllm25paged_attention_v1_kernelIttLi120ELi16ELi128ELNS_18Fp8KVCacheDataTypeE0ELb0EEEvPT_PKS2_PKT0_S8_ifPKiSA_iPKfiiiSC_SC_iiiii
	.globl	_ZN4vllm25paged_attention_v1_kernelIttLi120ELi16ELi128ELNS_18Fp8KVCacheDataTypeE0ELb0EEEvPT_PKS2_PKT0_S8_ifPKiSA_iPKfiiiSC_SC_iiiii
	.p2align	8
	.type	_ZN4vllm25paged_attention_v1_kernelIttLi120ELi16ELi128ELNS_18Fp8KVCacheDataTypeE0ELb0EEEvPT_PKS2_PKT0_S8_ifPKiSA_iPKfiiiSC_SC_iiiii,@function
_ZN4vllm25paged_attention_v1_kernelIttLi120ELi16ELi128ELNS_18Fp8KVCacheDataTypeE0ELb0EEEvPT_PKS2_PKT0_S8_ifPKiSA_iPKfiiiSC_SC_iiiii: ; @_ZN4vllm25paged_attention_v1_kernelIttLi120ELi16ELi128ELNS_18Fp8KVCacheDataTypeE0ELb0EEEvPT_PKS2_PKT0_S8_ifPKiSA_iPKfiiiSC_SC_iiiii
; %bb.0:
	s_load_dword s5, s[0:1], 0x80
	s_load_dwordx2 s[6:7], s[0:1], 0x30
	s_load_dwordx2 s[8:9], s[0:1], 0x20
	s_mov_b32 s10, s3
	s_ashr_i32 s11, s3, 31
	s_lshl_b64 s[12:13], s[10:11], 2
	s_waitcnt lgkmcnt(0)
	s_add_u32 s6, s6, s12
	s_addc_u32 s7, s7, s13
	s_abs_i32 s3, s8
	v_cvt_f32_u32_e32 v1, s3
	s_sub_i32 s12, 0, s3
	s_abs_i32 s11, s5
	s_xor_b32 s8, s5, s8
	v_rcp_iflag_f32_e32 v1, v1
	s_ashr_i32 s8, s8, 31
	v_mul_f32_e32 v1, 0x4f7ffffe, v1
	v_cvt_u32_f32_e32 v1, v1
	s_nop 0
	v_readfirstlane_b32 s13, v1
	s_mul_i32 s12, s12, s13
	s_mul_hi_u32 s12, s13, s12
	s_add_i32 s13, s13, s12
	s_mul_hi_u32 s12, s11, s13
	s_mul_i32 s13, s12, s3
	s_sub_i32 s11, s11, s13
	s_add_i32 s13, s12, 1
	s_sub_i32 s14, s11, s3
	s_cmp_ge_u32 s11, s3
	s_cselect_b32 s12, s13, s12
	s_cselect_b32 s11, s14, s11
	s_add_i32 s13, s12, 1
	s_cmp_ge_u32 s11, s3
	s_cselect_b32 s3, s13, s12
	s_xor_b32 s3, s3, s8
	s_sub_i32 s16, s3, s8
	s_abs_i32 s11, s16
	v_cvt_f32_u32_e32 v1, s11
	s_load_dwordx2 s[12:13], s[0:1], 0x40
	s_sub_i32 s3, 0, s11
	s_abs_i32 s18, s2
	v_rcp_iflag_f32_e32 v1, v1
	s_mov_b32 s8, 0
	v_mul_f32_e32 v1, 0x4f7ffffe, v1
	v_cvt_u32_f32_e32 v1, v1
	s_nop 0
	v_readfirstlane_b32 s14, v1
	s_mul_i32 s3, s3, s14
	s_mul_hi_u32 s3, s14, s3
	s_add_i32 s14, s14, s3
	s_waitcnt lgkmcnt(0)
	s_cmp_eq_u64 s[12:13], 0
	s_mul_hi_u32 s19, s18, s14
	s_cbranch_scc1 .LBB86_2
; %bb.1:
	s_ashr_i32 s3, s2, 31
	s_lshl_b64 s[14:15], s[2:3], 2
	s_add_u32 s12, s12, s14
	s_addc_u32 s13, s13, s15
	s_load_dword s8, s[12:13], 0x0
.LBB86_2:
	s_load_dword s33, s[6:7], 0x0
	s_nop 0
	s_load_dwordx4 s[12:15], s[0:1], 0x48
	s_ashr_i32 s6, s2, 31
	s_ashr_i32 s7, s16, 31
	v_and_b32_e32 v4, 3, v0
	s_mul_i32 s16, s2, 0x78
	v_cmp_gt_u32_e32 vcc, 60, v0
	s_and_saveexec_b64 s[2:3], vcc
	s_cbranch_execz .LBB86_4
; %bb.3:
	s_load_dwordx2 s[20:21], s[0:1], 0x8
	s_waitcnt lgkmcnt(0)
	s_mul_i32 s22, s12, s10
	s_ashr_i32 s23, s22, 31
	s_lshl_b64 s[22:23], s[22:23], 1
	v_lshlrev_b32_e32 v1, 2, v0
	s_add_u32 s12, s20, s22
	s_addc_u32 s15, s21, s23
	s_ashr_i32 s17, s16, 31
	s_lshl_b64 s[20:21], s[16:17], 1
	s_add_u32 s20, s12, s20
	s_addc_u32 s21, s15, s21
	global_load_dword v1, v1, s[20:21]
	v_and_b32_e32 v2, 0x3fc, v0
	v_mad_u32_u24 v2, v4, 60, v2
	s_waitcnt vmcnt(0)
	ds_write_b32 v2, v1
.LBB86_4:
	s_or_b64 exec, exec, s[2:3]
	s_waitcnt lgkmcnt(0)
	s_add_i32 s3, s33, 15
	s_ashr_i32 s12, s3, 31
	s_lshr_b32 s12, s12, 28
	s_add_i32 s3, s3, s12
	s_ashr_i32 s17, s3, 4
	s_xor_b32 s3, s6, s7
	s_mul_i32 s6, s19, s11
	s_sub_i32 s6, s18, s6
	s_add_i32 s7, s19, 1
	s_sub_i32 s12, s6, s11
	s_load_dwordx2 s[20:21], s[0:1], 0x28
	s_load_dword s2, s[0:1], 0x38
	s_cmp_ge_u32 s6, s11
	s_cselect_b32 s7, s7, s19
	s_cselect_b32 s6, s12, s6
	s_add_i32 s12, s7, 1
	s_cmp_ge_u32 s6, s11
	s_cselect_b32 s6, s12, s7
	v_lshrrev_b32_e32 v21, 6, v0
	s_xor_b32 s6, s6, s3
	s_waitcnt lgkmcnt(0)
	s_mul_i32 s22, s2, s10
	s_sub_i32 s12, s6, s3
	s_ashr_i32 s23, s22, 31
	v_cmp_le_i32_e64 s[6:7], s17, v21
	v_mbcnt_lo_u32_b32 v13, -1, 0
	s_barrier
                                        ; implicit-def: $vgpr6
                                        ; implicit-def: $vgpr8
                                        ; implicit-def: $vgpr7
	s_and_saveexec_b64 s[2:3], s[6:7]
	s_xor_b64 s[2:3], exec, s[2:3]
; %bb.5:
	v_mbcnt_hi_u32_b32 v6, -1, v13
	v_and_b32_e32 v8, 64, v6
	v_add_u32_e32 v7, 64, v8
                                        ; implicit-def: $vgpr4
                                        ; implicit-def: $vgpr13
; %bb.6:
	s_or_saveexec_b64 s[26:27], s[2:3]
	s_load_dwordx2 s[18:19], s[0:1], 0x0
	s_load_dwordx2 s[24:25], s[0:1], 0x18
	s_load_dword s11, s[0:1], 0x88
	v_mov_b32_e32 v9, 0xff7fffff
	s_mul_i32 s14, s12, s14
	v_lshrrev_b32_e32 v1, 4, v0
	s_xor_b64 exec, exec, s[26:27]
	s_cbranch_execz .LBB86_12
; %bb.7:
	s_load_dwordx2 s[0:1], s[0:1], 0x10
	s_ashr_i32 s15, s14, 31
	s_lshl_b64 s[2:3], s[14:15], 1
	v_bfe_u32 v5, v0, 2, 4
	v_lshlrev_b32_e32 v6, 4, v5
	s_waitcnt lgkmcnt(0)
	s_add_u32 s0, s0, s2
	s_addc_u32 s1, s1, s3
	v_mov_b32_e32 v7, 0
	v_lshl_add_u64 v[2:3], s[0:1], 0, v[6:7]
	v_lshlrev_b32_e32 v6, 2, v0
	s_sub_i32 s15, 1, s33
	s_lshl_b64 s[0:1], s[22:23], 2
	v_and_b32_e32 v6, 12, v6
	v_mul_u32_u24_e32 v10, 60, v4
	v_cmp_eq_u32_e32 vcc, 0, v4
	v_lshlrev_b32_e32 v4, 2, v5
	s_add_u32 s0, s20, s0
	v_lshl_add_u64 v[2:3], v[2:3], 0, v[6:7]
	v_lshl_or_b32 v4, v21, 6, v4
	v_and_b32_e32 v6, 60, v1
	s_addc_u32 s1, s21, s1
	v_lshl_or_b32 v11, v21, 4, v5
	v_add_u32_e32 v12, 0x100, v4
	v_lshl_add_u64 v[4:5], s[0:1], 0, v[6:7]
	v_mbcnt_hi_u32_b32 v6, -1, v13
	v_and_b32_e32 v8, 64, v6
	s_mov_b32 s12, s13
	v_cmp_neq_f32_e64 s[2:3], s8, 0
	v_mov_b32_e32 v9, 0xff7fffff
	s_mov_b64 s[28:29], 0
	v_add_u32_e32 v7, 64, v8
	v_xor_b32_e32 v13, 2, v6
	v_xor_b32_e32 v14, 1, v6
	v_mov_b32_e32 v15, v21
	s_branch .LBB86_9
.LBB86_8:                               ;   in Loop: Header=BB86_9 Depth=1
	s_or_b64 exec, exec, s[30:31]
	v_add_u32_e32 v15, 2, v15
	v_cmp_le_i32_e64 s[0:1], s17, v15
	v_add_u32_e32 v11, 32, v11
	v_add_u32_e32 v12, 0x80, v12
	s_or_b64 s[28:29], s[0:1], s[28:29]
	v_lshl_add_u64 v[4:5], v[4:5], 0, 8
	s_andn2_b64 exec, exec, s[28:29]
	s_cbranch_execz .LBB86_11
.LBB86_9:                               ; =>This Inner Loop Header: Depth=1
	global_load_dword v16, v[4:5], off
	s_waitcnt vmcnt(0) lgkmcnt(0)
	v_mad_i64_i32 v[16:17], s[0:1], v16, s12, 0
	v_lshl_add_u64 v[34:35], v[16:17], 1, v[2:3]
	global_load_dword v31, v[34:35], off
	global_load_dword v30, v[34:35], off offset:256
	global_load_dword v29, v[34:35], off offset:512
	;; [unrolled: 1-line block ×12, first 2 shown]
	ds_read_b32 v32, v10
	global_load_dword v17, v[34:35], off offset:3328
	global_load_dword v16, v[34:35], off offset:3584
	v_cmp_lt_i32_e64 s[0:1], v13, v7
	s_waitcnt lgkmcnt(0)
	v_lshrrev_b32_e32 v34, 16, v32
	v_and_b32_e32 v32, 0xffff, v32
	;;#ASMSTART
	v_cvt_f32_f16 v32, v32;
	;;#ASMEND
	;;#ASMSTART
	v_cvt_f32_f16 v34, v34;
	;;#ASMEND
	v_cndmask_b32_e64 v33, v6, v13, s[0:1]
	v_lshlrev_b32_e32 v33, 2, v33
	v_cmp_lt_i32_e64 s[0:1], v14, v7
	s_waitcnt vmcnt(14)
	v_lshrrev_b32_e32 v35, 16, v31
	v_and_b32_e32 v31, 0xffff, v31
	;;#ASMSTART
	v_cvt_f32_f16 v31, v31;
	;;#ASMEND
	;;#ASMSTART
	v_cvt_f32_f16 v35, v35;
	;;#ASMEND
	ds_read_b32 v36, v10 offset:4
	s_waitcnt vmcnt(13)
	v_lshrrev_b32_e32 v37, 16, v30
	v_and_b32_e32 v38, 0xffff, v30
	s_waitcnt vmcnt(12)
	v_lshrrev_b32_e32 v39, 16, v29
	v_and_b32_e32 v40, 0xffff, v29
	s_waitcnt lgkmcnt(0)
	v_lshrrev_b32_e32 v30, 16, v36
	v_and_b32_e32 v29, 0xffff, v36
	;;#ASMSTART
	v_cvt_f32_f16 v29, v29;
	;;#ASMEND
	;;#ASMSTART
	v_cvt_f32_f16 v30, v30;
	;;#ASMEND
	;;#ASMSTART
	v_cvt_f32_f16 v36, v38;
	;;#ASMEND
	;;#ASMSTART
	v_cvt_f32_f16 v37, v37;
	;;#ASMEND
	ds_read_b32 v38, v10 offset:8
	s_waitcnt vmcnt(11)
	v_lshrrev_b32_e32 v41, 16, v28
	v_and_b32_e32 v42, 0xffff, v28
	s_waitcnt vmcnt(10)
	v_lshrrev_b32_e32 v43, 16, v27
	v_and_b32_e32 v44, 0xffff, v27
	s_waitcnt lgkmcnt(0)
	v_lshrrev_b32_e32 v28, 16, v38
	v_and_b32_e32 v27, 0xffff, v38
	;;#ASMSTART
	v_cvt_f32_f16 v27, v27;
	;;#ASMEND
	;;#ASMSTART
	v_cvt_f32_f16 v28, v28;
	;;#ASMEND
	;; [unrolled: 22-line block ×7, first 2 shown]
	;;#ASMSTART
	v_cvt_f32_f16 v48, v50;
	;;#ASMEND
	;;#ASMSTART
	v_cvt_f32_f16 v49, v49;
	;;#ASMEND
	ds_read_b32 v50, v10 offset:32
	v_mul_f32_e32 v29, v29, v36
	v_mul_f32_e32 v30, v30, v37
	v_fmac_f32_e32 v29, v32, v31
	v_fmac_f32_e32 v30, v34, v35
	s_waitcnt lgkmcnt(0)
	v_lshrrev_b32_e32 v32, 16, v50
	v_and_b32_e32 v31, 0xffff, v50
	;;#ASMSTART
	v_cvt_f32_f16 v31, v31;
	;;#ASMEND
	;;#ASMSTART
	v_cvt_f32_f16 v32, v32;
	;;#ASMEND
	;;#ASMSTART
	v_cvt_f32_f16 v34, v52;
	;;#ASMEND
	;;#ASMSTART
	v_cvt_f32_f16 v35, v51;
	;;#ASMEND
	ds_read_b32 v36, v10 offset:36
	v_fmac_f32_e32 v29, v27, v38
	v_fmac_f32_e32 v30, v28, v39
	v_fmac_f32_e32 v29, v25, v40
	v_fmac_f32_e32 v30, v26, v41
	s_waitcnt lgkmcnt(0)
	v_lshrrev_b32_e32 v26, 16, v36
	v_and_b32_e32 v25, 0xffff, v36
	;;#ASMSTART
	v_cvt_f32_f16 v25, v25;
	;;#ASMEND
	;;#ASMSTART
	v_cvt_f32_f16 v26, v26;
	;;#ASMEND
	;;#ASMSTART
	v_cvt_f32_f16 v27, v54;
	;;#ASMEND
	;;#ASMSTART
	v_cvt_f32_f16 v28, v53;
	;;#ASMEND
	ds_read_b32 v36, v10 offset:40
	v_fmac_f32_e32 v29, v23, v42
	v_fmac_f32_e32 v30, v24, v43
	;; [unrolled: 20-line block ×6, first 2 shown]
	v_fmac_f32_e32 v29, v16, v18
	v_fmac_f32_e32 v30, v17, v19
	s_waitcnt lgkmcnt(0)
	v_lshrrev_b32_e32 v17, 16, v20
	v_and_b32_e32 v16, 0xffff, v20
	;;#ASMSTART
	v_cvt_f32_f16 v16, v16;
	;;#ASMEND
	;;#ASMSTART
	v_cvt_f32_f16 v17, v17;
	;;#ASMEND
	;; [unrolled: 3-line block ×4, first 2 shown]
	s_nop 0
	v_fmac_f32_e32 v29, v16, v18
	v_fmac_f32_e32 v30, v17, v19
	v_add_f32_e32 v16, v29, v30
	ds_bpermute_b32 v17, v33, v16
	v_cndmask_b32_e64 v18, v6, v14, s[0:1]
	s_waitcnt lgkmcnt(0)
	v_add_f32_e32 v16, v16, v17
	v_lshlrev_b32_e32 v17, 2, v18
	ds_bpermute_b32 v17, v17, v16
	s_and_saveexec_b64 s[30:31], vcc
	s_cbranch_execz .LBB86_8
; %bb.10:                               ;   in Loop: Header=BB86_9 Depth=1
	v_add_u32_e32 v18, s15, v11
	v_cvt_f32_i32_e32 v18, v18
	s_waitcnt lgkmcnt(0)
	v_add_f32_e32 v16, v16, v17
	v_cmp_gt_i32_e64 s[0:1], s33, v11
	v_max_f32_e32 v17, v9, v9
	v_mul_f32_e32 v18, s8, v18
	v_cndmask_b32_e64 v18, 0, v18, s[2:3]
	v_fmac_f32_e32 v18, s9, v16
	v_cndmask_b32_e64 v16, 0, v18, s[0:1]
	ds_write_b32 v12, v16
	v_max_f32_e32 v16, v17, v18
	v_cndmask_b32_e64 v9, v9, v16, s[0:1]
	s_branch .LBB86_8
.LBB86_11:
	s_or_b64 exec, exec, s[28:29]
.LBB86_12:
	s_or_b64 exec, exec, s[26:27]
	v_xor_b32_e32 v2, 32, v6
	v_cmp_lt_i32_e32 vcc, v2, v7
	v_xor_b32_e32 v5, 16, v6
	v_max_f32_e32 v4, v9, v9
	v_cndmask_b32_e32 v2, v6, v2, vcc
	v_lshlrev_b32_e32 v2, 2, v2
	ds_bpermute_b32 v3, v2, v9
	v_cmp_lt_i32_e32 vcc, v5, v7
	v_xor_b32_e32 v9, 8, v6
	v_xor_b32_e32 v11, 4, v6
	s_waitcnt lgkmcnt(0)
	v_max_f32_e32 v3, v3, v3
	v_max_f32_e32 v4, v4, v3
	v_cndmask_b32_e32 v3, v6, v5, vcc
	v_lshlrev_b32_e32 v3, 2, v3
	ds_bpermute_b32 v5, v3, v4
	v_cmp_lt_i32_e32 vcc, v9, v7
	s_waitcnt lgkmcnt(0)
	v_max_f32_e32 v5, v5, v5
	v_max_f32_e32 v4, v4, v5
	v_cndmask_b32_e32 v5, v6, v9, vcc
	v_lshlrev_b32_e32 v10, 2, v5
	ds_bpermute_b32 v5, v10, v4
	v_cmp_lt_i32_e32 vcc, v11, v7
	s_waitcnt lgkmcnt(0)
	v_max_f32_e32 v5, v5, v5
	v_max_f32_e32 v9, v4, v5
	v_cndmask_b32_e32 v4, v6, v11, vcc
	v_lshlrev_b32_e32 v11, 2, v4
	ds_bpermute_b32 v12, v11, v9
	v_and_b32_e32 v4, 63, v0
	v_cmp_eq_u32_e32 vcc, 0, v4
	v_lshlrev_b32_e32 v5, 2, v21
	s_and_saveexec_b64 s[0:1], vcc
	s_cbranch_execz .LBB86_14
; %bb.13:
	s_waitcnt lgkmcnt(0)
	v_max_f32_e32 v12, v12, v12
	v_max_f32_e32 v9, v9, v9
	;; [unrolled: 1-line block ×3, first 2 shown]
	ds_write_b32 v5, v9 offset:240
.LBB86_14:
	s_or_b64 exec, exec, s[0:1]
	v_cmp_gt_u32_e64 s[0:1], 2, v4
	s_waitcnt lgkmcnt(0)
	v_mov_b32_e32 v12, 0xff7fffff
	v_lshlrev_b32_e32 v9, 2, v4
	s_barrier
	s_and_saveexec_b64 s[2:3], s[0:1]
; %bb.15:
	ds_read_b32 v12, v9 offset:240
; %bb.16:
	s_or_b64 exec, exec, s[2:3]
	v_xor_b32_e32 v13, 1, v6
	v_cmp_lt_i32_e64 s[2:3], v13, v7
	v_lshlrev_b32_e32 v8, 2, v8
	s_nop 0
	v_cndmask_b32_e64 v13, v6, v13, s[2:3]
	v_lshlrev_b32_e32 v22, 2, v13
	s_waitcnt lgkmcnt(0)
	ds_bpermute_b32 v13, v22, v12
	v_max_f32_e32 v12, v12, v12
	s_lshl_b32 s2, s17, 4
	s_min_i32 s12, s2, s33
	v_cmp_gt_i32_e64 s[2:3], s12, v0
	s_waitcnt lgkmcnt(0)
	v_max_f32_e32 v13, v13, v13
	v_max_f32_e32 v12, v12, v13
	ds_bpermute_b32 v12, v8, v12
	v_mov_b32_e32 v8, 0
	s_and_saveexec_b64 s[26:27], s[2:3]
	s_cbranch_execz .LBB86_20
; %bb.17:
	v_mov_b32_e32 v8, 0x100
	v_lshl_add_u32 v13, v0, 2, v8
	v_mov_b32_e32 v8, 0
	s_mov_b64 s[28:29], 0
	v_mov_b32_e32 v14, v0
.LBB86_18:                              ; =>This Inner Loop Header: Depth=1
	ds_read_b32 v15, v13
	v_add_u32_e32 v14, 0x80, v14
	v_cmp_le_i32_e64 s[8:9], s12, v14
	s_or_b64 s[28:29], s[8:9], s[28:29]
	s_waitcnt lgkmcnt(0)
	v_sub_f32_e32 v15, v15, v12
	v_mul_f32_e32 v15, 0x3fb8aa3b, v15
	v_exp_f32_e32 v15, v15
	ds_write_b32 v13, v15
	v_add_f32_e32 v8, v8, v15
	v_add_u32_e32 v13, 0x200, v13
	s_andn2_b64 exec, exec, s[28:29]
	s_cbranch_execnz .LBB86_18
; %bb.19:
	s_or_b64 exec, exec, s[28:29]
.LBB86_20:
	s_or_b64 exec, exec, s[26:27]
	ds_bpermute_b32 v2, v2, v8
	s_waitcnt lgkmcnt(0)
	v_add_f32_e32 v2, v8, v2
	ds_bpermute_b32 v3, v3, v2
	v_xor_b32_e32 v8, 2, v6
	v_cmp_lt_i32_e64 s[8:9], v8, v7
	s_waitcnt lgkmcnt(0)
	v_add_f32_e32 v2, v2, v3
	ds_bpermute_b32 v3, v10, v2
	v_cndmask_b32_e64 v7, v6, v8, s[8:9]
	s_waitcnt lgkmcnt(0)
	v_add_f32_e32 v2, v2, v3
	ds_bpermute_b32 v3, v11, v2
	s_waitcnt lgkmcnt(0)
	v_add_f32_e32 v2, v2, v3
	v_lshlrev_b32_e32 v3, 2, v7
	ds_bpermute_b32 v3, v3, v2
	s_waitcnt lgkmcnt(0)
	v_add_f32_e32 v2, v2, v3
	ds_bpermute_b32 v3, v22, v2
	s_waitcnt lgkmcnt(0)
	v_add_f32_e32 v2, v2, v3
	s_and_saveexec_b64 s[8:9], vcc
; %bb.21:
	ds_write_b32 v5, v2 offset:248
; %bb.22:
	s_or_b64 exec, exec, s[8:9]
	s_waitcnt lgkmcnt(0)
	s_barrier
	s_and_saveexec_b64 s[8:9], s[0:1]
; %bb.23:
	ds_read_b32 v2, v9 offset:248
; %bb.24:
	s_or_b64 exec, exec, s[8:9]
	s_waitcnt lgkmcnt(0)
	ds_bpermute_b32 v3, v22, v2
	v_lshlrev_b32_e32 v5, 2, v6
	s_waitcnt lgkmcnt(0)
	v_add_f32_e32 v2, v2, v3
	v_and_b32_e32 v3, 0xffffff00, v5
	ds_bpermute_b32 v2, v3, v2
	s_and_saveexec_b64 s[0:1], s[2:3]
	s_cbranch_execz .LBB86_37
; %bb.25:
	s_waitcnt lgkmcnt(0)
	v_add_f32_e32 v2, 0x358637bd, v2
	v_div_scale_f32 v3, s[2:3], v2, v2, 1.0
	v_rcp_f32_e32 v5, v3
	v_div_scale_f32 v6, vcc, 1.0, v2, 1.0
	s_movk_i32 s2, 0x7f
	v_fma_f32 v7, -v3, v5, 1.0
	v_fmac_f32_e32 v5, v7, v5
	v_mul_f32_e32 v7, v6, v5
	v_fma_f32 v8, -v3, v7, v6
	v_fmac_f32_e32 v7, v8, v5
	v_fma_f32 v3, -v3, v7, v6
	v_div_fmas_f32 v3, v3, v5, v7
	v_xad_u32 v5, v0, -1, s12
	v_div_fixup_f32 v2, v3, v2, 1.0
	v_cmp_lt_u32_e32 vcc, s2, v5
	s_mov_b64 s[8:9], -1
	v_mov_b32_e32 v3, v0
	s_and_saveexec_b64 s[2:3], vcc
	s_cbranch_execz .LBB86_34
; %bb.26:
	v_lshrrev_b32_e32 v5, 7, v5
	v_add_u32_e32 v7, -1, v5
	v_lshrrev_b32_e32 v6, 1, v7
	v_mov_b32_e32 v3, v2
	v_add_u32_e32 v6, 1, v6
	v_cmp_lt_u32_e32 vcc, 13, v7
	v_mov_b32_e32 v9, 0
	s_and_saveexec_b64 s[8:9], vcc
	s_cbranch_execz .LBB86_30
; %bb.27:
	v_mov_b32_e32 v8, 0x100
	v_and_b32_e32 v7, -8, v6
	v_lshl_add_u32 v8, v0, 2, v8
	s_mov_b32 s15, 0
	s_mov_b64 s[26:27], 0
.LBB86_28:                              ; =>This Inner Loop Header: Depth=1
	ds_read2st64_b32 v[10:11], v8 offset1:2
	ds_read2st64_b32 v[12:13], v8 offset0:4 offset1:6
	ds_read2st64_b32 v[14:15], v8 offset0:8 offset1:10
	;; [unrolled: 1-line block ×3, first 2 shown]
	v_add_u32_e32 v7, -8, v7
	s_waitcnt lgkmcnt(3)
	v_pk_mul_f32 v[10:11], v[2:3], v[10:11]
	s_waitcnt lgkmcnt(2)
	v_pk_mul_f32 v[12:13], v[2:3], v[12:13]
	ds_write2st64_b32 v8, v10, v11 offset1:2
	ds_write2st64_b32 v8, v12, v13 offset0:4 offset1:6
	ds_read2st64_b32 v[12:13], v8 offset0:16 offset1:18
	s_waitcnt lgkmcnt(4)
	v_pk_mul_f32 v[10:11], v[2:3], v[14:15]
	ds_write2st64_b32 v8, v10, v11 offset0:8 offset1:10
	s_waitcnt lgkmcnt(4)
	v_pk_mul_f32 v[10:11], v[2:3], v[16:17]
	ds_write2st64_b32 v8, v10, v11 offset0:12 offset1:14
	ds_read2st64_b32 v[10:11], v8 offset0:20 offset1:22
	s_waitcnt lgkmcnt(3)
	v_pk_mul_f32 v[12:13], v[2:3], v[12:13]
	ds_read2st64_b32 v[14:15], v8 offset0:24 offset1:26
	ds_write2st64_b32 v8, v12, v13 offset0:16 offset1:18
	ds_read2st64_b32 v[12:13], v8 offset0:28 offset1:30
	s_waitcnt lgkmcnt(3)
	v_pk_mul_f32 v[10:11], v[2:3], v[10:11]
	ds_write2st64_b32 v8, v10, v11 offset0:20 offset1:22
	s_waitcnt lgkmcnt(3)
	v_pk_mul_f32 v[10:11], v[2:3], v[14:15]
	ds_write2st64_b32 v8, v10, v11 offset0:24 offset1:26
	s_waitcnt lgkmcnt(2)
	v_pk_mul_f32 v[10:11], v[2:3], v[12:13]
	s_add_i32 s15, s15, 16
	v_cmp_eq_u32_e32 vcc, 0, v7
	ds_write2st64_b32 v8, v10, v11 offset0:28 offset1:30
	v_add_u32_e32 v8, 0x2000, v8
	s_or_b64 s[26:27], vcc, s[26:27]
	v_mov_b32_e32 v9, s15
	s_andn2_b64 exec, exec, s[26:27]
	s_cbranch_execnz .LBB86_28
; %bb.29:
	s_or_b64 exec, exec, s[26:27]
.LBB86_30:
	s_or_b64 exec, exec, s[8:9]
	v_and_b32_e32 v6, 7, v6
	v_cmp_ne_u32_e32 vcc, 0, v6
	s_and_saveexec_b64 s[8:9], vcc
	s_cbranch_execz .LBB86_33
; %bb.31:
	v_lshlrev_b32_e32 v7, 9, v9
	v_lshlrev_b32_e32 v8, 2, v0
	s_movk_i32 s15, 0x100
	v_add3_u32 v7, v7, v8, s15
	s_mov_b64 s[26:27], 0
.LBB86_32:                              ; =>This Inner Loop Header: Depth=1
	ds_read2st64_b32 v[8:9], v7 offset1:2
	v_add_u32_e32 v6, -1, v6
	v_cmp_eq_u32_e32 vcc, 0, v6
	s_or_b64 s[26:27], vcc, s[26:27]
	s_waitcnt lgkmcnt(0)
	v_pk_mul_f32 v[8:9], v[2:3], v[8:9]
	ds_write2st64_b32 v7, v8, v9 offset1:2
	v_add_u32_e32 v7, 0x400, v7
	s_andn2_b64 exec, exec, s[26:27]
	s_cbranch_execnz .LBB86_32
.LBB86_33:
	s_or_b64 exec, exec, s[8:9]
	v_add_u32_e32 v5, 1, v5
	v_and_b32_e32 v6, 0x3fffffe, v5
	v_cmp_ne_u32_e32 vcc, v5, v6
	v_lshl_add_u32 v3, v6, 7, v0
	s_orn2_b64 s[8:9], vcc, exec
.LBB86_34:
	s_or_b64 exec, exec, s[2:3]
	s_and_b64 exec, exec, s[8:9]
	s_cbranch_execz .LBB86_37
; %bb.35:
	v_mov_b32_e32 v5, 0x100
	v_lshl_add_u32 v5, v3, 2, v5
	s_mov_b64 s[2:3], 0
.LBB86_36:                              ; =>This Inner Loop Header: Depth=1
	ds_read_b32 v6, v5
	v_add_u32_e32 v3, 0x80, v3
	v_cmp_le_i32_e32 vcc, s12, v3
	s_or_b64 s[2:3], vcc, s[2:3]
	s_waitcnt lgkmcnt(0)
	v_mul_f32_e32 v6, v2, v6
	ds_write_b32 v5, v6
	v_add_u32_e32 v5, 0x200, v5
	s_andn2_b64 exec, exec, s[2:3]
	s_cbranch_execnz .LBB86_36
.LBB86_37:
	s_or_b64 exec, exec, s[0:1]
	v_lshrrev_b32_e32 v23, 1, v4
	s_waitcnt lgkmcnt(0)
	s_barrier
	s_and_saveexec_b64 s[0:1], s[6:7]
	s_xor_b64 s[0:1], exec, s[0:1]
; %bb.38:
	v_lshrrev_b32_e32 v23, 1, v4
                                        ; implicit-def: $vgpr21
                                        ; implicit-def: $vgpr1
; %bb.39:
	s_or_saveexec_b64 s[6:7], s[0:1]
	v_mov_b32_e32 v7, 0
	v_and_b32_e32 v24, 1, v0
	v_mov_b32_e32 v6, 0
	v_mov_b32_e32 v9, 0
	;; [unrolled: 1-line block ×3, first 2 shown]
	s_xor_b64 exec, exec, s[6:7]
	s_cbranch_execz .LBB86_53
; %bb.40:
	s_ashr_i32 s15, s14, 31
	s_lshl_b64 s[0:1], s[14:15], 1
	v_lshlrev_b32_e32 v2, 3, v0
	s_add_u32 s8, s24, s0
	v_and_b32_e32 v3, 8, v2
	s_addc_u32 s9, s25, s1
	s_add_i32 s24, s17, -1
	v_or_b32_e32 v4, 0x60, v23
	s_movk_i32 s0, 0x78
	s_lshl_b64 s[2:3], s[22:23], 2
	v_lshl_or_b32 v2, v23, 4, v3
	v_cmp_gt_u32_e64 s[0:1], s0, v4
	v_lshl_or_b32 v4, v4, 4, v3
	v_lshl_or_b32 v25, v21, 4, v3
	v_lshlrev_b32_e32 v3, 5, v24
	s_add_u32 s2, s20, s2
	v_mov_b32_e32 v11, 0
	v_lshl_or_b32 v3, v21, 6, v3
	v_and_b32_e32 v10, 60, v1
	s_addc_u32 s3, s21, s3
	s_mov_b32 s26, s13
	s_mov_b32 s25, s33
	v_add_u32_e32 v26, 0x100, v3
	v_lshl_add_u64 v[12:13], s[2:3], 0, v[10:11]
	s_mov_b64 s[12:13], 0
	v_lshlrev_b32_e32 v14, 1, v2
	v_mov_b32_e32 v15, v11
	s_mov_b32 s22, 0xffff
	v_lshlrev_b32_e32 v10, 1, v4
	v_mov_b32_e32 v7, v11
	v_mov_b32_e32 v6, v11
	v_mov_b32_e32 v9, v11
	v_mov_b32_e32 v8, v11
	s_branch .LBB86_43
.LBB86_41:                              ;   in Loop: Header=BB86_43 Depth=1
	s_or_b64 exec, exec, s[20:21]
	v_lshlrev_b32_e32 v16, 16, v16
	v_lshlrev_b32_e32 v1, 16, v1
	v_and_or_b32 v2, v2, s22, v16
	v_and_or_b32 v1, v3, s22, v1
	v_lshlrev_b32_e32 v3, 16, v17
	v_and_or_b32 v3, v4, s22, v3
	;;#ASMSTART
	v_pk_mul_f16 v2, v30, v2;

	;;#ASMEND
	;;#ASMSTART
	v_pk_mul_f16 v1, v31, v1;

	;;#ASMEND
	;; [unrolled: 4-line block ×4, first 2 shown]
	s_nop 0
	;;#ASMSTART
	v_pk_add_f16 v1, v2, v1;

	;;#ASMEND
	s_nop 0
	;;#ASMSTART
	v_pk_add_f16 v1, v1, v3;

	;;#ASMEND
	;; [unrolled: 5-line block ×3, first 2 shown]
	s_nop 0
	v_lshrrev_b32_e32 v2, 16, v1
	v_and_b32_e32 v1, 0xffff, v1
	;;#ASMSTART
	v_cvt_f32_f16 v1, v1;
	;;#ASMEND
	;;#ASMSTART
	v_cvt_f32_f16 v2, v2;
	;;#ASMEND
	s_nop 0
	v_add_f32_e32 v1, v1, v2
	v_add_f32_e32 v7, v7, v1
.LBB86_42:                              ;   in Loop: Header=BB86_43 Depth=1
	s_or_b64 exec, exec, s[14:15]
	v_add_f32_e32 v1, v18, v19
	v_add_f32_e32 v6, v6, v1
	;; [unrolled: 1-line block ×3, first 2 shown]
	v_add_u32_e32 v21, 2, v21
	v_add_f32_e32 v9, v9, v1
	v_add_f32_e32 v1, v27, v28
	v_cmp_le_i32_e32 vcc, s17, v21
	v_add_f32_e32 v8, v8, v1
	v_add_u32_e32 v25, 32, v25
	v_add_u32_e32 v26, 0x80, v26
	s_or_b64 s[12:13], vcc, s[12:13]
	v_lshl_add_u64 v[12:13], v[12:13], 0, 8
	s_andn2_b64 exec, exec, s[12:13]
	s_cbranch_execz .LBB86_52
.LBB86_43:                              ; =>This Inner Loop Header: Depth=1
	global_load_dword v1, v[12:13], off
	ds_read2_b64 v[2:5], v26 offset1:1
	ds_read2_b64 v[16:19], v26 offset0:2 offset1:3
	s_waitcnt lgkmcnt(1)
	;;#ASMSTART
	v_cvt_f16_f32 v27, v2;

	;;#ASMEND
	;;#ASMSTART
	v_cvt_f16_f32 v28, v3;

	;;#ASMEND
	;; [unrolled: 4-line block ×4, first 2 shown]
	s_waitcnt lgkmcnt(0)
	;;#ASMSTART
	v_cvt_f16_f32 v32, v16;

	;;#ASMEND
	;;#ASMSTART
	v_cvt_f16_f32 v33, v17;

	;;#ASMEND
	;; [unrolled: 4-line block ×4, first 2 shown]
	s_waitcnt vmcnt(0)
	v_mad_i64_i32 v[2:3], s[2:3], v1, s26, 0
	v_lshl_add_u64 v[16:17], v[2:3], 1, s[8:9]
	v_lshl_add_u64 v[18:19], v[16:17], 0, v[14:15]
	global_load_dwordx4 v[2:5], v[18:19], off
	v_cmp_eq_u32_e64 s[2:3], s24, v21
	s_waitcnt vmcnt(0)
	v_lshrrev_b32_e32 v1, 16, v3
	v_lshrrev_b32_e32 v20, 16, v2
	;; [unrolled: 1-line block ×3, first 2 shown]
	s_and_saveexec_b64 s[14:15], s[2:3]
	s_cbranch_execz .LBB86_45
; %bb.44:                               ;   in Loop: Header=BB86_43 Depth=1
	v_cmp_gt_i32_e32 vcc, s33, v25
	v_add_u32_e32 v38, 2, v25
	v_or_b32_e32 v30, 3, v25
	v_cndmask_b32_e32 v2, 0, v2, vcc
	v_cmp_gt_i32_e32 vcc, s33, v38
	v_or_b32_e32 v37, 1, v25
	s_nop 0
	v_cndmask_b32_e32 v3, 0, v3, vcc
	v_cmp_gt_i32_e32 vcc, s25, v30
	v_add_u32_e32 v30, 4, v25
	s_nop 0
	v_cndmask_b32_e32 v1, 0, v1, vcc
	v_cmp_gt_i32_e32 vcc, s33, v37
	v_add_u32_e32 v37, 7, v25
	s_nop 0
	v_cndmask_b32_e32 v20, 0, v20, vcc
	v_cmp_gt_i32_e32 vcc, s33, v30
	v_add_u32_e32 v30, 5, v25
	s_nop 0
	v_cndmask_b32_e32 v4, 0, v4, vcc
	v_cmp_gt_i32_e32 vcc, s33, v30
	v_add_u32_e32 v30, 6, v25
	s_nop 0
	v_cndmask_b32_e32 v36, 0, v36, vcc
	v_cmp_gt_i32_e32 vcc, s33, v30
	s_nop 1
	v_cndmask_b32_sdwa v30, v11, v5, vcc dst_sel:DWORD dst_unused:UNUSED_PAD src0_sel:DWORD src1_sel:WORD_0
	v_and_b32_e32 v5, 0xffff0000, v5
	v_cmp_gt_i32_e32 vcc, s33, v37
	s_nop 1
	v_cndmask_b32_e32 v5, 0, v5, vcc
	v_or_b32_e32 v5, v30, v5
.LBB86_45:                              ;   in Loop: Header=BB86_43 Depth=1
	s_or_b64 exec, exec, s[14:15]
	v_and_b32_e32 v27, 0xffff, v27
	v_lshl_or_b32 v30, v28, 16, v27
	v_and_b32_e32 v27, 0xffff, v29
	v_lshlrev_b32_e32 v20, 16, v20
	v_lshlrev_b32_e32 v1, 16, v1
	v_lshl_or_b32 v31, v31, 16, v27
	v_and_b32_e32 v27, 0xffff, v32
	v_and_or_b32 v2, v2, s22, v20
	v_and_or_b32 v1, v3, s22, v1
	v_lshlrev_b32_e32 v3, 16, v36
	v_lshl_or_b32 v32, v33, 16, v27
	v_and_b32_e32 v27, 0xffff, v34
	v_and_or_b32 v3, v4, s22, v3
	;;#ASMSTART
	v_pk_mul_f16 v2, v30, v2;

	;;#ASMEND
	;;#ASMSTART
	v_pk_mul_f16 v1, v31, v1;

	;;#ASMEND
	v_lshl_or_b32 v29, v35, 16, v27
	;;#ASMSTART
	v_pk_mul_f16 v3, v32, v3;

	;;#ASMEND
	;;#ASMSTART
	v_pk_mul_f16 v4, v29, v5;

	;;#ASMEND
	;;#ASMSTART
	v_pk_add_f16 v1, v2, v1;

	;;#ASMEND
	s_nop 0
	;;#ASMSTART
	v_pk_add_f16 v1, v1, v3;

	;;#ASMEND
	s_nop 0
	;; [unrolled: 5-line block ×3, first 2 shown]
	v_lshrrev_b32_e32 v2, 16, v1
	v_and_b32_e32 v1, 0xffff, v1
	;;#ASMSTART
	v_cvt_f32_f16 v27, v1;
	;;#ASMEND
	;;#ASMSTART
	v_cvt_f32_f16 v28, v2;
	;;#ASMEND
	global_load_dwordx4 v[2:5], v[18:19], off offset:1024
	s_waitcnt vmcnt(0)
	v_lshrrev_b32_e32 v1, 16, v3
	v_lshrrev_b32_e32 v20, 16, v2
	v_lshrrev_b32_e32 v33, 16, v4
	s_and_saveexec_b64 s[14:15], s[2:3]
	s_cbranch_execz .LBB86_47
; %bb.46:                               ;   in Loop: Header=BB86_43 Depth=1
	v_cmp_gt_i32_e32 vcc, s33, v25
	v_add_u32_e32 v36, 2, v25
	v_or_b32_e32 v34, 3, v25
	v_cndmask_b32_e32 v2, 0, v2, vcc
	v_cmp_gt_i32_e32 vcc, s33, v36
	v_or_b32_e32 v35, 1, v25
	s_nop 0
	v_cndmask_b32_e32 v3, 0, v3, vcc
	v_cmp_gt_i32_e32 vcc, s25, v34
	v_add_u32_e32 v34, 4, v25
	s_nop 0
	v_cndmask_b32_e32 v1, 0, v1, vcc
	v_cmp_gt_i32_e32 vcc, s33, v35
	v_add_u32_e32 v35, 7, v25
	;; [unrolled: 4-line block ×4, first 2 shown]
	s_nop 0
	v_cndmask_b32_e32 v33, 0, v33, vcc
	v_cmp_gt_i32_e32 vcc, s33, v34
	s_nop 1
	v_cndmask_b32_sdwa v34, v11, v5, vcc dst_sel:DWORD dst_unused:UNUSED_PAD src0_sel:DWORD src1_sel:WORD_0
	v_and_b32_e32 v5, 0xffff0000, v5
	v_cmp_gt_i32_e32 vcc, s33, v35
	s_nop 1
	v_cndmask_b32_e32 v5, 0, v5, vcc
	v_or_b32_e32 v5, v34, v5
.LBB86_47:                              ;   in Loop: Header=BB86_43 Depth=1
	s_or_b64 exec, exec, s[14:15]
	v_lshlrev_b32_e32 v20, 16, v20
	v_lshlrev_b32_e32 v1, 16, v1
	v_and_or_b32 v2, v2, s22, v20
	v_and_or_b32 v1, v3, s22, v1
	v_lshlrev_b32_e32 v3, 16, v33
	v_and_or_b32 v3, v4, s22, v3
	;;#ASMSTART
	v_pk_mul_f16 v2, v30, v2;

	;;#ASMEND
	;;#ASMSTART
	v_pk_mul_f16 v1, v31, v1;

	;;#ASMEND
	;; [unrolled: 4-line block ×4, first 2 shown]
	s_nop 0
	;;#ASMSTART
	v_pk_add_f16 v1, v2, v1;

	;;#ASMEND
	s_nop 0
	;;#ASMSTART
	v_pk_add_f16 v1, v1, v3;

	;;#ASMEND
	;; [unrolled: 5-line block ×3, first 2 shown]
	s_nop 0
	v_lshrrev_b32_e32 v2, 16, v1
	v_and_b32_e32 v1, 0xffff, v1
	;;#ASMSTART
	v_cvt_f32_f16 v20, v1;
	;;#ASMEND
	;;#ASMSTART
	v_cvt_f32_f16 v33, v2;
	;;#ASMEND
	global_load_dwordx4 v[2:5], v[18:19], off offset:2048
	s_waitcnt vmcnt(0)
	v_lshrrev_b32_e32 v1, 16, v3
	v_lshrrev_b32_e32 v18, 16, v2
	;; [unrolled: 1-line block ×3, first 2 shown]
	s_and_saveexec_b64 s[14:15], s[2:3]
	s_cbranch_execz .LBB86_49
; %bb.48:                               ;   in Loop: Header=BB86_43 Depth=1
	v_cmp_gt_i32_e32 vcc, s33, v25
	v_add_u32_e32 v36, 2, v25
	v_or_b32_e32 v34, 3, v25
	v_cndmask_b32_e32 v2, 0, v2, vcc
	v_cmp_gt_i32_e32 vcc, s33, v36
	v_or_b32_e32 v35, 1, v25
	s_nop 0
	v_cndmask_b32_e32 v3, 0, v3, vcc
	v_cmp_gt_i32_e32 vcc, s25, v34
	v_add_u32_e32 v34, 4, v25
	s_nop 0
	v_cndmask_b32_e32 v1, 0, v1, vcc
	v_cmp_gt_i32_e32 vcc, s33, v35
	v_add_u32_e32 v35, 7, v25
	;; [unrolled: 4-line block ×4, first 2 shown]
	s_nop 0
	v_cndmask_b32_e32 v19, 0, v19, vcc
	v_cmp_gt_i32_e32 vcc, s33, v34
	s_nop 1
	v_cndmask_b32_sdwa v34, v11, v5, vcc dst_sel:DWORD dst_unused:UNUSED_PAD src0_sel:DWORD src1_sel:WORD_0
	v_and_b32_e32 v5, 0xffff0000, v5
	v_cmp_gt_i32_e32 vcc, s33, v35
	s_nop 1
	v_cndmask_b32_e32 v5, 0, v5, vcc
	v_or_b32_e32 v5, v34, v5
.LBB86_49:                              ;   in Loop: Header=BB86_43 Depth=1
	s_or_b64 exec, exec, s[14:15]
	v_lshlrev_b32_e32 v18, 16, v18
	v_lshlrev_b32_e32 v1, 16, v1
	v_and_or_b32 v2, v2, s22, v18
	v_and_or_b32 v1, v3, s22, v1
	v_lshlrev_b32_e32 v3, 16, v19
	v_and_or_b32 v3, v4, s22, v3
	;;#ASMSTART
	v_pk_mul_f16 v2, v30, v2;

	;;#ASMEND
	;;#ASMSTART
	v_pk_mul_f16 v1, v31, v1;

	;;#ASMEND
	;; [unrolled: 4-line block ×4, first 2 shown]
	s_nop 0
	;;#ASMSTART
	v_pk_add_f16 v1, v2, v1;

	;;#ASMEND
	s_nop 0
	;;#ASMSTART
	v_pk_add_f16 v1, v1, v3;

	;;#ASMEND
	;; [unrolled: 5-line block ×3, first 2 shown]
	s_nop 0
	v_lshrrev_b32_e32 v2, 16, v1
	v_and_b32_e32 v1, 0xffff, v1
	;;#ASMSTART
	v_cvt_f32_f16 v18, v1;
	;;#ASMEND
	;;#ASMSTART
	v_cvt_f32_f16 v19, v2;
	;;#ASMEND
	s_and_saveexec_b64 s[14:15], s[0:1]
	s_cbranch_execz .LBB86_42
; %bb.50:                               ;   in Loop: Header=BB86_43 Depth=1
	v_lshl_add_u64 v[2:3], v[16:17], 0, v[10:11]
	global_load_dwordx4 v[2:5], v[2:3], off
	s_waitcnt vmcnt(0)
	v_lshrrev_b32_e32 v1, 16, v3
	v_lshrrev_b32_e32 v16, 16, v2
	;; [unrolled: 1-line block ×3, first 2 shown]
	s_and_saveexec_b64 s[20:21], s[2:3]
	s_cbranch_execz .LBB86_41
; %bb.51:                               ;   in Loop: Header=BB86_43 Depth=1
	v_cmp_gt_i32_e32 vcc, s33, v25
	v_add_u32_e32 v36, 2, v25
	v_or_b32_e32 v34, 3, v25
	v_cndmask_b32_e32 v2, 0, v2, vcc
	v_cmp_gt_i32_e32 vcc, s33, v36
	v_or_b32_e32 v35, 1, v25
	s_nop 0
	v_cndmask_b32_e32 v3, 0, v3, vcc
	v_cmp_gt_i32_e32 vcc, s25, v34
	v_add_u32_e32 v34, 4, v25
	s_nop 0
	v_cndmask_b32_e32 v1, 0, v1, vcc
	v_cmp_gt_i32_e32 vcc, s33, v35
	v_add_u32_e32 v35, 7, v25
	;; [unrolled: 4-line block ×4, first 2 shown]
	s_nop 0
	v_cndmask_b32_e32 v17, 0, v17, vcc
	v_cmp_gt_i32_e32 vcc, s33, v34
	s_nop 1
	v_cndmask_b32_sdwa v34, v11, v5, vcc dst_sel:DWORD dst_unused:UNUSED_PAD src0_sel:DWORD src1_sel:WORD_0
	v_and_b32_e32 v5, 0xffff0000, v5
	v_cmp_gt_i32_e32 vcc, s33, v35
	s_nop 1
	v_cndmask_b32_e32 v5, 0, v5, vcc
	v_or_b32_e32 v5, v34, v5
	s_branch .LBB86_41
.LBB86_52:
	s_or_b64 exec, exec, s[12:13]
.LBB86_53:
	s_or_b64 exec, exec, s[6:7]
	ds_bpermute_b32 v2, v22, v8
	ds_bpermute_b32 v3, v22, v9
	;; [unrolled: 1-line block ×4, first 2 shown]
	v_and_b32_e32 v1, 0x3c0, v0
	v_cmp_eq_u32_e64 s[0:1], 64, v1
	s_waitcnt lgkmcnt(2)
	v_pk_add_f32 v[4:5], v[8:9], v[2:3]
	v_cmp_eq_u32_e32 vcc, 0, v24
	s_waitcnt lgkmcnt(0)
	v_pk_add_f32 v[2:3], v[6:7], v[10:11]
	s_barrier
	s_and_saveexec_b64 s[2:3], s[0:1]
	s_cbranch_execz .LBB86_58
; %bb.54:
	s_and_saveexec_b64 s[0:1], vcc
	s_cbranch_execz .LBB86_56
; %bb.55:
	v_mov_b32_e32 v1, 0x100
	v_lshl_add_u32 v1, v23, 2, v1
	ds_write2_b32 v1, v4, v5 offset1:32
	ds_write_b32 v1, v2 offset:256
.LBB86_56:
	s_or_b64 exec, exec, s[0:1]
	v_or_b32_e32 v1, 0x60, v23
	s_movk_i32 s0, 0x78
	v_cmp_gt_u32_e64 s[0:1], s0, v1
	s_and_b64 s[0:1], vcc, s[0:1]
	s_and_b64 exec, exec, s[0:1]
; %bb.57:
	v_mov_b32_e32 v1, 0x100
	v_lshl_add_u32 v1, v23, 2, v1
	ds_write_b32 v1, v3 offset:384
.LBB86_58:
	s_or_b64 exec, exec, s[2:3]
	v_cmp_gt_u32_e64 s[0:1], 64, v0
	v_lshrrev_b32_e32 v0, 1, v0
	s_waitcnt lgkmcnt(0)
	s_barrier
	s_and_saveexec_b64 s[6:7], s[0:1]
	s_cbranch_execz .LBB86_68
; %bb.59:
	s_and_saveexec_b64 s[2:3], vcc
	s_cbranch_execz .LBB86_61
; %bb.60:
	v_mov_b32_e32 v1, 0x100
	v_lshl_add_u32 v1, v0, 2, v1
	ds_read_b32 v1, v1
	s_waitcnt lgkmcnt(0)
	v_add_f32_e32 v4, v4, v1
.LBB86_61:
	s_or_b64 exec, exec, s[2:3]
	v_or_b32_e32 v1, 32, v0
	s_movk_i32 s8, 0x78
	v_cmp_gt_u32_e64 s[2:3], s8, v1
	s_and_b64 s[12:13], vcc, s[2:3]
	s_and_saveexec_b64 s[2:3], s[12:13]
	s_cbranch_execz .LBB86_63
; %bb.62:
	v_mov_b32_e32 v1, 0x100
	v_lshl_add_u32 v1, v0, 2, v1
	ds_read_b32 v1, v1 offset:128
	s_waitcnt lgkmcnt(0)
	v_add_f32_e32 v5, v5, v1
.LBB86_63:
	s_or_b64 exec, exec, s[2:3]
	v_or_b32_e32 v1, 64, v0
	v_cmp_gt_u32_e64 s[2:3], s8, v1
	s_and_b64 s[8:9], vcc, s[2:3]
	s_and_saveexec_b64 s[2:3], s[8:9]
	s_cbranch_execz .LBB86_65
; %bb.64:
	v_mov_b32_e32 v1, 0x100
	v_lshl_add_u32 v1, v0, 2, v1
	ds_read_b32 v1, v1 offset:256
	s_waitcnt lgkmcnt(0)
	v_add_f32_e32 v2, v2, v1
.LBB86_65:
	s_or_b64 exec, exec, s[2:3]
	v_or_b32_e32 v1, 0x60, v0
	s_movk_i32 s2, 0x78
	v_cmp_gt_u32_e64 s[2:3], s2, v1
	s_and_b64 s[8:9], vcc, s[2:3]
	s_and_saveexec_b64 s[2:3], s[8:9]
	s_cbranch_execz .LBB86_67
; %bb.66:
	v_mov_b32_e32 v1, 0x100
	v_lshl_add_u32 v1, v0, 2, v1
	ds_read_b32 v1, v1 offset:384
	s_waitcnt lgkmcnt(0)
	v_add_f32_e32 v3, v3, v1
.LBB86_67:
	s_or_b64 exec, exec, s[2:3]
.LBB86_68:
	s_or_b64 exec, exec, s[6:7]
	s_barrier
	s_and_saveexec_b64 s[2:3], s[0:1]
	s_cbranch_execz .LBB86_77
; %bb.69:
	s_mul_i32 s0, s10, s11
	s_mul_i32 s0, s0, s5
	s_mulk_i32 s0, 0x78
	s_ashr_i32 s1, s0, 31
	s_lshl_b64 s[0:1], s[0:1], 1
	s_add_u32 s2, s18, s0
	s_mul_i32 s0, s11, s16
	s_addc_u32 s3, s19, s1
	s_ashr_i32 s1, s0, 31
	s_lshl_b64 s[0:1], s[0:1], 1
	s_add_u32 s2, s2, s0
	s_mul_i32 s0, s4, 0x78
	s_addc_u32 s3, s3, s1
	s_ashr_i32 s1, s0, 31
	s_lshl_b64 s[0:1], s[0:1], 1
	s_add_u32 s2, s2, s0
	s_movk_i32 s5, 0x78
	s_addc_u32 s3, s3, s1
	v_lshlrev_b32_e32 v1, 1, v0
	s_and_saveexec_b64 s[0:1], vcc
	s_cbranch_execz .LBB86_71
; %bb.70:
	;;#ASMSTART
	v_cvt_f16_f32 v4, v4;

	;;#ASMEND
	global_store_short v1, v4, s[2:3]
.LBB86_71:
	s_or_b64 exec, exec, s[0:1]
	v_or_b32_e32 v4, 32, v0
	v_cmp_gt_u32_e64 s[0:1], s5, v4
	s_and_b64 s[4:5], vcc, s[0:1]
	s_and_saveexec_b64 s[0:1], s[4:5]
	s_cbranch_execz .LBB86_73
; %bb.72:
	;;#ASMSTART
	v_cvt_f16_f32 v4, v5;

	;;#ASMEND
	global_store_short v1, v4, s[2:3] offset:64
.LBB86_73:
	s_or_b64 exec, exec, s[0:1]
	v_or_b32_e32 v4, 64, v0
	s_movk_i32 s4, 0x78
	v_cmp_gt_u32_e64 s[0:1], s4, v4
	s_and_b64 s[6:7], vcc, s[0:1]
	s_and_saveexec_b64 s[0:1], s[6:7]
	s_cbranch_execz .LBB86_75
; %bb.74:
	;;#ASMSTART
	v_cvt_f16_f32 v2, v2;

	;;#ASMEND
	global_store_short v1, v2, s[2:3] offset:128
.LBB86_75:
	s_or_b64 exec, exec, s[0:1]
	v_or_b32_e32 v0, 0x60, v0
	v_cmp_gt_u32_e64 s[0:1], s4, v0
	s_and_b64 s[0:1], vcc, s[0:1]
	s_and_b64 exec, exec, s[0:1]
	s_cbranch_execz .LBB86_77
; %bb.76:
	;;#ASMSTART
	v_cvt_f16_f32 v0, v3;

	;;#ASMEND
	global_store_short v1, v0, s[2:3] offset:192
.LBB86_77:
	s_endpgm
	.section	.rodata,"a",@progbits
	.p2align	6, 0x0
	.amdhsa_kernel _ZN4vllm25paged_attention_v1_kernelIttLi120ELi16ELi128ELNS_18Fp8KVCacheDataTypeE0ELb0EEEvPT_PKS2_PKT0_S8_ifPKiSA_iPKfiiiSC_SC_iiiii
		.amdhsa_group_segment_fixed_size 256
		.amdhsa_private_segment_fixed_size 0
		.amdhsa_kernarg_size 384
		.amdhsa_user_sgpr_count 2
		.amdhsa_user_sgpr_dispatch_ptr 0
		.amdhsa_user_sgpr_queue_ptr 0
		.amdhsa_user_sgpr_kernarg_segment_ptr 1
		.amdhsa_user_sgpr_dispatch_id 0
		.amdhsa_user_sgpr_kernarg_preload_length 0
		.amdhsa_user_sgpr_kernarg_preload_offset 0
		.amdhsa_user_sgpr_private_segment_size 0
		.amdhsa_uses_dynamic_stack 0
		.amdhsa_enable_private_segment 0
		.amdhsa_system_sgpr_workgroup_id_x 1
		.amdhsa_system_sgpr_workgroup_id_y 1
		.amdhsa_system_sgpr_workgroup_id_z 1
		.amdhsa_system_sgpr_workgroup_info 0
		.amdhsa_system_vgpr_workitem_id 0
		.amdhsa_next_free_vgpr 65
		.amdhsa_next_free_sgpr 34
		.amdhsa_accum_offset 68
		.amdhsa_reserve_vcc 1
		.amdhsa_float_round_mode_32 0
		.amdhsa_float_round_mode_16_64 0
		.amdhsa_float_denorm_mode_32 3
		.amdhsa_float_denorm_mode_16_64 3
		.amdhsa_dx10_clamp 1
		.amdhsa_ieee_mode 1
		.amdhsa_fp16_overflow 0
		.amdhsa_tg_split 0
		.amdhsa_exception_fp_ieee_invalid_op 0
		.amdhsa_exception_fp_denorm_src 0
		.amdhsa_exception_fp_ieee_div_zero 0
		.amdhsa_exception_fp_ieee_overflow 0
		.amdhsa_exception_fp_ieee_underflow 0
		.amdhsa_exception_fp_ieee_inexact 0
		.amdhsa_exception_int_div_zero 0
	.end_amdhsa_kernel
	.section	.text._ZN4vllm25paged_attention_v1_kernelIttLi120ELi16ELi128ELNS_18Fp8KVCacheDataTypeE0ELb0EEEvPT_PKS2_PKT0_S8_ifPKiSA_iPKfiiiSC_SC_iiiii,"axG",@progbits,_ZN4vllm25paged_attention_v1_kernelIttLi120ELi16ELi128ELNS_18Fp8KVCacheDataTypeE0ELb0EEEvPT_PKS2_PKT0_S8_ifPKiSA_iPKfiiiSC_SC_iiiii,comdat
.Lfunc_end86:
	.size	_ZN4vllm25paged_attention_v1_kernelIttLi120ELi16ELi128ELNS_18Fp8KVCacheDataTypeE0ELb0EEEvPT_PKS2_PKT0_S8_ifPKiSA_iPKfiiiSC_SC_iiiii, .Lfunc_end86-_ZN4vllm25paged_attention_v1_kernelIttLi120ELi16ELi128ELNS_18Fp8KVCacheDataTypeE0ELb0EEEvPT_PKS2_PKT0_S8_ifPKiSA_iPKfiiiSC_SC_iiiii
                                        ; -- End function
	.set _ZN4vllm25paged_attention_v1_kernelIttLi120ELi16ELi128ELNS_18Fp8KVCacheDataTypeE0ELb0EEEvPT_PKS2_PKT0_S8_ifPKiSA_iPKfiiiSC_SC_iiiii.num_vgpr, 65
	.set _ZN4vllm25paged_attention_v1_kernelIttLi120ELi16ELi128ELNS_18Fp8KVCacheDataTypeE0ELb0EEEvPT_PKS2_PKT0_S8_ifPKiSA_iPKfiiiSC_SC_iiiii.num_agpr, 0
	.set _ZN4vllm25paged_attention_v1_kernelIttLi120ELi16ELi128ELNS_18Fp8KVCacheDataTypeE0ELb0EEEvPT_PKS2_PKT0_S8_ifPKiSA_iPKfiiiSC_SC_iiiii.numbered_sgpr, 34
	.set _ZN4vllm25paged_attention_v1_kernelIttLi120ELi16ELi128ELNS_18Fp8KVCacheDataTypeE0ELb0EEEvPT_PKS2_PKT0_S8_ifPKiSA_iPKfiiiSC_SC_iiiii.num_named_barrier, 0
	.set _ZN4vllm25paged_attention_v1_kernelIttLi120ELi16ELi128ELNS_18Fp8KVCacheDataTypeE0ELb0EEEvPT_PKS2_PKT0_S8_ifPKiSA_iPKfiiiSC_SC_iiiii.private_seg_size, 0
	.set _ZN4vllm25paged_attention_v1_kernelIttLi120ELi16ELi128ELNS_18Fp8KVCacheDataTypeE0ELb0EEEvPT_PKS2_PKT0_S8_ifPKiSA_iPKfiiiSC_SC_iiiii.uses_vcc, 1
	.set _ZN4vllm25paged_attention_v1_kernelIttLi120ELi16ELi128ELNS_18Fp8KVCacheDataTypeE0ELb0EEEvPT_PKS2_PKT0_S8_ifPKiSA_iPKfiiiSC_SC_iiiii.uses_flat_scratch, 0
	.set _ZN4vllm25paged_attention_v1_kernelIttLi120ELi16ELi128ELNS_18Fp8KVCacheDataTypeE0ELb0EEEvPT_PKS2_PKT0_S8_ifPKiSA_iPKfiiiSC_SC_iiiii.has_dyn_sized_stack, 0
	.set _ZN4vllm25paged_attention_v1_kernelIttLi120ELi16ELi128ELNS_18Fp8KVCacheDataTypeE0ELb0EEEvPT_PKS2_PKT0_S8_ifPKiSA_iPKfiiiSC_SC_iiiii.has_recursion, 0
	.set _ZN4vllm25paged_attention_v1_kernelIttLi120ELi16ELi128ELNS_18Fp8KVCacheDataTypeE0ELb0EEEvPT_PKS2_PKT0_S8_ifPKiSA_iPKfiiiSC_SC_iiiii.has_indirect_call, 0
	.section	.AMDGPU.csdata,"",@progbits
; Kernel info:
; codeLenInByte = 7012
; TotalNumSgprs: 40
; NumVgprs: 65
; NumAgprs: 0
; TotalNumVgprs: 65
; ScratchSize: 0
; MemoryBound: 0
; FloatMode: 240
; IeeeMode: 1
; LDSByteSize: 256 bytes/workgroup (compile time only)
; SGPRBlocks: 4
; VGPRBlocks: 8
; NumSGPRsForWavesPerEU: 40
; NumVGPRsForWavesPerEU: 65
; AccumOffset: 68
; Occupancy: 7
; WaveLimiterHint : 1
; COMPUTE_PGM_RSRC2:SCRATCH_EN: 0
; COMPUTE_PGM_RSRC2:USER_SGPR: 2
; COMPUTE_PGM_RSRC2:TRAP_HANDLER: 0
; COMPUTE_PGM_RSRC2:TGID_X_EN: 1
; COMPUTE_PGM_RSRC2:TGID_Y_EN: 1
; COMPUTE_PGM_RSRC2:TGID_Z_EN: 1
; COMPUTE_PGM_RSRC2:TIDIG_COMP_CNT: 0
; COMPUTE_PGM_RSRC3_GFX90A:ACCUM_OFFSET: 16
; COMPUTE_PGM_RSRC3_GFX90A:TG_SPLIT: 0
	.section	.text._ZN4vllm25paged_attention_v1_kernelIttLi128ELi16ELi128ELNS_18Fp8KVCacheDataTypeE0ELb0EEEvPT_PKS2_PKT0_S8_ifPKiSA_iPKfiiiSC_SC_iiiii,"axG",@progbits,_ZN4vllm25paged_attention_v1_kernelIttLi128ELi16ELi128ELNS_18Fp8KVCacheDataTypeE0ELb0EEEvPT_PKS2_PKT0_S8_ifPKiSA_iPKfiiiSC_SC_iiiii,comdat
	.protected	_ZN4vllm25paged_attention_v1_kernelIttLi128ELi16ELi128ELNS_18Fp8KVCacheDataTypeE0ELb0EEEvPT_PKS2_PKT0_S8_ifPKiSA_iPKfiiiSC_SC_iiiii ; -- Begin function _ZN4vllm25paged_attention_v1_kernelIttLi128ELi16ELi128ELNS_18Fp8KVCacheDataTypeE0ELb0EEEvPT_PKS2_PKT0_S8_ifPKiSA_iPKfiiiSC_SC_iiiii
	.globl	_ZN4vllm25paged_attention_v1_kernelIttLi128ELi16ELi128ELNS_18Fp8KVCacheDataTypeE0ELb0EEEvPT_PKS2_PKT0_S8_ifPKiSA_iPKfiiiSC_SC_iiiii
	.p2align	8
	.type	_ZN4vllm25paged_attention_v1_kernelIttLi128ELi16ELi128ELNS_18Fp8KVCacheDataTypeE0ELb0EEEvPT_PKS2_PKT0_S8_ifPKiSA_iPKfiiiSC_SC_iiiii,@function
_ZN4vllm25paged_attention_v1_kernelIttLi128ELi16ELi128ELNS_18Fp8KVCacheDataTypeE0ELb0EEEvPT_PKS2_PKT0_S8_ifPKiSA_iPKfiiiSC_SC_iiiii: ; @_ZN4vllm25paged_attention_v1_kernelIttLi128ELi16ELi128ELNS_18Fp8KVCacheDataTypeE0ELb0EEEvPT_PKS2_PKT0_S8_ifPKiSA_iPKfiiiSC_SC_iiiii
; %bb.0:
	s_load_dword s5, s[0:1], 0x80
	s_load_dwordx2 s[6:7], s[0:1], 0x30
	s_load_dwordx2 s[10:11], s[0:1], 0x20
	s_mov_b32 s16, s3
	s_ashr_i32 s17, s3, 31
	s_lshl_b64 s[8:9], s[16:17], 2
	s_waitcnt lgkmcnt(0)
	s_add_u32 s6, s6, s8
	s_addc_u32 s7, s7, s9
	s_abs_i32 s3, s10
	v_cvt_f32_u32_e32 v1, s3
	s_xor_b32 s8, s5, s10
	s_sub_i32 s10, 0, s3
	s_abs_i32 s9, s5
	v_rcp_iflag_f32_e32 v1, v1
	s_ashr_i32 s8, s8, 31
	v_mul_f32_e32 v1, 0x4f7ffffe, v1
	v_cvt_u32_f32_e32 v1, v1
	s_nop 0
	v_readfirstlane_b32 s12, v1
	s_mul_i32 s10, s10, s12
	s_mul_hi_u32 s10, s12, s10
	s_add_i32 s12, s12, s10
	s_mul_hi_u32 s10, s9, s12
	s_mul_i32 s12, s10, s3
	s_sub_i32 s9, s9, s12
	s_add_i32 s12, s10, 1
	s_sub_i32 s13, s9, s3
	s_cmp_ge_u32 s9, s3
	s_cselect_b32 s10, s12, s10
	s_cselect_b32 s9, s13, s9
	s_add_i32 s12, s10, 1
	s_cmp_ge_u32 s9, s3
	s_cselect_b32 s3, s12, s10
	s_xor_b32 s3, s3, s8
	s_sub_i32 s18, s3, s8
	s_abs_i32 s20, s18
	v_cvt_f32_u32_e32 v1, s20
	s_load_dwordx2 s[8:9], s[0:1], 0x40
	s_sub_i32 s3, 0, s20
	s_abs_i32 s21, s2
	v_rcp_iflag_f32_e32 v1, v1
	s_mov_b32 s10, 0
	v_mul_f32_e32 v1, 0x4f7ffffe, v1
	v_cvt_u32_f32_e32 v1, v1
	s_nop 0
	v_readfirstlane_b32 s12, v1
	s_mul_i32 s3, s3, s12
	s_mul_hi_u32 s3, s12, s3
	s_add_i32 s12, s12, s3
	s_waitcnt lgkmcnt(0)
	s_cmp_eq_u64 s[8:9], 0
	s_mul_hi_u32 s24, s21, s12
	s_cbranch_scc1 .LBB87_2
; %bb.1:
	s_ashr_i32 s3, s2, 31
	s_lshl_b64 s[12:13], s[2:3], 2
	s_add_u32 s8, s8, s12
	s_addc_u32 s9, s9, s13
	s_load_dword s10, s[8:9], 0x0
.LBB87_2:
	s_load_dword s17, s[6:7], 0x0
	s_load_dwordx4 s[12:15], s[0:1], 0x48
	s_ashr_i32 s8, s2, 31
	s_ashr_i32 s9, s18, 31
	v_and_b32_e32 v4, 3, v0
	s_lshl_b32 s18, s2, 7
	v_cmp_gt_u32_e64 s[6:7], 64, v0
	s_and_saveexec_b64 s[2:3], s[6:7]
	s_cbranch_execz .LBB87_4
; %bb.3:
	s_load_dwordx2 s[22:23], s[0:1], 0x8
	s_waitcnt lgkmcnt(0)
	s_mul_i32 s26, s12, s16
	s_ashr_i32 s27, s26, 31
	s_lshl_b64 s[26:27], s[26:27], 1
	v_lshlrev_b32_e32 v1, 2, v0
	s_add_u32 s12, s22, s26
	s_addc_u32 s15, s23, s27
	s_ashr_i32 s19, s18, 31
	s_lshl_b64 s[22:23], s[18:19], 1
	s_add_u32 s22, s12, s22
	s_addc_u32 s23, s15, s23
	global_load_dword v1, v1, s[22:23]
	v_and_b32_e32 v2, 0x3fc, v0
	v_lshl_add_u32 v2, v4, 6, v2
	s_waitcnt vmcnt(0)
	ds_write_b32 v2, v1
.LBB87_4:
	s_or_b64 exec, exec, s[2:3]
	s_waitcnt lgkmcnt(0)
	s_add_i32 s3, s17, 15
	s_ashr_i32 s12, s3, 31
	s_lshr_b32 s12, s12, 28
	s_add_i32 s3, s3, s12
	s_ashr_i32 s19, s3, 4
	s_xor_b32 s3, s8, s9
	s_mul_i32 s8, s24, s20
	s_sub_i32 s8, s21, s8
	s_add_i32 s9, s24, 1
	s_sub_i32 s12, s8, s20
	s_load_dwordx2 s[22:23], s[0:1], 0x28
	s_load_dword s2, s[0:1], 0x38
	s_cmp_ge_u32 s8, s20
	s_cselect_b32 s9, s9, s24
	s_cselect_b32 s8, s12, s8
	s_add_i32 s12, s9, 1
	s_cmp_ge_u32 s8, s20
	s_cselect_b32 s8, s12, s9
	v_lshrrev_b32_e32 v18, 6, v0
	s_xor_b32 s8, s8, s3
	s_waitcnt lgkmcnt(0)
	s_mul_i32 s24, s2, s16
	s_sub_i32 s15, s8, s3
	s_ashr_i32 s25, s24, 31
	v_cmp_gt_i32_e64 s[2:3], s19, v18
	v_cmp_le_i32_e32 vcc, s19, v18
	v_mbcnt_lo_u32_b32 v6, -1, 0
	s_barrier
                                        ; implicit-def: $vgpr8
                                        ; implicit-def: $vgpr10
                                        ; implicit-def: $vgpr9
	s_and_saveexec_b64 s[8:9], vcc
	s_xor_b64 s[8:9], exec, s[8:9]
; %bb.5:
	v_mbcnt_hi_u32_b32 v8, -1, v6
	v_and_b32_e32 v10, 64, v8
	v_add_u32_e32 v9, 64, v10
                                        ; implicit-def: $vgpr4
                                        ; implicit-def: $vgpr6
; %bb.6:
	s_or_saveexec_b64 s[28:29], s[8:9]
	s_load_dwordx2 s[20:21], s[0:1], 0x0
	s_load_dwordx2 s[26:27], s[0:1], 0x18
	s_load_dword s12, s[0:1], 0x88
	v_mov_b32_e32 v11, 0xff7fffff
	s_mul_i32 s14, s15, s14
	v_lshrrev_b32_e32 v1, 4, v0
	s_xor_b64 exec, exec, s[28:29]
	s_cbranch_execz .LBB87_12
; %bb.7:
	s_load_dwordx2 s[0:1], s[0:1], 0x10
	s_ashr_i32 s15, s14, 31
	s_lshl_b64 s[8:9], s[14:15], 1
	v_bfe_u32 v5, v0, 2, 4
	v_lshlrev_b32_e32 v8, 4, v5
	s_waitcnt lgkmcnt(0)
	s_add_u32 s0, s0, s8
	s_addc_u32 s1, s1, s9
	v_mov_b32_e32 v9, 0
	v_lshlrev_b32_e32 v7, 2, v0
	s_sub_i32 s15, 1, s17
	s_lshl_b64 s[8:9], s[24:25], 2
	v_lshl_add_u64 v[2:3], s[0:1], 0, v[8:9]
	v_and_b32_e32 v8, 12, v7
	v_lshlrev_b32_e32 v12, 6, v4
	v_cmp_eq_u32_e32 vcc, 0, v4
	v_lshlrev_b32_e32 v4, 2, v5
	s_add_u32 s8, s22, s8
	v_lshl_add_u64 v[2:3], v[2:3], 0, v[8:9]
	v_lshl_or_b32 v4, v18, 6, v4
	v_and_b32_e32 v8, 60, v1
	s_addc_u32 s9, s23, s9
	v_lshl_or_b32 v13, v18, 4, v5
	v_add_u32_e32 v14, 0x110, v4
	v_lshl_add_u64 v[4:5], s[8:9], 0, v[8:9]
	v_mbcnt_hi_u32_b32 v8, -1, v6
	v_and_b32_e32 v10, 64, v8
	s_mov_b32 s33, s13
	v_cmp_neq_f32_e64 s[0:1], s10, 0
	v_mov_b32_e32 v11, 0xff7fffff
	s_mov_b64 s[30:31], 0
	v_add_u32_e32 v9, 64, v10
	v_xor_b32_e32 v15, 2, v8
	v_xor_b32_e32 v16, 1, v8
	v_mov_b32_e32 v17, v18
	s_branch .LBB87_9
.LBB87_8:                               ;   in Loop: Header=BB87_9 Depth=1
	s_or_b64 exec, exec, s[34:35]
	v_add_u32_e32 v17, 2, v17
	v_cmp_le_i32_e64 s[8:9], s19, v17
	v_add_u32_e32 v13, 32, v13
	v_add_u32_e32 v14, 0x80, v14
	s_or_b64 s[30:31], s[8:9], s[30:31]
	v_lshl_add_u64 v[4:5], v[4:5], 0, 8
	s_andn2_b64 exec, exec, s[30:31]
	s_cbranch_execz .LBB87_11
.LBB87_9:                               ; =>This Inner Loop Header: Depth=1
	global_load_dword v6, v[4:5], off
	s_waitcnt vmcnt(0) lgkmcnt(0)
	v_mad_i64_i32 v[6:7], s[8:9], v6, s33, 0
	v_lshl_add_u64 v[6:7], v[6:7], 1, v[2:3]
	global_load_dword v32, v[6:7], off
	global_load_dword v31, v[6:7], off offset:256
	global_load_dword v30, v[6:7], off offset:512
	;; [unrolled: 1-line block ×14, first 2 shown]
	ds_read_b32 v33, v12
	global_load_dword v6, v[6:7], off offset:3840
	v_cmp_lt_i32_e64 s[8:9], v15, v9
	s_waitcnt lgkmcnt(0)
	v_lshrrev_b32_e32 v36, 16, v33
	v_and_b32_e32 v33, 0xffff, v33
	;;#ASMSTART
	v_cvt_f32_f16 v7, v33;
	;;#ASMEND
	;;#ASMSTART
	v_cvt_f32_f16 v33, v36;
	;;#ASMEND
	v_cndmask_b32_e64 v34, v8, v15, s[8:9]
	v_lshlrev_b32_e32 v34, 2, v34
	v_cmp_lt_i32_e64 s[8:9], v16, v9
	s_waitcnt vmcnt(15)
	v_lshrrev_b32_e32 v36, 16, v32
	v_and_b32_e32 v32, 0xffff, v32
	;;#ASMSTART
	v_cvt_f32_f16 v32, v32;
	;;#ASMEND
	;;#ASMSTART
	v_cvt_f32_f16 v36, v36;
	;;#ASMEND
	ds_read_b32 v37, v12 offset:4
	s_waitcnt vmcnt(14)
	v_lshrrev_b32_e32 v38, 16, v31
	v_and_b32_e32 v39, 0xffff, v31
	s_waitcnt vmcnt(13)
	v_lshrrev_b32_e32 v40, 16, v30
	v_and_b32_e32 v41, 0xffff, v30
	s_waitcnt lgkmcnt(0)
	v_lshrrev_b32_e32 v31, 16, v37
	v_and_b32_e32 v30, 0xffff, v37
	;;#ASMSTART
	v_cvt_f32_f16 v30, v30;
	;;#ASMEND
	;;#ASMSTART
	v_cvt_f32_f16 v31, v31;
	;;#ASMEND
	;;#ASMSTART
	v_cvt_f32_f16 v37, v39;
	;;#ASMEND
	;;#ASMSTART
	v_cvt_f32_f16 v38, v38;
	;;#ASMEND
	ds_read_b32 v39, v12 offset:8
	s_waitcnt vmcnt(12)
	v_lshrrev_b32_e32 v42, 16, v29
	v_and_b32_e32 v43, 0xffff, v29
	s_waitcnt vmcnt(11)
	v_lshrrev_b32_e32 v44, 16, v28
	v_and_b32_e32 v45, 0xffff, v28
	s_waitcnt lgkmcnt(0)
	v_lshrrev_b32_e32 v29, 16, v39
	v_and_b32_e32 v28, 0xffff, v39
	;;#ASMSTART
	v_cvt_f32_f16 v28, v28;
	;;#ASMEND
	;;#ASMSTART
	v_cvt_f32_f16 v29, v29;
	;;#ASMEND
	;; [unrolled: 22-line block ×7, first 2 shown]
	;;#ASMSTART
	v_cvt_f32_f16 v49, v51;
	;;#ASMEND
	;;#ASMSTART
	v_cvt_f32_f16 v50, v50;
	;;#ASMEND
	ds_read_b32 v51, v12 offset:32
	s_waitcnt vmcnt(0)
	v_lshrrev_b32_e32 v66, 16, v6
	v_and_b32_e32 v67, 0xffff, v6
	v_mul_f32_e32 v6, v30, v37
	v_mul_f32_e32 v30, v31, v38
	s_waitcnt lgkmcnt(0)
	v_lshrrev_b32_e32 v37, 16, v51
	v_and_b32_e32 v31, 0xffff, v51
	;;#ASMSTART
	v_cvt_f32_f16 v31, v31;
	;;#ASMEND
	;;#ASMSTART
	v_cvt_f32_f16 v37, v37;
	;;#ASMEND
	;;#ASMSTART
	v_cvt_f32_f16 v38, v53;
	;;#ASMEND
	;;#ASMSTART
	v_cvt_f32_f16 v51, v52;
	;;#ASMEND
	ds_read_b32 v52, v12 offset:36
	v_fmac_f32_e32 v6, v7, v32
	v_fmac_f32_e32 v30, v33, v36
	v_fmac_f32_e32 v6, v28, v39
	v_fmac_f32_e32 v30, v29, v40
	s_waitcnt lgkmcnt(0)
	v_lshrrev_b32_e32 v28, 16, v52
	v_and_b32_e32 v7, 0xffff, v52
	;;#ASMSTART
	v_cvt_f32_f16 v7, v7;
	;;#ASMEND
	;;#ASMSTART
	v_cvt_f32_f16 v28, v28;
	;;#ASMEND
	;;#ASMSTART
	v_cvt_f32_f16 v29, v55;
	;;#ASMEND
	;;#ASMSTART
	v_cvt_f32_f16 v32, v54;
	;;#ASMEND
	ds_read_b32 v33, v12 offset:40
	v_fmac_f32_e32 v6, v26, v41
	v_fmac_f32_e32 v30, v27, v42
	v_fmac_f32_e32 v6, v24, v43
	v_fmac_f32_e32 v30, v25, v44
	;; [unrolled: 20-line block ×7, first 2 shown]
	s_waitcnt lgkmcnt(0)
	v_lshrrev_b32_e32 v19, 16, v23
	v_and_b32_e32 v7, 0xffff, v23
	;;#ASMSTART
	v_cvt_f32_f16 v7, v7;
	;;#ASMEND
	;;#ASMSTART
	v_cvt_f32_f16 v19, v19;
	;;#ASMEND
	;; [unrolled: 3-line block ×4, first 2 shown]
	s_nop 0
	v_fmac_f32_e32 v6, v7, v20
	v_fmac_f32_e32 v30, v19, v21
	v_add_f32_e32 v6, v6, v30
	ds_bpermute_b32 v7, v34, v6
	v_cndmask_b32_e64 v19, v8, v16, s[8:9]
	s_waitcnt lgkmcnt(0)
	v_add_f32_e32 v6, v6, v7
	v_lshlrev_b32_e32 v7, 2, v19
	ds_bpermute_b32 v7, v7, v6
	s_and_saveexec_b64 s[34:35], vcc
	s_cbranch_execz .LBB87_8
; %bb.10:                               ;   in Loop: Header=BB87_9 Depth=1
	v_add_u32_e32 v19, s15, v13
	v_cvt_f32_i32_e32 v19, v19
	s_waitcnt lgkmcnt(0)
	v_add_f32_e32 v6, v6, v7
	v_cmp_gt_i32_e64 s[8:9], s17, v13
	v_max_f32_e32 v7, v11, v11
	v_mul_f32_e32 v19, s10, v19
	v_cndmask_b32_e64 v19, 0, v19, s[0:1]
	v_fmac_f32_e32 v19, s11, v6
	v_cndmask_b32_e64 v6, 0, v19, s[8:9]
	ds_write_b32 v14, v6
	v_max_f32_e32 v6, v7, v19
	v_cndmask_b32_e64 v11, v11, v6, s[8:9]
	s_branch .LBB87_8
.LBB87_11:
	s_or_b64 exec, exec, s[30:31]
.LBB87_12:
	s_or_b64 exec, exec, s[28:29]
	v_xor_b32_e32 v2, 32, v8
	v_cmp_lt_i32_e32 vcc, v2, v9
	v_xor_b32_e32 v5, 16, v8
	v_max_f32_e32 v4, v11, v11
	v_cndmask_b32_e32 v2, v8, v2, vcc
	v_lshlrev_b32_e32 v2, 2, v2
	ds_bpermute_b32 v3, v2, v11
	v_cmp_lt_i32_e32 vcc, v5, v9
	v_xor_b32_e32 v6, 8, v8
	s_waitcnt lgkmcnt(0)
	v_xor_b32_e32 v7, 4, v8
	v_and_b32_e32 v19, 63, v0
	v_max_f32_e32 v3, v3, v3
	v_max_f32_e32 v4, v4, v3
	v_cndmask_b32_e32 v3, v8, v5, vcc
	v_lshlrev_b32_e32 v3, 2, v3
	ds_bpermute_b32 v5, v3, v4
	v_cmp_lt_i32_e32 vcc, v6, v9
	s_waitcnt lgkmcnt(0)
	v_max_f32_e32 v5, v5, v5
	v_max_f32_e32 v4, v4, v5
	v_cndmask_b32_e32 v5, v8, v6, vcc
	v_lshlrev_b32_e32 v6, 2, v5
	ds_bpermute_b32 v5, v6, v4
	v_cmp_lt_i32_e32 vcc, v7, v9
	s_waitcnt lgkmcnt(0)
	v_max_f32_e32 v5, v5, v5
	v_max_f32_e32 v5, v4, v5
	v_cndmask_b32_e32 v4, v8, v7, vcc
	v_lshlrev_b32_e32 v7, 2, v4
	ds_bpermute_b32 v11, v7, v5
	v_cmp_eq_u32_e32 vcc, 0, v19
	v_lshlrev_b32_e32 v4, 2, v18
	s_and_saveexec_b64 s[0:1], vcc
	s_cbranch_execz .LBB87_14
; %bb.13:
	s_waitcnt lgkmcnt(0)
	v_max_f32_e32 v11, v11, v11
	v_max_f32_e32 v5, v5, v5
	;; [unrolled: 1-line block ×3, first 2 shown]
	ds_write_b32 v4, v5 offset:256
.LBB87_14:
	s_or_b64 exec, exec, s[0:1]
	v_cmp_gt_u32_e64 s[0:1], 2, v19
	s_waitcnt lgkmcnt(0)
	v_mov_b32_e32 v11, 0xff7fffff
	v_lshlrev_b32_e32 v5, 2, v19
	s_barrier
	s_and_saveexec_b64 s[8:9], s[0:1]
; %bb.15:
	ds_read_b32 v11, v5 offset:256
; %bb.16:
	s_or_b64 exec, exec, s[8:9]
	v_xor_b32_e32 v12, 1, v8
	v_cmp_lt_i32_e64 s[8:9], v12, v9
	v_lshlrev_b32_e32 v10, 2, v10
	s_nop 0
	v_cndmask_b32_e64 v12, v8, v12, s[8:9]
	v_lshlrev_b32_e32 v20, 2, v12
	s_waitcnt lgkmcnt(0)
	ds_bpermute_b32 v12, v20, v11
	v_max_f32_e32 v11, v11, v11
	s_lshl_b32 s8, s19, 4
	s_min_i32 s15, s8, s17
	v_cmp_gt_i32_e64 s[8:9], s15, v0
	s_waitcnt lgkmcnt(0)
	v_max_f32_e32 v12, v12, v12
	v_max_f32_e32 v11, v11, v12
	ds_bpermute_b32 v11, v10, v11
	v_mov_b32_e32 v10, 0
	s_and_saveexec_b64 s[28:29], s[8:9]
	s_cbranch_execz .LBB87_20
; %bb.17:
	v_mov_b32_e32 v10, 0x110
	v_lshl_add_u32 v12, v0, 2, v10
	v_mov_b32_e32 v10, 0
	s_mov_b64 s[30:31], 0
	v_mov_b32_e32 v13, v0
.LBB87_18:                              ; =>This Inner Loop Header: Depth=1
	ds_read_b32 v14, v12
	v_add_u32_e32 v13, 0x80, v13
	v_cmp_le_i32_e64 s[10:11], s15, v13
	s_or_b64 s[30:31], s[10:11], s[30:31]
	s_waitcnt lgkmcnt(0)
	v_sub_f32_e32 v14, v14, v11
	v_mul_f32_e32 v14, 0x3fb8aa3b, v14
	v_exp_f32_e32 v14, v14
	ds_write_b32 v12, v14
	v_add_f32_e32 v10, v10, v14
	v_add_u32_e32 v12, 0x200, v12
	s_andn2_b64 exec, exec, s[30:31]
	s_cbranch_execnz .LBB87_18
; %bb.19:
	s_or_b64 exec, exec, s[30:31]
.LBB87_20:
	s_or_b64 exec, exec, s[28:29]
	ds_bpermute_b32 v2, v2, v10
	s_waitcnt lgkmcnt(0)
	v_add_f32_e32 v2, v10, v2
	ds_bpermute_b32 v3, v3, v2
	s_waitcnt lgkmcnt(0)
	v_add_f32_e32 v2, v2, v3
	ds_bpermute_b32 v3, v6, v2
	v_xor_b32_e32 v6, 2, v8
	v_cmp_lt_i32_e64 s[10:11], v6, v9
	s_waitcnt lgkmcnt(0)
	v_add_f32_e32 v2, v2, v3
	ds_bpermute_b32 v3, v7, v2
	v_cndmask_b32_e64 v6, v8, v6, s[10:11]
	s_waitcnt lgkmcnt(0)
	v_add_f32_e32 v2, v2, v3
	v_lshlrev_b32_e32 v3, 2, v6
	ds_bpermute_b32 v3, v3, v2
	s_waitcnt lgkmcnt(0)
	v_add_f32_e32 v2, v2, v3
	ds_bpermute_b32 v3, v20, v2
	s_waitcnt lgkmcnt(0)
	v_add_f32_e32 v2, v2, v3
	s_and_saveexec_b64 s[10:11], vcc
; %bb.21:
	ds_write_b32 v4, v2 offset:264
; %bb.22:
	s_or_b64 exec, exec, s[10:11]
	s_waitcnt lgkmcnt(0)
	s_barrier
	s_and_saveexec_b64 s[10:11], s[0:1]
; %bb.23:
	ds_read_b32 v2, v5 offset:264
; %bb.24:
	s_or_b64 exec, exec, s[10:11]
	s_waitcnt lgkmcnt(0)
	ds_bpermute_b32 v3, v20, v2
	v_lshlrev_b32_e32 v4, 2, v8
	s_waitcnt lgkmcnt(0)
	v_add_f32_e32 v2, v2, v3
	v_and_b32_e32 v3, 0xffffff00, v4
	ds_bpermute_b32 v2, v3, v2
	s_and_saveexec_b64 s[0:1], s[8:9]
	s_cbranch_execz .LBB87_37
; %bb.25:
	s_waitcnt lgkmcnt(0)
	v_add_f32_e32 v2, 0x358637bd, v2
	v_div_scale_f32 v3, s[8:9], v2, v2, 1.0
	v_rcp_f32_e32 v4, v3
	v_div_scale_f32 v5, vcc, 1.0, v2, 1.0
	s_movk_i32 s8, 0x7f
	v_fma_f32 v6, -v3, v4, 1.0
	v_fmac_f32_e32 v4, v6, v4
	v_mul_f32_e32 v6, v5, v4
	v_fma_f32 v7, -v3, v6, v5
	v_fmac_f32_e32 v6, v7, v4
	v_fma_f32 v3, -v3, v6, v5
	v_div_fmas_f32 v3, v3, v4, v6
	v_xad_u32 v4, v0, -1, s15
	v_div_fixup_f32 v2, v3, v2, 1.0
	v_cmp_lt_u32_e32 vcc, s8, v4
	s_mov_b64 s[10:11], -1
	v_mov_b32_e32 v3, v0
	s_and_saveexec_b64 s[8:9], vcc
	s_cbranch_execz .LBB87_34
; %bb.26:
	v_lshrrev_b32_e32 v4, 7, v4
	v_add_u32_e32 v6, -1, v4
	v_lshrrev_b32_e32 v5, 1, v6
	v_mov_b32_e32 v3, v2
	v_add_u32_e32 v5, 1, v5
	v_cmp_lt_u32_e32 vcc, 13, v6
	v_mov_b32_e32 v8, 0
	s_and_saveexec_b64 s[10:11], vcc
	s_cbranch_execz .LBB87_30
; %bb.27:
	v_mov_b32_e32 v7, 0x110
	v_and_b32_e32 v6, -8, v5
	v_lshl_add_u32 v7, v0, 2, v7
	s_mov_b32 s30, 0
	s_mov_b64 s[28:29], 0
.LBB87_28:                              ; =>This Inner Loop Header: Depth=1
	ds_read2st64_b32 v[8:9], v7 offset1:2
	ds_read2st64_b32 v[10:11], v7 offset0:4 offset1:6
	ds_read2st64_b32 v[12:13], v7 offset0:8 offset1:10
	;; [unrolled: 1-line block ×3, first 2 shown]
	v_add_u32_e32 v6, -8, v6
	s_waitcnt lgkmcnt(3)
	v_pk_mul_f32 v[8:9], v[2:3], v[8:9]
	s_waitcnt lgkmcnt(2)
	v_pk_mul_f32 v[10:11], v[2:3], v[10:11]
	ds_write2st64_b32 v7, v8, v9 offset1:2
	ds_write2st64_b32 v7, v10, v11 offset0:4 offset1:6
	ds_read2st64_b32 v[10:11], v7 offset0:16 offset1:18
	s_waitcnt lgkmcnt(4)
	v_pk_mul_f32 v[8:9], v[2:3], v[12:13]
	ds_write2st64_b32 v7, v8, v9 offset0:8 offset1:10
	s_waitcnt lgkmcnt(4)
	v_pk_mul_f32 v[8:9], v[2:3], v[14:15]
	ds_write2st64_b32 v7, v8, v9 offset0:12 offset1:14
	ds_read2st64_b32 v[8:9], v7 offset0:20 offset1:22
	s_waitcnt lgkmcnt(3)
	v_pk_mul_f32 v[10:11], v[2:3], v[10:11]
	ds_read2st64_b32 v[12:13], v7 offset0:24 offset1:26
	ds_write2st64_b32 v7, v10, v11 offset0:16 offset1:18
	ds_read2st64_b32 v[10:11], v7 offset0:28 offset1:30
	s_waitcnt lgkmcnt(3)
	v_pk_mul_f32 v[8:9], v[2:3], v[8:9]
	ds_write2st64_b32 v7, v8, v9 offset0:20 offset1:22
	s_waitcnt lgkmcnt(3)
	v_pk_mul_f32 v[8:9], v[2:3], v[12:13]
	ds_write2st64_b32 v7, v8, v9 offset0:24 offset1:26
	s_waitcnt lgkmcnt(2)
	v_pk_mul_f32 v[8:9], v[2:3], v[10:11]
	s_add_i32 s30, s30, 16
	v_cmp_eq_u32_e32 vcc, 0, v6
	ds_write2st64_b32 v7, v8, v9 offset0:28 offset1:30
	v_add_u32_e32 v7, 0x2000, v7
	s_or_b64 s[28:29], vcc, s[28:29]
	v_mov_b32_e32 v8, s30
	s_andn2_b64 exec, exec, s[28:29]
	s_cbranch_execnz .LBB87_28
; %bb.29:
	s_or_b64 exec, exec, s[28:29]
.LBB87_30:
	s_or_b64 exec, exec, s[10:11]
	v_and_b32_e32 v5, 7, v5
	v_cmp_ne_u32_e32 vcc, 0, v5
	s_and_saveexec_b64 s[10:11], vcc
	s_cbranch_execz .LBB87_33
; %bb.31:
	v_lshlrev_b32_e32 v6, 9, v8
	v_lshlrev_b32_e32 v7, 2, v0
	s_movk_i32 s28, 0x110
	v_add3_u32 v6, v6, v7, s28
	s_mov_b64 s[28:29], 0
.LBB87_32:                              ; =>This Inner Loop Header: Depth=1
	ds_read2st64_b32 v[8:9], v6 offset1:2
	v_add_u32_e32 v5, -1, v5
	v_cmp_eq_u32_e32 vcc, 0, v5
	s_or_b64 s[28:29], vcc, s[28:29]
	s_waitcnt lgkmcnt(0)
	v_pk_mul_f32 v[8:9], v[2:3], v[8:9]
	ds_write2st64_b32 v6, v8, v9 offset1:2
	v_add_u32_e32 v6, 0x400, v6
	s_andn2_b64 exec, exec, s[28:29]
	s_cbranch_execnz .LBB87_32
.LBB87_33:
	s_or_b64 exec, exec, s[10:11]
	v_add_u32_e32 v4, 1, v4
	v_and_b32_e32 v5, 0x3fffffe, v4
	v_cmp_ne_u32_e32 vcc, v4, v5
	v_lshl_add_u32 v3, v5, 7, v0
	s_orn2_b64 s[10:11], vcc, exec
.LBB87_34:
	s_or_b64 exec, exec, s[8:9]
	s_and_b64 exec, exec, s[10:11]
	s_cbranch_execz .LBB87_37
; %bb.35:
	v_mov_b32_e32 v4, 0x110
	v_lshl_add_u32 v4, v3, 2, v4
	s_mov_b64 s[8:9], 0
.LBB87_36:                              ; =>This Inner Loop Header: Depth=1
	ds_read_b32 v5, v4
	v_add_u32_e32 v3, 0x80, v3
	v_cmp_le_i32_e32 vcc, s15, v3
	s_or_b64 s[8:9], vcc, s[8:9]
	s_waitcnt lgkmcnt(0)
	v_mul_f32_e32 v5, v2, v5
	ds_write_b32 v4, v5
	v_add_u32_e32 v4, 0x200, v4
	s_andn2_b64 exec, exec, s[8:9]
	s_cbranch_execnz .LBB87_36
.LBB87_37:
	s_or_b64 exec, exec, s[0:1]
	v_mov_b32_e32 v7, 0
	v_and_b32_e32 v21, 1, v0
	v_mov_b32_e32 v6, v7
	v_mov_b32_e32 v9, v7
	;; [unrolled: 1-line block ×3, first 2 shown]
	s_waitcnt lgkmcnt(0)
	s_barrier
	s_and_saveexec_b64 s[0:1], s[2:3]
	s_cbranch_execz .LBB87_49
; %bb.38:
	s_ashr_i32 s15, s14, 31
	s_lshl_b64 s[2:3], s[14:15], 1
	s_add_u32 s2, s26, s2
	v_lshlrev_b32_e32 v3, 4, v0
	v_lshlrev_b32_e32 v2, 3, v0
	s_addc_u32 s3, s27, s3
	v_and_b32_e32 v10, 0x3f0, v3
	v_mov_b32_e32 v11, 0
	v_and_b32_e32 v2, 8, v2
	s_add_i32 s14, s19, -1
	v_lshl_add_u64 v[12:13], s[2:3], 0, v[10:11]
	s_lshl_b64 s[2:3], s[24:25], 2
	v_lshl_or_b32 v22, v18, 4, v2
	v_lshlrev_b32_e32 v2, 5, v21
	s_add_u32 s2, s22, s2
	v_lshl_or_b32 v2, v18, 6, v2
	v_and_b32_e32 v10, 60, v1
	s_addc_u32 s3, s23, s3
	s_mov_b32 s15, s17
	v_add_u32_e32 v23, 0x110, v2
	v_lshl_add_u64 v[14:15], s[2:3], 0, v[10:11]
	s_mov_b64 s[8:9], 0
	s_mov_b32 s22, 0xffff
	v_mov_b32_e32 v7, 0
	v_mov_b32_e32 v6, 0
	;; [unrolled: 1-line block ×4, first 2 shown]
	s_branch .LBB87_40
.LBB87_39:                              ;   in Loop: Header=BB87_40 Depth=1
	s_or_b64 exec, exec, s[10:11]
	v_lshlrev_b32_e32 v10, 16, v10
	v_lshlrev_b32_e32 v1, 16, v1
	v_and_or_b32 v2, v2, s22, v10
	v_and_or_b32 v1, v3, s22, v1
	v_lshlrev_b32_e32 v3, 16, v16
	v_and_or_b32 v3, v4, s22, v3
	;;#ASMSTART
	v_pk_mul_f16 v2, v31, v2;

	;;#ASMEND
	;;#ASMSTART
	v_pk_mul_f16 v1, v32, v1;

	;;#ASMEND
	;; [unrolled: 4-line block ×4, first 2 shown]
	v_add_f32_e32 v17, v39, v40
	;;#ASMSTART
	v_pk_add_f16 v1, v2, v1;

	;;#ASMEND
	v_add_f32_e32 v6, v6, v17
	;;#ASMSTART
	v_pk_add_f16 v1, v1, v3;

	;;#ASMEND
	;; [unrolled: 5-line block ×3, first 2 shown]
	v_add_u32_e32 v18, 2, v18
	v_lshrrev_b32_e32 v2, 16, v1
	v_and_b32_e32 v1, 0xffff, v1
	;;#ASMSTART
	v_cvt_f32_f16 v1, v1;
	;;#ASMEND
	v_add_f32_e32 v9, v9, v17
	v_add_f32_e32 v17, v35, v36
	;;#ASMSTART
	v_cvt_f32_f16 v2, v2;
	;;#ASMEND
	v_cmp_le_i32_e32 vcc, s19, v18
	v_add_f32_e32 v1, v1, v2
	v_add_f32_e32 v8, v8, v17
	;; [unrolled: 1-line block ×3, first 2 shown]
	v_add_u32_e32 v22, 32, v22
	v_add_u32_e32 v23, 0x80, v23
	s_or_b64 s[8:9], vcc, s[8:9]
	v_lshl_add_u64 v[14:15], v[14:15], 0, 8
	s_andn2_b64 exec, exec, s[8:9]
	s_cbranch_execz .LBB87_48
.LBB87_40:                              ; =>This Inner Loop Header: Depth=1
	global_load_dword v1, v[14:15], off
	ds_read2_b64 v[2:5], v23 offset1:1
	ds_read2_b64 v[24:27], v23 offset0:2 offset1:3
	v_add_u32_e32 v28, 2, v22
	v_or_b32_e32 v29, 3, v22
	s_waitcnt lgkmcnt(1)
	;;#ASMSTART
	v_cvt_f16_f32 v31, v2;

	;;#ASMEND
	;;#ASMSTART
	v_cvt_f16_f32 v32, v3;

	;;#ASMEND
	;; [unrolled: 4-line block ×4, first 2 shown]
	s_waitcnt lgkmcnt(0)
	;;#ASMSTART
	v_cvt_f16_f32 v35, v24;

	;;#ASMEND
	;;#ASMSTART
	v_cvt_f16_f32 v36, v25;

	;;#ASMEND
	;; [unrolled: 4-line block ×4, first 2 shown]
	v_add_u32_e32 v27, 4, v22
	v_add_u32_e32 v26, 5, v22
	;; [unrolled: 1-line block ×4, first 2 shown]
	v_or_b32_e32 v30, 1, v22
	s_waitcnt vmcnt(0)
	v_mad_i64_i32 v[2:3], s[2:3], v1, s13, 0
	v_lshl_add_u64 v[16:17], v[2:3], 1, v[12:13]
	global_load_dwordx4 v[2:5], v[16:17], off
	v_cmp_eq_u32_e64 s[2:3], s14, v18
	s_waitcnt vmcnt(0)
	v_lshrrev_b32_e32 v1, 16, v3
	v_lshrrev_b32_e32 v10, 16, v2
	v_lshrrev_b32_e32 v39, 16, v4
	s_and_saveexec_b64 s[10:11], s[2:3]
	s_cbranch_execz .LBB87_42
; %bb.41:                               ;   in Loop: Header=BB87_40 Depth=1
	v_cmp_gt_i32_e32 vcc, s17, v22
	s_nop 1
	v_cndmask_b32_e32 v2, 0, v2, vcc
	v_cmp_gt_i32_e32 vcc, s17, v28
	s_nop 1
	v_cndmask_b32_e32 v3, 0, v3, vcc
	;; [unrolled: 3-line block ×6, first 2 shown]
	v_cmp_gt_i32_e32 vcc, s17, v25
	s_nop 1
	v_cndmask_b32_sdwa v40, v11, v5, vcc dst_sel:DWORD dst_unused:UNUSED_PAD src0_sel:DWORD src1_sel:WORD_0
	v_and_b32_e32 v5, 0xffff0000, v5
	v_cmp_gt_i32_e32 vcc, s17, v24
	s_nop 1
	v_cndmask_b32_e32 v5, 0, v5, vcc
	v_or_b32_e32 v5, v40, v5
.LBB87_42:                              ;   in Loop: Header=BB87_40 Depth=1
	s_or_b64 exec, exec, s[10:11]
	v_and_b32_e32 v31, 0xffff, v31
	v_lshlrev_b32_e32 v10, 16, v10
	v_lshlrev_b32_e32 v1, 16, v1
	v_lshl_or_b32 v31, v32, 16, v31
	v_and_b32_e32 v32, 0xffff, v33
	v_and_or_b32 v2, v2, s22, v10
	v_and_or_b32 v1, v3, s22, v1
	v_lshlrev_b32_e32 v3, 16, v39
	v_lshl_or_b32 v32, v34, 16, v32
	v_and_b32_e32 v33, 0xffff, v35
	v_and_b32_e32 v34, 0xffff, v37
	v_and_or_b32 v3, v4, s22, v3
	;;#ASMSTART
	v_pk_mul_f16 v2, v31, v2;

	;;#ASMEND
	;;#ASMSTART
	v_pk_mul_f16 v1, v32, v1;

	;;#ASMEND
	v_lshl_or_b32 v33, v36, 16, v33
	v_lshl_or_b32 v34, v38, 16, v34
	;;#ASMSTART
	v_pk_mul_f16 v3, v33, v3;

	;;#ASMEND
	;;#ASMSTART
	v_pk_mul_f16 v4, v34, v5;

	;;#ASMEND
	;;#ASMSTART
	v_pk_add_f16 v1, v2, v1;

	;;#ASMEND
	s_nop 0
	;;#ASMSTART
	v_pk_add_f16 v1, v1, v3;

	;;#ASMEND
	s_nop 0
	;; [unrolled: 5-line block ×3, first 2 shown]
	v_lshrrev_b32_e32 v2, 16, v1
	v_and_b32_e32 v1, 0xffff, v1
	;;#ASMSTART
	v_cvt_f32_f16 v35, v1;
	;;#ASMEND
	;;#ASMSTART
	v_cvt_f32_f16 v36, v2;
	;;#ASMEND
	global_load_dwordx4 v[2:5], v[16:17], off offset:1024
	s_waitcnt vmcnt(0)
	v_lshrrev_b32_e32 v1, 16, v3
	v_lshrrev_b32_e32 v10, 16, v2
	;; [unrolled: 1-line block ×3, first 2 shown]
	s_and_saveexec_b64 s[10:11], s[2:3]
	s_cbranch_execz .LBB87_44
; %bb.43:                               ;   in Loop: Header=BB87_40 Depth=1
	v_cmp_gt_i32_e32 vcc, s17, v22
	s_nop 1
	v_cndmask_b32_e32 v2, 0, v2, vcc
	v_cmp_gt_i32_e32 vcc, s17, v28
	s_nop 1
	v_cndmask_b32_e32 v3, 0, v3, vcc
	;; [unrolled: 3-line block ×6, first 2 shown]
	v_cmp_gt_i32_e32 vcc, s17, v25
	s_nop 1
	v_cndmask_b32_sdwa v38, v11, v5, vcc dst_sel:DWORD dst_unused:UNUSED_PAD src0_sel:DWORD src1_sel:WORD_0
	v_and_b32_e32 v5, 0xffff0000, v5
	v_cmp_gt_i32_e32 vcc, s17, v24
	s_nop 1
	v_cndmask_b32_e32 v5, 0, v5, vcc
	v_or_b32_e32 v5, v38, v5
.LBB87_44:                              ;   in Loop: Header=BB87_40 Depth=1
	s_or_b64 exec, exec, s[10:11]
	v_lshlrev_b32_e32 v10, 16, v10
	v_lshlrev_b32_e32 v1, 16, v1
	v_and_or_b32 v2, v2, s22, v10
	v_and_or_b32 v1, v3, s22, v1
	v_lshlrev_b32_e32 v3, 16, v37
	v_and_or_b32 v3, v4, s22, v3
	;;#ASMSTART
	v_pk_mul_f16 v2, v31, v2;

	;;#ASMEND
	;;#ASMSTART
	v_pk_mul_f16 v1, v32, v1;

	;;#ASMEND
	;; [unrolled: 4-line block ×4, first 2 shown]
	s_nop 0
	;;#ASMSTART
	v_pk_add_f16 v1, v2, v1;

	;;#ASMEND
	s_nop 0
	;;#ASMSTART
	v_pk_add_f16 v1, v1, v3;

	;;#ASMEND
	;; [unrolled: 5-line block ×3, first 2 shown]
	s_nop 0
	v_lshrrev_b32_e32 v2, 16, v1
	v_and_b32_e32 v1, 0xffff, v1
	;;#ASMSTART
	v_cvt_f32_f16 v37, v1;
	;;#ASMEND
	;;#ASMSTART
	v_cvt_f32_f16 v38, v2;
	;;#ASMEND
	global_load_dwordx4 v[2:5], v[16:17], off offset:2048
	s_waitcnt vmcnt(0)
	v_lshrrev_b32_e32 v1, 16, v3
	v_lshrrev_b32_e32 v10, 16, v2
	;; [unrolled: 1-line block ×3, first 2 shown]
	s_and_saveexec_b64 s[10:11], s[2:3]
	s_cbranch_execz .LBB87_46
; %bb.45:                               ;   in Loop: Header=BB87_40 Depth=1
	v_cmp_gt_i32_e32 vcc, s17, v22
	s_nop 1
	v_cndmask_b32_e32 v2, 0, v2, vcc
	v_cmp_gt_i32_e32 vcc, s17, v28
	s_nop 1
	v_cndmask_b32_e32 v3, 0, v3, vcc
	;; [unrolled: 3-line block ×6, first 2 shown]
	v_cmp_gt_i32_e32 vcc, s17, v25
	s_nop 1
	v_cndmask_b32_sdwa v40, v11, v5, vcc dst_sel:DWORD dst_unused:UNUSED_PAD src0_sel:DWORD src1_sel:WORD_0
	v_and_b32_e32 v5, 0xffff0000, v5
	v_cmp_gt_i32_e32 vcc, s17, v24
	s_nop 1
	v_cndmask_b32_e32 v5, 0, v5, vcc
	v_or_b32_e32 v5, v40, v5
.LBB87_46:                              ;   in Loop: Header=BB87_40 Depth=1
	s_or_b64 exec, exec, s[10:11]
	v_lshlrev_b32_e32 v10, 16, v10
	v_lshlrev_b32_e32 v1, 16, v1
	v_and_or_b32 v2, v2, s22, v10
	v_and_or_b32 v1, v3, s22, v1
	v_lshlrev_b32_e32 v3, 16, v39
	v_and_or_b32 v3, v4, s22, v3
	;;#ASMSTART
	v_pk_mul_f16 v2, v31, v2;

	;;#ASMEND
	;;#ASMSTART
	v_pk_mul_f16 v1, v32, v1;

	;;#ASMEND
	;; [unrolled: 4-line block ×4, first 2 shown]
	s_nop 0
	;;#ASMSTART
	v_pk_add_f16 v1, v2, v1;

	;;#ASMEND
	s_nop 0
	;;#ASMSTART
	v_pk_add_f16 v1, v1, v3;

	;;#ASMEND
	;; [unrolled: 5-line block ×3, first 2 shown]
	s_nop 0
	v_lshrrev_b32_e32 v2, 16, v1
	v_and_b32_e32 v1, 0xffff, v1
	;;#ASMSTART
	v_cvt_f32_f16 v39, v1;
	;;#ASMEND
	;;#ASMSTART
	v_cvt_f32_f16 v40, v2;
	;;#ASMEND
	global_load_dwordx4 v[2:5], v[16:17], off offset:3072
	s_waitcnt vmcnt(0)
	v_lshrrev_b32_e32 v1, 16, v3
	v_lshrrev_b32_e32 v10, 16, v2
	;; [unrolled: 1-line block ×3, first 2 shown]
	s_and_saveexec_b64 s[10:11], s[2:3]
	s_cbranch_execz .LBB87_39
; %bb.47:                               ;   in Loop: Header=BB87_40 Depth=1
	v_cmp_gt_i32_e32 vcc, s17, v22
	s_nop 1
	v_cndmask_b32_e32 v2, 0, v2, vcc
	v_cmp_gt_i32_e32 vcc, s17, v28
	s_nop 1
	v_cndmask_b32_e32 v3, 0, v3, vcc
	;; [unrolled: 3-line block ×6, first 2 shown]
	v_cmp_gt_i32_e32 vcc, s17, v25
	s_nop 1
	v_cndmask_b32_sdwa v17, v11, v5, vcc dst_sel:DWORD dst_unused:UNUSED_PAD src0_sel:DWORD src1_sel:WORD_0
	v_and_b32_e32 v5, 0xffff0000, v5
	v_cmp_gt_i32_e32 vcc, s17, v24
	s_nop 1
	v_cndmask_b32_e32 v5, 0, v5, vcc
	v_or_b32_e32 v5, v17, v5
	s_branch .LBB87_39
.LBB87_48:
	s_or_b64 exec, exec, s[8:9]
.LBB87_49:
	s_or_b64 exec, exec, s[0:1]
	ds_bpermute_b32 v2, v20, v8
	ds_bpermute_b32 v3, v20, v9
	;; [unrolled: 1-line block ×4, first 2 shown]
	v_and_b32_e32 v1, 0x3c1, v0
	v_cmp_ne_u32_e32 vcc, 64, v1
	s_waitcnt lgkmcnt(2)
	v_pk_add_f32 v[2:3], v[8:9], v[2:3]
	s_waitcnt lgkmcnt(0)
	s_barrier
	s_and_saveexec_b64 s[0:1], vcc
	s_xor_b64 s[0:1], exec, s[0:1]
; %bb.50:
                                        ; implicit-def: $vgpr19
; %bb.51:
	s_or_saveexec_b64 s[0:1], s[0:1]
	v_pk_add_f32 v[4:5], v[6:7], v[4:5]
	s_xor_b64 exec, exec, s[0:1]
	s_cbranch_execz .LBB87_53
; %bb.52:
	v_mov_b32_e32 v6, 0x110
	v_lshl_add_u32 v6, v19, 1, v6
	ds_write2_b32 v6, v2, v3 offset1:32
	ds_write2_b32 v6, v4, v5 offset0:64 offset1:96
.LBB87_53:
	s_or_b64 exec, exec, s[0:1]
	v_lshrrev_b32_e32 v0, 1, v0
	s_waitcnt lgkmcnt(0)
	s_barrier
	s_and_saveexec_b64 s[0:1], s[6:7]
	s_cbranch_execz .LBB87_60
; %bb.54:
	v_mov_b32_e32 v6, 0x110
	v_cmp_eq_u32_e32 vcc, 0, v21
	v_lshl_add_u32 v6, v0, 2, v6
	s_and_saveexec_b64 s[2:3], vcc
	s_cbranch_execnz .LBB87_63
; %bb.55:
	s_or_b64 exec, exec, s[2:3]
	s_and_saveexec_b64 s[2:3], vcc
	s_cbranch_execnz .LBB87_64
.LBB87_56:
	s_or_b64 exec, exec, s[2:3]
	s_and_saveexec_b64 s[2:3], vcc
	s_cbranch_execnz .LBB87_65
.LBB87_57:
	s_or_b64 exec, exec, s[2:3]
	s_and_saveexec_b64 s[2:3], vcc
	s_cbranch_execz .LBB87_59
.LBB87_58:
	ds_read_b32 v6, v6 offset:384
	s_waitcnt lgkmcnt(0)
	v_add_f32_e32 v5, v5, v6
.LBB87_59:
	s_or_b64 exec, exec, s[2:3]
.LBB87_60:
	s_or_b64 exec, exec, s[0:1]
	v_cmp_eq_u32_e32 vcc, 0, v1
	s_barrier
	s_and_saveexec_b64 s[0:1], vcc
	s_cbranch_execz .LBB87_62
; %bb.61:
	s_mul_i32 s0, s16, s12
	s_mul_i32 s0, s0, s5
	s_lshl_b32 s0, s0, 7
	s_ashr_i32 s1, s0, 31
	s_lshl_b64 s[0:1], s[0:1], 1
	s_add_u32 s2, s20, s0
	s_mul_i32 s0, s12, s18
	s_addc_u32 s3, s21, s1
	s_ashr_i32 s1, s0, 31
	s_lshl_b64 s[0:1], s[0:1], 1
	s_add_u32 s2, s2, s0
	s_addc_u32 s3, s3, s1
	s_lshl_b32 s0, s4, 7
	s_ashr_i32 s1, s0, 31
	s_lshl_b64 s[0:1], s[0:1], 1
	s_add_u32 s0, s2, s0
	s_addc_u32 s1, s3, s1
	v_lshlrev_b32_e32 v0, 1, v0
	;;#ASMSTART
	v_cvt_f16_f32 v1, v2;

	;;#ASMEND
	global_store_short v0, v1, s[0:1]
	;;#ASMSTART
	v_cvt_f16_f32 v1, v3;

	;;#ASMEND
	global_store_short v0, v1, s[0:1] offset:64
	;;#ASMSTART
	v_cvt_f16_f32 v1, v4;

	;;#ASMEND
	global_store_short v0, v1, s[0:1] offset:128
	;; [unrolled: 5-line block ×3, first 2 shown]
.LBB87_62:
	s_endpgm
.LBB87_63:
	ds_read_b32 v7, v6
	s_waitcnt lgkmcnt(0)
	v_add_f32_e32 v2, v2, v7
	s_or_b64 exec, exec, s[2:3]
	s_and_saveexec_b64 s[2:3], vcc
	s_cbranch_execz .LBB87_56
.LBB87_64:
	ds_read_b32 v7, v6 offset:128
	s_waitcnt lgkmcnt(0)
	v_add_f32_e32 v3, v3, v7
	s_or_b64 exec, exec, s[2:3]
	s_and_saveexec_b64 s[2:3], vcc
	s_cbranch_execz .LBB87_57
.LBB87_65:
	ds_read_b32 v7, v6 offset:256
	s_waitcnt lgkmcnt(0)
	v_add_f32_e32 v4, v4, v7
	s_or_b64 exec, exec, s[2:3]
	s_and_saveexec_b64 s[2:3], vcc
	s_cbranch_execnz .LBB87_58
	s_branch .LBB87_59
	.section	.rodata,"a",@progbits
	.p2align	6, 0x0
	.amdhsa_kernel _ZN4vllm25paged_attention_v1_kernelIttLi128ELi16ELi128ELNS_18Fp8KVCacheDataTypeE0ELb0EEEvPT_PKS2_PKT0_S8_ifPKiSA_iPKfiiiSC_SC_iiiii
		.amdhsa_group_segment_fixed_size 272
		.amdhsa_private_segment_fixed_size 0
		.amdhsa_kernarg_size 384
		.amdhsa_user_sgpr_count 2
		.amdhsa_user_sgpr_dispatch_ptr 0
		.amdhsa_user_sgpr_queue_ptr 0
		.amdhsa_user_sgpr_kernarg_segment_ptr 1
		.amdhsa_user_sgpr_dispatch_id 0
		.amdhsa_user_sgpr_kernarg_preload_length 0
		.amdhsa_user_sgpr_kernarg_preload_offset 0
		.amdhsa_user_sgpr_private_segment_size 0
		.amdhsa_uses_dynamic_stack 0
		.amdhsa_enable_private_segment 0
		.amdhsa_system_sgpr_workgroup_id_x 1
		.amdhsa_system_sgpr_workgroup_id_y 1
		.amdhsa_system_sgpr_workgroup_id_z 1
		.amdhsa_system_sgpr_workgroup_info 0
		.amdhsa_system_vgpr_workitem_id 0
		.amdhsa_next_free_vgpr 68
		.amdhsa_next_free_sgpr 36
		.amdhsa_accum_offset 68
		.amdhsa_reserve_vcc 1
		.amdhsa_float_round_mode_32 0
		.amdhsa_float_round_mode_16_64 0
		.amdhsa_float_denorm_mode_32 3
		.amdhsa_float_denorm_mode_16_64 3
		.amdhsa_dx10_clamp 1
		.amdhsa_ieee_mode 1
		.amdhsa_fp16_overflow 0
		.amdhsa_tg_split 0
		.amdhsa_exception_fp_ieee_invalid_op 0
		.amdhsa_exception_fp_denorm_src 0
		.amdhsa_exception_fp_ieee_div_zero 0
		.amdhsa_exception_fp_ieee_overflow 0
		.amdhsa_exception_fp_ieee_underflow 0
		.amdhsa_exception_fp_ieee_inexact 0
		.amdhsa_exception_int_div_zero 0
	.end_amdhsa_kernel
	.section	.text._ZN4vllm25paged_attention_v1_kernelIttLi128ELi16ELi128ELNS_18Fp8KVCacheDataTypeE0ELb0EEEvPT_PKS2_PKT0_S8_ifPKiSA_iPKfiiiSC_SC_iiiii,"axG",@progbits,_ZN4vllm25paged_attention_v1_kernelIttLi128ELi16ELi128ELNS_18Fp8KVCacheDataTypeE0ELb0EEEvPT_PKS2_PKT0_S8_ifPKiSA_iPKfiiiSC_SC_iiiii,comdat
.Lfunc_end87:
	.size	_ZN4vllm25paged_attention_v1_kernelIttLi128ELi16ELi128ELNS_18Fp8KVCacheDataTypeE0ELb0EEEvPT_PKS2_PKT0_S8_ifPKiSA_iPKfiiiSC_SC_iiiii, .Lfunc_end87-_ZN4vllm25paged_attention_v1_kernelIttLi128ELi16ELi128ELNS_18Fp8KVCacheDataTypeE0ELb0EEEvPT_PKS2_PKT0_S8_ifPKiSA_iPKfiiiSC_SC_iiiii
                                        ; -- End function
	.set _ZN4vllm25paged_attention_v1_kernelIttLi128ELi16ELi128ELNS_18Fp8KVCacheDataTypeE0ELb0EEEvPT_PKS2_PKT0_S8_ifPKiSA_iPKfiiiSC_SC_iiiii.num_vgpr, 68
	.set _ZN4vllm25paged_attention_v1_kernelIttLi128ELi16ELi128ELNS_18Fp8KVCacheDataTypeE0ELb0EEEvPT_PKS2_PKT0_S8_ifPKiSA_iPKfiiiSC_SC_iiiii.num_agpr, 0
	.set _ZN4vllm25paged_attention_v1_kernelIttLi128ELi16ELi128ELNS_18Fp8KVCacheDataTypeE0ELb0EEEvPT_PKS2_PKT0_S8_ifPKiSA_iPKfiiiSC_SC_iiiii.numbered_sgpr, 36
	.set _ZN4vllm25paged_attention_v1_kernelIttLi128ELi16ELi128ELNS_18Fp8KVCacheDataTypeE0ELb0EEEvPT_PKS2_PKT0_S8_ifPKiSA_iPKfiiiSC_SC_iiiii.num_named_barrier, 0
	.set _ZN4vllm25paged_attention_v1_kernelIttLi128ELi16ELi128ELNS_18Fp8KVCacheDataTypeE0ELb0EEEvPT_PKS2_PKT0_S8_ifPKiSA_iPKfiiiSC_SC_iiiii.private_seg_size, 0
	.set _ZN4vllm25paged_attention_v1_kernelIttLi128ELi16ELi128ELNS_18Fp8KVCacheDataTypeE0ELb0EEEvPT_PKS2_PKT0_S8_ifPKiSA_iPKfiiiSC_SC_iiiii.uses_vcc, 1
	.set _ZN4vllm25paged_attention_v1_kernelIttLi128ELi16ELi128ELNS_18Fp8KVCacheDataTypeE0ELb0EEEvPT_PKS2_PKT0_S8_ifPKiSA_iPKfiiiSC_SC_iiiii.uses_flat_scratch, 0
	.set _ZN4vllm25paged_attention_v1_kernelIttLi128ELi16ELi128ELNS_18Fp8KVCacheDataTypeE0ELb0EEEvPT_PKS2_PKT0_S8_ifPKiSA_iPKfiiiSC_SC_iiiii.has_dyn_sized_stack, 0
	.set _ZN4vllm25paged_attention_v1_kernelIttLi128ELi16ELi128ELNS_18Fp8KVCacheDataTypeE0ELb0EEEvPT_PKS2_PKT0_S8_ifPKiSA_iPKfiiiSC_SC_iiiii.has_recursion, 0
	.set _ZN4vllm25paged_attention_v1_kernelIttLi128ELi16ELi128ELNS_18Fp8KVCacheDataTypeE0ELb0EEEvPT_PKS2_PKT0_S8_ifPKiSA_iPKfiiiSC_SC_iiiii.has_indirect_call, 0
	.section	.AMDGPU.csdata,"",@progbits
; Kernel info:
; codeLenInByte = 6728
; TotalNumSgprs: 42
; NumVgprs: 68
; NumAgprs: 0
; TotalNumVgprs: 68
; ScratchSize: 0
; MemoryBound: 0
; FloatMode: 240
; IeeeMode: 1
; LDSByteSize: 272 bytes/workgroup (compile time only)
; SGPRBlocks: 5
; VGPRBlocks: 8
; NumSGPRsForWavesPerEU: 42
; NumVGPRsForWavesPerEU: 68
; AccumOffset: 68
; Occupancy: 7
; WaveLimiterHint : 1
; COMPUTE_PGM_RSRC2:SCRATCH_EN: 0
; COMPUTE_PGM_RSRC2:USER_SGPR: 2
; COMPUTE_PGM_RSRC2:TRAP_HANDLER: 0
; COMPUTE_PGM_RSRC2:TGID_X_EN: 1
; COMPUTE_PGM_RSRC2:TGID_Y_EN: 1
; COMPUTE_PGM_RSRC2:TGID_Z_EN: 1
; COMPUTE_PGM_RSRC2:TIDIG_COMP_CNT: 0
; COMPUTE_PGM_RSRC3_GFX90A:ACCUM_OFFSET: 16
; COMPUTE_PGM_RSRC3_GFX90A:TG_SPLIT: 0
	.section	.text._ZN4vllm25paged_attention_v1_kernelIttLi192ELi16ELi128ELNS_18Fp8KVCacheDataTypeE0ELb0EEEvPT_PKS2_PKT0_S8_ifPKiSA_iPKfiiiSC_SC_iiiii,"axG",@progbits,_ZN4vllm25paged_attention_v1_kernelIttLi192ELi16ELi128ELNS_18Fp8KVCacheDataTypeE0ELb0EEEvPT_PKS2_PKT0_S8_ifPKiSA_iPKfiiiSC_SC_iiiii,comdat
	.protected	_ZN4vllm25paged_attention_v1_kernelIttLi192ELi16ELi128ELNS_18Fp8KVCacheDataTypeE0ELb0EEEvPT_PKS2_PKT0_S8_ifPKiSA_iPKfiiiSC_SC_iiiii ; -- Begin function _ZN4vllm25paged_attention_v1_kernelIttLi192ELi16ELi128ELNS_18Fp8KVCacheDataTypeE0ELb0EEEvPT_PKS2_PKT0_S8_ifPKiSA_iPKfiiiSC_SC_iiiii
	.globl	_ZN4vllm25paged_attention_v1_kernelIttLi192ELi16ELi128ELNS_18Fp8KVCacheDataTypeE0ELb0EEEvPT_PKS2_PKT0_S8_ifPKiSA_iPKfiiiSC_SC_iiiii
	.p2align	8
	.type	_ZN4vllm25paged_attention_v1_kernelIttLi192ELi16ELi128ELNS_18Fp8KVCacheDataTypeE0ELb0EEEvPT_PKS2_PKT0_S8_ifPKiSA_iPKfiiiSC_SC_iiiii,@function
_ZN4vllm25paged_attention_v1_kernelIttLi192ELi16ELi128ELNS_18Fp8KVCacheDataTypeE0ELb0EEEvPT_PKS2_PKT0_S8_ifPKiSA_iPKfiiiSC_SC_iiiii: ; @_ZN4vllm25paged_attention_v1_kernelIttLi192ELi16ELi128ELNS_18Fp8KVCacheDataTypeE0ELb0EEEvPT_PKS2_PKT0_S8_ifPKiSA_iPKfiiiSC_SC_iiiii
; %bb.0:
	s_load_dword s5, s[0:1], 0x80
	s_load_dwordx2 s[6:7], s[0:1], 0x30
	s_load_dwordx2 s[8:9], s[0:1], 0x20
	s_mov_b32 s10, s3
	s_ashr_i32 s11, s3, 31
	s_lshl_b64 s[12:13], s[10:11], 2
	s_waitcnt lgkmcnt(0)
	s_add_u32 s6, s6, s12
	s_addc_u32 s7, s7, s13
	s_abs_i32 s3, s8
	v_cvt_f32_u32_e32 v1, s3
	s_sub_i32 s12, 0, s3
	s_abs_i32 s11, s5
	s_xor_b32 s8, s5, s8
	v_rcp_iflag_f32_e32 v1, v1
	s_ashr_i32 s8, s8, 31
	v_mul_f32_e32 v1, 0x4f7ffffe, v1
	v_cvt_u32_f32_e32 v1, v1
	s_nop 0
	v_readfirstlane_b32 s13, v1
	s_mul_i32 s12, s12, s13
	s_mul_hi_u32 s12, s13, s12
	s_add_i32 s13, s13, s12
	s_mul_hi_u32 s12, s11, s13
	s_mul_i32 s13, s12, s3
	s_sub_i32 s11, s11, s13
	s_add_i32 s13, s12, 1
	s_sub_i32 s14, s11, s3
	s_cmp_ge_u32 s11, s3
	s_cselect_b32 s12, s13, s12
	s_cselect_b32 s11, s14, s11
	s_add_i32 s13, s12, 1
	s_cmp_ge_u32 s11, s3
	s_cselect_b32 s3, s13, s12
	s_xor_b32 s3, s3, s8
	s_sub_i32 s14, s3, s8
	s_abs_i32 s11, s14
	v_cvt_f32_u32_e32 v1, s11
	s_load_dwordx2 s[12:13], s[0:1], 0x40
	s_sub_i32 s3, 0, s11
	s_abs_i32 s18, s2
	v_rcp_iflag_f32_e32 v1, v1
	s_mov_b32 s8, 0
	v_mul_f32_e32 v1, 0x4f7ffffe, v1
	v_cvt_u32_f32_e32 v1, v1
	s_nop 0
	v_readfirstlane_b32 s15, v1
	s_mul_i32 s3, s3, s15
	s_mul_hi_u32 s3, s15, s3
	s_add_i32 s15, s15, s3
	s_waitcnt lgkmcnt(0)
	s_cmp_eq_u64 s[12:13], 0
	s_mul_hi_u32 s19, s18, s15
	s_cbranch_scc1 .LBB88_2
; %bb.1:
	s_ashr_i32 s3, s2, 31
	s_lshl_b64 s[16:17], s[2:3], 2
	s_add_u32 s12, s12, s16
	s_addc_u32 s13, s13, s17
	s_load_dword s8, s[12:13], 0x0
.LBB88_2:
	s_load_dword s33, s[6:7], 0x0
	s_ashr_i32 s7, s14, 31
	s_load_dwordx4 s[12:15], s[0:1], 0x48
	s_waitcnt lgkmcnt(0)
	s_movk_i32 s15, 0x60
	s_ashr_i32 s6, s2, 31
	v_and_b32_e32 v4, 3, v0
	s_mul_i32 s16, s2, 0xc0
	v_cmp_gt_u32_e32 vcc, s15, v0
	s_and_saveexec_b64 s[2:3], vcc
	s_cbranch_execz .LBB88_4
; %bb.3:
	s_load_dwordx2 s[20:21], s[0:1], 0x8
	s_mul_i32 s22, s12, s10
	s_ashr_i32 s23, s22, 31
	s_lshl_b64 s[22:23], s[22:23], 1
	v_lshlrev_b32_e32 v1, 2, v0
	s_waitcnt lgkmcnt(0)
	s_add_u32 s12, s20, s22
	s_addc_u32 s22, s21, s23
	s_ashr_i32 s17, s16, 31
	s_lshl_b64 s[20:21], s[16:17], 1
	s_add_u32 s20, s12, s20
	s_addc_u32 s21, s22, s21
	global_load_dword v1, v1, s[20:21]
	v_and_b32_e32 v2, 0x3fc, v0
	v_mad_u32_u24 v2, v4, s15, v2
	s_waitcnt vmcnt(0)
	ds_write_b32 v2, v1
.LBB88_4:
	s_or_b64 exec, exec, s[2:3]
	s_add_i32 s3, s33, 15
	s_ashr_i32 s12, s3, 31
	s_lshr_b32 s12, s12, 28
	s_add_i32 s3, s3, s12
	s_ashr_i32 s12, s3, 4
	s_xor_b32 s3, s6, s7
	s_mul_i32 s6, s19, s11
	s_sub_i32 s6, s18, s6
	s_add_i32 s7, s19, 1
	s_sub_i32 s15, s6, s11
	s_load_dwordx2 s[20:21], s[0:1], 0x28
	s_load_dword s2, s[0:1], 0x38
	s_cmp_ge_u32 s6, s11
	s_cselect_b32 s7, s7, s19
	s_cselect_b32 s6, s15, s6
	s_add_i32 s15, s7, 1
	s_cmp_ge_u32 s6, s11
	s_cselect_b32 s6, s15, s7
	v_lshrrev_b32_e32 v20, 6, v0
	s_xor_b32 s6, s6, s3
	s_waitcnt lgkmcnt(0)
	s_mul_i32 s22, s2, s10
	s_sub_i32 s15, s6, s3
	s_ashr_i32 s23, s22, 31
	v_cmp_gt_i32_e64 s[6:7], s12, v20
	v_cmp_le_i32_e32 vcc, s12, v20
	v_mbcnt_lo_u32_b32 v6, -1, 0
	s_barrier
                                        ; implicit-def: $vgpr8
                                        ; implicit-def: $vgpr10
                                        ; implicit-def: $vgpr9
	s_and_saveexec_b64 s[2:3], vcc
	s_xor_b64 s[2:3], exec, s[2:3]
; %bb.5:
	v_mbcnt_hi_u32_b32 v8, -1, v6
	v_and_b32_e32 v10, 64, v8
	v_add_u32_e32 v9, 64, v10
                                        ; implicit-def: $vgpr4
                                        ; implicit-def: $vgpr6
; %bb.6:
	s_or_saveexec_b64 s[26:27], s[2:3]
	s_load_dwordx2 s[18:19], s[0:1], 0x0
	s_load_dwordx2 s[24:25], s[0:1], 0x18
	s_load_dword s11, s[0:1], 0x88
	v_mov_b32_e32 v11, 0xff7fffff
	s_mul_i32 s14, s15, s14
	v_lshrrev_b32_e32 v1, 4, v0
	s_xor_b64 exec, exec, s[26:27]
	s_cbranch_execz .LBB88_12
; %bb.7:
	s_load_dwordx2 s[0:1], s[0:1], 0x10
	s_ashr_i32 s15, s14, 31
	s_lshl_b64 s[2:3], s[14:15], 1
	v_bfe_u32 v5, v0, 2, 4
	v_lshlrev_b32_e32 v8, 4, v5
	s_waitcnt lgkmcnt(0)
	s_add_u32 s0, s0, s2
	s_addc_u32 s1, s1, s3
	v_mov_b32_e32 v9, 0
	v_lshl_add_u64 v[2:3], s[0:1], 0, v[8:9]
	v_lshlrev_b32_e32 v7, 2, v0
	s_sub_i32 s15, 1, s33
	s_lshl_b64 s[0:1], s[22:23], 2
	v_and_b32_e32 v8, 12, v7
	v_mul_u32_u24_e32 v12, 0x60, v4
	v_cmp_eq_u32_e32 vcc, 0, v4
	v_lshlrev_b32_e32 v4, 2, v5
	s_add_u32 s0, s20, s0
	v_lshl_add_u64 v[2:3], v[2:3], 0, v[8:9]
	v_lshl_or_b32 v4, v20, 6, v4
	v_and_b32_e32 v8, 60, v1
	s_addc_u32 s1, s21, s1
	v_lshl_or_b32 v13, v20, 4, v5
	v_add_u32_e32 v14, 0x190, v4
	v_lshl_add_u64 v[4:5], s[0:1], 0, v[8:9]
	v_mbcnt_hi_u32_b32 v8, -1, v6
	v_and_b32_e32 v10, 64, v8
	s_mov_b32 s17, s13
	v_cmp_neq_f32_e64 s[2:3], s8, 0
	v_mov_b32_e32 v11, 0xff7fffff
	s_mov_b64 s[28:29], 0
	s_movk_i32 s34, 0x1000
	v_add_u32_e32 v9, 64, v10
	v_xor_b32_e32 v15, 2, v8
	v_xor_b32_e32 v16, 1, v8
	v_mov_b32_e32 v17, v20
	s_branch .LBB88_9
.LBB88_8:                               ;   in Loop: Header=BB88_9 Depth=1
	s_or_b64 exec, exec, s[30:31]
	v_add_u32_e32 v17, 2, v17
	v_cmp_le_i32_e64 s[0:1], s12, v17
	v_add_u32_e32 v13, 32, v13
	v_add_u32_e32 v14, 0x80, v14
	s_or_b64 s[28:29], s[0:1], s[28:29]
	v_lshl_add_u64 v[4:5], v[4:5], 0, 8
	s_andn2_b64 exec, exec, s[28:29]
	s_cbranch_execz .LBB88_11
.LBB88_9:                               ; =>This Inner Loop Header: Depth=1
	global_load_dword v6, v[4:5], off
	s_waitcnt vmcnt(0) lgkmcnt(0)
	v_mad_i64_i32 v[6:7], s[0:1], v6, s17, 0
	v_lshl_add_u64 v[6:7], v[6:7], 1, v[2:3]
	global_load_dword v28, v[6:7], off
	global_load_dword v27, v[6:7], off offset:256
	global_load_dword v26, v[6:7], off offset:512
	global_load_dword v25, v[6:7], off offset:768
	global_load_dword v24, v[6:7], off offset:1024
	global_load_dword v23, v[6:7], off offset:1280
	global_load_dword v22, v[6:7], off offset:1536
	global_load_dword v21, v[6:7], off offset:1792
	global_load_dword v19, v[6:7], off offset:2048
	global_load_dword v18, v[6:7], off offset:2304
	ds_read_b32 v29, v12
	global_load_dword v35, v[6:7], off offset:2560
	global_load_dword v36, v[6:7], off offset:2816
	;; [unrolled: 1-line block ×6, first 2 shown]
	v_cmp_lt_i32_e64 s[0:1], v15, v9
	s_waitcnt lgkmcnt(0)
	v_lshrrev_b32_e32 v45, 16, v29
	v_cndmask_b32_e64 v30, v8, v15, s[0:1]
	v_add_co_u32_e64 v6, s[0:1], s34, v6
	v_and_b32_e32 v44, 0xffff, v29
	s_nop 0
	v_addc_co_u32_e64 v7, s[0:1], 0, v7, s[0:1]
	global_load_dword v41, v[6:7], off
	global_load_dword v42, v[6:7], off offset:256
	global_load_dword v43, v[6:7], off offset:512
	;; [unrolled: 1-line block ×7, first 2 shown]
	;;#ASMSTART
	v_cvt_f32_f16 v44, v44;
	;;#ASMEND
	;;#ASMSTART
	v_cvt_f32_f16 v45, v45;
	;;#ASMEND
	v_lshlrev_b32_e32 v30, 2, v30
	v_cmp_lt_i32_e64 s[0:1], v16, v9
	s_waitcnt vmcnt(23)
	v_lshrrev_b32_e32 v6, 16, v28
	v_and_b32_e32 v7, 0xffff, v28
	;;#ASMSTART
	v_cvt_f32_f16 v28, v7;
	;;#ASMEND
	;;#ASMSTART
	v_cvt_f32_f16 v46, v6;
	;;#ASMEND
	ds_read_b32 v6, v12 offset:4
	s_waitcnt vmcnt(22)
	v_lshrrev_b32_e32 v47, 16, v27
	v_and_b32_e32 v27, 0xffff, v27
	s_waitcnt vmcnt(21)
	v_lshrrev_b32_e32 v48, 16, v26
	v_and_b32_e32 v49, 0xffff, v26
	s_waitcnt lgkmcnt(0)
	v_lshrrev_b32_e32 v7, 16, v6
	v_and_b32_e32 v6, 0xffff, v6
	;;#ASMSTART
	v_cvt_f32_f16 v6, v6;
	;;#ASMEND
	;;#ASMSTART
	v_cvt_f32_f16 v7, v7;
	;;#ASMEND
	;;#ASMSTART
	v_cvt_f32_f16 v26, v27;
	;;#ASMEND
	;;#ASMSTART
	v_cvt_f32_f16 v27, v47;
	;;#ASMEND
	ds_read_b32 v47, v12 offset:8
	s_waitcnt vmcnt(20)
	v_lshrrev_b32_e32 v50, 16, v25
	v_and_b32_e32 v51, 0xffff, v25
	s_waitcnt vmcnt(19)
	v_lshrrev_b32_e32 v52, 16, v24
	v_and_b32_e32 v53, 0xffff, v24
	s_waitcnt lgkmcnt(0)
	v_lshrrev_b32_e32 v25, 16, v47
	v_and_b32_e32 v24, 0xffff, v47
	;;#ASMSTART
	v_cvt_f32_f16 v24, v24;
	;;#ASMEND
	;;#ASMSTART
	v_cvt_f32_f16 v25, v25;
	;;#ASMEND
	;; [unrolled: 22-line block ×3, first 2 shown]
	;;#ASMSTART
	v_cvt_f32_f16 v49, v51;
	;;#ASMEND
	;;#ASMSTART
	v_cvt_f32_f16 v50, v50;
	;;#ASMEND
	ds_read_b32 v51, v12 offset:16
	s_waitcnt vmcnt(16)
	v_lshrrev_b32_e32 v58, 16, v21
	v_and_b32_e32 v59, 0xffff, v21
	v_mul_f32_e32 v6, v6, v26
	s_waitcnt vmcnt(15)
	v_lshrrev_b32_e32 v60, 16, v19
	s_waitcnt lgkmcnt(0)
	v_lshrrev_b32_e32 v26, 16, v51
	v_and_b32_e32 v21, 0xffff, v51
	;;#ASMSTART
	v_cvt_f32_f16 v21, v21;
	;;#ASMEND
	;;#ASMSTART
	v_cvt_f32_f16 v26, v26;
	;;#ASMEND
	;; [unrolled: 3-line block ×4, first 2 shown]
	ds_read_b32 v53, v12 offset:20
	v_and_b32_e32 v61, 0xffff, v19
	v_mul_f32_e32 v7, v7, v27
	v_fmac_f32_e32 v6, v44, v28
	s_waitcnt vmcnt(14)
	v_lshrrev_b32_e32 v62, 16, v18
	s_waitcnt lgkmcnt(0)
	v_lshrrev_b32_e32 v27, 16, v53
	v_and_b32_e32 v19, 0xffff, v53
	;;#ASMSTART
	v_cvt_f32_f16 v19, v19;
	;;#ASMEND
	;;#ASMSTART
	v_cvt_f32_f16 v27, v27;
	;;#ASMEND
	;; [unrolled: 3-line block ×4, first 2 shown]
	ds_read_b32 v53, v12 offset:24
	v_and_b32_e32 v54, 0xffff, v18
	v_fmac_f32_e32 v6, v24, v47
	v_fmac_f32_e32 v7, v45, v46
	s_waitcnt vmcnt(13)
	v_lshrrev_b32_e32 v55, 16, v35
	s_waitcnt lgkmcnt(0)
	v_lshrrev_b32_e32 v24, 16, v53
	v_and_b32_e32 v18, 0xffff, v53
	;;#ASMSTART
	v_cvt_f32_f16 v18, v18;
	;;#ASMEND
	;;#ASMSTART
	v_cvt_f32_f16 v24, v24;
	;;#ASMEND
	;; [unrolled: 3-line block ×4, first 2 shown]
	ds_read_b32 v47, v12 offset:28
	v_and_b32_e32 v53, 0xffff, v35
	v_fmac_f32_e32 v7, v25, v48
	s_waitcnt vmcnt(12)
	v_lshrrev_b32_e32 v56, 16, v36
	v_and_b32_e32 v57, 0xffff, v36
	s_waitcnt lgkmcnt(0)
	v_lshrrev_b32_e32 v35, 16, v47
	v_and_b32_e32 v25, 0xffff, v47
	;;#ASMSTART
	v_cvt_f32_f16 v25, v25;
	;;#ASMEND
	;;#ASMSTART
	v_cvt_f32_f16 v35, v35;
	;;#ASMEND
	;;#ASMSTART
	v_cvt_f32_f16 v36, v59;
	;;#ASMEND
	;;#ASMSTART
	v_cvt_f32_f16 v47, v58;
	;;#ASMEND
	ds_read_b32 v48, v12 offset:32
	v_fmac_f32_e32 v6, v22, v49
	v_fmac_f32_e32 v7, v23, v50
	s_waitcnt vmcnt(11)
	v_lshrrev_b32_e32 v58, 16, v37
	v_and_b32_e32 v59, 0xffff, v37
	s_waitcnt lgkmcnt(0)
	v_lshrrev_b32_e32 v23, 16, v48
	v_and_b32_e32 v22, 0xffff, v48
	;;#ASMSTART
	v_cvt_f32_f16 v22, v22;
	;;#ASMEND
	;;#ASMSTART
	v_cvt_f32_f16 v23, v23;
	;;#ASMEND
	;;#ASMSTART
	v_cvt_f32_f16 v37, v61;
	;;#ASMEND
	;;#ASMSTART
	v_cvt_f32_f16 v48, v60;
	;;#ASMEND
	ds_read_b32 v49, v12 offset:36
	v_fmac_f32_e32 v6, v21, v51
	;; [unrolled: 21-line block ×3, first 2 shown]
	s_waitcnt vmcnt(9)
	v_lshrrev_b32_e32 v52, 16, v39
	v_and_b32_e32 v54, 0xffff, v39
	v_fmac_f32_e32 v7, v27, v44
	s_waitcnt lgkmcnt(0)
	v_lshrrev_b32_e32 v28, 16, v50
	v_and_b32_e32 v19, 0xffff, v50
	;;#ASMSTART
	v_cvt_f32_f16 v19, v19;
	;;#ASMEND
	;;#ASMSTART
	v_cvt_f32_f16 v28, v28;
	;;#ASMEND
	;; [unrolled: 3-line block ×4, first 2 shown]
	ds_read_b32 v51, v12 offset:44
	v_fmac_f32_e32 v6, v18, v45
	s_waitcnt vmcnt(8)
	v_lshrrev_b32_e32 v62, 16, v40
	v_and_b32_e32 v53, 0xffff, v40
	s_waitcnt vmcnt(7)
	v_lshrrev_b32_e32 v55, 16, v41
	s_waitcnt lgkmcnt(0)
	v_lshrrev_b32_e32 v27, 16, v51
	v_and_b32_e32 v18, 0xffff, v51
	;;#ASMSTART
	v_cvt_f32_f16 v18, v18;
	;;#ASMEND
	;;#ASMSTART
	v_cvt_f32_f16 v27, v27;
	;;#ASMEND
	;; [unrolled: 3-line block ×4, first 2 shown]
	ds_read_b32 v45, v12 offset:48
	v_and_b32_e32 v51, 0xffff, v41
	v_fmac_f32_e32 v7, v24, v46
	s_waitcnt vmcnt(6)
	v_lshrrev_b32_e32 v56, 16, v42
	v_and_b32_e32 v57, 0xffff, v42
	s_waitcnt lgkmcnt(0)
	v_lshrrev_b32_e32 v41, 16, v45
	v_and_b32_e32 v24, 0xffff, v45
	;;#ASMSTART
	v_cvt_f32_f16 v24, v24;
	;;#ASMEND
	;;#ASMSTART
	v_cvt_f32_f16 v41, v41;
	;;#ASMEND
	;; [unrolled: 3-line block ×4, first 2 shown]
	ds_read_b32 v46, v12 offset:52
	v_fmac_f32_e32 v6, v25, v36
	v_fmac_f32_e32 v7, v35, v47
	s_waitcnt vmcnt(5)
	v_lshrrev_b32_e32 v58, 16, v43
	v_and_b32_e32 v59, 0xffff, v43
	s_waitcnt lgkmcnt(0)
	v_lshrrev_b32_e32 v35, 16, v46
	v_and_b32_e32 v25, 0xffff, v46
	;;#ASMSTART
	v_cvt_f32_f16 v25, v25;
	;;#ASMEND
	;;#ASMSTART
	v_cvt_f32_f16 v35, v35;
	;;#ASMEND
	;;#ASMSTART
	v_cvt_f32_f16 v36, v61;
	;;#ASMEND
	;;#ASMSTART
	v_cvt_f32_f16 v43, v60;
	;;#ASMEND
	ds_read_b32 v46, v12 offset:56
	v_fmac_f32_e32 v6, v22, v37
	v_fmac_f32_e32 v7, v23, v48
	s_waitcnt vmcnt(4)
	v_lshrrev_b32_e32 v60, 16, v34
	v_and_b32_e32 v61, 0xffff, v34
	s_waitcnt lgkmcnt(0)
	v_lshrrev_b32_e32 v23, 16, v46
	v_and_b32_e32 v22, 0xffff, v46
	;;#ASMSTART
	v_cvt_f32_f16 v22, v22;
	;;#ASMEND
	;;#ASMSTART
	v_cvt_f32_f16 v23, v23;
	;;#ASMEND
	;; [unrolled: 3-line block ×4, first 2 shown]
	ds_read_b32 v46, v12 offset:60
	s_waitcnt vmcnt(3)
	v_lshrrev_b32_e32 v52, 16, v33
	v_and_b32_e32 v54, 0xffff, v33
	v_fmac_f32_e32 v6, v21, v38
	v_fmac_f32_e32 v7, v26, v49
	s_waitcnt lgkmcnt(0)
	v_lshrrev_b32_e32 v33, 16, v46
	v_and_b32_e32 v21, 0xffff, v46
	;;#ASMSTART
	v_cvt_f32_f16 v21, v21;
	;;#ASMEND
	;;#ASMSTART
	v_cvt_f32_f16 v33, v33;
	;;#ASMEND
	;; [unrolled: 3-line block ×4, first 2 shown]
	ds_read_b32 v47, v12 offset:64
	v_fmac_f32_e32 v6, v19, v39
	s_waitcnt vmcnt(2)
	v_lshrrev_b32_e32 v63, 16, v32
	v_and_b32_e32 v53, 0xffff, v32
	s_waitcnt vmcnt(0)
	v_and_b32_e32 v62, 0xffff, v29
	s_waitcnt lgkmcnt(0)
	v_lshrrev_b32_e32 v26, 16, v47
	v_and_b32_e32 v19, 0xffff, v47
	;;#ASMSTART
	v_cvt_f32_f16 v19, v19;
	;;#ASMEND
	;;#ASMSTART
	v_cvt_f32_f16 v26, v26;
	;;#ASMEND
	;;#ASMSTART
	v_cvt_f32_f16 v32, v51;
	;;#ASMEND
	;;#ASMSTART
	v_cvt_f32_f16 v39, v55;
	;;#ASMEND
	ds_read_b32 v47, v12 offset:68
	v_lshrrev_b32_e32 v55, 16, v29
	v_fmac_f32_e32 v7, v28, v50
	v_lshrrev_b32_e32 v49, 16, v31
	v_and_b32_e32 v51, 0xffff, v31
	s_waitcnt lgkmcnt(0)
	v_lshrrev_b32_e32 v29, 16, v47
	v_and_b32_e32 v28, 0xffff, v47
	;;#ASMSTART
	v_cvt_f32_f16 v28, v28;
	;;#ASMEND
	;;#ASMSTART
	v_cvt_f32_f16 v29, v29;
	;;#ASMEND
	;;#ASMSTART
	v_cvt_f32_f16 v31, v57;
	;;#ASMEND
	;;#ASMSTART
	v_cvt_f32_f16 v47, v56;
	;;#ASMEND
	ds_read_b32 v48, v12 offset:72
	v_fmac_f32_e32 v6, v18, v40
	v_fmac_f32_e32 v7, v27, v44
	v_fmac_f32_e32 v6, v24, v42
	v_fmac_f32_e32 v7, v41, v45
	s_waitcnt lgkmcnt(0)
	v_lshrrev_b32_e32 v24, 16, v48
	v_and_b32_e32 v18, 0xffff, v48
	;;#ASMSTART
	v_cvt_f32_f16 v18, v18;
	;;#ASMEND
	;;#ASMSTART
	v_cvt_f32_f16 v24, v24;
	;;#ASMEND
	;;#ASMSTART
	v_cvt_f32_f16 v27, v59;
	;;#ASMEND
	;;#ASMSTART
	v_cvt_f32_f16 v40, v58;
	;;#ASMEND
	ds_read_b32 v41, v12 offset:76
	v_fmac_f32_e32 v6, v25, v36
	v_fmac_f32_e32 v7, v35, v43
	v_fmac_f32_e32 v6, v22, v34
	v_fmac_f32_e32 v7, v23, v37
	;; [unrolled: 20-line block ×6, first 2 shown]
	s_waitcnt lgkmcnt(0)
	v_lshrrev_b32_e32 v19, 16, v25
	v_and_b32_e32 v18, 0xffff, v25
	;;#ASMSTART
	v_cvt_f32_f16 v18, v18;
	;;#ASMEND
	;;#ASMSTART
	v_cvt_f32_f16 v19, v19;
	;;#ASMEND
	;; [unrolled: 3-line block ×4, first 2 shown]
	s_nop 0
	v_fmac_f32_e32 v6, v18, v21
	v_fmac_f32_e32 v7, v19, v22
	v_add_f32_e32 v6, v6, v7
	ds_bpermute_b32 v7, v30, v6
	v_cndmask_b32_e64 v18, v8, v16, s[0:1]
	s_waitcnt lgkmcnt(0)
	v_add_f32_e32 v6, v6, v7
	v_lshlrev_b32_e32 v7, 2, v18
	ds_bpermute_b32 v7, v7, v6
	s_and_saveexec_b64 s[30:31], vcc
	s_cbranch_execz .LBB88_8
; %bb.10:                               ;   in Loop: Header=BB88_9 Depth=1
	v_add_u32_e32 v18, s15, v13
	v_cvt_f32_i32_e32 v18, v18
	s_waitcnt lgkmcnt(0)
	v_add_f32_e32 v6, v6, v7
	v_cmp_gt_i32_e64 s[0:1], s33, v13
	v_max_f32_e32 v7, v11, v11
	v_mul_f32_e32 v18, s8, v18
	v_cndmask_b32_e64 v18, 0, v18, s[2:3]
	v_fmac_f32_e32 v18, s9, v6
	v_cndmask_b32_e64 v6, 0, v18, s[0:1]
	ds_write_b32 v14, v6
	v_max_f32_e32 v6, v7, v18
	v_cndmask_b32_e64 v11, v11, v6, s[0:1]
	s_branch .LBB88_8
.LBB88_11:
	s_or_b64 exec, exec, s[28:29]
.LBB88_12:
	s_or_b64 exec, exec, s[26:27]
	v_xor_b32_e32 v2, 32, v8
	v_cmp_lt_i32_e32 vcc, v2, v9
	v_xor_b32_e32 v5, 16, v8
	v_max_f32_e32 v4, v11, v11
	v_cndmask_b32_e32 v2, v8, v2, vcc
	v_lshlrev_b32_e32 v2, 2, v2
	ds_bpermute_b32 v3, v2, v11
	v_cmp_lt_i32_e32 vcc, v5, v9
	v_xor_b32_e32 v6, 8, v8
	s_waitcnt lgkmcnt(0)
	v_xor_b32_e32 v7, 4, v8
	v_and_b32_e32 v21, 63, v0
	v_max_f32_e32 v3, v3, v3
	v_max_f32_e32 v4, v4, v3
	v_cndmask_b32_e32 v3, v8, v5, vcc
	v_lshlrev_b32_e32 v3, 2, v3
	ds_bpermute_b32 v5, v3, v4
	v_cmp_lt_i32_e32 vcc, v6, v9
	s_waitcnt lgkmcnt(0)
	v_max_f32_e32 v5, v5, v5
	v_max_f32_e32 v4, v4, v5
	v_cndmask_b32_e32 v5, v8, v6, vcc
	v_lshlrev_b32_e32 v6, 2, v5
	ds_bpermute_b32 v5, v6, v4
	v_cmp_lt_i32_e32 vcc, v7, v9
	s_waitcnt lgkmcnt(0)
	v_max_f32_e32 v5, v5, v5
	v_max_f32_e32 v5, v4, v5
	v_cndmask_b32_e32 v4, v8, v7, vcc
	v_lshlrev_b32_e32 v7, 2, v4
	ds_bpermute_b32 v11, v7, v5
	v_cmp_eq_u32_e32 vcc, 0, v21
	v_lshlrev_b32_e32 v4, 2, v20
	s_and_saveexec_b64 s[0:1], vcc
	s_cbranch_execz .LBB88_14
; %bb.13:
	s_waitcnt lgkmcnt(0)
	v_max_f32_e32 v11, v11, v11
	v_max_f32_e32 v5, v5, v5
	;; [unrolled: 1-line block ×3, first 2 shown]
	ds_write_b32 v4, v5 offset:384
.LBB88_14:
	s_or_b64 exec, exec, s[0:1]
	v_cmp_gt_u32_e64 s[0:1], 2, v21
	s_waitcnt lgkmcnt(0)
	v_mov_b32_e32 v11, 0xff7fffff
	v_lshlrev_b32_e32 v5, 2, v21
	s_barrier
	s_and_saveexec_b64 s[2:3], s[0:1]
; %bb.15:
	ds_read_b32 v11, v5 offset:384
; %bb.16:
	s_or_b64 exec, exec, s[2:3]
	v_xor_b32_e32 v12, 1, v8
	v_cmp_lt_i32_e64 s[2:3], v12, v9
	v_lshlrev_b32_e32 v10, 2, v10
	s_nop 0
	v_cndmask_b32_e64 v12, v8, v12, s[2:3]
	v_lshlrev_b32_e32 v22, 2, v12
	s_waitcnt lgkmcnt(0)
	ds_bpermute_b32 v12, v22, v11
	v_max_f32_e32 v11, v11, v11
	s_lshl_b32 s2, s12, 4
	s_min_i32 s15, s2, s33
	v_cmp_gt_i32_e64 s[2:3], s15, v0
	s_waitcnt lgkmcnt(0)
	v_max_f32_e32 v12, v12, v12
	v_max_f32_e32 v11, v11, v12
	ds_bpermute_b32 v11, v10, v11
	v_mov_b32_e32 v10, 0
	s_and_saveexec_b64 s[26:27], s[2:3]
	s_cbranch_execz .LBB88_20
; %bb.17:
	v_mov_b32_e32 v10, 0x190
	v_lshl_add_u32 v12, v0, 2, v10
	v_mov_b32_e32 v10, 0
	s_mov_b64 s[28:29], 0
	v_mov_b32_e32 v13, v0
.LBB88_18:                              ; =>This Inner Loop Header: Depth=1
	ds_read_b32 v14, v12
	v_add_u32_e32 v13, 0x80, v13
	v_cmp_le_i32_e64 s[8:9], s15, v13
	s_or_b64 s[28:29], s[8:9], s[28:29]
	s_waitcnt lgkmcnt(0)
	v_sub_f32_e32 v14, v14, v11
	v_mul_f32_e32 v14, 0x3fb8aa3b, v14
	v_exp_f32_e32 v14, v14
	ds_write_b32 v12, v14
	v_add_f32_e32 v10, v10, v14
	v_add_u32_e32 v12, 0x200, v12
	s_andn2_b64 exec, exec, s[28:29]
	s_cbranch_execnz .LBB88_18
; %bb.19:
	s_or_b64 exec, exec, s[28:29]
.LBB88_20:
	s_or_b64 exec, exec, s[26:27]
	ds_bpermute_b32 v2, v2, v10
	s_waitcnt lgkmcnt(0)
	v_add_f32_e32 v2, v10, v2
	ds_bpermute_b32 v3, v3, v2
	s_waitcnt lgkmcnt(0)
	v_add_f32_e32 v2, v2, v3
	ds_bpermute_b32 v3, v6, v2
	v_xor_b32_e32 v6, 2, v8
	v_cmp_lt_i32_e64 s[8:9], v6, v9
	s_waitcnt lgkmcnt(0)
	v_add_f32_e32 v2, v2, v3
	ds_bpermute_b32 v3, v7, v2
	v_cndmask_b32_e64 v6, v8, v6, s[8:9]
	s_waitcnt lgkmcnt(0)
	v_add_f32_e32 v2, v2, v3
	v_lshlrev_b32_e32 v3, 2, v6
	ds_bpermute_b32 v3, v3, v2
	s_waitcnt lgkmcnt(0)
	v_add_f32_e32 v2, v2, v3
	ds_bpermute_b32 v3, v22, v2
	s_waitcnt lgkmcnt(0)
	v_add_f32_e32 v2, v2, v3
	s_and_saveexec_b64 s[8:9], vcc
; %bb.21:
	ds_write_b32 v4, v2 offset:392
; %bb.22:
	s_or_b64 exec, exec, s[8:9]
	s_waitcnt lgkmcnt(0)
	s_barrier
	s_and_saveexec_b64 s[8:9], s[0:1]
; %bb.23:
	ds_read_b32 v2, v5 offset:392
; %bb.24:
	s_or_b64 exec, exec, s[8:9]
	s_waitcnt lgkmcnt(0)
	ds_bpermute_b32 v3, v22, v2
	v_lshlrev_b32_e32 v4, 2, v8
	s_waitcnt lgkmcnt(0)
	v_add_f32_e32 v2, v2, v3
	v_and_b32_e32 v3, 0xffffff00, v4
	ds_bpermute_b32 v2, v3, v2
	s_and_saveexec_b64 s[0:1], s[2:3]
	s_cbranch_execz .LBB88_37
; %bb.25:
	s_waitcnt lgkmcnt(0)
	v_add_f32_e32 v2, 0x358637bd, v2
	v_div_scale_f32 v3, s[2:3], v2, v2, 1.0
	v_rcp_f32_e32 v4, v3
	v_div_scale_f32 v5, vcc, 1.0, v2, 1.0
	s_movk_i32 s2, 0x7f
	v_fma_f32 v6, -v3, v4, 1.0
	v_fmac_f32_e32 v4, v6, v4
	v_mul_f32_e32 v6, v5, v4
	v_fma_f32 v7, -v3, v6, v5
	v_fmac_f32_e32 v6, v7, v4
	v_fma_f32 v3, -v3, v6, v5
	v_div_fmas_f32 v3, v3, v4, v6
	v_xad_u32 v4, v0, -1, s15
	v_div_fixup_f32 v2, v3, v2, 1.0
	v_cmp_lt_u32_e32 vcc, s2, v4
	s_mov_b64 s[8:9], -1
	v_mov_b32_e32 v3, v0
	s_and_saveexec_b64 s[2:3], vcc
	s_cbranch_execz .LBB88_34
; %bb.26:
	v_lshrrev_b32_e32 v4, 7, v4
	v_add_u32_e32 v6, -1, v4
	v_lshrrev_b32_e32 v5, 1, v6
	v_mov_b32_e32 v3, v2
	v_add_u32_e32 v5, 1, v5
	v_cmp_lt_u32_e32 vcc, 13, v6
	v_mov_b32_e32 v8, 0
	s_and_saveexec_b64 s[8:9], vcc
	s_cbranch_execz .LBB88_30
; %bb.27:
	v_mov_b32_e32 v7, 0x190
	v_and_b32_e32 v6, -8, v5
	v_lshl_add_u32 v7, v0, 2, v7
	s_mov_b32 s17, 0
	s_mov_b64 s[26:27], 0
.LBB88_28:                              ; =>This Inner Loop Header: Depth=1
	ds_read2st64_b32 v[8:9], v7 offset1:2
	ds_read2st64_b32 v[10:11], v7 offset0:4 offset1:6
	ds_read2st64_b32 v[12:13], v7 offset0:8 offset1:10
	;; [unrolled: 1-line block ×3, first 2 shown]
	v_add_u32_e32 v6, -8, v6
	s_waitcnt lgkmcnt(3)
	v_pk_mul_f32 v[8:9], v[2:3], v[8:9]
	s_waitcnt lgkmcnt(2)
	v_pk_mul_f32 v[10:11], v[2:3], v[10:11]
	ds_write2st64_b32 v7, v8, v9 offset1:2
	ds_write2st64_b32 v7, v10, v11 offset0:4 offset1:6
	ds_read2st64_b32 v[10:11], v7 offset0:16 offset1:18
	s_waitcnt lgkmcnt(4)
	v_pk_mul_f32 v[8:9], v[2:3], v[12:13]
	ds_write2st64_b32 v7, v8, v9 offset0:8 offset1:10
	s_waitcnt lgkmcnt(4)
	v_pk_mul_f32 v[8:9], v[2:3], v[14:15]
	ds_write2st64_b32 v7, v8, v9 offset0:12 offset1:14
	ds_read2st64_b32 v[8:9], v7 offset0:20 offset1:22
	s_waitcnt lgkmcnt(3)
	v_pk_mul_f32 v[10:11], v[2:3], v[10:11]
	ds_read2st64_b32 v[12:13], v7 offset0:24 offset1:26
	ds_write2st64_b32 v7, v10, v11 offset0:16 offset1:18
	ds_read2st64_b32 v[10:11], v7 offset0:28 offset1:30
	s_waitcnt lgkmcnt(3)
	v_pk_mul_f32 v[8:9], v[2:3], v[8:9]
	ds_write2st64_b32 v7, v8, v9 offset0:20 offset1:22
	s_waitcnt lgkmcnt(3)
	v_pk_mul_f32 v[8:9], v[2:3], v[12:13]
	ds_write2st64_b32 v7, v8, v9 offset0:24 offset1:26
	s_waitcnt lgkmcnt(2)
	v_pk_mul_f32 v[8:9], v[2:3], v[10:11]
	s_add_i32 s17, s17, 16
	v_cmp_eq_u32_e32 vcc, 0, v6
	ds_write2st64_b32 v7, v8, v9 offset0:28 offset1:30
	v_add_u32_e32 v7, 0x2000, v7
	s_or_b64 s[26:27], vcc, s[26:27]
	v_mov_b32_e32 v8, s17
	s_andn2_b64 exec, exec, s[26:27]
	s_cbranch_execnz .LBB88_28
; %bb.29:
	s_or_b64 exec, exec, s[26:27]
.LBB88_30:
	s_or_b64 exec, exec, s[8:9]
	v_and_b32_e32 v5, 7, v5
	v_cmp_ne_u32_e32 vcc, 0, v5
	s_and_saveexec_b64 s[8:9], vcc
	s_cbranch_execz .LBB88_33
; %bb.31:
	v_lshlrev_b32_e32 v6, 9, v8
	v_lshlrev_b32_e32 v7, 2, v0
	s_movk_i32 s17, 0x190
	v_add3_u32 v6, v6, v7, s17
	s_mov_b64 s[26:27], 0
.LBB88_32:                              ; =>This Inner Loop Header: Depth=1
	ds_read2st64_b32 v[8:9], v6 offset1:2
	v_add_u32_e32 v5, -1, v5
	v_cmp_eq_u32_e32 vcc, 0, v5
	s_or_b64 s[26:27], vcc, s[26:27]
	s_waitcnt lgkmcnt(0)
	v_pk_mul_f32 v[8:9], v[2:3], v[8:9]
	ds_write2st64_b32 v6, v8, v9 offset1:2
	v_add_u32_e32 v6, 0x400, v6
	s_andn2_b64 exec, exec, s[26:27]
	s_cbranch_execnz .LBB88_32
.LBB88_33:
	s_or_b64 exec, exec, s[8:9]
	v_add_u32_e32 v4, 1, v4
	v_and_b32_e32 v5, 0x3fffffe, v4
	v_cmp_ne_u32_e32 vcc, v4, v5
	v_lshl_add_u32 v3, v5, 7, v0
	s_orn2_b64 s[8:9], vcc, exec
.LBB88_34:
	s_or_b64 exec, exec, s[2:3]
	s_and_b64 exec, exec, s[8:9]
	s_cbranch_execz .LBB88_37
; %bb.35:
	v_mov_b32_e32 v4, 0x190
	v_lshl_add_u32 v4, v3, 2, v4
	s_mov_b64 s[2:3], 0
.LBB88_36:                              ; =>This Inner Loop Header: Depth=1
	ds_read_b32 v5, v4
	v_add_u32_e32 v3, 0x80, v3
	v_cmp_le_i32_e32 vcc, s15, v3
	s_or_b64 s[2:3], vcc, s[2:3]
	s_waitcnt lgkmcnt(0)
	v_mul_f32_e32 v5, v2, v5
	ds_write_b32 v4, v5
	v_add_u32_e32 v4, 0x200, v4
	s_andn2_b64 exec, exec, s[2:3]
	s_cbranch_execnz .LBB88_36
.LBB88_37:
	s_or_b64 exec, exec, s[0:1]
	v_mov_b32_e32 v7, 0
	v_and_b32_e32 v23, 1, v0
	v_mov_b32_e32 v6, v7
	v_mov_b32_e32 v9, v7
	;; [unrolled: 1-line block ×5, first 2 shown]
	s_waitcnt lgkmcnt(0)
	s_barrier
	s_and_saveexec_b64 s[2:3], s[6:7]
	s_cbranch_execz .LBB88_53
; %bb.38:
	s_ashr_i32 s15, s14, 31
	s_lshl_b64 s[0:1], s[14:15], 1
	s_add_u32 s0, s24, s0
	v_lshlrev_b32_e32 v3, 4, v0
	v_lshlrev_b32_e32 v2, 3, v0
	s_addc_u32 s1, s25, s1
	v_and_b32_e32 v12, 0x3f0, v3
	v_mov_b32_e32 v13, 0
	v_and_b32_e32 v2, 8, v2
	s_add_i32 s14, s12, -1
	v_lshl_add_u64 v[14:15], s[0:1], 0, v[12:13]
	s_lshl_b64 s[0:1], s[22:23], 2
	v_lshl_or_b32 v24, v20, 4, v2
	v_lshlrev_b32_e32 v2, 5, v23
	s_add_u32 s0, s20, s0
	v_lshl_or_b32 v2, v20, 6, v2
	v_and_b32_e32 v12, 60, v1
	s_addc_u32 s1, s21, s1
	s_mov_b32 s15, s33
	v_add_u32_e32 v25, 0x190, v2
	v_lshl_add_u64 v[16:17], s[0:1], 0, v[12:13]
	s_mov_b64 s[6:7], 0
	s_mov_b32 s17, 0xffff
	s_movk_i32 s20, 0x1000
	v_mov_b32_e32 v7, 0
	v_mov_b32_e32 v6, 0
	;; [unrolled: 1-line block ×6, first 2 shown]
	s_branch .LBB88_40
.LBB88_39:                              ;   in Loop: Header=BB88_40 Depth=1
	s_or_b64 exec, exec, s[8:9]
	v_lshlrev_b32_e32 v12, 16, v12
	v_lshlrev_b32_e32 v1, 16, v1
	v_and_or_b32 v2, v2, s17, v12
	v_and_or_b32 v1, v3, s17, v1
	v_lshlrev_b32_e32 v3, 16, v18
	v_and_or_b32 v3, v4, s17, v3
	;;#ASMSTART
	v_pk_mul_f16 v2, v33, v2;

	;;#ASMEND
	;;#ASMSTART
	v_pk_mul_f16 v1, v34, v1;

	;;#ASMEND
	;;#ASMSTART
	v_pk_mul_f16 v3, v35, v3;

	;;#ASMEND
	;;#ASMSTART
	v_pk_mul_f16 v4, v36, v5;

	;;#ASMEND
	v_add_f32_e32 v19, v45, v46
	;;#ASMSTART
	v_pk_add_f16 v1, v2, v1;

	;;#ASMEND
	v_add_f32_e32 v6, v6, v19
	;;#ASMSTART
	v_pk_add_f16 v1, v1, v3;

	;;#ASMEND
	;; [unrolled: 5-line block ×3, first 2 shown]
	v_add_f32_e32 v9, v9, v19
	v_add_f32_e32 v19, v41, v42
	v_lshrrev_b32_e32 v2, 16, v1
	v_and_b32_e32 v1, 0xffff, v1
	v_add_f32_e32 v8, v8, v19
	v_add_f32_e32 v19, v39, v40
	;;#ASMSTART
	v_cvt_f32_f16 v1, v1;
	;;#ASMEND
	v_add_u32_e32 v20, 2, v20
	v_add_f32_e32 v11, v11, v19
	v_add_f32_e32 v19, v37, v38
	;;#ASMSTART
	v_cvt_f32_f16 v2, v2;
	;;#ASMEND
	v_cmp_le_i32_e32 vcc, s12, v20
	v_add_f32_e32 v1, v1, v2
	v_add_f32_e32 v10, v10, v19
	;; [unrolled: 1-line block ×3, first 2 shown]
	v_add_u32_e32 v24, 32, v24
	v_add_u32_e32 v25, 0x80, v25
	s_or_b64 s[6:7], vcc, s[6:7]
	v_lshl_add_u64 v[16:17], v[16:17], 0, 8
	s_andn2_b64 exec, exec, s[6:7]
	s_cbranch_execz .LBB88_52
.LBB88_40:                              ; =>This Inner Loop Header: Depth=1
	global_load_dword v1, v[16:17], off
	ds_read2_b64 v[2:5], v25 offset1:1
	ds_read2_b64 v[26:29], v25 offset0:2 offset1:3
	v_add_u32_e32 v30, 2, v24
	v_or_b32_e32 v31, 3, v24
	s_waitcnt lgkmcnt(1)
	;;#ASMSTART
	v_cvt_f16_f32 v33, v2;

	;;#ASMEND
	;;#ASMSTART
	v_cvt_f16_f32 v34, v3;

	;;#ASMEND
	;; [unrolled: 4-line block ×4, first 2 shown]
	s_waitcnt lgkmcnt(0)
	;;#ASMSTART
	v_cvt_f16_f32 v37, v26;

	;;#ASMEND
	;;#ASMSTART
	v_cvt_f16_f32 v38, v27;

	;;#ASMEND
	;; [unrolled: 4-line block ×4, first 2 shown]
	v_add_u32_e32 v29, 4, v24
	v_add_u32_e32 v28, 5, v24
	;; [unrolled: 1-line block ×4, first 2 shown]
	v_or_b32_e32 v32, 1, v24
	s_waitcnt vmcnt(0)
	v_mad_i64_i32 v[2:3], s[0:1], v1, s13, 0
	v_lshl_add_u64 v[18:19], v[2:3], 1, v[14:15]
	global_load_dwordx4 v[2:5], v[18:19], off
	v_cmp_eq_u32_e64 s[0:1], s14, v20
	s_waitcnt vmcnt(0)
	v_lshrrev_b32_e32 v1, 16, v3
	v_lshrrev_b32_e32 v12, 16, v2
	;; [unrolled: 1-line block ×3, first 2 shown]
	s_and_saveexec_b64 s[8:9], s[0:1]
	s_cbranch_execz .LBB88_42
; %bb.41:                               ;   in Loop: Header=BB88_40 Depth=1
	v_cmp_gt_i32_e32 vcc, s33, v24
	s_nop 1
	v_cndmask_b32_e32 v2, 0, v2, vcc
	v_cmp_gt_i32_e32 vcc, s33, v30
	s_nop 1
	v_cndmask_b32_e32 v3, 0, v3, vcc
	;; [unrolled: 3-line block ×6, first 2 shown]
	v_cmp_gt_i32_e32 vcc, s33, v27
	s_nop 1
	v_cndmask_b32_sdwa v42, v13, v5, vcc dst_sel:DWORD dst_unused:UNUSED_PAD src0_sel:DWORD src1_sel:WORD_0
	v_and_b32_e32 v5, 0xffff0000, v5
	v_cmp_gt_i32_e32 vcc, s33, v26
	s_nop 1
	v_cndmask_b32_e32 v5, 0, v5, vcc
	v_or_b32_e32 v5, v42, v5
.LBB88_42:                              ;   in Loop: Header=BB88_40 Depth=1
	s_or_b64 exec, exec, s[8:9]
	v_and_b32_e32 v33, 0xffff, v33
	v_lshlrev_b32_e32 v12, 16, v12
	v_lshlrev_b32_e32 v1, 16, v1
	v_lshl_or_b32 v33, v34, 16, v33
	v_and_b32_e32 v34, 0xffff, v35
	v_and_or_b32 v2, v2, s17, v12
	v_and_or_b32 v1, v3, s17, v1
	v_lshlrev_b32_e32 v3, 16, v41
	v_lshl_or_b32 v34, v36, 16, v34
	v_and_b32_e32 v35, 0xffff, v37
	v_and_b32_e32 v36, 0xffff, v39
	v_and_or_b32 v3, v4, s17, v3
	;;#ASMSTART
	v_pk_mul_f16 v2, v33, v2;

	;;#ASMEND
	;;#ASMSTART
	v_pk_mul_f16 v1, v34, v1;

	;;#ASMEND
	v_lshl_or_b32 v35, v38, 16, v35
	v_lshl_or_b32 v36, v40, 16, v36
	;;#ASMSTART
	v_pk_mul_f16 v3, v35, v3;

	;;#ASMEND
	;;#ASMSTART
	v_pk_mul_f16 v4, v36, v5;

	;;#ASMEND
	;;#ASMSTART
	v_pk_add_f16 v1, v2, v1;

	;;#ASMEND
	s_nop 0
	;;#ASMSTART
	v_pk_add_f16 v1, v1, v3;

	;;#ASMEND
	s_nop 0
	;; [unrolled: 5-line block ×3, first 2 shown]
	v_lshrrev_b32_e32 v2, 16, v1
	v_and_b32_e32 v1, 0xffff, v1
	;;#ASMSTART
	v_cvt_f32_f16 v37, v1;
	;;#ASMEND
	;;#ASMSTART
	v_cvt_f32_f16 v38, v2;
	;;#ASMEND
	global_load_dwordx4 v[2:5], v[18:19], off offset:1024
	s_waitcnt vmcnt(0)
	v_lshrrev_b32_e32 v1, 16, v3
	v_lshrrev_b32_e32 v12, 16, v2
	;; [unrolled: 1-line block ×3, first 2 shown]
	s_and_saveexec_b64 s[8:9], s[0:1]
	s_cbranch_execz .LBB88_44
; %bb.43:                               ;   in Loop: Header=BB88_40 Depth=1
	v_cmp_gt_i32_e32 vcc, s33, v24
	s_nop 1
	v_cndmask_b32_e32 v2, 0, v2, vcc
	v_cmp_gt_i32_e32 vcc, s33, v30
	s_nop 1
	v_cndmask_b32_e32 v3, 0, v3, vcc
	v_cmp_gt_i32_e32 vcc, s15, v31
	s_nop 1
	v_cndmask_b32_e32 v1, 0, v1, vcc
	v_cmp_gt_i32_e32 vcc, s33, v32
	s_nop 1
	v_cndmask_b32_e32 v12, 0, v12, vcc
	v_cmp_gt_i32_e32 vcc, s33, v29
	s_nop 1
	v_cndmask_b32_e32 v4, 0, v4, vcc
	v_cmp_gt_i32_e32 vcc, s33, v28
	s_nop 1
	v_cndmask_b32_e32 v39, 0, v39, vcc
	v_cmp_gt_i32_e32 vcc, s33, v27
	s_nop 1
	v_cndmask_b32_sdwa v40, v13, v5, vcc dst_sel:DWORD dst_unused:UNUSED_PAD src0_sel:DWORD src1_sel:WORD_0
	v_and_b32_e32 v5, 0xffff0000, v5
	v_cmp_gt_i32_e32 vcc, s33, v26
	s_nop 1
	v_cndmask_b32_e32 v5, 0, v5, vcc
	v_or_b32_e32 v5, v40, v5
.LBB88_44:                              ;   in Loop: Header=BB88_40 Depth=1
	s_or_b64 exec, exec, s[8:9]
	v_lshlrev_b32_e32 v12, 16, v12
	v_lshlrev_b32_e32 v1, 16, v1
	v_and_or_b32 v2, v2, s17, v12
	v_and_or_b32 v1, v3, s17, v1
	v_lshlrev_b32_e32 v3, 16, v39
	v_and_or_b32 v3, v4, s17, v3
	;;#ASMSTART
	v_pk_mul_f16 v2, v33, v2;

	;;#ASMEND
	;;#ASMSTART
	v_pk_mul_f16 v1, v34, v1;

	;;#ASMEND
	;; [unrolled: 4-line block ×4, first 2 shown]
	s_nop 0
	;;#ASMSTART
	v_pk_add_f16 v1, v2, v1;

	;;#ASMEND
	s_nop 0
	;;#ASMSTART
	v_pk_add_f16 v1, v1, v3;

	;;#ASMEND
	s_nop 0
	;;#ASMSTART
	v_pk_add_f16 v1, v1, v4;

	;;#ASMEND
	s_nop 0
	v_lshrrev_b32_e32 v2, 16, v1
	v_and_b32_e32 v1, 0xffff, v1
	;;#ASMSTART
	v_cvt_f32_f16 v39, v1;
	;;#ASMEND
	;;#ASMSTART
	v_cvt_f32_f16 v40, v2;
	;;#ASMEND
	global_load_dwordx4 v[2:5], v[18:19], off offset:2048
	s_waitcnt vmcnt(0)
	v_lshrrev_b32_e32 v1, 16, v3
	v_lshrrev_b32_e32 v12, 16, v2
	;; [unrolled: 1-line block ×3, first 2 shown]
	s_and_saveexec_b64 s[8:9], s[0:1]
	s_cbranch_execz .LBB88_46
; %bb.45:                               ;   in Loop: Header=BB88_40 Depth=1
	v_cmp_gt_i32_e32 vcc, s33, v24
	s_nop 1
	v_cndmask_b32_e32 v2, 0, v2, vcc
	v_cmp_gt_i32_e32 vcc, s33, v30
	s_nop 1
	v_cndmask_b32_e32 v3, 0, v3, vcc
	v_cmp_gt_i32_e32 vcc, s15, v31
	s_nop 1
	v_cndmask_b32_e32 v1, 0, v1, vcc
	v_cmp_gt_i32_e32 vcc, s33, v32
	s_nop 1
	v_cndmask_b32_e32 v12, 0, v12, vcc
	v_cmp_gt_i32_e32 vcc, s33, v29
	s_nop 1
	v_cndmask_b32_e32 v4, 0, v4, vcc
	v_cmp_gt_i32_e32 vcc, s33, v28
	s_nop 1
	v_cndmask_b32_e32 v41, 0, v41, vcc
	v_cmp_gt_i32_e32 vcc, s33, v27
	s_nop 1
	v_cndmask_b32_sdwa v42, v13, v5, vcc dst_sel:DWORD dst_unused:UNUSED_PAD src0_sel:DWORD src1_sel:WORD_0
	v_and_b32_e32 v5, 0xffff0000, v5
	v_cmp_gt_i32_e32 vcc, s33, v26
	s_nop 1
	v_cndmask_b32_e32 v5, 0, v5, vcc
	v_or_b32_e32 v5, v42, v5
.LBB88_46:                              ;   in Loop: Header=BB88_40 Depth=1
	s_or_b64 exec, exec, s[8:9]
	v_lshlrev_b32_e32 v12, 16, v12
	v_lshlrev_b32_e32 v1, 16, v1
	v_and_or_b32 v2, v2, s17, v12
	v_and_or_b32 v1, v3, s17, v1
	v_lshlrev_b32_e32 v3, 16, v41
	v_and_or_b32 v3, v4, s17, v3
	;;#ASMSTART
	v_pk_mul_f16 v2, v33, v2;

	;;#ASMEND
	;;#ASMSTART
	v_pk_mul_f16 v1, v34, v1;

	;;#ASMEND
	;; [unrolled: 4-line block ×4, first 2 shown]
	s_nop 0
	;;#ASMSTART
	v_pk_add_f16 v1, v2, v1;

	;;#ASMEND
	s_nop 0
	;;#ASMSTART
	v_pk_add_f16 v1, v1, v3;

	;;#ASMEND
	;; [unrolled: 5-line block ×3, first 2 shown]
	s_nop 0
	v_lshrrev_b32_e32 v2, 16, v1
	v_and_b32_e32 v1, 0xffff, v1
	;;#ASMSTART
	v_cvt_f32_f16 v41, v1;
	;;#ASMEND
	;;#ASMSTART
	v_cvt_f32_f16 v42, v2;
	;;#ASMEND
	global_load_dwordx4 v[2:5], v[18:19], off offset:3072
	s_waitcnt vmcnt(0)
	v_lshrrev_b32_e32 v1, 16, v3
	v_lshrrev_b32_e32 v12, 16, v2
	;; [unrolled: 1-line block ×3, first 2 shown]
	s_and_saveexec_b64 s[8:9], s[0:1]
	s_cbranch_execz .LBB88_48
; %bb.47:                               ;   in Loop: Header=BB88_40 Depth=1
	v_cmp_gt_i32_e32 vcc, s33, v24
	s_nop 1
	v_cndmask_b32_e32 v2, 0, v2, vcc
	v_cmp_gt_i32_e32 vcc, s33, v30
	s_nop 1
	v_cndmask_b32_e32 v3, 0, v3, vcc
	;; [unrolled: 3-line block ×6, first 2 shown]
	v_cmp_gt_i32_e32 vcc, s33, v27
	s_nop 1
	v_cndmask_b32_sdwa v44, v13, v5, vcc dst_sel:DWORD dst_unused:UNUSED_PAD src0_sel:DWORD src1_sel:WORD_0
	v_and_b32_e32 v5, 0xffff0000, v5
	v_cmp_gt_i32_e32 vcc, s33, v26
	s_nop 1
	v_cndmask_b32_e32 v5, 0, v5, vcc
	v_or_b32_e32 v5, v44, v5
.LBB88_48:                              ;   in Loop: Header=BB88_40 Depth=1
	s_or_b64 exec, exec, s[8:9]
	v_lshlrev_b32_e32 v12, 16, v12
	v_lshlrev_b32_e32 v1, 16, v1
	v_and_or_b32 v2, v2, s17, v12
	v_and_or_b32 v1, v3, s17, v1
	v_lshlrev_b32_e32 v3, 16, v43
	v_and_or_b32 v3, v4, s17, v3
	;;#ASMSTART
	v_pk_mul_f16 v2, v33, v2;

	;;#ASMEND
	;;#ASMSTART
	v_pk_mul_f16 v1, v34, v1;

	;;#ASMEND
	;; [unrolled: 4-line block ×4, first 2 shown]
	v_add_co_u32_e32 v18, vcc, s20, v18
	;;#ASMSTART
	v_pk_add_f16 v1, v2, v1;

	;;#ASMEND
	s_nop 0
	;;#ASMSTART
	v_pk_add_f16 v1, v1, v3;

	;;#ASMEND
	s_nop 0
	v_addc_co_u32_e32 v19, vcc, 0, v19, vcc
	;;#ASMSTART
	v_pk_add_f16 v1, v1, v4;

	;;#ASMEND
	s_nop 0
	v_lshrrev_b32_e32 v2, 16, v1
	v_and_b32_e32 v1, 0xffff, v1
	;;#ASMSTART
	v_cvt_f32_f16 v43, v1;
	;;#ASMEND
	;;#ASMSTART
	v_cvt_f32_f16 v44, v2;
	;;#ASMEND
	global_load_dwordx4 v[2:5], v[18:19], off
	s_waitcnt vmcnt(0)
	v_lshrrev_b32_e32 v1, 16, v3
	v_lshrrev_b32_e32 v12, 16, v2
	;; [unrolled: 1-line block ×3, first 2 shown]
	s_and_saveexec_b64 s[8:9], s[0:1]
	s_cbranch_execz .LBB88_50
; %bb.49:                               ;   in Loop: Header=BB88_40 Depth=1
	v_cmp_gt_i32_e32 vcc, s33, v24
	s_nop 1
	v_cndmask_b32_e32 v2, 0, v2, vcc
	v_cmp_gt_i32_e32 vcc, s33, v30
	s_nop 1
	v_cndmask_b32_e32 v3, 0, v3, vcc
	;; [unrolled: 3-line block ×6, first 2 shown]
	v_cmp_gt_i32_e32 vcc, s33, v27
	s_nop 1
	v_cndmask_b32_sdwa v46, v13, v5, vcc dst_sel:DWORD dst_unused:UNUSED_PAD src0_sel:DWORD src1_sel:WORD_0
	v_and_b32_e32 v5, 0xffff0000, v5
	v_cmp_gt_i32_e32 vcc, s33, v26
	s_nop 1
	v_cndmask_b32_e32 v5, 0, v5, vcc
	v_or_b32_e32 v5, v46, v5
.LBB88_50:                              ;   in Loop: Header=BB88_40 Depth=1
	s_or_b64 exec, exec, s[8:9]
	v_lshlrev_b32_e32 v12, 16, v12
	v_lshlrev_b32_e32 v1, 16, v1
	v_and_or_b32 v2, v2, s17, v12
	v_and_or_b32 v1, v3, s17, v1
	v_lshlrev_b32_e32 v3, 16, v45
	v_and_or_b32 v3, v4, s17, v3
	;;#ASMSTART
	v_pk_mul_f16 v2, v33, v2;

	;;#ASMEND
	;;#ASMSTART
	v_pk_mul_f16 v1, v34, v1;

	;;#ASMEND
	;; [unrolled: 4-line block ×4, first 2 shown]
	s_nop 0
	;;#ASMSTART
	v_pk_add_f16 v1, v2, v1;

	;;#ASMEND
	s_nop 0
	;;#ASMSTART
	v_pk_add_f16 v1, v1, v3;

	;;#ASMEND
	;; [unrolled: 5-line block ×3, first 2 shown]
	s_nop 0
	v_lshrrev_b32_e32 v2, 16, v1
	v_and_b32_e32 v1, 0xffff, v1
	;;#ASMSTART
	v_cvt_f32_f16 v45, v1;
	;;#ASMEND
	;;#ASMSTART
	v_cvt_f32_f16 v46, v2;
	;;#ASMEND
	global_load_dwordx4 v[2:5], v[18:19], off offset:1024
	s_waitcnt vmcnt(0)
	v_lshrrev_b32_e32 v1, 16, v3
	v_lshrrev_b32_e32 v12, 16, v2
	;; [unrolled: 1-line block ×3, first 2 shown]
	s_and_saveexec_b64 s[8:9], s[0:1]
	s_cbranch_execz .LBB88_39
; %bb.51:                               ;   in Loop: Header=BB88_40 Depth=1
	v_cmp_gt_i32_e32 vcc, s33, v24
	s_nop 1
	v_cndmask_b32_e32 v2, 0, v2, vcc
	v_cmp_gt_i32_e32 vcc, s33, v30
	s_nop 1
	v_cndmask_b32_e32 v3, 0, v3, vcc
	;; [unrolled: 3-line block ×6, first 2 shown]
	v_cmp_gt_i32_e32 vcc, s33, v27
	s_nop 1
	v_cndmask_b32_sdwa v19, v13, v5, vcc dst_sel:DWORD dst_unused:UNUSED_PAD src0_sel:DWORD src1_sel:WORD_0
	v_and_b32_e32 v5, 0xffff0000, v5
	v_cmp_gt_i32_e32 vcc, s33, v26
	s_nop 1
	v_cndmask_b32_e32 v5, 0, v5, vcc
	v_or_b32_e32 v5, v19, v5
	s_branch .LBB88_39
.LBB88_52:
	s_or_b64 exec, exec, s[6:7]
.LBB88_53:
	s_or_b64 exec, exec, s[2:3]
	ds_bpermute_b32 v2, v22, v10
	ds_bpermute_b32 v3, v22, v11
	;; [unrolled: 1-line block ×4, first 2 shown]
	v_and_b32_e32 v1, 0x3c1, v0
	v_cmp_ne_u32_e32 vcc, 64, v1
	s_waitcnt lgkmcnt(2)
	v_pk_add_f32 v[4:5], v[10:11], v[2:3]
	s_waitcnt lgkmcnt(0)
	v_pk_add_f32 v[2:3], v[8:9], v[12:13]
	ds_bpermute_b32 v8, v22, v6
	ds_bpermute_b32 v9, v22, v7
	s_barrier
	s_waitcnt lgkmcnt(0)
	s_and_saveexec_b64 s[0:1], vcc
	s_xor_b64 s[0:1], exec, s[0:1]
; %bb.54:
                                        ; implicit-def: $vgpr21
; %bb.55:
	s_or_saveexec_b64 s[0:1], s[0:1]
	v_pk_add_f32 v[6:7], v[6:7], v[8:9]
	s_xor_b64 exec, exec, s[0:1]
	s_cbranch_execz .LBB88_57
; %bb.56:
	v_mov_b32_e32 v8, 0x190
	v_lshl_add_u32 v8, v21, 1, v8
	ds_write2_b32 v8, v4, v5 offset1:32
	ds_write2_b32 v8, v2, v3 offset0:64 offset1:96
	ds_write2_b32 v8, v6, v7 offset0:128 offset1:160
.LBB88_57:
	s_or_b64 exec, exec, s[0:1]
	v_cmp_gt_u32_e32 vcc, 64, v0
	v_lshrrev_b32_e32 v0, 1, v0
	s_waitcnt lgkmcnt(0)
	s_barrier
	s_and_saveexec_b64 s[0:1], vcc
	s_cbranch_execz .LBB88_66
; %bb.58:
	v_mov_b32_e32 v8, 0x190
	v_cmp_eq_u32_e32 vcc, 0, v23
	v_lshl_add_u32 v8, v0, 2, v8
	s_and_saveexec_b64 s[2:3], vcc
	s_cbranch_execnz .LBB88_69
; %bb.59:
	s_or_b64 exec, exec, s[2:3]
	s_and_saveexec_b64 s[2:3], vcc
	s_cbranch_execnz .LBB88_70
.LBB88_60:
	s_or_b64 exec, exec, s[2:3]
	s_and_saveexec_b64 s[2:3], vcc
	s_cbranch_execnz .LBB88_71
.LBB88_61:
	s_or_b64 exec, exec, s[2:3]
	s_and_saveexec_b64 s[2:3], vcc
	s_cbranch_execnz .LBB88_72
.LBB88_62:
	s_or_b64 exec, exec, s[2:3]
	s_and_saveexec_b64 s[2:3], vcc
	s_cbranch_execnz .LBB88_73
.LBB88_63:
	s_or_b64 exec, exec, s[2:3]
	s_and_saveexec_b64 s[2:3], vcc
	s_cbranch_execz .LBB88_65
.LBB88_64:
	ds_read_b32 v8, v8 offset:640
	s_waitcnt lgkmcnt(0)
	v_add_f32_e32 v7, v7, v8
.LBB88_65:
	s_or_b64 exec, exec, s[2:3]
.LBB88_66:
	s_or_b64 exec, exec, s[0:1]
	v_cmp_eq_u32_e32 vcc, 0, v1
	s_barrier
	s_and_saveexec_b64 s[0:1], vcc
	s_cbranch_execz .LBB88_68
; %bb.67:
	s_mul_i32 s0, s10, s11
	s_mul_i32 s0, s0, s5
	s_mulk_i32 s0, 0xc0
	s_ashr_i32 s1, s0, 31
	s_lshl_b64 s[0:1], s[0:1], 1
	s_add_u32 s2, s18, s0
	s_mul_i32 s0, s11, s16
	s_addc_u32 s3, s19, s1
	s_ashr_i32 s1, s0, 31
	s_lshl_b64 s[0:1], s[0:1], 1
	s_add_u32 s2, s2, s0
	s_mul_i32 s0, s4, 0xc0
	s_addc_u32 s3, s3, s1
	s_ashr_i32 s1, s0, 31
	s_lshl_b64 s[0:1], s[0:1], 1
	s_add_u32 s0, s2, s0
	s_addc_u32 s1, s3, s1
	v_lshlrev_b32_e32 v0, 1, v0
	;;#ASMSTART
	v_cvt_f16_f32 v1, v4;

	;;#ASMEND
	global_store_short v0, v1, s[0:1]
	;;#ASMSTART
	v_cvt_f16_f32 v1, v5;

	;;#ASMEND
	global_store_short v0, v1, s[0:1] offset:64
	;;#ASMSTART
	v_cvt_f16_f32 v1, v2;

	;;#ASMEND
	global_store_short v0, v1, s[0:1] offset:128
	;;#ASMSTART
	v_cvt_f16_f32 v1, v3;

	;;#ASMEND
	global_store_short v0, v1, s[0:1] offset:192
	;;#ASMSTART
	v_cvt_f16_f32 v1, v6;

	;;#ASMEND
	global_store_short v0, v1, s[0:1] offset:256
	;;#ASMSTART
	v_cvt_f16_f32 v1, v7;

	;;#ASMEND
	global_store_short v0, v1, s[0:1] offset:320
.LBB88_68:
	s_endpgm
.LBB88_69:
	ds_read_b32 v9, v8
	s_waitcnt lgkmcnt(0)
	v_add_f32_e32 v4, v4, v9
	s_or_b64 exec, exec, s[2:3]
	s_and_saveexec_b64 s[2:3], vcc
	s_cbranch_execz .LBB88_60
.LBB88_70:
	ds_read_b32 v9, v8 offset:128
	s_waitcnt lgkmcnt(0)
	v_add_f32_e32 v5, v5, v9
	s_or_b64 exec, exec, s[2:3]
	s_and_saveexec_b64 s[2:3], vcc
	s_cbranch_execz .LBB88_61
.LBB88_71:
	ds_read_b32 v9, v8 offset:256
	s_waitcnt lgkmcnt(0)
	v_add_f32_e32 v2, v2, v9
	s_or_b64 exec, exec, s[2:3]
	s_and_saveexec_b64 s[2:3], vcc
	s_cbranch_execz .LBB88_62
.LBB88_72:
	ds_read_b32 v9, v8 offset:384
	s_waitcnt lgkmcnt(0)
	v_add_f32_e32 v3, v3, v9
	s_or_b64 exec, exec, s[2:3]
	s_and_saveexec_b64 s[2:3], vcc
	s_cbranch_execz .LBB88_63
.LBB88_73:
	ds_read_b32 v9, v8 offset:512
	s_waitcnt lgkmcnt(0)
	v_add_f32_e32 v6, v6, v9
	s_or_b64 exec, exec, s[2:3]
	s_and_saveexec_b64 s[2:3], vcc
	s_cbranch_execnz .LBB88_64
	s_branch .LBB88_65
	.section	.rodata,"a",@progbits
	.p2align	6, 0x0
	.amdhsa_kernel _ZN4vllm25paged_attention_v1_kernelIttLi192ELi16ELi128ELNS_18Fp8KVCacheDataTypeE0ELb0EEEvPT_PKS2_PKT0_S8_ifPKiSA_iPKfiiiSC_SC_iiiii
		.amdhsa_group_segment_fixed_size 400
		.amdhsa_private_segment_fixed_size 0
		.amdhsa_kernarg_size 384
		.amdhsa_user_sgpr_count 2
		.amdhsa_user_sgpr_dispatch_ptr 0
		.amdhsa_user_sgpr_queue_ptr 0
		.amdhsa_user_sgpr_kernarg_segment_ptr 1
		.amdhsa_user_sgpr_dispatch_id 0
		.amdhsa_user_sgpr_kernarg_preload_length 0
		.amdhsa_user_sgpr_kernarg_preload_offset 0
		.amdhsa_user_sgpr_private_segment_size 0
		.amdhsa_uses_dynamic_stack 0
		.amdhsa_enable_private_segment 0
		.amdhsa_system_sgpr_workgroup_id_x 1
		.amdhsa_system_sgpr_workgroup_id_y 1
		.amdhsa_system_sgpr_workgroup_id_z 1
		.amdhsa_system_sgpr_workgroup_info 0
		.amdhsa_system_vgpr_workitem_id 0
		.amdhsa_next_free_vgpr 64
		.amdhsa_next_free_sgpr 35
		.amdhsa_accum_offset 64
		.amdhsa_reserve_vcc 1
		.amdhsa_float_round_mode_32 0
		.amdhsa_float_round_mode_16_64 0
		.amdhsa_float_denorm_mode_32 3
		.amdhsa_float_denorm_mode_16_64 3
		.amdhsa_dx10_clamp 1
		.amdhsa_ieee_mode 1
		.amdhsa_fp16_overflow 0
		.amdhsa_tg_split 0
		.amdhsa_exception_fp_ieee_invalid_op 0
		.amdhsa_exception_fp_denorm_src 0
		.amdhsa_exception_fp_ieee_div_zero 0
		.amdhsa_exception_fp_ieee_overflow 0
		.amdhsa_exception_fp_ieee_underflow 0
		.amdhsa_exception_fp_ieee_inexact 0
		.amdhsa_exception_int_div_zero 0
	.end_amdhsa_kernel
	.section	.text._ZN4vllm25paged_attention_v1_kernelIttLi192ELi16ELi128ELNS_18Fp8KVCacheDataTypeE0ELb0EEEvPT_PKS2_PKT0_S8_ifPKiSA_iPKfiiiSC_SC_iiiii,"axG",@progbits,_ZN4vllm25paged_attention_v1_kernelIttLi192ELi16ELi128ELNS_18Fp8KVCacheDataTypeE0ELb0EEEvPT_PKS2_PKT0_S8_ifPKiSA_iPKfiiiSC_SC_iiiii,comdat
.Lfunc_end88:
	.size	_ZN4vllm25paged_attention_v1_kernelIttLi192ELi16ELi128ELNS_18Fp8KVCacheDataTypeE0ELb0EEEvPT_PKS2_PKT0_S8_ifPKiSA_iPKfiiiSC_SC_iiiii, .Lfunc_end88-_ZN4vllm25paged_attention_v1_kernelIttLi192ELi16ELi128ELNS_18Fp8KVCacheDataTypeE0ELb0EEEvPT_PKS2_PKT0_S8_ifPKiSA_iPKfiiiSC_SC_iiiii
                                        ; -- End function
	.set _ZN4vllm25paged_attention_v1_kernelIttLi192ELi16ELi128ELNS_18Fp8KVCacheDataTypeE0ELb0EEEvPT_PKS2_PKT0_S8_ifPKiSA_iPKfiiiSC_SC_iiiii.num_vgpr, 64
	.set _ZN4vllm25paged_attention_v1_kernelIttLi192ELi16ELi128ELNS_18Fp8KVCacheDataTypeE0ELb0EEEvPT_PKS2_PKT0_S8_ifPKiSA_iPKfiiiSC_SC_iiiii.num_agpr, 0
	.set _ZN4vllm25paged_attention_v1_kernelIttLi192ELi16ELi128ELNS_18Fp8KVCacheDataTypeE0ELb0EEEvPT_PKS2_PKT0_S8_ifPKiSA_iPKfiiiSC_SC_iiiii.numbered_sgpr, 35
	.set _ZN4vllm25paged_attention_v1_kernelIttLi192ELi16ELi128ELNS_18Fp8KVCacheDataTypeE0ELb0EEEvPT_PKS2_PKT0_S8_ifPKiSA_iPKfiiiSC_SC_iiiii.num_named_barrier, 0
	.set _ZN4vllm25paged_attention_v1_kernelIttLi192ELi16ELi128ELNS_18Fp8KVCacheDataTypeE0ELb0EEEvPT_PKS2_PKT0_S8_ifPKiSA_iPKfiiiSC_SC_iiiii.private_seg_size, 0
	.set _ZN4vllm25paged_attention_v1_kernelIttLi192ELi16ELi128ELNS_18Fp8KVCacheDataTypeE0ELb0EEEvPT_PKS2_PKT0_S8_ifPKiSA_iPKfiiiSC_SC_iiiii.uses_vcc, 1
	.set _ZN4vllm25paged_attention_v1_kernelIttLi192ELi16ELi128ELNS_18Fp8KVCacheDataTypeE0ELb0EEEvPT_PKS2_PKT0_S8_ifPKiSA_iPKfiiiSC_SC_iiiii.uses_flat_scratch, 0
	.set _ZN4vllm25paged_attention_v1_kernelIttLi192ELi16ELi128ELNS_18Fp8KVCacheDataTypeE0ELb0EEEvPT_PKS2_PKT0_S8_ifPKiSA_iPKfiiiSC_SC_iiiii.has_dyn_sized_stack, 0
	.set _ZN4vllm25paged_attention_v1_kernelIttLi192ELi16ELi128ELNS_18Fp8KVCacheDataTypeE0ELb0EEEvPT_PKS2_PKT0_S8_ifPKiSA_iPKfiiiSC_SC_iiiii.has_recursion, 0
	.set _ZN4vllm25paged_attention_v1_kernelIttLi192ELi16ELi128ELNS_18Fp8KVCacheDataTypeE0ELb0EEEvPT_PKS2_PKT0_S8_ifPKiSA_iPKfiiiSC_SC_iiiii.has_indirect_call, 0
	.section	.AMDGPU.csdata,"",@progbits
; Kernel info:
; codeLenInByte = 8640
; TotalNumSgprs: 41
; NumVgprs: 64
; NumAgprs: 0
; TotalNumVgprs: 64
; ScratchSize: 0
; MemoryBound: 0
; FloatMode: 240
; IeeeMode: 1
; LDSByteSize: 400 bytes/workgroup (compile time only)
; SGPRBlocks: 5
; VGPRBlocks: 7
; NumSGPRsForWavesPerEU: 41
; NumVGPRsForWavesPerEU: 64
; AccumOffset: 64
; Occupancy: 8
; WaveLimiterHint : 1
; COMPUTE_PGM_RSRC2:SCRATCH_EN: 0
; COMPUTE_PGM_RSRC2:USER_SGPR: 2
; COMPUTE_PGM_RSRC2:TRAP_HANDLER: 0
; COMPUTE_PGM_RSRC2:TGID_X_EN: 1
; COMPUTE_PGM_RSRC2:TGID_Y_EN: 1
; COMPUTE_PGM_RSRC2:TGID_Z_EN: 1
; COMPUTE_PGM_RSRC2:TIDIG_COMP_CNT: 0
; COMPUTE_PGM_RSRC3_GFX90A:ACCUM_OFFSET: 15
; COMPUTE_PGM_RSRC3_GFX90A:TG_SPLIT: 0
	.section	.text._ZN4vllm25paged_attention_v1_kernelIttLi256ELi16ELi128ELNS_18Fp8KVCacheDataTypeE0ELb0EEEvPT_PKS2_PKT0_S8_ifPKiSA_iPKfiiiSC_SC_iiiii,"axG",@progbits,_ZN4vllm25paged_attention_v1_kernelIttLi256ELi16ELi128ELNS_18Fp8KVCacheDataTypeE0ELb0EEEvPT_PKS2_PKT0_S8_ifPKiSA_iPKfiiiSC_SC_iiiii,comdat
	.protected	_ZN4vllm25paged_attention_v1_kernelIttLi256ELi16ELi128ELNS_18Fp8KVCacheDataTypeE0ELb0EEEvPT_PKS2_PKT0_S8_ifPKiSA_iPKfiiiSC_SC_iiiii ; -- Begin function _ZN4vllm25paged_attention_v1_kernelIttLi256ELi16ELi128ELNS_18Fp8KVCacheDataTypeE0ELb0EEEvPT_PKS2_PKT0_S8_ifPKiSA_iPKfiiiSC_SC_iiiii
	.globl	_ZN4vllm25paged_attention_v1_kernelIttLi256ELi16ELi128ELNS_18Fp8KVCacheDataTypeE0ELb0EEEvPT_PKS2_PKT0_S8_ifPKiSA_iPKfiiiSC_SC_iiiii
	.p2align	8
	.type	_ZN4vllm25paged_attention_v1_kernelIttLi256ELi16ELi128ELNS_18Fp8KVCacheDataTypeE0ELb0EEEvPT_PKS2_PKT0_S8_ifPKiSA_iPKfiiiSC_SC_iiiii,@function
_ZN4vllm25paged_attention_v1_kernelIttLi256ELi16ELi128ELNS_18Fp8KVCacheDataTypeE0ELb0EEEvPT_PKS2_PKT0_S8_ifPKiSA_iPKfiiiSC_SC_iiiii: ; @_ZN4vllm25paged_attention_v1_kernelIttLi256ELi16ELi128ELNS_18Fp8KVCacheDataTypeE0ELb0EEEvPT_PKS2_PKT0_S8_ifPKiSA_iPKfiiiSC_SC_iiiii
; %bb.0:
	s_load_dword s5, s[0:1], 0x80
	s_load_dwordx2 s[6:7], s[0:1], 0x30
	s_load_dwordx2 s[8:9], s[0:1], 0x20
	s_mov_b32 s10, s3
	s_ashr_i32 s11, s3, 31
	s_lshl_b64 s[12:13], s[10:11], 2
	s_waitcnt lgkmcnt(0)
	s_add_u32 s6, s6, s12
	s_addc_u32 s7, s7, s13
	s_abs_i32 s3, s8
	v_cvt_f32_u32_e32 v1, s3
	s_sub_i32 s12, 0, s3
	s_abs_i32 s11, s5
	s_xor_b32 s8, s5, s8
	v_rcp_iflag_f32_e32 v1, v1
	s_ashr_i32 s8, s8, 31
	v_mul_f32_e32 v1, 0x4f7ffffe, v1
	v_cvt_u32_f32_e32 v1, v1
	s_nop 0
	v_readfirstlane_b32 s13, v1
	s_mul_i32 s12, s12, s13
	s_mul_hi_u32 s12, s13, s12
	s_add_i32 s13, s13, s12
	s_mul_hi_u32 s12, s11, s13
	s_mul_i32 s13, s12, s3
	s_sub_i32 s11, s11, s13
	s_add_i32 s13, s12, 1
	s_sub_i32 s14, s11, s3
	s_cmp_ge_u32 s11, s3
	s_cselect_b32 s12, s13, s12
	s_cselect_b32 s11, s14, s11
	s_add_i32 s13, s12, 1
	s_cmp_ge_u32 s11, s3
	s_cselect_b32 s3, s13, s12
	s_xor_b32 s3, s3, s8
	s_sub_i32 s14, s3, s8
	s_abs_i32 s11, s14
	v_cvt_f32_u32_e32 v1, s11
	s_load_dwordx2 s[12:13], s[0:1], 0x40
	s_sub_i32 s3, 0, s11
	s_abs_i32 s18, s2
	v_rcp_iflag_f32_e32 v1, v1
	s_mov_b32 s8, 0
	v_mul_f32_e32 v1, 0x4f7ffffe, v1
	v_cvt_u32_f32_e32 v1, v1
	s_nop 0
	v_readfirstlane_b32 s15, v1
	s_mul_i32 s3, s3, s15
	s_mul_hi_u32 s3, s15, s3
	s_add_i32 s15, s15, s3
	s_waitcnt lgkmcnt(0)
	s_cmp_eq_u64 s[12:13], 0
	s_mul_hi_u32 s19, s18, s15
	s_cbranch_scc1 .LBB89_2
; %bb.1:
	s_ashr_i32 s3, s2, 31
	s_lshl_b64 s[16:17], s[2:3], 2
	s_add_u32 s12, s12, s16
	s_addc_u32 s13, s13, s17
	s_load_dword s8, s[12:13], 0x0
.LBB89_2:
	s_load_dword s33, s[6:7], 0x0
	s_ashr_i32 s7, s14, 31
	s_load_dwordx4 s[12:15], s[0:1], 0x48
	s_ashr_i32 s6, s2, 31
	s_lshl_b32 s16, s2, 8
	s_movk_i32 s2, 0x80
	v_and_b32_e32 v4, 3, v0
	v_cmp_gt_u32_e32 vcc, s2, v0
	s_and_saveexec_b64 s[2:3], vcc
	s_cbranch_execz .LBB89_4
; %bb.3:
	s_load_dwordx2 s[20:21], s[0:1], 0x8
	s_waitcnt lgkmcnt(0)
	s_mul_i32 s22, s12, s10
	s_ashr_i32 s23, s22, 31
	s_lshl_b64 s[22:23], s[22:23], 1
	v_lshlrev_b32_e32 v1, 2, v0
	s_add_u32 s12, s20, s22
	s_addc_u32 s15, s21, s23
	s_ashr_i32 s17, s16, 31
	s_lshl_b64 s[20:21], s[16:17], 1
	s_add_u32 s20, s12, s20
	s_addc_u32 s21, s15, s21
	global_load_dword v1, v1, s[20:21]
	v_and_b32_e32 v2, 0x3fc, v0
	v_lshl_add_u32 v2, v4, 7, v2
	s_waitcnt vmcnt(0)
	ds_write_b32 v2, v1
.LBB89_4:
	s_or_b64 exec, exec, s[2:3]
	s_waitcnt lgkmcnt(0)
	s_add_i32 s3, s33, 15
	s_ashr_i32 s12, s3, 31
	s_lshr_b32 s12, s12, 28
	s_add_i32 s3, s3, s12
	s_ashr_i32 s12, s3, 4
	s_xor_b32 s3, s6, s7
	s_mul_i32 s6, s19, s11
	s_sub_i32 s6, s18, s6
	s_add_i32 s7, s19, 1
	s_sub_i32 s15, s6, s11
	s_load_dwordx2 s[20:21], s[0:1], 0x28
	s_load_dword s2, s[0:1], 0x38
	s_cmp_ge_u32 s6, s11
	s_cselect_b32 s7, s7, s19
	s_cselect_b32 s6, s15, s6
	s_add_i32 s15, s7, 1
	s_cmp_ge_u32 s6, s11
	s_cselect_b32 s6, s15, s7
	v_lshrrev_b32_e32 v22, 6, v0
	s_xor_b32 s6, s6, s3
	s_waitcnt lgkmcnt(0)
	s_mul_i32 s22, s2, s10
	s_sub_i32 s15, s6, s3
	s_ashr_i32 s23, s22, 31
	v_cmp_gt_i32_e64 s[6:7], s12, v22
	v_cmp_le_i32_e32 vcc, s12, v22
	v_mbcnt_lo_u32_b32 v13, -1, 0
	s_barrier
                                        ; implicit-def: $vgpr6
                                        ; implicit-def: $vgpr8
                                        ; implicit-def: $vgpr7
	s_and_saveexec_b64 s[2:3], vcc
	s_xor_b64 s[2:3], exec, s[2:3]
; %bb.5:
	v_mbcnt_hi_u32_b32 v6, -1, v13
	v_and_b32_e32 v8, 64, v6
	v_add_u32_e32 v7, 64, v8
                                        ; implicit-def: $vgpr4
                                        ; implicit-def: $vgpr13
; %bb.6:
	s_or_saveexec_b64 s[26:27], s[2:3]
	s_load_dwordx2 s[18:19], s[0:1], 0x0
	s_load_dwordx2 s[24:25], s[0:1], 0x18
	s_load_dword s11, s[0:1], 0x88
	v_mov_b32_e32 v9, 0xff7fffff
	s_mul_i32 s14, s15, s14
	v_lshrrev_b32_e32 v1, 4, v0
	s_xor_b64 exec, exec, s[26:27]
	s_cbranch_execz .LBB89_12
; %bb.7:
	s_load_dwordx2 s[0:1], s[0:1], 0x10
	s_ashr_i32 s15, s14, 31
	s_lshl_b64 s[2:3], s[14:15], 1
	v_bfe_u32 v5, v0, 2, 4
	v_lshlrev_b32_e32 v6, 4, v5
	s_waitcnt lgkmcnt(0)
	s_add_u32 s0, s0, s2
	s_addc_u32 s1, s1, s3
	v_mov_b32_e32 v7, 0
	v_lshl_add_u64 v[2:3], s[0:1], 0, v[6:7]
	v_lshlrev_b32_e32 v6, 2, v0
	s_sub_i32 s15, 1, s33
	s_lshl_b64 s[0:1], s[22:23], 2
	v_and_b32_e32 v6, 12, v6
	v_lshlrev_b32_e32 v10, 7, v4
	v_cmp_eq_u32_e32 vcc, 0, v4
	v_lshlrev_b32_e32 v4, 2, v5
	s_add_u32 s0, s20, s0
	v_lshl_add_u64 v[2:3], v[2:3], 0, v[6:7]
	v_lshl_or_b32 v4, v22, 6, v4
	v_and_b32_e32 v6, 60, v1
	s_addc_u32 s1, s21, s1
	v_lshl_or_b32 v11, v22, 4, v5
	v_add_u32_e32 v12, 0x210, v4
	v_lshl_add_u64 v[4:5], s[0:1], 0, v[6:7]
	v_mbcnt_hi_u32_b32 v6, -1, v13
	v_and_b32_e32 v8, 64, v6
	s_mov_b32 s17, s13
	v_cmp_neq_f32_e64 s[2:3], s8, 0
	v_mov_b32_e32 v9, 0xff7fffff
	s_mov_b64 s[28:29], 0
	s_movk_i32 s34, 0x1000
	v_add_u32_e32 v7, 64, v8
	v_xor_b32_e32 v13, 2, v6
	v_xor_b32_e32 v14, 1, v6
	v_mov_b32_e32 v15, v22
	s_branch .LBB89_9
.LBB89_8:                               ;   in Loop: Header=BB89_9 Depth=1
	s_or_b64 exec, exec, s[30:31]
	v_add_u32_e32 v15, 2, v15
	v_cmp_le_i32_e64 s[0:1], s12, v15
	v_add_u32_e32 v11, 32, v11
	v_add_u32_e32 v12, 0x80, v12
	s_or_b64 s[28:29], s[0:1], s[28:29]
	v_lshl_add_u64 v[4:5], v[4:5], 0, 8
	s_andn2_b64 exec, exec, s[28:29]
	s_cbranch_execz .LBB89_11
.LBB89_9:                               ; =>This Inner Loop Header: Depth=1
	global_load_dword v16, v[4:5], off
	s_waitcnt vmcnt(0) lgkmcnt(0)
	v_mad_i64_i32 v[16:17], s[0:1], v16, s17, 0
	v_lshl_add_u64 v[16:17], v[16:17], 1, v[2:3]
	global_load_dword v23, v[16:17], off
	global_load_dword v25, v[16:17], off offset:256
	global_load_dword v46, v[16:17], off offset:512
	;; [unrolled: 1-line block ×4, first 2 shown]
	ds_read_b32 v18, v10
	global_load_dword v49, v[16:17], off offset:1280
	global_load_dword v50, v[16:17], off offset:1536
	;; [unrolled: 1-line block ×11, first 2 shown]
	v_add_co_u32_e64 v44, s[0:1], s34, v16
	s_waitcnt lgkmcnt(0)
	v_and_b32_e32 v52, 0xffff, v18
	v_addc_co_u32_e64 v45, s[0:1], 0, v17, s[0:1]
	v_lshrrev_b32_e32 v51, 16, v18
	global_load_dword v34, v[44:45], off
	global_load_dword v33, v[44:45], off offset:256
	global_load_dword v32, v[44:45], off offset:512
	global_load_dword v31, v[44:45], off offset:768
	global_load_dword v30, v[44:45], off offset:1024
	global_load_dword v29, v[44:45], off offset:1280
	global_load_dword v28, v[44:45], off offset:1536
	global_load_dword v27, v[44:45], off offset:1792
	global_load_dword v26, v[44:45], off offset:2048
	global_load_dword v24, v[44:45], off offset:2304
	global_load_dword v21, v[44:45], off offset:2560
	global_load_dword v20, v[44:45], off offset:2816
	global_load_dword v19, v[44:45], off offset:3072
	global_load_dword v18, v[44:45], off offset:3328
	global_load_dword v17, v[44:45], off offset:3584
	global_load_dword v16, v[44:45], off offset:3840
	;;#ASMSTART
	v_cvt_f32_f16 v44, v52;
	;;#ASMEND
	;;#ASMSTART
	v_cvt_f32_f16 v45, v51;
	;;#ASMEND
	v_cmp_lt_i32_e64 s[0:1], v13, v7
	s_waitcnt vmcnt(31)
	v_lshrrev_b32_e32 v52, 16, v23
	v_and_b32_e32 v23, 0xffff, v23
	;;#ASMSTART
	v_cvt_f32_f16 v51, v23;
	;;#ASMEND
	;;#ASMSTART
	v_cvt_f32_f16 v52, v52;
	;;#ASMEND
	ds_read_b32 v23, v10 offset:4
	s_waitcnt vmcnt(30)
	v_lshrrev_b32_e32 v54, 16, v25
	v_and_b32_e32 v53, 0xffff, v25
	s_waitcnt vmcnt(29)
	v_lshrrev_b32_e32 v57, 16, v46
	v_and_b32_e32 v56, 0xffff, v46
	s_waitcnt lgkmcnt(0)
	v_lshrrev_b32_e32 v25, 16, v23
	v_and_b32_e32 v23, 0xffff, v23
	;;#ASMSTART
	v_cvt_f32_f16 v23, v23;
	;;#ASMEND
	;;#ASMSTART
	v_cvt_f32_f16 v25, v25;
	;;#ASMEND
	;;#ASMSTART
	v_cvt_f32_f16 v53, v53;
	;;#ASMEND
	;;#ASMSTART
	v_cvt_f32_f16 v54, v54;
	;;#ASMEND
	ds_read_b32 v55, v10 offset:8
	s_waitcnt vmcnt(28)
	v_lshrrev_b32_e32 v59, 16, v47
	v_and_b32_e32 v60, 0xffff, v47
	v_mul_f32_e32 v23, v23, v53
	v_mul_f32_e32 v25, v25, v54
	s_waitcnt lgkmcnt(0)
	v_lshrrev_b32_e32 v58, 16, v55
	v_and_b32_e32 v46, 0xffff, v55
	;;#ASMSTART
	v_cvt_f32_f16 v46, v46;
	;;#ASMEND
	;;#ASMSTART
	v_cvt_f32_f16 v55, v58;
	;;#ASMEND
	;; [unrolled: 3-line block ×4, first 2 shown]
	ds_read_b32 v58, v10 offset:12
	s_waitcnt vmcnt(27)
	v_lshrrev_b32_e32 v54, 16, v48
	v_and_b32_e32 v61, 0xffff, v48
	v_fmac_f32_e32 v23, v44, v51
	v_fmac_f32_e32 v25, v45, v52
	s_waitcnt lgkmcnt(0)
	v_lshrrev_b32_e32 v53, 16, v58
	v_and_b32_e32 v47, 0xffff, v58
	;;#ASMSTART
	v_cvt_f32_f16 v47, v47;
	;;#ASMEND
	;;#ASMSTART
	v_cvt_f32_f16 v53, v53;
	;;#ASMEND
	;;#ASMSTART
	v_cvt_f32_f16 v58, v60;
	;;#ASMEND
	;;#ASMSTART
	v_cvt_f32_f16 v59, v59;
	;;#ASMEND
	ds_read_b32 v60, v10 offset:16
	s_waitcnt vmcnt(26)
	v_lshrrev_b32_e32 v52, 16, v49
	v_and_b32_e32 v49, 0xffff, v49
	v_fmac_f32_e32 v23, v46, v56
	v_fmac_f32_e32 v25, v55, v57
	s_waitcnt lgkmcnt(0)
	v_lshrrev_b32_e32 v48, 16, v60
	v_and_b32_e32 v44, 0xffff, v60
	;;#ASMSTART
	v_cvt_f32_f16 v44, v44;
	;;#ASMEND
	;;#ASMSTART
	v_cvt_f32_f16 v48, v48;
	;;#ASMEND
	;; [unrolled: 3-line block ×4, first 2 shown]
	ds_read_b32 v60, v10 offset:20
	s_waitcnt vmcnt(25)
	v_and_b32_e32 v61, 0xffff, v50
	v_fmac_f32_e32 v23, v47, v58
	s_waitcnt vmcnt(24)
	v_lshrrev_b32_e32 v58, 16, v43
	v_fmac_f32_e32 v25, v53, v59
	s_waitcnt lgkmcnt(0)
	v_lshrrev_b32_e32 v46, 16, v60
	v_and_b32_e32 v45, 0xffff, v60
	;;#ASMSTART
	v_cvt_f32_f16 v45, v45;
	;;#ASMEND
	;;#ASMSTART
	v_cvt_f32_f16 v46, v46;
	;;#ASMEND
	;; [unrolled: 3-line block ×4, first 2 shown]
	ds_read_b32 v56, v10 offset:24
	v_lshrrev_b32_e32 v60, 16, v50
	v_fmac_f32_e32 v23, v44, v51
	v_fmac_f32_e32 v25, v48, v54
	s_waitcnt vmcnt(22)
	v_lshrrev_b32_e32 v54, 16, v41
	s_waitcnt lgkmcnt(0)
	v_lshrrev_b32_e32 v55, 16, v56
	v_and_b32_e32 v50, 0xffff, v56
	;;#ASMSTART
	v_cvt_f32_f16 v50, v50;
	;;#ASMEND
	;;#ASMSTART
	v_cvt_f32_f16 v55, v55;
	;;#ASMEND
	;; [unrolled: 3-line block ×4, first 2 shown]
	ds_read_b32 v60, v10 offset:28
	v_and_b32_e32 v61, 0xffff, v43
	v_and_b32_e32 v48, 0xffff, v41
	v_fmac_f32_e32 v23, v45, v49
	v_fmac_f32_e32 v25, v46, v52
	s_waitcnt lgkmcnt(0)
	v_lshrrev_b32_e32 v47, 16, v60
	v_and_b32_e32 v43, 0xffff, v60
	;;#ASMSTART
	v_cvt_f32_f16 v43, v43;
	;;#ASMEND
	;;#ASMSTART
	v_cvt_f32_f16 v47, v47;
	;;#ASMEND
	;; [unrolled: 3-line block ×4, first 2 shown]
	ds_read_b32 v59, v10 offset:32
	v_lshrrev_b32_e32 v60, 16, v42
	v_and_b32_e32 v61, 0xffff, v42
	v_fmac_f32_e32 v23, v50, v56
	s_waitcnt vmcnt(20)
	v_lshrrev_b32_e32 v56, 16, v39
	s_waitcnt lgkmcnt(0)
	v_lshrrev_b32_e32 v44, 16, v59
	v_and_b32_e32 v42, 0xffff, v59
	;;#ASMSTART
	v_cvt_f32_f16 v42, v42;
	;;#ASMEND
	;;#ASMSTART
	v_cvt_f32_f16 v44, v44;
	;;#ASMEND
	;; [unrolled: 3-line block ×4, first 2 shown]
	ds_read_b32 v60, v10 offset:36
	v_and_b32_e32 v61, 0xffff, v40
	v_fmac_f32_e32 v25, v55, v57
	v_fmac_f32_e32 v23, v43, v53
	;; [unrolled: 1-line block ×3, first 2 shown]
	s_waitcnt lgkmcnt(0)
	v_lshrrev_b32_e32 v45, 16, v60
	v_and_b32_e32 v41, 0xffff, v60
	;;#ASMSTART
	v_cvt_f32_f16 v41, v41;
	;;#ASMEND
	;;#ASMSTART
	v_cvt_f32_f16 v45, v45;
	;;#ASMEND
	;; [unrolled: 3-line block ×4, first 2 shown]
	ds_read_b32 v54, v10 offset:40
	v_lshrrev_b32_e32 v60, 16, v40
	s_waitcnt vmcnt(18)
	v_lshrrev_b32_e32 v58, 16, v37
	v_and_b32_e32 v37, 0xffff, v37
	v_fmac_f32_e32 v23, v42, v51
	s_waitcnt lgkmcnt(0)
	v_lshrrev_b32_e32 v46, 16, v54
	v_and_b32_e32 v40, 0xffff, v54
	;;#ASMSTART
	v_cvt_f32_f16 v40, v40;
	;;#ASMEND
	;;#ASMSTART
	v_cvt_f32_f16 v46, v46;
	;;#ASMEND
	;; [unrolled: 3-line block ×4, first 2 shown]
	ds_read_b32 v60, v10 offset:44
	v_and_b32_e32 v61, 0xffff, v39
	s_waitcnt vmcnt(17)
	v_and_b32_e32 v62, 0xffff, v36
	v_fmac_f32_e32 v25, v44, v59
	v_fmac_f32_e32 v23, v41, v48
	s_waitcnt lgkmcnt(0)
	v_lshrrev_b32_e32 v50, 16, v60
	v_and_b32_e32 v39, 0xffff, v60
	;;#ASMSTART
	v_cvt_f32_f16 v39, v39;
	;;#ASMEND
	;;#ASMSTART
	v_cvt_f32_f16 v50, v50;
	;;#ASMEND
	;; [unrolled: 3-line block ×4, first 2 shown]
	ds_read_b32 v57, v10 offset:48
	v_lshrrev_b32_e32 v60, 16, v38
	v_and_b32_e32 v38, 0xffff, v38
	v_lshrrev_b32_e32 v61, 16, v36
	s_waitcnt vmcnt(16)
	v_lshrrev_b32_e32 v48, 16, v35
	s_waitcnt lgkmcnt(0)
	v_lshrrev_b32_e32 v53, 16, v57
	v_and_b32_e32 v43, 0xffff, v57
	;;#ASMSTART
	v_cvt_f32_f16 v43, v43;
	;;#ASMEND
	;;#ASMSTART
	v_cvt_f32_f16 v53, v53;
	;;#ASMEND
	;; [unrolled: 3-line block ×4, first 2 shown]
	ds_read_b32 v38, v10 offset:52
	v_fmac_f32_e32 v25, v45, v49
	v_fmac_f32_e32 v23, v40, v52
	;; [unrolled: 1-line block ×3, first 2 shown]
	s_waitcnt vmcnt(14)
	v_lshrrev_b32_e32 v54, 16, v33
	s_waitcnt lgkmcnt(0)
	v_lshrrev_b32_e32 v47, 16, v38
	v_and_b32_e32 v38, 0xffff, v38
	;;#ASMSTART
	v_cvt_f32_f16 v42, v38;
	;;#ASMEND
	;;#ASMSTART
	v_cvt_f32_f16 v47, v47;
	;;#ASMEND
	;; [unrolled: 3-line block ×4, first 2 shown]
	ds_read_b32 v37, v10 offset:56
	v_and_b32_e32 v46, 0xffff, v33
	v_fmac_f32_e32 v23, v39, v55
	v_fmac_f32_e32 v25, v50, v56
	;; [unrolled: 1-line block ×3, first 2 shown]
	s_waitcnt lgkmcnt(0)
	v_lshrrev_b32_e32 v36, 16, v37
	v_and_b32_e32 v37, 0xffff, v37
	;;#ASMSTART
	v_cvt_f32_f16 v38, v37;
	;;#ASMEND
	;;#ASMSTART
	v_cvt_f32_f16 v36, v36;
	;;#ASMEND
	;; [unrolled: 3-line block ×4, first 2 shown]
	ds_read_b32 v59, v10 offset:60
	v_and_b32_e32 v61, 0xffff, v35
	s_waitcnt vmcnt(12)
	v_lshrrev_b32_e32 v57, 16, v31
	v_fmac_f32_e32 v25, v53, v60
	s_waitcnt vmcnt(11)
	v_lshrrev_b32_e32 v60, 16, v30
	s_waitcnt lgkmcnt(0)
	v_lshrrev_b32_e32 v41, 16, v59
	v_and_b32_e32 v35, 0xffff, v59
	;;#ASMSTART
	v_cvt_f32_f16 v35, v35;
	;;#ASMEND
	;;#ASMSTART
	v_cvt_f32_f16 v41, v41;
	;;#ASMEND
	;; [unrolled: 3-line block ×4, first 2 shown]
	ds_read_b32 v49, v10 offset:64
	v_lshrrev_b32_e32 v59, 16, v34
	v_and_b32_e32 v61, 0xffff, v34
	v_fmac_f32_e32 v23, v42, v51
	v_fmac_f32_e32 v25, v47, v58
	s_waitcnt lgkmcnt(0)
	v_lshrrev_b32_e32 v40, 16, v49
	v_and_b32_e32 v34, 0xffff, v49
	;;#ASMSTART
	v_cvt_f32_f16 v34, v34;
	;;#ASMEND
	;;#ASMSTART
	v_cvt_f32_f16 v40, v40;
	;;#ASMEND
	;; [unrolled: 3-line block ×4, first 2 shown]
	ds_read_b32 v59, v10 offset:68
	v_and_b32_e32 v61, 0xffff, v32
	v_fmac_f32_e32 v23, v38, v44
	v_fmac_f32_e32 v23, v35, v45
	;; [unrolled: 1-line block ×3, first 2 shown]
	s_waitcnt lgkmcnt(0)
	v_lshrrev_b32_e32 v39, 16, v59
	v_and_b32_e32 v33, 0xffff, v59
	;;#ASMSTART
	v_cvt_f32_f16 v33, v33;
	;;#ASMEND
	;;#ASMSTART
	v_cvt_f32_f16 v39, v39;
	;;#ASMEND
	;; [unrolled: 3-line block ×4, first 2 shown]
	ds_read_b32 v55, v10 offset:72
	v_lshrrev_b32_e32 v59, 16, v32
	s_waitcnt vmcnt(8)
	v_lshrrev_b32_e32 v62, 16, v27
	v_fmac_f32_e32 v25, v41, v48
	v_fmac_f32_e32 v23, v34, v49
	s_waitcnt lgkmcnt(0)
	v_lshrrev_b32_e32 v50, 16, v55
	v_and_b32_e32 v32, 0xffff, v55
	;;#ASMSTART
	v_cvt_f32_f16 v32, v32;
	;;#ASMEND
	;;#ASMSTART
	v_cvt_f32_f16 v50, v50;
	;;#ASMEND
	;; [unrolled: 3-line block ×4, first 2 shown]
	ds_read_b32 v59, v10 offset:76
	v_and_b32_e32 v61, 0xffff, v31
	v_fmac_f32_e32 v25, v40, v52
	v_fmac_f32_e32 v23, v33, v46
	;; [unrolled: 1-line block ×3, first 2 shown]
	s_waitcnt lgkmcnt(0)
	v_lshrrev_b32_e32 v43, 16, v59
	v_and_b32_e32 v31, 0xffff, v59
	;;#ASMSTART
	v_cvt_f32_f16 v31, v31;
	;;#ASMEND
	;;#ASMSTART
	v_cvt_f32_f16 v43, v43;
	;;#ASMEND
	;; [unrolled: 3-line block ×4, first 2 shown]
	ds_read_b32 v59, v10 offset:80
	v_and_b32_e32 v61, 0xffff, v30
	v_fmac_f32_e32 v25, v39, v54
	v_fmac_f32_e32 v25, v50, v56
	;; [unrolled: 1-line block ×3, first 2 shown]
	s_waitcnt lgkmcnt(0)
	v_lshrrev_b32_e32 v42, 16, v59
	v_and_b32_e32 v30, 0xffff, v59
	;;#ASMSTART
	v_cvt_f32_f16 v30, v30;
	;;#ASMEND
	;;#ASMSTART
	v_cvt_f32_f16 v42, v42;
	;;#ASMEND
	;;#ASMSTART
	v_cvt_f32_f16 v47, v61;
	;;#ASMEND
	;;#ASMSTART
	v_cvt_f32_f16 v51, v60;
	;;#ASMEND
	ds_read_b32 v58, v10 offset:84
	v_lshrrev_b32_e32 v59, 16, v29
	v_and_b32_e32 v60, 0xffff, v29
	v_lshrrev_b32_e32 v61, 16, v28
	v_fmac_f32_e32 v25, v43, v57
	s_waitcnt lgkmcnt(0)
	v_lshrrev_b32_e32 v38, 16, v58
	v_and_b32_e32 v29, 0xffff, v58
	;;#ASMSTART
	v_cvt_f32_f16 v29, v29;
	;;#ASMEND
	;;#ASMSTART
	v_cvt_f32_f16 v38, v38;
	;;#ASMEND
	;; [unrolled: 3-line block ×4, first 2 shown]
	ds_read_b32 v59, v10 offset:88
	v_and_b32_e32 v60, 0xffff, v28
	v_fmac_f32_e32 v23, v30, v47
	v_fmac_f32_e32 v25, v42, v51
	s_waitcnt vmcnt(5)
	v_lshrrev_b32_e32 v42, 16, v21
	s_waitcnt lgkmcnt(0)
	v_lshrrev_b32_e32 v35, 16, v59
	v_and_b32_e32 v28, 0xffff, v59
	;;#ASMSTART
	v_cvt_f32_f16 v28, v28;
	;;#ASMEND
	;;#ASMSTART
	v_cvt_f32_f16 v35, v35;
	;;#ASMEND
	;; [unrolled: 3-line block ×4, first 2 shown]
	ds_read_b32 v45, v10 offset:92
	v_and_b32_e32 v59, 0xffff, v27
	v_lshrrev_b32_e32 v60, 16, v26
	v_and_b32_e32 v61, 0xffff, v26
	v_and_b32_e32 v21, 0xffff, v21
	s_waitcnt lgkmcnt(0)
	v_lshrrev_b32_e32 v27, 16, v45
	v_and_b32_e32 v26, 0xffff, v45
	;;#ASMSTART
	v_cvt_f32_f16 v26, v26;
	;;#ASMEND
	;;#ASMSTART
	v_cvt_f32_f16 v27, v27;
	;;#ASMEND
	;; [unrolled: 3-line block ×4, first 2 shown]
	ds_read_b32 v48, v10 offset:96
	v_lshrrev_b32_e32 v59, 16, v24
	v_and_b32_e32 v62, 0xffff, v24
	v_fmac_f32_e32 v23, v29, v44
	v_fmac_f32_e32 v25, v38, v58
	s_waitcnt lgkmcnt(0)
	v_lshrrev_b32_e32 v34, 16, v48
	v_and_b32_e32 v24, 0xffff, v48
	;;#ASMSTART
	v_cvt_f32_f16 v24, v24;
	;;#ASMEND
	;;#ASMSTART
	v_cvt_f32_f16 v34, v34;
	;;#ASMEND
	;;#ASMSTART
	v_cvt_f32_f16 v40, v61;
	;;#ASMEND
	;;#ASMSTART
	v_cvt_f32_f16 v48, v60;
	;;#ASMEND
	ds_read_b32 v49, v10 offset:100
	v_fmac_f32_e32 v23, v28, v36
	v_fmac_f32_e32 v25, v35, v37
	s_waitcnt vmcnt(4)
	v_lshrrev_b32_e32 v35, 16, v20
	v_and_b32_e32 v20, 0xffff, v20
	s_waitcnt lgkmcnt(0)
	v_lshrrev_b32_e32 v33, 16, v49
	v_and_b32_e32 v32, 0xffff, v49
	;;#ASMSTART
	v_cvt_f32_f16 v32, v32;
	;;#ASMEND
	;;#ASMSTART
	v_cvt_f32_f16 v33, v33;
	;;#ASMEND
	;; [unrolled: 3-line block ×4, first 2 shown]
	ds_read_b32 v49, v10 offset:104
	v_fmac_f32_e32 v23, v26, v41
	v_fmac_f32_e32 v25, v27, v45
	;; [unrolled: 1-line block ×3, first 2 shown]
	s_waitcnt vmcnt(3)
	v_lshrrev_b32_e32 v27, 16, v19
	s_waitcnt lgkmcnt(0)
	v_lshrrev_b32_e32 v31, 16, v49
	v_and_b32_e32 v30, 0xffff, v49
	;;#ASMSTART
	v_cvt_f32_f16 v30, v30;
	;;#ASMEND
	;;#ASMSTART
	v_cvt_f32_f16 v31, v31;
	;;#ASMEND
	;; [unrolled: 3-line block ×4, first 2 shown]
	ds_read_b32 v43, v10 offset:108
	v_and_b32_e32 v19, 0xffff, v19
	v_fmac_f32_e32 v25, v34, v48
	v_fmac_f32_e32 v23, v32, v39
	;; [unrolled: 1-line block ×3, first 2 shown]
	s_waitcnt lgkmcnt(0)
	v_lshrrev_b32_e32 v29, 16, v43
	v_and_b32_e32 v28, 0xffff, v43
	;;#ASMSTART
	v_cvt_f32_f16 v28, v28;
	;;#ASMEND
	;;#ASMSTART
	v_cvt_f32_f16 v29, v29;
	;;#ASMEND
	;; [unrolled: 3-line block ×4, first 2 shown]
	ds_read_b32 v36, v10 offset:112
	v_fmac_f32_e32 v23, v30, v21
	v_fmac_f32_e32 v25, v31, v42
	s_waitcnt vmcnt(2)
	v_lshrrev_b32_e32 v31, 16, v18
	v_and_b32_e32 v18, 0xffff, v18
	s_waitcnt lgkmcnt(0)
	v_lshrrev_b32_e32 v26, 16, v36
	v_and_b32_e32 v24, 0xffff, v36
	;;#ASMSTART
	v_cvt_f32_f16 v24, v24;
	;;#ASMEND
	;;#ASMSTART
	v_cvt_f32_f16 v26, v26;
	;;#ASMEND
	;; [unrolled: 3-line block ×4, first 2 shown]
	ds_read_b32 v34, v10 offset:116
	v_fmac_f32_e32 v23, v28, v20
	v_fmac_f32_e32 v25, v29, v35
	;; [unrolled: 1-line block ×3, first 2 shown]
	s_waitcnt vmcnt(1)
	v_lshrrev_b32_e32 v24, 16, v17
	s_waitcnt lgkmcnt(0)
	v_lshrrev_b32_e32 v30, 16, v34
	v_and_b32_e32 v21, 0xffff, v34
	;;#ASMSTART
	v_cvt_f32_f16 v21, v21;
	;;#ASMEND
	;;#ASMSTART
	v_cvt_f32_f16 v30, v30;
	;;#ASMEND
	;; [unrolled: 3-line block ×4, first 2 shown]
	ds_read_b32 v32, v10 offset:120
	v_and_b32_e32 v17, 0xffff, v17
	v_fmac_f32_e32 v25, v26, v27
	v_fmac_f32_e32 v23, v21, v18
	;; [unrolled: 1-line block ×3, first 2 shown]
	s_waitcnt lgkmcnt(0)
	v_lshrrev_b32_e32 v20, 16, v32
	v_and_b32_e32 v19, 0xffff, v32
	;;#ASMSTART
	v_cvt_f32_f16 v19, v19;
	;;#ASMEND
	;;#ASMSTART
	v_cvt_f32_f16 v20, v20;
	;;#ASMEND
	;;#ASMSTART
	v_cvt_f32_f16 v17, v17;
	;;#ASMEND
	;;#ASMSTART
	v_cvt_f32_f16 v24, v24;
	;;#ASMEND
	ds_read_b32 v26, v10 offset:124
	v_fmac_f32_e32 v23, v19, v17
	v_fmac_f32_e32 v25, v20, v24
	s_waitcnt vmcnt(0)
	v_lshrrev_b32_e32 v19, 16, v16
	v_and_b32_e32 v16, 0xffff, v16
	s_waitcnt lgkmcnt(0)
	v_and_b32_e32 v17, 0xffff, v26
	v_lshrrev_b32_e32 v18, 16, v26
	;;#ASMSTART
	v_cvt_f32_f16 v17, v17;
	;;#ASMEND
	;;#ASMSTART
	v_cvt_f32_f16 v18, v18;
	;;#ASMEND
	;; [unrolled: 3-line block ×4, first 2 shown]
	s_nop 0
	v_fmac_f32_e32 v23, v17, v16
	v_fmac_f32_e32 v25, v18, v19
	v_cndmask_b32_e64 v17, v6, v13, s[0:1]
	v_add_f32_e32 v16, v23, v25
	v_lshlrev_b32_e32 v17, 2, v17
	ds_bpermute_b32 v17, v17, v16
	v_cmp_lt_i32_e64 s[0:1], v14, v7
	s_waitcnt lgkmcnt(0)
	v_add_f32_e32 v16, v16, v17
	v_cndmask_b32_e64 v17, v6, v14, s[0:1]
	v_lshlrev_b32_e32 v17, 2, v17
	ds_bpermute_b32 v17, v17, v16
	s_and_saveexec_b64 s[30:31], vcc
	s_cbranch_execz .LBB89_8
; %bb.10:                               ;   in Loop: Header=BB89_9 Depth=1
	v_add_u32_e32 v18, s15, v11
	v_cvt_f32_i32_e32 v18, v18
	s_waitcnt lgkmcnt(0)
	v_add_f32_e32 v16, v16, v17
	v_cmp_gt_i32_e64 s[0:1], s33, v11
	v_max_f32_e32 v17, v9, v9
	v_mul_f32_e32 v18, s8, v18
	v_cndmask_b32_e64 v18, 0, v18, s[2:3]
	v_fmac_f32_e32 v18, s9, v16
	v_cndmask_b32_e64 v16, 0, v18, s[0:1]
	ds_write_b32 v12, v16
	v_max_f32_e32 v16, v17, v18
	v_cndmask_b32_e64 v9, v9, v16, s[0:1]
	s_branch .LBB89_8
.LBB89_11:
	s_or_b64 exec, exec, s[28:29]
.LBB89_12:
	s_or_b64 exec, exec, s[26:27]
	v_xor_b32_e32 v2, 32, v6
	v_cmp_lt_i32_e32 vcc, v2, v7
	v_xor_b32_e32 v5, 16, v6
	v_max_f32_e32 v4, v9, v9
	v_cndmask_b32_e32 v2, v6, v2, vcc
	v_lshlrev_b32_e32 v2, 2, v2
	ds_bpermute_b32 v3, v2, v9
	v_cmp_lt_i32_e32 vcc, v5, v7
	v_xor_b32_e32 v9, 8, v6
	v_xor_b32_e32 v10, 4, v6
	v_and_b32_e32 v23, 63, v0
	s_waitcnt lgkmcnt(0)
	v_max_f32_e32 v3, v3, v3
	v_max_f32_e32 v4, v4, v3
	v_cndmask_b32_e32 v3, v6, v5, vcc
	v_lshlrev_b32_e32 v3, 2, v3
	ds_bpermute_b32 v5, v3, v4
	v_cmp_lt_i32_e32 vcc, v9, v7
	s_waitcnt lgkmcnt(0)
	v_max_f32_e32 v5, v5, v5
	v_max_f32_e32 v4, v4, v5
	v_cndmask_b32_e32 v5, v6, v9, vcc
	v_lshlrev_b32_e32 v9, 2, v5
	ds_bpermute_b32 v5, v9, v4
	v_cmp_lt_i32_e32 vcc, v10, v7
	s_waitcnt lgkmcnt(0)
	v_max_f32_e32 v5, v5, v5
	v_max_f32_e32 v5, v4, v5
	v_cndmask_b32_e32 v4, v6, v10, vcc
	v_lshlrev_b32_e32 v10, 2, v4
	ds_bpermute_b32 v11, v10, v5
	v_cmp_eq_u32_e32 vcc, 0, v23
	v_lshlrev_b32_e32 v4, 2, v22
	s_and_saveexec_b64 s[0:1], vcc
	s_cbranch_execz .LBB89_14
; %bb.13:
	s_waitcnt lgkmcnt(0)
	v_max_f32_e32 v11, v11, v11
	v_max_f32_e32 v5, v5, v5
	;; [unrolled: 1-line block ×3, first 2 shown]
	ds_write_b32 v4, v5 offset:512
.LBB89_14:
	s_or_b64 exec, exec, s[0:1]
	v_cmp_gt_u32_e64 s[0:1], 2, v23
	s_waitcnt lgkmcnt(0)
	v_mov_b32_e32 v11, 0xff7fffff
	v_lshlrev_b32_e32 v5, 2, v23
	s_barrier
	s_and_saveexec_b64 s[2:3], s[0:1]
; %bb.15:
	ds_read_b32 v11, v5 offset:512
; %bb.16:
	s_or_b64 exec, exec, s[2:3]
	v_xor_b32_e32 v12, 1, v6
	v_cmp_lt_i32_e64 s[2:3], v12, v7
	v_lshlrev_b32_e32 v8, 2, v8
	s_nop 0
	v_cndmask_b32_e64 v12, v6, v12, s[2:3]
	v_lshlrev_b32_e32 v24, 2, v12
	s_waitcnt lgkmcnt(0)
	ds_bpermute_b32 v12, v24, v11
	v_max_f32_e32 v11, v11, v11
	s_lshl_b32 s2, s12, 4
	s_min_i32 s15, s2, s33
	v_cmp_gt_i32_e64 s[2:3], s15, v0
	s_waitcnt lgkmcnt(0)
	v_max_f32_e32 v12, v12, v12
	v_max_f32_e32 v11, v11, v12
	ds_bpermute_b32 v11, v8, v11
	v_mov_b32_e32 v8, 0
	s_and_saveexec_b64 s[26:27], s[2:3]
	s_cbranch_execz .LBB89_20
; %bb.17:
	v_mov_b32_e32 v8, 0x210
	v_lshl_add_u32 v12, v0, 2, v8
	v_mov_b32_e32 v8, 0
	s_mov_b64 s[28:29], 0
	v_mov_b32_e32 v13, v0
.LBB89_18:                              ; =>This Inner Loop Header: Depth=1
	ds_read_b32 v14, v12
	v_add_u32_e32 v13, 0x80, v13
	v_cmp_le_i32_e64 s[8:9], s15, v13
	s_or_b64 s[28:29], s[8:9], s[28:29]
	s_waitcnt lgkmcnt(0)
	v_sub_f32_e32 v14, v14, v11
	v_mul_f32_e32 v14, 0x3fb8aa3b, v14
	v_exp_f32_e32 v14, v14
	ds_write_b32 v12, v14
	v_add_f32_e32 v8, v8, v14
	v_add_u32_e32 v12, 0x200, v12
	s_andn2_b64 exec, exec, s[28:29]
	s_cbranch_execnz .LBB89_18
; %bb.19:
	s_or_b64 exec, exec, s[28:29]
.LBB89_20:
	s_or_b64 exec, exec, s[26:27]
	ds_bpermute_b32 v2, v2, v8
	s_waitcnt lgkmcnt(0)
	v_add_f32_e32 v2, v8, v2
	ds_bpermute_b32 v3, v3, v2
	v_xor_b32_e32 v8, 2, v6
	v_cmp_lt_i32_e64 s[8:9], v8, v7
	s_waitcnt lgkmcnt(0)
	v_add_f32_e32 v2, v2, v3
	ds_bpermute_b32 v3, v9, v2
	v_cndmask_b32_e64 v7, v6, v8, s[8:9]
	s_waitcnt lgkmcnt(0)
	v_add_f32_e32 v2, v2, v3
	ds_bpermute_b32 v3, v10, v2
	s_waitcnt lgkmcnt(0)
	v_add_f32_e32 v2, v2, v3
	v_lshlrev_b32_e32 v3, 2, v7
	ds_bpermute_b32 v3, v3, v2
	s_waitcnt lgkmcnt(0)
	v_add_f32_e32 v2, v2, v3
	ds_bpermute_b32 v3, v24, v2
	s_waitcnt lgkmcnt(0)
	v_add_f32_e32 v2, v2, v3
	s_and_saveexec_b64 s[8:9], vcc
; %bb.21:
	ds_write_b32 v4, v2 offset:520
; %bb.22:
	s_or_b64 exec, exec, s[8:9]
	s_waitcnt lgkmcnt(0)
	s_barrier
	s_and_saveexec_b64 s[8:9], s[0:1]
; %bb.23:
	ds_read_b32 v2, v5 offset:520
; %bb.24:
	s_or_b64 exec, exec, s[8:9]
	s_waitcnt lgkmcnt(0)
	ds_bpermute_b32 v3, v24, v2
	v_lshlrev_b32_e32 v4, 2, v6
	s_waitcnt lgkmcnt(0)
	v_add_f32_e32 v2, v2, v3
	v_and_b32_e32 v3, 0xffffff00, v4
	ds_bpermute_b32 v2, v3, v2
	s_and_saveexec_b64 s[0:1], s[2:3]
	s_cbranch_execz .LBB89_37
; %bb.25:
	s_waitcnt lgkmcnt(0)
	v_add_f32_e32 v2, 0x358637bd, v2
	v_div_scale_f32 v3, s[2:3], v2, v2, 1.0
	v_rcp_f32_e32 v4, v3
	v_div_scale_f32 v5, vcc, 1.0, v2, 1.0
	s_movk_i32 s2, 0x7f
	v_fma_f32 v6, -v3, v4, 1.0
	v_fmac_f32_e32 v4, v6, v4
	v_mul_f32_e32 v6, v5, v4
	v_fma_f32 v7, -v3, v6, v5
	v_fmac_f32_e32 v6, v7, v4
	v_fma_f32 v3, -v3, v6, v5
	v_div_fmas_f32 v3, v3, v4, v6
	v_xad_u32 v4, v0, -1, s15
	v_div_fixup_f32 v2, v3, v2, 1.0
	v_cmp_lt_u32_e32 vcc, s2, v4
	s_mov_b64 s[8:9], -1
	v_mov_b32_e32 v3, v0
	s_and_saveexec_b64 s[2:3], vcc
	s_cbranch_execz .LBB89_34
; %bb.26:
	v_lshrrev_b32_e32 v4, 7, v4
	v_add_u32_e32 v6, -1, v4
	v_lshrrev_b32_e32 v5, 1, v6
	v_mov_b32_e32 v3, v2
	v_add_u32_e32 v5, 1, v5
	v_cmp_lt_u32_e32 vcc, 13, v6
	v_mov_b32_e32 v8, 0
	s_and_saveexec_b64 s[8:9], vcc
	s_cbranch_execz .LBB89_30
; %bb.27:
	v_mov_b32_e32 v7, 0x210
	v_and_b32_e32 v6, -8, v5
	v_lshl_add_u32 v7, v0, 2, v7
	s_mov_b32 s17, 0
	s_mov_b64 s[26:27], 0
.LBB89_28:                              ; =>This Inner Loop Header: Depth=1
	ds_read2st64_b32 v[8:9], v7 offset1:2
	ds_read2st64_b32 v[10:11], v7 offset0:4 offset1:6
	ds_read2st64_b32 v[12:13], v7 offset0:8 offset1:10
	;; [unrolled: 1-line block ×3, first 2 shown]
	v_add_u32_e32 v6, -8, v6
	s_waitcnt lgkmcnt(3)
	v_pk_mul_f32 v[8:9], v[2:3], v[8:9]
	s_waitcnt lgkmcnt(2)
	v_pk_mul_f32 v[10:11], v[2:3], v[10:11]
	ds_write2st64_b32 v7, v8, v9 offset1:2
	ds_write2st64_b32 v7, v10, v11 offset0:4 offset1:6
	ds_read2st64_b32 v[10:11], v7 offset0:16 offset1:18
	s_waitcnt lgkmcnt(4)
	v_pk_mul_f32 v[8:9], v[2:3], v[12:13]
	ds_write2st64_b32 v7, v8, v9 offset0:8 offset1:10
	s_waitcnt lgkmcnt(4)
	v_pk_mul_f32 v[8:9], v[2:3], v[14:15]
	ds_write2st64_b32 v7, v8, v9 offset0:12 offset1:14
	ds_read2st64_b32 v[8:9], v7 offset0:20 offset1:22
	s_waitcnt lgkmcnt(3)
	v_pk_mul_f32 v[10:11], v[2:3], v[10:11]
	ds_read2st64_b32 v[12:13], v7 offset0:24 offset1:26
	ds_write2st64_b32 v7, v10, v11 offset0:16 offset1:18
	ds_read2st64_b32 v[10:11], v7 offset0:28 offset1:30
	s_waitcnt lgkmcnt(3)
	v_pk_mul_f32 v[8:9], v[2:3], v[8:9]
	ds_write2st64_b32 v7, v8, v9 offset0:20 offset1:22
	s_waitcnt lgkmcnt(3)
	v_pk_mul_f32 v[8:9], v[2:3], v[12:13]
	ds_write2st64_b32 v7, v8, v9 offset0:24 offset1:26
	s_waitcnt lgkmcnt(2)
	v_pk_mul_f32 v[8:9], v[2:3], v[10:11]
	s_add_i32 s17, s17, 16
	v_cmp_eq_u32_e32 vcc, 0, v6
	ds_write2st64_b32 v7, v8, v9 offset0:28 offset1:30
	v_add_u32_e32 v7, 0x2000, v7
	s_or_b64 s[26:27], vcc, s[26:27]
	v_mov_b32_e32 v8, s17
	s_andn2_b64 exec, exec, s[26:27]
	s_cbranch_execnz .LBB89_28
; %bb.29:
	s_or_b64 exec, exec, s[26:27]
.LBB89_30:
	s_or_b64 exec, exec, s[8:9]
	v_and_b32_e32 v5, 7, v5
	v_cmp_ne_u32_e32 vcc, 0, v5
	s_and_saveexec_b64 s[8:9], vcc
	s_cbranch_execz .LBB89_33
; %bb.31:
	v_lshlrev_b32_e32 v6, 9, v8
	v_lshlrev_b32_e32 v7, 2, v0
	s_movk_i32 s17, 0x210
	v_add3_u32 v6, v6, v7, s17
	s_mov_b64 s[26:27], 0
.LBB89_32:                              ; =>This Inner Loop Header: Depth=1
	ds_read2st64_b32 v[8:9], v6 offset1:2
	v_add_u32_e32 v5, -1, v5
	v_cmp_eq_u32_e32 vcc, 0, v5
	s_or_b64 s[26:27], vcc, s[26:27]
	s_waitcnt lgkmcnt(0)
	v_pk_mul_f32 v[8:9], v[2:3], v[8:9]
	ds_write2st64_b32 v6, v8, v9 offset1:2
	v_add_u32_e32 v6, 0x400, v6
	s_andn2_b64 exec, exec, s[26:27]
	s_cbranch_execnz .LBB89_32
.LBB89_33:
	s_or_b64 exec, exec, s[8:9]
	v_add_u32_e32 v4, 1, v4
	v_and_b32_e32 v5, 0x3fffffe, v4
	v_cmp_ne_u32_e32 vcc, v4, v5
	v_lshl_add_u32 v3, v5, 7, v0
	s_orn2_b64 s[8:9], vcc, exec
.LBB89_34:
	s_or_b64 exec, exec, s[2:3]
	s_and_b64 exec, exec, s[8:9]
	s_cbranch_execz .LBB89_37
; %bb.35:
	v_mov_b32_e32 v4, 0x210
	v_lshl_add_u32 v4, v3, 2, v4
	s_mov_b64 s[2:3], 0
.LBB89_36:                              ; =>This Inner Loop Header: Depth=1
	ds_read_b32 v5, v4
	v_add_u32_e32 v3, 0x80, v3
	v_cmp_le_i32_e32 vcc, s15, v3
	s_or_b64 s[2:3], vcc, s[2:3]
	s_waitcnt lgkmcnt(0)
	v_mul_f32_e32 v5, v2, v5
	ds_write_b32 v4, v5
	v_add_u32_e32 v4, 0x200, v4
	s_andn2_b64 exec, exec, s[2:3]
	s_cbranch_execnz .LBB89_36
.LBB89_37:
	s_or_b64 exec, exec, s[0:1]
	v_mov_b32_e32 v7, 0
	v_and_b32_e32 v25, 1, v0
	v_mov_b32_e32 v6, v7
	v_mov_b32_e32 v9, v7
	;; [unrolled: 1-line block ×7, first 2 shown]
	s_waitcnt lgkmcnt(0)
	s_barrier
	s_and_saveexec_b64 s[2:3], s[6:7]
	s_cbranch_execz .LBB89_57
; %bb.38:
	s_ashr_i32 s15, s14, 31
	s_lshl_b64 s[0:1], s[14:15], 1
	s_add_u32 s0, s24, s0
	v_lshlrev_b32_e32 v3, 4, v0
	v_lshlrev_b32_e32 v2, 3, v0
	s_addc_u32 s1, s25, s1
	v_and_b32_e32 v14, 0x3f0, v3
	v_mov_b32_e32 v15, 0
	v_and_b32_e32 v2, 8, v2
	s_add_i32 s14, s12, -1
	v_lshl_add_u64 v[16:17], s[0:1], 0, v[14:15]
	s_lshl_b64 s[0:1], s[22:23], 2
	v_lshl_or_b32 v26, v22, 4, v2
	v_lshlrev_b32_e32 v2, 5, v25
	s_add_u32 s0, s20, s0
	v_lshl_or_b32 v2, v22, 6, v2
	v_and_b32_e32 v14, 60, v1
	s_addc_u32 s1, s21, s1
	s_mov_b32 s15, s33
	v_add_u32_e32 v27, 0x210, v2
	v_lshl_add_u64 v[18:19], s[0:1], 0, v[14:15]
	s_mov_b64 s[6:7], 0
	s_mov_b32 s17, 0xffff
	s_movk_i32 s20, 0x1000
	v_mov_b32_e32 v7, 0
	v_mov_b32_e32 v6, 0
	;; [unrolled: 1-line block ×8, first 2 shown]
	s_branch .LBB89_40
.LBB89_39:                              ;   in Loop: Header=BB89_40 Depth=1
	s_or_b64 exec, exec, s[8:9]
	v_lshlrev_b32_e32 v14, 16, v14
	v_lshlrev_b32_e32 v1, 16, v1
	v_and_or_b32 v2, v2, s17, v14
	v_and_or_b32 v1, v3, s17, v1
	v_lshlrev_b32_e32 v3, 16, v20
	v_add_f32_e32 v21, v51, v52
	v_and_or_b32 v3, v4, s17, v3
	;;#ASMSTART
	v_pk_mul_f16 v2, v34, v2;

	;;#ASMEND
	;;#ASMSTART
	v_pk_mul_f16 v1, v35, v1;

	;;#ASMEND
	v_add_f32_e32 v6, v6, v21
	v_add_f32_e32 v21, v49, v50
	;;#ASMSTART
	v_pk_mul_f16 v3, v36, v3;

	;;#ASMEND
	;;#ASMSTART
	v_pk_mul_f16 v4, v37, v5;

	;;#ASMEND
	;;#ASMSTART
	v_pk_add_f16 v1, v2, v1;

	;;#ASMEND
	v_add_f32_e32 v9, v9, v21
	v_add_f32_e32 v21, v47, v48
	;;#ASMSTART
	v_pk_add_f16 v1, v1, v3;

	;;#ASMEND
	v_add_f32_e32 v8, v8, v21
	v_add_f32_e32 v21, v45, v46
	;; [unrolled: 6-line block ×3, first 2 shown]
	v_lshrrev_b32_e32 v2, 16, v1
	v_and_b32_e32 v1, 0xffff, v1
	v_add_f32_e32 v10, v10, v21
	v_add_f32_e32 v21, v41, v42
	;;#ASMSTART
	v_cvt_f32_f16 v1, v1;
	;;#ASMEND
	v_add_u32_e32 v22, 2, v22
	v_add_f32_e32 v13, v13, v21
	v_add_f32_e32 v21, v39, v40
	;;#ASMSTART
	v_cvt_f32_f16 v2, v2;
	;;#ASMEND
	v_cmp_le_i32_e32 vcc, s12, v22
	v_add_f32_e32 v1, v1, v2
	v_add_f32_e32 v12, v12, v21
	;; [unrolled: 1-line block ×3, first 2 shown]
	v_add_u32_e32 v26, 32, v26
	v_add_u32_e32 v27, 0x80, v27
	s_or_b64 s[6:7], vcc, s[6:7]
	v_lshl_add_u64 v[18:19], v[18:19], 0, 8
	s_andn2_b64 exec, exec, s[6:7]
	s_cbranch_execz .LBB89_56
.LBB89_40:                              ; =>This Inner Loop Header: Depth=1
	global_load_dword v1, v[18:19], off
	ds_read2_b64 v[2:5], v27 offset1:1
	ds_read2_b64 v[28:31], v27 offset0:2 offset1:3
	v_add_u32_e32 v32, 2, v26
	v_or_b32_e32 v33, 3, v26
	s_waitcnt lgkmcnt(1)
	;;#ASMSTART
	v_cvt_f16_f32 v34, v2;

	;;#ASMEND
	;;#ASMSTART
	v_cvt_f16_f32 v35, v3;

	;;#ASMEND
	;; [unrolled: 4-line block ×4, first 2 shown]
	s_waitcnt lgkmcnt(0)
	;;#ASMSTART
	v_cvt_f16_f32 v39, v28;

	;;#ASMEND
	;;#ASMSTART
	v_cvt_f16_f32 v40, v29;

	;;#ASMEND
	;; [unrolled: 4-line block ×4, first 2 shown]
	v_add_u32_e32 v31, 4, v26
	v_add_u32_e32 v30, 5, v26
	;; [unrolled: 1-line block ×4, first 2 shown]
	v_or_b32_e32 v38, 1, v26
	s_waitcnt vmcnt(0)
	v_mad_i64_i32 v[2:3], s[0:1], v1, s13, 0
	v_lshl_add_u64 v[20:21], v[2:3], 1, v[16:17]
	global_load_dwordx4 v[2:5], v[20:21], off
	v_cmp_eq_u32_e64 s[0:1], s14, v22
	s_waitcnt vmcnt(0)
	v_lshrrev_b32_e32 v1, 16, v3
	v_lshrrev_b32_e32 v14, 16, v2
	;; [unrolled: 1-line block ×3, first 2 shown]
	s_and_saveexec_b64 s[8:9], s[0:1]
	s_cbranch_execz .LBB89_42
; %bb.41:                               ;   in Loop: Header=BB89_40 Depth=1
	v_cmp_gt_i32_e32 vcc, s33, v26
	s_nop 1
	v_cndmask_b32_e32 v2, 0, v2, vcc
	v_cmp_gt_i32_e32 vcc, s33, v32
	s_nop 1
	v_cndmask_b32_e32 v3, 0, v3, vcc
	;; [unrolled: 3-line block ×6, first 2 shown]
	v_cmp_gt_i32_e32 vcc, s33, v29
	s_nop 1
	v_cndmask_b32_sdwa v44, v15, v5, vcc dst_sel:DWORD dst_unused:UNUSED_PAD src0_sel:DWORD src1_sel:WORD_0
	v_and_b32_e32 v5, 0xffff0000, v5
	v_cmp_gt_i32_e32 vcc, s33, v28
	s_nop 1
	v_cndmask_b32_e32 v5, 0, v5, vcc
	v_or_b32_e32 v5, v44, v5
.LBB89_42:                              ;   in Loop: Header=BB89_40 Depth=1
	s_or_b64 exec, exec, s[8:9]
	v_and_b32_e32 v34, 0xffff, v34
	v_lshlrev_b32_e32 v14, 16, v14
	v_lshlrev_b32_e32 v1, 16, v1
	v_lshl_or_b32 v34, v35, 16, v34
	v_and_b32_e32 v35, 0xffff, v36
	v_and_or_b32 v2, v2, s17, v14
	v_and_or_b32 v1, v3, s17, v1
	v_lshlrev_b32_e32 v3, 16, v43
	v_lshl_or_b32 v35, v37, 16, v35
	v_and_b32_e32 v36, 0xffff, v39
	v_and_b32_e32 v37, 0xffff, v41
	v_and_or_b32 v3, v4, s17, v3
	;;#ASMSTART
	v_pk_mul_f16 v2, v34, v2;

	;;#ASMEND
	;;#ASMSTART
	v_pk_mul_f16 v1, v35, v1;

	;;#ASMEND
	v_lshl_or_b32 v36, v40, 16, v36
	v_lshl_or_b32 v37, v42, 16, v37
	;;#ASMSTART
	v_pk_mul_f16 v3, v36, v3;

	;;#ASMEND
	;;#ASMSTART
	v_pk_mul_f16 v4, v37, v5;

	;;#ASMEND
	;;#ASMSTART
	v_pk_add_f16 v1, v2, v1;

	;;#ASMEND
	s_nop 0
	;;#ASMSTART
	v_pk_add_f16 v1, v1, v3;

	;;#ASMEND
	s_nop 0
	;; [unrolled: 5-line block ×3, first 2 shown]
	v_lshrrev_b32_e32 v2, 16, v1
	v_and_b32_e32 v1, 0xffff, v1
	;;#ASMSTART
	v_cvt_f32_f16 v39, v1;
	;;#ASMEND
	;;#ASMSTART
	v_cvt_f32_f16 v40, v2;
	;;#ASMEND
	global_load_dwordx4 v[2:5], v[20:21], off offset:1024
	s_waitcnt vmcnt(0)
	v_lshrrev_b32_e32 v1, 16, v3
	v_lshrrev_b32_e32 v14, 16, v2
	;; [unrolled: 1-line block ×3, first 2 shown]
	s_and_saveexec_b64 s[8:9], s[0:1]
	s_cbranch_execz .LBB89_44
; %bb.43:                               ;   in Loop: Header=BB89_40 Depth=1
	v_cmp_gt_i32_e32 vcc, s33, v26
	s_nop 1
	v_cndmask_b32_e32 v2, 0, v2, vcc
	v_cmp_gt_i32_e32 vcc, s33, v32
	s_nop 1
	v_cndmask_b32_e32 v3, 0, v3, vcc
	;; [unrolled: 3-line block ×6, first 2 shown]
	v_cmp_gt_i32_e32 vcc, s33, v29
	s_nop 1
	v_cndmask_b32_sdwa v42, v15, v5, vcc dst_sel:DWORD dst_unused:UNUSED_PAD src0_sel:DWORD src1_sel:WORD_0
	v_and_b32_e32 v5, 0xffff0000, v5
	v_cmp_gt_i32_e32 vcc, s33, v28
	s_nop 1
	v_cndmask_b32_e32 v5, 0, v5, vcc
	v_or_b32_e32 v5, v42, v5
.LBB89_44:                              ;   in Loop: Header=BB89_40 Depth=1
	s_or_b64 exec, exec, s[8:9]
	v_lshlrev_b32_e32 v14, 16, v14
	v_lshlrev_b32_e32 v1, 16, v1
	v_and_or_b32 v2, v2, s17, v14
	v_and_or_b32 v1, v3, s17, v1
	v_lshlrev_b32_e32 v3, 16, v41
	v_and_or_b32 v3, v4, s17, v3
	;;#ASMSTART
	v_pk_mul_f16 v2, v34, v2;

	;;#ASMEND
	;;#ASMSTART
	v_pk_mul_f16 v1, v35, v1;

	;;#ASMEND
	;; [unrolled: 4-line block ×4, first 2 shown]
	s_nop 0
	;;#ASMSTART
	v_pk_add_f16 v1, v2, v1;

	;;#ASMEND
	s_nop 0
	;;#ASMSTART
	v_pk_add_f16 v1, v1, v3;

	;;#ASMEND
	;; [unrolled: 5-line block ×3, first 2 shown]
	s_nop 0
	v_lshrrev_b32_e32 v2, 16, v1
	v_and_b32_e32 v1, 0xffff, v1
	;;#ASMSTART
	v_cvt_f32_f16 v41, v1;
	;;#ASMEND
	;;#ASMSTART
	v_cvt_f32_f16 v42, v2;
	;;#ASMEND
	global_load_dwordx4 v[2:5], v[20:21], off offset:2048
	s_waitcnt vmcnt(0)
	v_lshrrev_b32_e32 v1, 16, v3
	v_lshrrev_b32_e32 v14, 16, v2
	;; [unrolled: 1-line block ×3, first 2 shown]
	s_and_saveexec_b64 s[8:9], s[0:1]
	s_cbranch_execz .LBB89_46
; %bb.45:                               ;   in Loop: Header=BB89_40 Depth=1
	v_cmp_gt_i32_e32 vcc, s33, v26
	s_nop 1
	v_cndmask_b32_e32 v2, 0, v2, vcc
	v_cmp_gt_i32_e32 vcc, s33, v32
	s_nop 1
	v_cndmask_b32_e32 v3, 0, v3, vcc
	;; [unrolled: 3-line block ×6, first 2 shown]
	v_cmp_gt_i32_e32 vcc, s33, v29
	s_nop 1
	v_cndmask_b32_sdwa v44, v15, v5, vcc dst_sel:DWORD dst_unused:UNUSED_PAD src0_sel:DWORD src1_sel:WORD_0
	v_and_b32_e32 v5, 0xffff0000, v5
	v_cmp_gt_i32_e32 vcc, s33, v28
	s_nop 1
	v_cndmask_b32_e32 v5, 0, v5, vcc
	v_or_b32_e32 v5, v44, v5
.LBB89_46:                              ;   in Loop: Header=BB89_40 Depth=1
	s_or_b64 exec, exec, s[8:9]
	v_lshlrev_b32_e32 v14, 16, v14
	v_lshlrev_b32_e32 v1, 16, v1
	v_and_or_b32 v2, v2, s17, v14
	v_and_or_b32 v1, v3, s17, v1
	v_lshlrev_b32_e32 v3, 16, v43
	v_and_or_b32 v3, v4, s17, v3
	;;#ASMSTART
	v_pk_mul_f16 v2, v34, v2;

	;;#ASMEND
	;;#ASMSTART
	v_pk_mul_f16 v1, v35, v1;

	;;#ASMEND
	;; [unrolled: 4-line block ×4, first 2 shown]
	s_nop 0
	;;#ASMSTART
	v_pk_add_f16 v1, v2, v1;

	;;#ASMEND
	s_nop 0
	;;#ASMSTART
	v_pk_add_f16 v1, v1, v3;

	;;#ASMEND
	s_nop 0
	;;#ASMSTART
	v_pk_add_f16 v1, v1, v4;

	;;#ASMEND
	s_nop 0
	v_lshrrev_b32_e32 v2, 16, v1
	v_and_b32_e32 v1, 0xffff, v1
	;;#ASMSTART
	v_cvt_f32_f16 v43, v1;
	;;#ASMEND
	;;#ASMSTART
	v_cvt_f32_f16 v44, v2;
	;;#ASMEND
	global_load_dwordx4 v[2:5], v[20:21], off offset:3072
	s_waitcnt vmcnt(0)
	v_lshrrev_b32_e32 v1, 16, v3
	v_lshrrev_b32_e32 v14, 16, v2
	;; [unrolled: 1-line block ×3, first 2 shown]
	s_and_saveexec_b64 s[8:9], s[0:1]
	s_cbranch_execz .LBB89_48
; %bb.47:                               ;   in Loop: Header=BB89_40 Depth=1
	v_cmp_gt_i32_e32 vcc, s33, v26
	s_nop 1
	v_cndmask_b32_e32 v2, 0, v2, vcc
	v_cmp_gt_i32_e32 vcc, s33, v32
	s_nop 1
	v_cndmask_b32_e32 v3, 0, v3, vcc
	;; [unrolled: 3-line block ×6, first 2 shown]
	v_cmp_gt_i32_e32 vcc, s33, v29
	s_nop 1
	v_cndmask_b32_sdwa v46, v15, v5, vcc dst_sel:DWORD dst_unused:UNUSED_PAD src0_sel:DWORD src1_sel:WORD_0
	v_and_b32_e32 v5, 0xffff0000, v5
	v_cmp_gt_i32_e32 vcc, s33, v28
	s_nop 1
	v_cndmask_b32_e32 v5, 0, v5, vcc
	v_or_b32_e32 v5, v46, v5
.LBB89_48:                              ;   in Loop: Header=BB89_40 Depth=1
	s_or_b64 exec, exec, s[8:9]
	v_lshlrev_b32_e32 v14, 16, v14
	v_lshlrev_b32_e32 v1, 16, v1
	v_and_or_b32 v2, v2, s17, v14
	v_and_or_b32 v1, v3, s17, v1
	v_lshlrev_b32_e32 v3, 16, v45
	v_and_or_b32 v3, v4, s17, v3
	;;#ASMSTART
	v_pk_mul_f16 v2, v34, v2;

	;;#ASMEND
	;;#ASMSTART
	v_pk_mul_f16 v1, v35, v1;

	;;#ASMEND
	;; [unrolled: 4-line block ×4, first 2 shown]
	v_add_co_u32_e32 v20, vcc, s20, v20
	;;#ASMSTART
	v_pk_add_f16 v1, v2, v1;

	;;#ASMEND
	s_nop 0
	;;#ASMSTART
	v_pk_add_f16 v1, v1, v3;

	;;#ASMEND
	s_nop 0
	v_addc_co_u32_e32 v21, vcc, 0, v21, vcc
	;;#ASMSTART
	v_pk_add_f16 v1, v1, v4;

	;;#ASMEND
	s_nop 0
	v_lshrrev_b32_e32 v2, 16, v1
	v_and_b32_e32 v1, 0xffff, v1
	;;#ASMSTART
	v_cvt_f32_f16 v45, v1;
	;;#ASMEND
	;;#ASMSTART
	v_cvt_f32_f16 v46, v2;
	;;#ASMEND
	global_load_dwordx4 v[2:5], v[20:21], off
	s_waitcnt vmcnt(0)
	v_lshrrev_b32_e32 v1, 16, v3
	v_lshrrev_b32_e32 v14, 16, v2
	;; [unrolled: 1-line block ×3, first 2 shown]
	s_and_saveexec_b64 s[8:9], s[0:1]
	s_cbranch_execz .LBB89_50
; %bb.49:                               ;   in Loop: Header=BB89_40 Depth=1
	v_cmp_gt_i32_e32 vcc, s33, v26
	s_nop 1
	v_cndmask_b32_e32 v2, 0, v2, vcc
	v_cmp_gt_i32_e32 vcc, s33, v32
	s_nop 1
	v_cndmask_b32_e32 v3, 0, v3, vcc
	;; [unrolled: 3-line block ×6, first 2 shown]
	v_cmp_gt_i32_e32 vcc, s33, v29
	s_nop 1
	v_cndmask_b32_sdwa v48, v15, v5, vcc dst_sel:DWORD dst_unused:UNUSED_PAD src0_sel:DWORD src1_sel:WORD_0
	v_and_b32_e32 v5, 0xffff0000, v5
	v_cmp_gt_i32_e32 vcc, s33, v28
	s_nop 1
	v_cndmask_b32_e32 v5, 0, v5, vcc
	v_or_b32_e32 v5, v48, v5
.LBB89_50:                              ;   in Loop: Header=BB89_40 Depth=1
	s_or_b64 exec, exec, s[8:9]
	v_lshlrev_b32_e32 v14, 16, v14
	v_lshlrev_b32_e32 v1, 16, v1
	v_and_or_b32 v2, v2, s17, v14
	v_and_or_b32 v1, v3, s17, v1
	v_lshlrev_b32_e32 v3, 16, v47
	v_and_or_b32 v3, v4, s17, v3
	;;#ASMSTART
	v_pk_mul_f16 v2, v34, v2;

	;;#ASMEND
	;;#ASMSTART
	v_pk_mul_f16 v1, v35, v1;

	;;#ASMEND
	;; [unrolled: 4-line block ×4, first 2 shown]
	s_nop 0
	;;#ASMSTART
	v_pk_add_f16 v1, v2, v1;

	;;#ASMEND
	s_nop 0
	;;#ASMSTART
	v_pk_add_f16 v1, v1, v3;

	;;#ASMEND
	;; [unrolled: 5-line block ×3, first 2 shown]
	s_nop 0
	v_lshrrev_b32_e32 v2, 16, v1
	v_and_b32_e32 v1, 0xffff, v1
	;;#ASMSTART
	v_cvt_f32_f16 v47, v1;
	;;#ASMEND
	;;#ASMSTART
	v_cvt_f32_f16 v48, v2;
	;;#ASMEND
	global_load_dwordx4 v[2:5], v[20:21], off offset:1024
	s_waitcnt vmcnt(0)
	v_lshrrev_b32_e32 v1, 16, v3
	v_lshrrev_b32_e32 v14, 16, v2
	;; [unrolled: 1-line block ×3, first 2 shown]
	s_and_saveexec_b64 s[8:9], s[0:1]
	s_cbranch_execz .LBB89_52
; %bb.51:                               ;   in Loop: Header=BB89_40 Depth=1
	v_cmp_gt_i32_e32 vcc, s33, v26
	s_nop 1
	v_cndmask_b32_e32 v2, 0, v2, vcc
	v_cmp_gt_i32_e32 vcc, s33, v32
	s_nop 1
	v_cndmask_b32_e32 v3, 0, v3, vcc
	;; [unrolled: 3-line block ×6, first 2 shown]
	v_cmp_gt_i32_e32 vcc, s33, v29
	s_nop 1
	v_cndmask_b32_sdwa v50, v15, v5, vcc dst_sel:DWORD dst_unused:UNUSED_PAD src0_sel:DWORD src1_sel:WORD_0
	v_and_b32_e32 v5, 0xffff0000, v5
	v_cmp_gt_i32_e32 vcc, s33, v28
	s_nop 1
	v_cndmask_b32_e32 v5, 0, v5, vcc
	v_or_b32_e32 v5, v50, v5
.LBB89_52:                              ;   in Loop: Header=BB89_40 Depth=1
	s_or_b64 exec, exec, s[8:9]
	v_lshlrev_b32_e32 v14, 16, v14
	v_lshlrev_b32_e32 v1, 16, v1
	v_and_or_b32 v2, v2, s17, v14
	v_and_or_b32 v1, v3, s17, v1
	v_lshlrev_b32_e32 v3, 16, v49
	v_and_or_b32 v3, v4, s17, v3
	;;#ASMSTART
	v_pk_mul_f16 v2, v34, v2;

	;;#ASMEND
	;;#ASMSTART
	v_pk_mul_f16 v1, v35, v1;

	;;#ASMEND
	;;#ASMSTART
	v_pk_mul_f16 v3, v36, v3;

	;;#ASMEND
	;;#ASMSTART
	v_pk_mul_f16 v4, v37, v5;

	;;#ASMEND
	s_nop 0
	;;#ASMSTART
	v_pk_add_f16 v1, v2, v1;

	;;#ASMEND
	s_nop 0
	;;#ASMSTART
	v_pk_add_f16 v1, v1, v3;

	;;#ASMEND
	;; [unrolled: 5-line block ×3, first 2 shown]
	s_nop 0
	v_lshrrev_b32_e32 v2, 16, v1
	v_and_b32_e32 v1, 0xffff, v1
	;;#ASMSTART
	v_cvt_f32_f16 v49, v1;
	;;#ASMEND
	;;#ASMSTART
	v_cvt_f32_f16 v50, v2;
	;;#ASMEND
	global_load_dwordx4 v[2:5], v[20:21], off offset:2048
	s_waitcnt vmcnt(0)
	v_lshrrev_b32_e32 v1, 16, v3
	v_lshrrev_b32_e32 v14, 16, v2
	;; [unrolled: 1-line block ×3, first 2 shown]
	s_and_saveexec_b64 s[8:9], s[0:1]
	s_cbranch_execz .LBB89_54
; %bb.53:                               ;   in Loop: Header=BB89_40 Depth=1
	v_cmp_gt_i32_e32 vcc, s33, v26
	s_nop 1
	v_cndmask_b32_e32 v2, 0, v2, vcc
	v_cmp_gt_i32_e32 vcc, s33, v32
	s_nop 1
	v_cndmask_b32_e32 v3, 0, v3, vcc
	;; [unrolled: 3-line block ×6, first 2 shown]
	v_cmp_gt_i32_e32 vcc, s33, v29
	s_nop 1
	v_cndmask_b32_sdwa v52, v15, v5, vcc dst_sel:DWORD dst_unused:UNUSED_PAD src0_sel:DWORD src1_sel:WORD_0
	v_and_b32_e32 v5, 0xffff0000, v5
	v_cmp_gt_i32_e32 vcc, s33, v28
	s_nop 1
	v_cndmask_b32_e32 v5, 0, v5, vcc
	v_or_b32_e32 v5, v52, v5
.LBB89_54:                              ;   in Loop: Header=BB89_40 Depth=1
	s_or_b64 exec, exec, s[8:9]
	v_lshlrev_b32_e32 v14, 16, v14
	v_lshlrev_b32_e32 v1, 16, v1
	v_and_or_b32 v2, v2, s17, v14
	v_and_or_b32 v1, v3, s17, v1
	v_lshlrev_b32_e32 v3, 16, v51
	v_and_or_b32 v3, v4, s17, v3
	;;#ASMSTART
	v_pk_mul_f16 v2, v34, v2;

	;;#ASMEND
	;;#ASMSTART
	v_pk_mul_f16 v1, v35, v1;

	;;#ASMEND
	;;#ASMSTART
	v_pk_mul_f16 v3, v36, v3;

	;;#ASMEND
	;;#ASMSTART
	v_pk_mul_f16 v4, v37, v5;

	;;#ASMEND
	s_nop 0
	;;#ASMSTART
	v_pk_add_f16 v1, v2, v1;

	;;#ASMEND
	s_nop 0
	;;#ASMSTART
	v_pk_add_f16 v1, v1, v3;

	;;#ASMEND
	;; [unrolled: 5-line block ×3, first 2 shown]
	s_nop 0
	v_lshrrev_b32_e32 v2, 16, v1
	v_and_b32_e32 v1, 0xffff, v1
	;;#ASMSTART
	v_cvt_f32_f16 v51, v1;
	;;#ASMEND
	;;#ASMSTART
	v_cvt_f32_f16 v52, v2;
	;;#ASMEND
	global_load_dwordx4 v[2:5], v[20:21], off offset:3072
	s_waitcnt vmcnt(0)
	v_lshrrev_b32_e32 v1, 16, v3
	v_lshrrev_b32_e32 v14, 16, v2
	;; [unrolled: 1-line block ×3, first 2 shown]
	s_and_saveexec_b64 s[8:9], s[0:1]
	s_cbranch_execz .LBB89_39
; %bb.55:                               ;   in Loop: Header=BB89_40 Depth=1
	v_cmp_gt_i32_e32 vcc, s33, v26
	s_nop 1
	v_cndmask_b32_e32 v2, 0, v2, vcc
	v_cmp_gt_i32_e32 vcc, s33, v32
	s_nop 1
	v_cndmask_b32_e32 v3, 0, v3, vcc
	;; [unrolled: 3-line block ×6, first 2 shown]
	v_cmp_gt_i32_e32 vcc, s33, v29
	s_nop 1
	v_cndmask_b32_sdwa v21, v15, v5, vcc dst_sel:DWORD dst_unused:UNUSED_PAD src0_sel:DWORD src1_sel:WORD_0
	v_and_b32_e32 v5, 0xffff0000, v5
	v_cmp_gt_i32_e32 vcc, s33, v28
	s_nop 1
	v_cndmask_b32_e32 v5, 0, v5, vcc
	v_or_b32_e32 v5, v21, v5
	s_branch .LBB89_39
.LBB89_56:
	s_or_b64 exec, exec, s[6:7]
.LBB89_57:
	s_or_b64 exec, exec, s[2:3]
	ds_bpermute_b32 v2, v24, v12
	ds_bpermute_b32 v3, v24, v13
	;; [unrolled: 1-line block ×6, first 2 shown]
	s_waitcnt lgkmcnt(4)
	v_pk_add_f32 v[12:13], v[12:13], v[2:3]
	v_and_b32_e32 v1, 0x3c1, v0
	s_waitcnt lgkmcnt(2)
	v_pk_add_f32 v[2:3], v[8:9], v[14:15]
	ds_bpermute_b32 v8, v24, v6
	ds_bpermute_b32 v9, v24, v7
	s_waitcnt lgkmcnt(2)
	v_pk_add_f32 v[4:5], v[10:11], v[4:5]
	v_cmp_ne_u32_e32 vcc, 64, v1
	s_waitcnt lgkmcnt(0)
	s_barrier
	s_and_saveexec_b64 s[0:1], vcc
	s_xor_b64 s[0:1], exec, s[0:1]
; %bb.58:
                                        ; implicit-def: $vgpr23
; %bb.59:
	s_or_saveexec_b64 s[0:1], s[0:1]
	v_pk_add_f32 v[6:7], v[6:7], v[8:9]
	s_xor_b64 exec, exec, s[0:1]
	s_cbranch_execz .LBB89_61
; %bb.60:
	v_mov_b32_e32 v8, 0x210
	v_lshl_add_u32 v8, v23, 1, v8
	ds_write2_b32 v8, v12, v13 offset1:32
	ds_write2_b32 v8, v4, v5 offset0:64 offset1:96
	ds_write2_b32 v8, v2, v3 offset0:128 offset1:160
	;; [unrolled: 1-line block ×3, first 2 shown]
.LBB89_61:
	s_or_b64 exec, exec, s[0:1]
	v_cmp_gt_u32_e32 vcc, 64, v0
	v_lshrrev_b32_e32 v0, 1, v0
	s_waitcnt lgkmcnt(0)
	s_barrier
	s_and_saveexec_b64 s[0:1], vcc
	s_cbranch_execz .LBB89_72
; %bb.62:
	v_mov_b32_e32 v8, 0x210
	v_cmp_eq_u32_e32 vcc, 0, v25
	v_lshl_add_u32 v8, v0, 2, v8
	s_and_saveexec_b64 s[2:3], vcc
	s_cbranch_execnz .LBB89_75
; %bb.63:
	s_or_b64 exec, exec, s[2:3]
	s_and_saveexec_b64 s[2:3], vcc
	s_cbranch_execnz .LBB89_76
.LBB89_64:
	s_or_b64 exec, exec, s[2:3]
	s_and_saveexec_b64 s[2:3], vcc
	s_cbranch_execnz .LBB89_77
.LBB89_65:
	s_or_b64 exec, exec, s[2:3]
	s_and_saveexec_b64 s[2:3], vcc
	s_cbranch_execnz .LBB89_78
.LBB89_66:
	s_or_b64 exec, exec, s[2:3]
	s_and_saveexec_b64 s[2:3], vcc
	s_cbranch_execnz .LBB89_79
.LBB89_67:
	s_or_b64 exec, exec, s[2:3]
	s_and_saveexec_b64 s[2:3], vcc
	s_cbranch_execnz .LBB89_80
.LBB89_68:
	s_or_b64 exec, exec, s[2:3]
	s_and_saveexec_b64 s[2:3], vcc
	s_cbranch_execnz .LBB89_81
.LBB89_69:
	s_or_b64 exec, exec, s[2:3]
	s_and_saveexec_b64 s[2:3], vcc
	s_cbranch_execz .LBB89_71
.LBB89_70:
	ds_read_b32 v8, v8 offset:896
	s_waitcnt lgkmcnt(0)
	v_add_f32_e32 v7, v7, v8
.LBB89_71:
	s_or_b64 exec, exec, s[2:3]
.LBB89_72:
	s_or_b64 exec, exec, s[0:1]
	v_cmp_eq_u32_e32 vcc, 0, v1
	s_barrier
	s_and_saveexec_b64 s[0:1], vcc
	s_cbranch_execz .LBB89_74
; %bb.73:
	s_mul_i32 s0, s10, s11
	s_mul_i32 s0, s0, s5
	s_lshl_b32 s0, s0, 8
	s_ashr_i32 s1, s0, 31
	s_lshl_b64 s[0:1], s[0:1], 1
	s_add_u32 s2, s18, s0
	s_mul_i32 s0, s11, s16
	s_addc_u32 s3, s19, s1
	s_ashr_i32 s1, s0, 31
	s_lshl_b64 s[0:1], s[0:1], 1
	s_add_u32 s2, s2, s0
	s_addc_u32 s3, s3, s1
	s_lshl_b32 s0, s4, 8
	s_ashr_i32 s1, s0, 31
	s_lshl_b64 s[0:1], s[0:1], 1
	s_add_u32 s0, s2, s0
	s_addc_u32 s1, s3, s1
	v_lshlrev_b32_e32 v0, 1, v0
	;;#ASMSTART
	v_cvt_f16_f32 v1, v12;

	;;#ASMEND
	global_store_short v0, v1, s[0:1]
	;;#ASMSTART
	v_cvt_f16_f32 v1, v13;

	;;#ASMEND
	global_store_short v0, v1, s[0:1] offset:64
	;;#ASMSTART
	v_cvt_f16_f32 v1, v4;

	;;#ASMEND
	global_store_short v0, v1, s[0:1] offset:128
	;; [unrolled: 5-line block ×7, first 2 shown]
.LBB89_74:
	s_endpgm
.LBB89_75:
	ds_read_b32 v9, v8
	s_waitcnt lgkmcnt(0)
	v_add_f32_e32 v12, v12, v9
	s_or_b64 exec, exec, s[2:3]
	s_and_saveexec_b64 s[2:3], vcc
	s_cbranch_execz .LBB89_64
.LBB89_76:
	ds_read_b32 v9, v8 offset:128
	s_waitcnt lgkmcnt(0)
	v_add_f32_e32 v13, v13, v9
	s_or_b64 exec, exec, s[2:3]
	s_and_saveexec_b64 s[2:3], vcc
	s_cbranch_execz .LBB89_65
.LBB89_77:
	ds_read_b32 v9, v8 offset:256
	s_waitcnt lgkmcnt(0)
	v_add_f32_e32 v4, v4, v9
	s_or_b64 exec, exec, s[2:3]
	s_and_saveexec_b64 s[2:3], vcc
	s_cbranch_execz .LBB89_66
.LBB89_78:
	ds_read_b32 v9, v8 offset:384
	s_waitcnt lgkmcnt(0)
	v_add_f32_e32 v5, v5, v9
	s_or_b64 exec, exec, s[2:3]
	s_and_saveexec_b64 s[2:3], vcc
	s_cbranch_execz .LBB89_67
.LBB89_79:
	ds_read_b32 v9, v8 offset:512
	s_waitcnt lgkmcnt(0)
	v_add_f32_e32 v2, v2, v9
	s_or_b64 exec, exec, s[2:3]
	s_and_saveexec_b64 s[2:3], vcc
	s_cbranch_execz .LBB89_68
.LBB89_80:
	ds_read_b32 v9, v8 offset:640
	s_waitcnt lgkmcnt(0)
	v_add_f32_e32 v3, v3, v9
	s_or_b64 exec, exec, s[2:3]
	s_and_saveexec_b64 s[2:3], vcc
	s_cbranch_execz .LBB89_69
.LBB89_81:
	ds_read_b32 v9, v8 offset:768
	s_waitcnt lgkmcnt(0)
	v_add_f32_e32 v6, v6, v9
	s_or_b64 exec, exec, s[2:3]
	s_and_saveexec_b64 s[2:3], vcc
	s_cbranch_execnz .LBB89_70
	s_branch .LBB89_71
	.section	.rodata,"a",@progbits
	.p2align	6, 0x0
	.amdhsa_kernel _ZN4vllm25paged_attention_v1_kernelIttLi256ELi16ELi128ELNS_18Fp8KVCacheDataTypeE0ELb0EEEvPT_PKS2_PKT0_S8_ifPKiSA_iPKfiiiSC_SC_iiiii
		.amdhsa_group_segment_fixed_size 528
		.amdhsa_private_segment_fixed_size 0
		.amdhsa_kernarg_size 384
		.amdhsa_user_sgpr_count 2
		.amdhsa_user_sgpr_dispatch_ptr 0
		.amdhsa_user_sgpr_queue_ptr 0
		.amdhsa_user_sgpr_kernarg_segment_ptr 1
		.amdhsa_user_sgpr_dispatch_id 0
		.amdhsa_user_sgpr_kernarg_preload_length 0
		.amdhsa_user_sgpr_kernarg_preload_offset 0
		.amdhsa_user_sgpr_private_segment_size 0
		.amdhsa_uses_dynamic_stack 0
		.amdhsa_enable_private_segment 0
		.amdhsa_system_sgpr_workgroup_id_x 1
		.amdhsa_system_sgpr_workgroup_id_y 1
		.amdhsa_system_sgpr_workgroup_id_z 1
		.amdhsa_system_sgpr_workgroup_info 0
		.amdhsa_system_vgpr_workitem_id 0
		.amdhsa_next_free_vgpr 63
		.amdhsa_next_free_sgpr 35
		.amdhsa_accum_offset 64
		.amdhsa_reserve_vcc 1
		.amdhsa_float_round_mode_32 0
		.amdhsa_float_round_mode_16_64 0
		.amdhsa_float_denorm_mode_32 3
		.amdhsa_float_denorm_mode_16_64 3
		.amdhsa_dx10_clamp 1
		.amdhsa_ieee_mode 1
		.amdhsa_fp16_overflow 0
		.amdhsa_tg_split 0
		.amdhsa_exception_fp_ieee_invalid_op 0
		.amdhsa_exception_fp_denorm_src 0
		.amdhsa_exception_fp_ieee_div_zero 0
		.amdhsa_exception_fp_ieee_overflow 0
		.amdhsa_exception_fp_ieee_underflow 0
		.amdhsa_exception_fp_ieee_inexact 0
		.amdhsa_exception_int_div_zero 0
	.end_amdhsa_kernel
	.section	.text._ZN4vllm25paged_attention_v1_kernelIttLi256ELi16ELi128ELNS_18Fp8KVCacheDataTypeE0ELb0EEEvPT_PKS2_PKT0_S8_ifPKiSA_iPKfiiiSC_SC_iiiii,"axG",@progbits,_ZN4vllm25paged_attention_v1_kernelIttLi256ELi16ELi128ELNS_18Fp8KVCacheDataTypeE0ELb0EEEvPT_PKS2_PKT0_S8_ifPKiSA_iPKfiiiSC_SC_iiiii,comdat
.Lfunc_end89:
	.size	_ZN4vllm25paged_attention_v1_kernelIttLi256ELi16ELi128ELNS_18Fp8KVCacheDataTypeE0ELb0EEEvPT_PKS2_PKT0_S8_ifPKiSA_iPKfiiiSC_SC_iiiii, .Lfunc_end89-_ZN4vllm25paged_attention_v1_kernelIttLi256ELi16ELi128ELNS_18Fp8KVCacheDataTypeE0ELb0EEEvPT_PKS2_PKT0_S8_ifPKiSA_iPKfiiiSC_SC_iiiii
                                        ; -- End function
	.set _ZN4vllm25paged_attention_v1_kernelIttLi256ELi16ELi128ELNS_18Fp8KVCacheDataTypeE0ELb0EEEvPT_PKS2_PKT0_S8_ifPKiSA_iPKfiiiSC_SC_iiiii.num_vgpr, 63
	.set _ZN4vllm25paged_attention_v1_kernelIttLi256ELi16ELi128ELNS_18Fp8KVCacheDataTypeE0ELb0EEEvPT_PKS2_PKT0_S8_ifPKiSA_iPKfiiiSC_SC_iiiii.num_agpr, 0
	.set _ZN4vllm25paged_attention_v1_kernelIttLi256ELi16ELi128ELNS_18Fp8KVCacheDataTypeE0ELb0EEEvPT_PKS2_PKT0_S8_ifPKiSA_iPKfiiiSC_SC_iiiii.numbered_sgpr, 35
	.set _ZN4vllm25paged_attention_v1_kernelIttLi256ELi16ELi128ELNS_18Fp8KVCacheDataTypeE0ELb0EEEvPT_PKS2_PKT0_S8_ifPKiSA_iPKfiiiSC_SC_iiiii.num_named_barrier, 0
	.set _ZN4vllm25paged_attention_v1_kernelIttLi256ELi16ELi128ELNS_18Fp8KVCacheDataTypeE0ELb0EEEvPT_PKS2_PKT0_S8_ifPKiSA_iPKfiiiSC_SC_iiiii.private_seg_size, 0
	.set _ZN4vllm25paged_attention_v1_kernelIttLi256ELi16ELi128ELNS_18Fp8KVCacheDataTypeE0ELb0EEEvPT_PKS2_PKT0_S8_ifPKiSA_iPKfiiiSC_SC_iiiii.uses_vcc, 1
	.set _ZN4vllm25paged_attention_v1_kernelIttLi256ELi16ELi128ELNS_18Fp8KVCacheDataTypeE0ELb0EEEvPT_PKS2_PKT0_S8_ifPKiSA_iPKfiiiSC_SC_iiiii.uses_flat_scratch, 0
	.set _ZN4vllm25paged_attention_v1_kernelIttLi256ELi16ELi128ELNS_18Fp8KVCacheDataTypeE0ELb0EEEvPT_PKS2_PKT0_S8_ifPKiSA_iPKfiiiSC_SC_iiiii.has_dyn_sized_stack, 0
	.set _ZN4vllm25paged_attention_v1_kernelIttLi256ELi16ELi128ELNS_18Fp8KVCacheDataTypeE0ELb0EEEvPT_PKS2_PKT0_S8_ifPKiSA_iPKfiiiSC_SC_iiiii.has_recursion, 0
	.set _ZN4vllm25paged_attention_v1_kernelIttLi256ELi16ELi128ELNS_18Fp8KVCacheDataTypeE0ELb0EEEvPT_PKS2_PKT0_S8_ifPKiSA_iPKfiiiSC_SC_iiiii.has_indirect_call, 0
	.section	.AMDGPU.csdata,"",@progbits
; Kernel info:
; codeLenInByte = 10460
; TotalNumSgprs: 41
; NumVgprs: 63
; NumAgprs: 0
; TotalNumVgprs: 63
; ScratchSize: 0
; MemoryBound: 0
; FloatMode: 240
; IeeeMode: 1
; LDSByteSize: 528 bytes/workgroup (compile time only)
; SGPRBlocks: 5
; VGPRBlocks: 7
; NumSGPRsForWavesPerEU: 41
; NumVGPRsForWavesPerEU: 63
; AccumOffset: 64
; Occupancy: 8
; WaveLimiterHint : 1
; COMPUTE_PGM_RSRC2:SCRATCH_EN: 0
; COMPUTE_PGM_RSRC2:USER_SGPR: 2
; COMPUTE_PGM_RSRC2:TRAP_HANDLER: 0
; COMPUTE_PGM_RSRC2:TGID_X_EN: 1
; COMPUTE_PGM_RSRC2:TGID_Y_EN: 1
; COMPUTE_PGM_RSRC2:TGID_Z_EN: 1
; COMPUTE_PGM_RSRC2:TIDIG_COMP_CNT: 0
; COMPUTE_PGM_RSRC3_GFX90A:ACCUM_OFFSET: 15
; COMPUTE_PGM_RSRC3_GFX90A:TG_SPLIT: 0
	.section	.text._ZN4vllm25paged_attention_v1_kernelIttLi32ELi32ELi128ELNS_18Fp8KVCacheDataTypeE0ELb1EEEvPT_PKS2_PKT0_S8_ifPKiSA_iPKfiiiSC_SC_iiiii,"axG",@progbits,_ZN4vllm25paged_attention_v1_kernelIttLi32ELi32ELi128ELNS_18Fp8KVCacheDataTypeE0ELb1EEEvPT_PKS2_PKT0_S8_ifPKiSA_iPKfiiiSC_SC_iiiii,comdat
	.protected	_ZN4vllm25paged_attention_v1_kernelIttLi32ELi32ELi128ELNS_18Fp8KVCacheDataTypeE0ELb1EEEvPT_PKS2_PKT0_S8_ifPKiSA_iPKfiiiSC_SC_iiiii ; -- Begin function _ZN4vllm25paged_attention_v1_kernelIttLi32ELi32ELi128ELNS_18Fp8KVCacheDataTypeE0ELb1EEEvPT_PKS2_PKT0_S8_ifPKiSA_iPKfiiiSC_SC_iiiii
	.globl	_ZN4vllm25paged_attention_v1_kernelIttLi32ELi32ELi128ELNS_18Fp8KVCacheDataTypeE0ELb1EEEvPT_PKS2_PKT0_S8_ifPKiSA_iPKfiiiSC_SC_iiiii
	.p2align	8
	.type	_ZN4vllm25paged_attention_v1_kernelIttLi32ELi32ELi128ELNS_18Fp8KVCacheDataTypeE0ELb1EEEvPT_PKS2_PKT0_S8_ifPKiSA_iPKfiiiSC_SC_iiiii,@function
_ZN4vllm25paged_attention_v1_kernelIttLi32ELi32ELi128ELNS_18Fp8KVCacheDataTypeE0ELb1EEEvPT_PKS2_PKT0_S8_ifPKiSA_iPKfiiiSC_SC_iiiii: ; @_ZN4vllm25paged_attention_v1_kernelIttLi32ELi32ELi128ELNS_18Fp8KVCacheDataTypeE0ELb1EEEvPT_PKS2_PKT0_S8_ifPKiSA_iPKfiiiSC_SC_iiiii
; %bb.0:
	s_load_dword s5, s[0:1], 0x80
	s_load_dwordx2 s[6:7], s[0:1], 0x30
	s_load_dwordx2 s[30:31], s[0:1], 0x20
	s_mov_b32 s10, s3
	s_ashr_i32 s11, s3, 31
	s_lshl_b64 s[8:9], s[10:11], 2
	s_waitcnt lgkmcnt(0)
	s_add_u32 s6, s6, s8
	s_addc_u32 s7, s7, s9
	s_abs_i32 s3, s30
	v_cvt_f32_u32_e32 v1, s3
	s_sub_i32 s11, 0, s3
	s_abs_i32 s9, s5
	s_xor_b32 s8, s5, s30
	v_rcp_iflag_f32_e32 v1, v1
	s_ashr_i32 s8, s8, 31
	s_mov_b32 s42, 0
	v_mul_f32_e32 v1, 0x4f7ffffe, v1
	v_cvt_u32_f32_e32 v1, v1
	s_nop 0
	v_readfirstlane_b32 s12, v1
	s_mul_i32 s11, s11, s12
	s_mul_hi_u32 s11, s12, s11
	s_add_i32 s12, s12, s11
	s_mul_hi_u32 s11, s9, s12
	s_mul_i32 s12, s11, s3
	s_sub_i32 s9, s9, s12
	s_add_i32 s12, s11, 1
	s_sub_i32 s13, s9, s3
	s_cmp_ge_u32 s9, s3
	s_cselect_b32 s11, s12, s11
	s_cselect_b32 s9, s13, s9
	s_add_i32 s12, s11, 1
	s_cmp_ge_u32 s9, s3
	s_cselect_b32 s3, s12, s11
	s_xor_b32 s3, s3, s8
	s_sub_i32 s12, s3, s8
	s_abs_i32 s22, s12
	v_cvt_f32_u32_e32 v1, s22
	s_load_dwordx2 s[8:9], s[0:1], 0x40
	s_sub_i32 s3, 0, s22
	s_abs_i32 s23, s2
	v_rcp_iflag_f32_e32 v1, v1
	s_nop 0
	v_mul_f32_e32 v1, 0x4f7ffffe, v1
	v_cvt_u32_f32_e32 v1, v1
	s_nop 0
	v_readfirstlane_b32 s11, v1
	s_mul_i32 s3, s3, s11
	s_mul_hi_u32 s3, s11, s3
	s_add_i32 s11, s11, s3
	s_waitcnt lgkmcnt(0)
	s_cmp_eq_u64 s[8:9], 0
	s_mul_hi_u32 s24, s23, s11
	s_cbranch_scc1 .LBB90_2
; %bb.1:
	s_ashr_i32 s3, s2, 31
	s_lshl_b64 s[14:15], s[2:3], 2
	s_add_u32 s8, s8, s14
	s_addc_u32 s9, s9, s15
	s_load_dword s42, s[8:9], 0x0
.LBB90_2:
	s_load_dword s11, s[6:7], 0x0
	s_ashr_i32 s9, s12, 31
	s_load_dwordx4 s[12:15], s[0:1], 0x48
	s_ashr_i32 s3, s2, 31
	v_and_b32_e32 v4, 1, v0
	s_lshl_b32 s20, s2, 5
	v_cmp_gt_u32_e32 vcc, 8, v0
	v_lshlrev_b32_e32 v1, 3, v0
	s_and_saveexec_b64 s[6:7], vcc
	s_cbranch_execz .LBB90_4
; %bb.3:
	s_load_dwordx2 s[16:17], s[0:1], 0x8
	s_waitcnt lgkmcnt(0)
	s_mul_i32 s18, s12, s10
	s_ashr_i32 s19, s18, 31
	s_lshl_b64 s[18:19], s[18:19], 1
	v_lshlrev_b32_e32 v5, 2, v0
	s_add_u32 s8, s16, s18
	s_addc_u32 s12, s17, s19
	s_ashr_i32 s21, s20, 31
	s_lshl_b64 s[16:17], s[20:21], 1
	s_add_u32 s16, s8, s16
	s_addc_u32 s17, s12, s17
	global_load_dwordx2 v[2:3], v1, s[16:17]
	v_and_b32_e32 v5, 0xff8, v5
	v_lshl_add_u32 v5, v4, 5, v5
	s_waitcnt vmcnt(0)
	ds_write_b64 v5, v[2:3]
.LBB90_4:
	s_or_b64 exec, exec, s[6:7]
	s_mul_i32 s6, s24, s22
	s_sub_i32 s6, s23, s6
	s_xor_b32 s3, s3, s9
	s_add_i32 s7, s24, 1
	s_sub_i32 s9, s6, s22
	s_load_dwordx4 s[16:19], s[0:1], 0x68
	s_load_dword s8, s[0:1], 0x78
	s_cmp_ge_u32 s6, s22
	s_cselect_b32 s7, s7, s24
	s_cselect_b32 s6, s9, s6
	s_add_i32 s9, s7, 1
	s_cmp_ge_u32 s6, s22
	s_cselect_b32 s6, s9, s7
	s_waitcnt lgkmcnt(0)
	s_abs_i32 s21, s19
	v_cvt_f32_u32_e32 v2, s21
	s_xor_b32 s6, s6, s3
	s_sub_i32 s3, s6, s3
	s_sub_i32 s6, 0, s21
	v_rcp_iflag_f32_e32 v2, v2
	s_add_i32 s15, s11, -1
	s_abs_i32 s9, s15
	v_mul_f32_e32 v2, 0x4f7ffffe, v2
	v_cvt_u32_f32_e32 v2, v2
	s_barrier
	v_readfirstlane_b32 s33, v2
	s_mul_i32 s6, s6, s33
	s_mul_hi_u32 s6, s33, s6
	s_add_i32 s33, s33, s6
	s_cmp_lt_i32 s8, 0
	s_mul_hi_u32 s12, s9, s33
	s_cbranch_scc0 .LBB90_6
; %bb.5:
	s_mul_i32 s6, s16, s30
	s_add_i32 s6, s3, s6
	s_mul_i32 s6, s6, s8
	s_sub_i32 s40, 1, s6
	s_mov_b64 s[6:7], 0
	s_branch .LBB90_7
.LBB90_6:
	s_mov_b64 s[6:7], -1
                                        ; implicit-def: $sgpr40
.LBB90_7:
	s_load_dwordx2 s[24:25], s[0:1], 0x28
	s_ashr_i32 s15, s15, 31
	s_andn2_b64 vcc, exec, s[6:7]
	s_ashr_i32 s19, s19, 31
	s_cbranch_vccnz .LBB90_9
; %bb.8:
	s_mul_i32 s6, s5, s16
	s_add_i32 s2, s6, s2
	s_mul_i32 s2, s2, s8
	s_add_i32 s40, s2, 1
.LBB90_9:
	s_load_dword s2, s[0:1], 0x38
	s_load_dwordx2 s[22:23], s[0:1], 0x0
	s_load_dwordx2 s[28:29], s[0:1], 0x18
	s_load_dword s16, s[0:1], 0x88
	s_xor_b32 s6, s15, s19
	s_waitcnt lgkmcnt(0)
	s_mul_i32 s26, s2, s10
	s_mul_i32 s2, s12, s21
	s_sub_i32 s2, s9, s2
	s_ashr_i32 s27, s26, 31
	s_add_i32 s7, s12, 1
	s_sub_i32 s8, s2, s21
	s_cmp_ge_u32 s2, s21
	s_cselect_b32 s7, s7, s12
	s_cselect_b32 s2, s8, s2
	s_add_i32 s8, s7, 1
	s_cmp_ge_u32 s2, s21
	s_cselect_b32 s2, s8, s7
	s_xor_b32 s2, s2, s6
	s_sub_i32 s12, s2, s6
	s_add_i32 s2, s11, 31
	s_ashr_i32 s6, s2, 31
	s_lshr_b32 s6, s6, 27
	s_add_i32 s2, s2, s6
	s_ashr_i32 s41, s2, 5
	v_lshrrev_b32_e32 v16, 6, v0
	v_cmp_gt_i32_e64 s[6:7], s41, v16
	v_mov_b32_e32 v22, 0xff7fffff
	s_mul_i32 s14, s3, s14
	v_lshrrev_b32_e32 v18, 4, v0
	v_lshlrev_b32_e32 v17, 5, v16
	v_mbcnt_lo_u32_b32 v19, -1, 0
	s_and_saveexec_b64 s[34:35], s[6:7]
	s_cbranch_execz .LBB90_21
; %bb.10:
	s_load_dwordx2 s[0:1], s[0:1], 0x10
	s_ashr_i32 s15, s14, 31
	s_sub_i32 s30, s12, s17
	s_lshl_b64 s[2:3], s[14:15], 1
	v_bfe_u32 v20, v0, 1, 5
	s_waitcnt lgkmcnt(0)
	s_add_u32 s0, s0, s2
	s_addc_u32 s1, s1, s3
	s_abs_i32 s15, s18
	v_cvt_f32_u32_e32 v2, s15
	v_lshlrev_b32_e32 v6, 4, v20
	v_mov_b32_e32 v7, 0
	v_cmp_eq_u32_e32 vcc, 0, v4
	v_rcp_iflag_f32_e32 v5, v2
	v_lshl_add_u64 v[2:3], s[0:1], 0, v[6:7]
	s_sub_i32 s0, 0, s15
	v_lshlrev_b32_e32 v21, 5, v4
	v_mul_f32_e32 v5, 0x4f7ffffe, v5
	v_cvt_u32_f32_e32 v5, v5
	v_and_b32_e32 v6, 8, v1
	v_lshl_add_u64 v[2:3], v[2:3], 0, v[6:7]
	v_and_b32_e32 v6, 60, v18
	v_mul_lo_u32 v4, s0, v5
	s_lshl_b64 s[0:1], s[26:27], 2
	s_add_u32 s0, s24, s0
	v_mul_hi_u32 v4, v5, v4
	s_addc_u32 s1, s25, s1
	v_add_u32_e32 v23, v5, v4
	v_lshl_add_u64 v[4:5], s[0:1], 0, v[6:7]
	v_subrev_u32_e32 v6, s11, v20
	v_add_u32_e32 v25, 1, v6
	v_lshlrev_b32_e32 v6, 2, v20
	v_lshl_or_b32 v6, v16, 7, v6
	v_mbcnt_hi_u32_b32 v28, -1, v19
	v_add_u32_e32 v26, 0x50, v6
	v_and_b32_e32 v6, 64, v28
	s_mov_b32 s43, s13
	v_cmp_neq_f32_e64 s[2:3], s42, 0
	v_lshlrev_b32_e32 v24, 5, v16
	v_mov_b32_e32 v27, 0xff7fffff
	s_mov_b64 s[36:37], 0
	v_xor_b32_e32 v29, 1, v28
	v_add_u32_e32 v30, 64, v6
	v_mov_b32_e32 v22, 0xff7fffff
	v_mov_b32_e32 v31, v16
	s_branch .LBB90_13
.LBB90_11:                              ;   in Loop: Header=BB90_13 Depth=1
	s_or_b64 exec, exec, s[38:39]
.LBB90_12:                              ;   in Loop: Header=BB90_13 Depth=1
	s_or_b64 exec, exec, s[8:9]
	v_add_u32_e32 v31, 2, v31
	v_cmp_le_i32_e64 s[0:1], s41, v31
	v_lshl_add_u64 v[4:5], v[4:5], 0, 8
	v_add_u32_e32 v24, 64, v24
	s_or_b64 s[36:37], s[0:1], s[36:37]
	v_add_u32_e32 v26, 0x100, v26
	s_andn2_b64 exec, exec, s[36:37]
	s_cbranch_execz .LBB90_20
.LBB90_13:                              ; =>This Inner Loop Header: Depth=1
	v_mul_hi_u32 v6, v24, s33
	s_waitcnt lgkmcnt(0)
	v_mul_lo_u32 v7, v6, s21
	v_sub_u32_e32 v7, v24, v7
	v_add_u32_e32 v8, 1, v6
	v_cmp_le_u32_e64 s[0:1], s21, v7
	s_nop 1
	v_cndmask_b32_e64 v6, v6, v8, s[0:1]
	v_subrev_u32_e32 v8, s21, v7
	v_cndmask_b32_e64 v7, v7, v8, s[0:1]
	v_add_u32_e32 v8, 1, v6
	v_cmp_le_u32_e64 s[0:1], s21, v7
	s_nop 1
	v_cndmask_b32_e64 v6, v6, v8, s[0:1]
	v_xor_b32_e32 v6, s19, v6
	v_subrev_u32_e32 v6, s19, v6
	v_add_u32_e32 v7, s40, v6
	v_sub_u32_e32 v9, 0, v7
	v_ashrrev_i32_e32 v8, 31, v7
	v_max_i32_e32 v7, v7, v9
	v_mul_hi_u32 v9, v7, v23
	v_mul_lo_u32 v9, v9, s15
	v_sub_u32_e32 v7, v7, v9
	v_subrev_u32_e32 v9, s15, v7
	v_cmp_le_u32_e64 s[0:1], s15, v7
	v_cmp_ge_i32_e64 s[8:9], s30, v6
	s_nop 0
	v_cndmask_b32_e64 v7, v7, v9, s[0:1]
	v_subrev_u32_e32 v9, s15, v7
	v_cmp_le_u32_e64 s[0:1], s15, v7
	s_nop 1
	v_cndmask_b32_e64 v7, v7, v9, s[0:1]
	v_xor_b32_e32 v7, v7, v8
	v_sub_u32_e32 v7, v7, v8
	v_cmp_ne_u32_e64 s[0:1], 0, v7
	s_and_b64 s[0:1], s[0:1], s[8:9]
	s_and_saveexec_b64 s[8:9], s[0:1]
	s_xor_b64 s[0:1], exec, s[8:9]
	s_cbranch_execz .LBB90_17
; %bb.14:                               ;   in Loop: Header=BB90_13 Depth=1
	s_and_saveexec_b64 s[8:9], vcc
; %bb.15:                               ;   in Loop: Header=BB90_13 Depth=1
	ds_write_b32 v26, v27
; %bb.16:                               ;   in Loop: Header=BB90_13 Depth=1
	s_or_b64 exec, exec, s[8:9]
.LBB90_17:                              ;   in Loop: Header=BB90_13 Depth=1
	s_andn2_saveexec_b64 s[8:9], s[0:1]
	s_cbranch_execz .LBB90_12
; %bb.18:                               ;   in Loop: Header=BB90_13 Depth=1
	global_load_dword v6, v[4:5], off
	s_waitcnt vmcnt(0)
	v_mad_i64_i32 v[6:7], s[0:1], v6, s43, 0
	v_lshl_add_u64 v[14:15], v[6:7], 1, v[2:3]
	global_load_dwordx2 v[12:13], v[14:15], off
	global_load_dwordx2 v[10:11], v[14:15], off offset:512
	global_load_dwordx2 v[8:9], v[14:15], off offset:1024
	;; [unrolled: 1-line block ×3, first 2 shown]
	ds_read_b64 v[14:15], v21
	v_cmp_lt_i32_e64 s[0:1], v29, v30
	s_waitcnt lgkmcnt(0)
	v_lshrrev_b32_e32 v33, 16, v14
	v_and_b32_e32 v14, 0xffff, v14
	v_lshrrev_b32_e32 v34, 16, v15
	v_and_b32_e32 v35, 0xffff, v15
	;;#ASMSTART
	v_cvt_f32_f16 v14, v14;
	;;#ASMEND
	;;#ASMSTART
	v_cvt_f32_f16 v15, v33;
	;;#ASMEND
	v_cndmask_b32_e64 v32, v28, v29, s[0:1]
	s_waitcnt vmcnt(3)
	v_lshrrev_b32_e32 v33, 16, v12
	v_and_b32_e32 v12, 0xffff, v12
	v_lshrrev_b32_e32 v36, 16, v13
	v_and_b32_e32 v37, 0xffff, v13
	s_waitcnt vmcnt(2)
	v_lshrrev_b32_e32 v38, 16, v10
	v_and_b32_e32 v39, 0xffff, v10
	v_lshrrev_b32_e32 v40, 16, v11
	v_and_b32_e32 v41, 0xffff, v11
	;; [unrolled: 5-line block ×3, first 2 shown]
	;;#ASMSTART
	v_cvt_f32_f16 v10, v12;
	;;#ASMEND
	;;#ASMSTART
	v_cvt_f32_f16 v11, v33;
	;;#ASMEND
	;;#ASMSTART
	v_cvt_f32_f16 v12, v35;
	;;#ASMEND
	;;#ASMSTART
	v_cvt_f32_f16 v13, v34;
	;;#ASMEND
	;;#ASMSTART
	v_cvt_f32_f16 v33, v37;
	;;#ASMEND
	;;#ASMSTART
	v_cvt_f32_f16 v34, v36;
	;;#ASMEND
	ds_read_b64 v[8:9], v21 offset:8
	s_waitcnt vmcnt(0)
	v_lshrrev_b32_e32 v46, 16, v6
	v_and_b32_e32 v47, 0xffff, v6
	v_lshrrev_b32_e32 v48, 16, v7
	v_and_b32_e32 v49, 0xffff, v7
	s_waitcnt lgkmcnt(0)
	v_lshrrev_b32_e32 v6, 16, v8
	v_and_b32_e32 v7, 0xffff, v8
	v_and_b32_e32 v37, 0xffff, v9
	v_lshrrev_b32_e32 v50, 16, v9
	;;#ASMSTART
	v_cvt_f32_f16 v8, v7;
	;;#ASMEND
	;;#ASMSTART
	v_cvt_f32_f16 v9, v6;
	;;#ASMEND
	;; [unrolled: 3-line block ×8, first 2 shown]
	ds_read_b64 v[6:7], v21 offset:16
	v_mul_f32_e32 v9, v9, v36
	v_mul_f32_e32 v8, v8, v35
	;; [unrolled: 1-line block ×4, first 2 shown]
	v_fmac_f32_e32 v9, v15, v11
	s_waitcnt lgkmcnt(0)
	v_lshrrev_b32_e32 v11, 16, v6
	v_and_b32_e32 v6, 0xffff, v6
	v_lshrrev_b32_e32 v15, 16, v7
	v_and_b32_e32 v7, 0xffff, v7
	v_fmac_f32_e32 v8, v14, v10
	v_fmac_f32_e32 v35, v12, v33
	v_fmac_f32_e32 v36, v13, v34
	;;#ASMSTART
	v_cvt_f32_f16 v10, v6;
	;;#ASMEND
	;;#ASMSTART
	v_cvt_f32_f16 v11, v11;
	;;#ASMEND
	;; [unrolled: 3-line block ×8, first 2 shown]
	ds_read_b64 v[6:7], v21 offset:24
	v_fmac_f32_e32 v8, v10, v12
	v_fmac_f32_e32 v9, v11, v13
	;; [unrolled: 1-line block ×4, first 2 shown]
	s_waitcnt lgkmcnt(0)
	v_lshrrev_b32_e32 v10, 16, v6
	v_and_b32_e32 v6, 0xffff, v6
	v_lshrrev_b32_e32 v13, 16, v7
	v_and_b32_e32 v12, 0xffff, v7
	;;#ASMSTART
	v_cvt_f32_f16 v6, v6;
	;;#ASMEND
	;;#ASMSTART
	v_cvt_f32_f16 v7, v10;
	;;#ASMEND
	;; [unrolled: 3-line block ×8, first 2 shown]
	s_nop 0
	v_fmac_f32_e32 v8, v6, v10
	v_fmac_f32_e32 v9, v7, v11
	;; [unrolled: 1-line block ×3, first 2 shown]
	v_add_f32_e32 v6, v8, v9
	v_fmac_f32_e32 v36, v13, v15
	v_add_f32_e32 v6, v6, v35
	v_add_f32_e32 v6, v36, v6
	v_lshlrev_b32_e32 v7, 2, v32
	ds_bpermute_b32 v7, v7, v6
	s_and_saveexec_b64 s[38:39], vcc
	s_cbranch_execz .LBB90_11
; %bb.19:                               ;   in Loop: Header=BB90_13 Depth=1
	v_add_u32_e32 v8, v25, v24
	v_cvt_f32_i32_e32 v8, v8
	s_waitcnt lgkmcnt(0)
	v_add_f32_e32 v6, v6, v7
	v_add_u32_e32 v9, v20, v24
	v_cmp_gt_i32_e64 s[0:1], s11, v9
	v_mul_f32_e32 v7, s42, v8
	v_cndmask_b32_e64 v7, 0, v7, s[2:3]
	v_fmac_f32_e32 v7, s31, v6
	v_cndmask_b32_e64 v6, 0, v7, s[0:1]
	ds_write_b32 v26, v6
	v_max_f32_e32 v6, v22, v22
	v_max_f32_e32 v6, v6, v7
	v_cndmask_b32_e64 v22, v22, v6, s[0:1]
	s_branch .LBB90_11
.LBB90_20:
	s_or_b64 exec, exec, s[36:37]
.LBB90_21:
	s_or_b64 exec, exec, s[34:35]
	v_mbcnt_hi_u32_b32 v2, -1, v19
	v_and_b32_e32 v9, 64, v2
	v_add_u32_e32 v10, 64, v9
	v_xor_b32_e32 v3, 32, v2
	v_cmp_lt_i32_e32 vcc, v3, v10
	v_xor_b32_e32 v6, 16, v2
	v_max_f32_e32 v5, v22, v22
	v_cndmask_b32_e32 v3, v2, v3, vcc
	v_lshlrev_b32_e32 v3, 2, v3
	ds_bpermute_b32 v4, v3, v22
	v_cmp_lt_i32_e32 vcc, v6, v10
	s_waitcnt lgkmcnt(1)
	v_xor_b32_e32 v7, 8, v2
	v_xor_b32_e32 v8, 4, v2
	v_xor_b32_e32 v11, 2, v2
	s_waitcnt lgkmcnt(0)
	v_max_f32_e32 v4, v4, v4
	v_max_f32_e32 v5, v5, v4
	v_cndmask_b32_e32 v4, v2, v6, vcc
	v_lshlrev_b32_e32 v4, 2, v4
	ds_bpermute_b32 v6, v4, v5
	v_cmp_lt_i32_e32 vcc, v7, v10
	v_and_b32_e32 v19, 63, v0
	s_waitcnt lgkmcnt(0)
	v_max_f32_e32 v6, v6, v6
	v_max_f32_e32 v6, v5, v6
	v_cndmask_b32_e32 v5, v2, v7, vcc
	v_lshlrev_b32_e32 v5, 2, v5
	ds_bpermute_b32 v7, v5, v6
	v_cmp_lt_i32_e32 vcc, v8, v10
	s_waitcnt lgkmcnt(0)
	v_max_f32_e32 v7, v7, v7
	v_max_f32_e32 v7, v6, v7
	v_cndmask_b32_e32 v6, v2, v8, vcc
	v_lshlrev_b32_e32 v6, 2, v6
	ds_bpermute_b32 v8, v6, v7
	v_cmp_lt_i32_e32 vcc, v11, v10
	s_waitcnt lgkmcnt(0)
	v_max_f32_e32 v8, v8, v8
	v_max_f32_e32 v8, v7, v8
	v_cndmask_b32_e32 v7, v2, v11, vcc
	v_lshlrev_b32_e32 v20, 2, v7
	ds_bpermute_b32 v11, v20, v8
	v_cmp_eq_u32_e32 vcc, 0, v19
	v_lshlrev_b32_e32 v7, 2, v16
	s_and_saveexec_b64 s[0:1], vcc
	s_cbranch_execz .LBB90_23
; %bb.22:
	s_waitcnt lgkmcnt(0)
	v_max_f32_e32 v11, v11, v11
	v_max_f32_e32 v8, v8, v8
	;; [unrolled: 1-line block ×3, first 2 shown]
	ds_write_b32 v7, v8 offset:64
.LBB90_23:
	s_or_b64 exec, exec, s[0:1]
	v_cmp_gt_u32_e64 s[0:1], 2, v19
	s_waitcnt lgkmcnt(0)
	v_mov_b32_e32 v11, 0xff7fffff
	v_lshlrev_b32_e32 v8, 2, v19
	s_barrier
	s_and_saveexec_b64 s[2:3], s[0:1]
; %bb.24:
	ds_read_b32 v11, v8 offset:64
; %bb.25:
	s_or_b64 exec, exec, s[2:3]
	v_xor_b32_e32 v12, 1, v2
	v_cmp_lt_i32_e64 s[2:3], v12, v10
	v_lshlrev_b32_e32 v9, 2, v9
	s_nop 0
	v_cndmask_b32_e64 v10, v2, v12, s[2:3]
	v_lshlrev_b32_e32 v21, 2, v10
	s_waitcnt lgkmcnt(0)
	ds_bpermute_b32 v10, v21, v11
	v_max_f32_e32 v11, v11, v11
	s_lshl_b32 s2, s41, 5
	s_min_i32 s15, s2, s11
	v_cmp_gt_i32_e64 s[2:3], s15, v0
	s_waitcnt lgkmcnt(0)
	v_max_f32_e32 v10, v10, v10
	v_max_f32_e32 v10, v11, v10
	ds_bpermute_b32 v10, v9, v10
	v_mov_b32_e32 v9, 0
	s_and_saveexec_b64 s[30:31], s[2:3]
	s_cbranch_execz .LBB90_29
; %bb.26:
	v_mov_b32_e32 v9, 0x50
	v_lshl_add_u32 v11, v0, 2, v9
	v_mov_b32_e32 v9, 0
	s_mov_b64 s[34:35], 0
	v_mov_b32_e32 v12, v0
.LBB90_27:                              ; =>This Inner Loop Header: Depth=1
	ds_read_b32 v13, v11
	v_add_u32_e32 v12, 0x80, v12
	v_cmp_le_i32_e64 s[8:9], s15, v12
	s_or_b64 s[34:35], s[8:9], s[34:35]
	s_waitcnt lgkmcnt(0)
	v_sub_f32_e32 v13, v13, v10
	v_mul_f32_e32 v13, 0x3fb8aa3b, v13
	v_exp_f32_e32 v13, v13
	ds_write_b32 v11, v13
	v_add_f32_e32 v9, v9, v13
	v_add_u32_e32 v11, 0x200, v11
	s_andn2_b64 exec, exec, s[34:35]
	s_cbranch_execnz .LBB90_27
; %bb.28:
	s_or_b64 exec, exec, s[34:35]
.LBB90_29:
	s_or_b64 exec, exec, s[30:31]
	ds_bpermute_b32 v3, v3, v9
	s_waitcnt lgkmcnt(0)
	v_add_f32_e32 v3, v9, v3
	ds_bpermute_b32 v4, v4, v3
	s_waitcnt lgkmcnt(0)
	v_add_f32_e32 v3, v3, v4
	;; [unrolled: 3-line block ×6, first 2 shown]
	s_and_saveexec_b64 s[8:9], vcc
; %bb.30:
	ds_write_b32 v7, v3 offset:72
; %bb.31:
	s_or_b64 exec, exec, s[8:9]
	s_waitcnt lgkmcnt(0)
	s_barrier
	s_and_saveexec_b64 s[8:9], s[0:1]
; %bb.32:
	ds_read_b32 v3, v8 offset:72
; %bb.33:
	s_or_b64 exec, exec, s[8:9]
	s_waitcnt lgkmcnt(0)
	ds_bpermute_b32 v4, v21, v3
	v_lshlrev_b32_e32 v2, 2, v2
	v_and_b32_e32 v2, 0x100, v2
	s_waitcnt lgkmcnt(0)
	v_add_f32_e32 v3, v3, v4
	ds_bpermute_b32 v2, v2, v3
	s_and_saveexec_b64 s[0:1], s[2:3]
	s_cbranch_execz .LBB90_46
; %bb.34:
	s_waitcnt lgkmcnt(0)
	v_add_f32_e32 v2, 0x358637bd, v2
	v_div_scale_f32 v3, s[2:3], v2, v2, 1.0
	v_rcp_f32_e32 v4, v3
	v_div_scale_f32 v5, vcc, 1.0, v2, 1.0
	s_movk_i32 s2, 0x7f
	v_fma_f32 v6, -v3, v4, 1.0
	v_fmac_f32_e32 v4, v6, v4
	v_mul_f32_e32 v6, v5, v4
	v_fma_f32 v7, -v3, v6, v5
	v_fmac_f32_e32 v6, v7, v4
	v_fma_f32 v3, -v3, v6, v5
	v_div_fmas_f32 v3, v3, v4, v6
	v_xad_u32 v4, v0, -1, s15
	v_div_fixup_f32 v2, v3, v2, 1.0
	v_cmp_lt_u32_e32 vcc, s2, v4
	s_mov_b64 s[8:9], -1
	v_mov_b32_e32 v3, v0
	s_and_saveexec_b64 s[2:3], vcc
	s_cbranch_execz .LBB90_43
; %bb.35:
	v_lshrrev_b32_e32 v4, 7, v4
	v_add_u32_e32 v6, -1, v4
	v_lshrrev_b32_e32 v5, 1, v6
	v_mov_b32_e32 v3, v2
	v_add_u32_e32 v5, 1, v5
	v_cmp_lt_u32_e32 vcc, 13, v6
	v_mov_b32_e32 v8, 0
	s_and_saveexec_b64 s[8:9], vcc
	s_cbranch_execz .LBB90_39
; %bb.36:
	v_mov_b32_e32 v7, 0x50
	v_and_b32_e32 v6, -8, v5
	v_lshl_add_u32 v7, v0, 2, v7
	s_mov_b32 s34, 0
	s_mov_b64 s[30:31], 0
.LBB90_37:                              ; =>This Inner Loop Header: Depth=1
	ds_read2st64_b32 v[8:9], v7 offset1:2
	ds_read2st64_b32 v[10:11], v7 offset0:4 offset1:6
	ds_read2st64_b32 v[12:13], v7 offset0:8 offset1:10
	;; [unrolled: 1-line block ×3, first 2 shown]
	v_add_u32_e32 v6, -8, v6
	s_waitcnt lgkmcnt(3)
	v_pk_mul_f32 v[8:9], v[2:3], v[8:9]
	s_waitcnt lgkmcnt(2)
	v_pk_mul_f32 v[10:11], v[2:3], v[10:11]
	ds_write2st64_b32 v7, v8, v9 offset1:2
	ds_write2st64_b32 v7, v10, v11 offset0:4 offset1:6
	ds_read2st64_b32 v[10:11], v7 offset0:16 offset1:18
	s_waitcnt lgkmcnt(4)
	v_pk_mul_f32 v[8:9], v[2:3], v[12:13]
	ds_write2st64_b32 v7, v8, v9 offset0:8 offset1:10
	s_waitcnt lgkmcnt(4)
	v_pk_mul_f32 v[8:9], v[2:3], v[14:15]
	ds_write2st64_b32 v7, v8, v9 offset0:12 offset1:14
	ds_read2st64_b32 v[8:9], v7 offset0:20 offset1:22
	s_waitcnt lgkmcnt(3)
	v_pk_mul_f32 v[10:11], v[2:3], v[10:11]
	ds_read2st64_b32 v[12:13], v7 offset0:24 offset1:26
	ds_write2st64_b32 v7, v10, v11 offset0:16 offset1:18
	ds_read2st64_b32 v[10:11], v7 offset0:28 offset1:30
	s_waitcnt lgkmcnt(3)
	v_pk_mul_f32 v[8:9], v[2:3], v[8:9]
	ds_write2st64_b32 v7, v8, v9 offset0:20 offset1:22
	s_waitcnt lgkmcnt(3)
	v_pk_mul_f32 v[8:9], v[2:3], v[12:13]
	ds_write2st64_b32 v7, v8, v9 offset0:24 offset1:26
	s_waitcnt lgkmcnt(2)
	v_pk_mul_f32 v[8:9], v[2:3], v[10:11]
	s_add_i32 s34, s34, 16
	v_cmp_eq_u32_e32 vcc, 0, v6
	ds_write2st64_b32 v7, v8, v9 offset0:28 offset1:30
	v_add_u32_e32 v7, 0x2000, v7
	s_or_b64 s[30:31], vcc, s[30:31]
	v_mov_b32_e32 v8, s34
	s_andn2_b64 exec, exec, s[30:31]
	s_cbranch_execnz .LBB90_37
; %bb.38:
	s_or_b64 exec, exec, s[30:31]
.LBB90_39:
	s_or_b64 exec, exec, s[8:9]
	v_and_b32_e32 v5, 7, v5
	v_cmp_ne_u32_e32 vcc, 0, v5
	s_and_saveexec_b64 s[8:9], vcc
	s_cbranch_execz .LBB90_42
; %bb.40:
	v_lshlrev_b32_e32 v6, 9, v8
	v_lshlrev_b32_e32 v7, 2, v0
	s_movk_i32 s30, 0x50
	v_add3_u32 v6, v6, v7, s30
	s_mov_b64 s[30:31], 0
.LBB90_41:                              ; =>This Inner Loop Header: Depth=1
	ds_read2st64_b32 v[8:9], v6 offset1:2
	v_add_u32_e32 v5, -1, v5
	v_cmp_eq_u32_e32 vcc, 0, v5
	s_or_b64 s[30:31], vcc, s[30:31]
	s_waitcnt lgkmcnt(0)
	v_pk_mul_f32 v[8:9], v[2:3], v[8:9]
	ds_write2st64_b32 v6, v8, v9 offset1:2
	v_add_u32_e32 v6, 0x400, v6
	s_andn2_b64 exec, exec, s[30:31]
	s_cbranch_execnz .LBB90_41
.LBB90_42:
	s_or_b64 exec, exec, s[8:9]
	v_add_u32_e32 v4, 1, v4
	v_and_b32_e32 v5, 0x3fffffe, v4
	v_cmp_ne_u32_e32 vcc, v4, v5
	v_lshl_add_u32 v3, v5, 7, v0
	s_orn2_b64 s[8:9], vcc, exec
.LBB90_43:
	s_or_b64 exec, exec, s[2:3]
	s_and_b64 exec, exec, s[8:9]
	s_cbranch_execz .LBB90_46
; %bb.44:
	v_mov_b32_e32 v4, 0x50
	v_lshl_add_u32 v4, v3, 2, v4
	s_mov_b64 s[2:3], 0
.LBB90_45:                              ; =>This Inner Loop Header: Depth=1
	ds_read_b32 v5, v4
	v_add_u32_e32 v3, 0x80, v3
	v_cmp_le_i32_e32 vcc, s15, v3
	s_or_b64 s[2:3], vcc, s[2:3]
	s_waitcnt lgkmcnt(0)
	v_mul_f32_e32 v5, v2, v5
	ds_write_b32 v4, v5
	v_add_u32_e32 v4, 0x200, v4
	s_andn2_b64 exec, exec, s[2:3]
	s_cbranch_execnz .LBB90_45
.LBB90_46:
	s_or_b64 exec, exec, s[0:1]
	v_mov_b32_e32 v9, 0
	v_and_b32_e32 v22, 3, v0
	v_mov_b32_e32 v8, 0
	s_waitcnt lgkmcnt(0)
	s_barrier
	s_and_saveexec_b64 s[2:3], s[6:7]
	s_cbranch_execz .LBB90_56
; %bb.47:
	s_ashr_i32 s15, s14, 31
	s_sub_i32 s17, s12, s17
	s_lshl_b64 s[0:1], s[14:15], 1
	s_add_u32 s0, s28, s0
	s_addc_u32 s1, s29, s1
	s_abs_i32 s14, s18
	v_cvt_f32_u32_e32 v2, s14
	v_and_b32_e32 v23, 24, v1
	v_mov_b32_e32 v7, 0
	s_add_i32 s18, s41, -1
	v_rcp_iflag_f32_e32 v1, v2
	v_lshlrev_b32_e32 v2, 4, v0
	v_and_b32_e32 v6, 0x3f0, v2
	v_lshl_add_u64 v[10:11], s[0:1], 0, v[6:7]
	v_mul_f32_e32 v1, 0x4f7ffffe, v1
	v_cvt_u32_f32_e32 v1, v1
	s_sub_i32 s0, 0, s14
	v_and_b32_e32 v6, 60, v18
	s_mov_b32 s15, s13
	v_mul_lo_u32 v2, s0, v1
	v_mul_hi_u32 v2, v1, v2
	s_lshl_b64 s[0:1], s[26:27], 2
	v_add_u32_e32 v24, v1, v2
	s_add_u32 s0, s24, s0
	v_lshlrev_b32_e32 v1, 5, v22
	s_addc_u32 s1, s25, s1
	v_lshl_or_b32 v1, v16, 7, v1
	s_mov_b32 s28, s11
	v_lshl_add_u64 v[12:13], s[0:1], 0, v[6:7]
	v_add_u32_e32 v18, 0x50, v1
	s_mov_b64 s[6:7], 0
	s_mov_b32 s24, 0xffff
	v_mov_b32_e32 v8, 0
	v_mov_b32_e32 v9, 0
	s_branch .LBB90_50
.LBB90_48:                              ;   in Loop: Header=BB90_50 Depth=1
	s_or_b64 exec, exec, s[12:13]
	v_lshlrev_b32_e32 v6, 16, v6
	v_lshlrev_b32_e32 v1, 16, v1
	v_and_or_b32 v2, v2, s24, v6
	v_and_or_b32 v1, v3, s24, v1
	v_lshlrev_b32_e32 v3, 16, v14
	v_and_or_b32 v3, v4, s24, v3
	;;#ASMSTART
	v_pk_mul_f16 v2, v34, v2;

	;;#ASMEND
	;;#ASMSTART
	v_pk_mul_f16 v1, v35, v1;

	;;#ASMEND
	;; [unrolled: 4-line block ×4, first 2 shown]
	v_add_f32_e32 v15, v37, v38
	;;#ASMSTART
	v_pk_add_f16 v1, v2, v1;

	;;#ASMEND
	v_add_f32_e32 v8, v8, v15
	;;#ASMSTART
	v_pk_add_f16 v1, v1, v3;

	;;#ASMEND
	s_nop 0
	;;#ASMSTART
	v_pk_add_f16 v1, v1, v4;

	;;#ASMEND
	s_nop 0
	v_lshrrev_b32_e32 v2, 16, v1
	v_and_b32_e32 v1, 0xffff, v1
	;;#ASMSTART
	v_cvt_f32_f16 v1, v1;
	;;#ASMEND
	;;#ASMSTART
	v_cvt_f32_f16 v2, v2;
	;;#ASMEND
	s_nop 0
	v_add_f32_e32 v1, v1, v2
	v_add_f32_e32 v9, v9, v1
.LBB90_49:                              ;   in Loop: Header=BB90_50 Depth=1
	s_or_b64 exec, exec, s[8:9]
	v_add_u32_e32 v16, 2, v16
	v_cmp_le_i32_e32 vcc, s41, v16
	v_lshl_add_u64 v[12:13], v[12:13], 0, 8
	v_add_u32_e32 v17, 64, v17
	s_or_b64 s[6:7], vcc, s[6:7]
	v_add_u32_e32 v18, 0x100, v18
	s_andn2_b64 exec, exec, s[6:7]
	s_cbranch_execz .LBB90_55
.LBB90_50:                              ; =>This Inner Loop Header: Depth=1
	v_mul_hi_u32 v1, v17, s33
	v_mul_lo_u32 v2, v1, s21
	v_sub_u32_e32 v2, v17, v2
	v_add_u32_e32 v3, 1, v1
	v_cmp_le_u32_e32 vcc, s21, v2
	s_nop 1
	v_cndmask_b32_e32 v1, v1, v3, vcc
	v_subrev_u32_e32 v3, s21, v2
	v_cndmask_b32_e32 v2, v2, v3, vcc
	v_add_u32_e32 v3, 1, v1
	v_cmp_le_u32_e32 vcc, s21, v2
	s_nop 1
	v_cndmask_b32_e32 v1, v1, v3, vcc
	v_xor_b32_e32 v1, s19, v1
	v_subrev_u32_e32 v1, s19, v1
	v_add_u32_e32 v2, s40, v1
	v_sub_u32_e32 v4, 0, v2
	v_ashrrev_i32_e32 v3, 31, v2
	v_max_i32_e32 v2, v2, v4
	v_mul_hi_u32 v4, v2, v24
	v_mul_lo_u32 v4, v4, s14
	v_sub_u32_e32 v2, v2, v4
	v_subrev_u32_e32 v4, s14, v2
	v_cmp_le_u32_e32 vcc, s14, v2
	v_cmp_lt_i32_e64 s[0:1], s17, v1
	s_nop 0
	v_cndmask_b32_e32 v2, v2, v4, vcc
	v_subrev_u32_e32 v4, s14, v2
	v_cmp_le_u32_e32 vcc, s14, v2
	s_nop 1
	v_cndmask_b32_e32 v2, v2, v4, vcc
	v_xor_b32_e32 v2, v2, v3
	v_sub_u32_e32 v2, v2, v3
	v_cmp_eq_u32_e32 vcc, 0, v2
	s_or_b64 s[0:1], vcc, s[0:1]
	s_and_saveexec_b64 s[8:9], s[0:1]
	s_cbranch_execz .LBB90_49
; %bb.51:                               ;   in Loop: Header=BB90_50 Depth=1
	global_load_dword v1, v[12:13], off
	ds_read2_b64 v[2:5], v18 offset1:1
	ds_read2_b64 v[26:29], v18 offset0:2 offset1:3
	s_waitcnt lgkmcnt(1)
	;;#ASMSTART
	v_cvt_f16_f32 v33, v2;

	;;#ASMEND
	;;#ASMSTART
	v_cvt_f16_f32 v34, v3;

	;;#ASMEND
	;; [unrolled: 4-line block ×4, first 2 shown]
	s_waitcnt lgkmcnt(0)
	;;#ASMSTART
	v_cvt_f16_f32 v37, v26;

	;;#ASMEND
	;;#ASMSTART
	v_cvt_f16_f32 v38, v27;

	;;#ASMEND
	;; [unrolled: 4-line block ×4, first 2 shown]
	v_add_u32_e32 v28, v23, v17
	v_add_u32_e32 v30, 2, v28
	;; [unrolled: 1-line block ×6, first 2 shown]
	v_or_b32_e32 v31, 3, v28
	v_or_b32_e32 v32, 1, v28
	s_waitcnt vmcnt(0)
	v_mad_i64_i32 v[2:3], s[0:1], v1, s15, 0
	v_lshl_add_u64 v[14:15], v[2:3], 1, v[10:11]
	global_load_dwordx4 v[2:5], v[14:15], off
	v_cmp_eq_u32_e64 s[0:1], s18, v16
	s_waitcnt vmcnt(0)
	v_lshrrev_b32_e32 v1, 16, v3
	v_lshrrev_b32_e32 v6, 16, v2
	v_lshrrev_b32_e32 v41, 16, v4
	s_and_saveexec_b64 s[12:13], s[0:1]
	s_cbranch_execz .LBB90_53
; %bb.52:                               ;   in Loop: Header=BB90_50 Depth=1
	v_cmp_gt_i32_e32 vcc, s11, v28
	s_nop 1
	v_cndmask_b32_e32 v2, 0, v2, vcc
	v_cmp_gt_i32_e32 vcc, s11, v30
	s_nop 1
	v_cndmask_b32_e32 v3, 0, v3, vcc
	;; [unrolled: 3-line block ×6, first 2 shown]
	v_cmp_gt_i32_e32 vcc, s11, v26
	s_nop 1
	v_cndmask_b32_sdwa v42, v7, v5, vcc dst_sel:DWORD dst_unused:UNUSED_PAD src0_sel:DWORD src1_sel:WORD_0
	v_and_b32_e32 v5, 0xffff0000, v5
	v_cmp_gt_i32_e32 vcc, s11, v25
	s_nop 1
	v_cndmask_b32_e32 v5, 0, v5, vcc
	v_or_b32_e32 v5, v42, v5
.LBB90_53:                              ;   in Loop: Header=BB90_50 Depth=1
	s_or_b64 exec, exec, s[12:13]
	v_and_b32_e32 v33, 0xffff, v33
	v_lshl_or_b32 v34, v34, 16, v33
	v_and_b32_e32 v33, 0xffff, v35
	v_lshlrev_b32_e32 v6, 16, v6
	v_lshlrev_b32_e32 v1, 16, v1
	v_lshl_or_b32 v35, v36, 16, v33
	v_and_b32_e32 v33, 0xffff, v37
	v_and_or_b32 v2, v2, s24, v6
	v_and_or_b32 v1, v3, s24, v1
	v_lshlrev_b32_e32 v3, 16, v41
	v_lshl_or_b32 v36, v38, 16, v33
	v_and_b32_e32 v33, 0xffff, v39
	v_and_or_b32 v3, v4, s24, v3
	;;#ASMSTART
	v_pk_mul_f16 v2, v34, v2;

	;;#ASMEND
	;;#ASMSTART
	v_pk_mul_f16 v1, v35, v1;

	;;#ASMEND
	v_lshl_or_b32 v33, v40, 16, v33
	;;#ASMSTART
	v_pk_mul_f16 v3, v36, v3;

	;;#ASMEND
	;;#ASMSTART
	v_pk_mul_f16 v4, v33, v5;

	;;#ASMEND
	;;#ASMSTART
	v_pk_add_f16 v1, v2, v1;

	;;#ASMEND
	s_nop 0
	;;#ASMSTART
	v_pk_add_f16 v1, v1, v3;

	;;#ASMEND
	s_nop 0
	;; [unrolled: 5-line block ×3, first 2 shown]
	v_lshrrev_b32_e32 v2, 16, v1
	v_and_b32_e32 v1, 0xffff, v1
	;;#ASMSTART
	v_cvt_f32_f16 v37, v1;
	;;#ASMEND
	;;#ASMSTART
	v_cvt_f32_f16 v38, v2;
	;;#ASMEND
	global_load_dwordx4 v[2:5], v[14:15], off offset:1024
	s_waitcnt vmcnt(0)
	v_lshrrev_b32_e32 v1, 16, v3
	v_lshrrev_b32_e32 v6, 16, v2
	;; [unrolled: 1-line block ×3, first 2 shown]
	s_and_saveexec_b64 s[12:13], s[0:1]
	s_cbranch_execz .LBB90_48
; %bb.54:                               ;   in Loop: Header=BB90_50 Depth=1
	v_cmp_gt_i32_e32 vcc, s11, v28
	s_nop 1
	v_cndmask_b32_e32 v2, 0, v2, vcc
	v_cmp_gt_i32_e32 vcc, s11, v30
	s_nop 1
	v_cndmask_b32_e32 v3, 0, v3, vcc
	v_cmp_gt_i32_e32 vcc, s28, v31
	s_nop 1
	v_cndmask_b32_e32 v1, 0, v1, vcc
	v_cmp_gt_i32_e32 vcc, s11, v32
	s_nop 1
	v_cndmask_b32_e32 v6, 0, v6, vcc
	v_cmp_gt_i32_e32 vcc, s11, v29
	s_nop 1
	v_cndmask_b32_e32 v4, 0, v4, vcc
	v_cmp_gt_i32_e32 vcc, s11, v27
	s_nop 1
	v_cndmask_b32_e32 v14, 0, v14, vcc
	v_cmp_gt_i32_e32 vcc, s11, v26
	s_nop 1
	v_cndmask_b32_sdwa v15, v7, v5, vcc dst_sel:DWORD dst_unused:UNUSED_PAD src0_sel:DWORD src1_sel:WORD_0
	v_and_b32_e32 v5, 0xffff0000, v5
	v_cmp_gt_i32_e32 vcc, s11, v25
	s_nop 1
	v_cndmask_b32_e32 v5, 0, v5, vcc
	v_or_b32_e32 v5, v15, v5
	s_branch .LBB90_48
.LBB90_55:
	s_or_b64 exec, exec, s[6:7]
.LBB90_56:
	s_or_b64 exec, exec, s[2:3]
	ds_bpermute_b32 v2, v20, v8
	ds_bpermute_b32 v3, v20, v9
	v_and_b32_e32 v1, 0x3c3, v0
	v_cmp_eq_u32_e32 vcc, 64, v1
	s_waitcnt lgkmcnt(0)
	s_barrier
	v_pk_add_f32 v[2:3], v[8:9], v[2:3]
	ds_bpermute_b32 v4, v21, v2
	ds_bpermute_b32 v5, v21, v3
	s_waitcnt lgkmcnt(0)
	v_pk_add_f32 v[2:3], v[2:3], v[4:5]
	s_and_saveexec_b64 s[0:1], vcc
; %bb.57:
	v_add_u32_e32 v4, 0x50, v19
	ds_write2_b32 v4, v2, v3 offset1:16
; %bb.58:
	s_or_b64 exec, exec, s[0:1]
	v_cmp_gt_u32_e32 vcc, 64, v0
	v_lshrrev_b32_e32 v0, 2, v0
	s_waitcnt lgkmcnt(0)
	s_barrier
	s_and_saveexec_b64 s[0:1], vcc
	s_cbranch_execz .LBB90_64
; %bb.59:
	v_mov_b32_e32 v4, 0x50
	v_cmp_eq_u32_e32 vcc, 0, v22
	v_lshl_add_u32 v4, v0, 2, v4
	s_and_saveexec_b64 s[2:3], vcc
	s_cbranch_execz .LBB90_61
; %bb.60:
	ds_read_b32 v5, v4
	s_waitcnt lgkmcnt(0)
	v_add_f32_e32 v2, v2, v5
.LBB90_61:
	s_or_b64 exec, exec, s[2:3]
	s_and_saveexec_b64 s[2:3], vcc
	s_cbranch_execz .LBB90_63
; %bb.62:
	ds_read_b32 v4, v4 offset:64
	s_waitcnt lgkmcnt(0)
	v_add_f32_e32 v3, v3, v4
.LBB90_63:
	s_or_b64 exec, exec, s[2:3]
.LBB90_64:
	s_or_b64 exec, exec, s[0:1]
	v_cmp_eq_u32_e32 vcc, 0, v1
	s_barrier
	s_and_saveexec_b64 s[0:1], vcc
	s_cbranch_execz .LBB90_66
; %bb.65:
	s_mul_i32 s0, s10, s16
	s_mul_i32 s0, s0, s5
	s_lshl_b32 s0, s0, 5
	s_ashr_i32 s1, s0, 31
	s_lshl_b64 s[0:1], s[0:1], 1
	s_add_u32 s2, s22, s0
	s_mul_i32 s0, s16, s20
	s_addc_u32 s3, s23, s1
	s_ashr_i32 s1, s0, 31
	s_lshl_b64 s[0:1], s[0:1], 1
	s_add_u32 s2, s2, s0
	s_addc_u32 s3, s3, s1
	s_lshl_b32 s0, s4, 5
	s_ashr_i32 s1, s0, 31
	s_lshl_b64 s[0:1], s[0:1], 1
	s_add_u32 s0, s2, s0
	s_addc_u32 s1, s3, s1
	v_lshlrev_b32_e32 v0, 1, v0
	;;#ASMSTART
	v_cvt_f16_f32 v1, v2;

	;;#ASMEND
	global_store_short v0, v1, s[0:1]
	;;#ASMSTART
	v_cvt_f16_f32 v1, v3;

	;;#ASMEND
	global_store_short v0, v1, s[0:1] offset:32
.LBB90_66:
	s_endpgm
	.section	.rodata,"a",@progbits
	.p2align	6, 0x0
	.amdhsa_kernel _ZN4vllm25paged_attention_v1_kernelIttLi32ELi32ELi128ELNS_18Fp8KVCacheDataTypeE0ELb1EEEvPT_PKS2_PKT0_S8_ifPKiSA_iPKfiiiSC_SC_iiiii
		.amdhsa_group_segment_fixed_size 80
		.amdhsa_private_segment_fixed_size 0
		.amdhsa_kernarg_size 384
		.amdhsa_user_sgpr_count 2
		.amdhsa_user_sgpr_dispatch_ptr 0
		.amdhsa_user_sgpr_queue_ptr 0
		.amdhsa_user_sgpr_kernarg_segment_ptr 1
		.amdhsa_user_sgpr_dispatch_id 0
		.amdhsa_user_sgpr_kernarg_preload_length 0
		.amdhsa_user_sgpr_kernarg_preload_offset 0
		.amdhsa_user_sgpr_private_segment_size 0
		.amdhsa_uses_dynamic_stack 0
		.amdhsa_enable_private_segment 0
		.amdhsa_system_sgpr_workgroup_id_x 1
		.amdhsa_system_sgpr_workgroup_id_y 1
		.amdhsa_system_sgpr_workgroup_id_z 1
		.amdhsa_system_sgpr_workgroup_info 0
		.amdhsa_system_vgpr_workitem_id 0
		.amdhsa_next_free_vgpr 51
		.amdhsa_next_free_sgpr 44
		.amdhsa_accum_offset 52
		.amdhsa_reserve_vcc 1
		.amdhsa_float_round_mode_32 0
		.amdhsa_float_round_mode_16_64 0
		.amdhsa_float_denorm_mode_32 3
		.amdhsa_float_denorm_mode_16_64 3
		.amdhsa_dx10_clamp 1
		.amdhsa_ieee_mode 1
		.amdhsa_fp16_overflow 0
		.amdhsa_tg_split 0
		.amdhsa_exception_fp_ieee_invalid_op 0
		.amdhsa_exception_fp_denorm_src 0
		.amdhsa_exception_fp_ieee_div_zero 0
		.amdhsa_exception_fp_ieee_overflow 0
		.amdhsa_exception_fp_ieee_underflow 0
		.amdhsa_exception_fp_ieee_inexact 0
		.amdhsa_exception_int_div_zero 0
	.end_amdhsa_kernel
	.section	.text._ZN4vllm25paged_attention_v1_kernelIttLi32ELi32ELi128ELNS_18Fp8KVCacheDataTypeE0ELb1EEEvPT_PKS2_PKT0_S8_ifPKiSA_iPKfiiiSC_SC_iiiii,"axG",@progbits,_ZN4vllm25paged_attention_v1_kernelIttLi32ELi32ELi128ELNS_18Fp8KVCacheDataTypeE0ELb1EEEvPT_PKS2_PKT0_S8_ifPKiSA_iPKfiiiSC_SC_iiiii,comdat
.Lfunc_end90:
	.size	_ZN4vllm25paged_attention_v1_kernelIttLi32ELi32ELi128ELNS_18Fp8KVCacheDataTypeE0ELb1EEEvPT_PKS2_PKT0_S8_ifPKiSA_iPKfiiiSC_SC_iiiii, .Lfunc_end90-_ZN4vllm25paged_attention_v1_kernelIttLi32ELi32ELi128ELNS_18Fp8KVCacheDataTypeE0ELb1EEEvPT_PKS2_PKT0_S8_ifPKiSA_iPKfiiiSC_SC_iiiii
                                        ; -- End function
	.set _ZN4vllm25paged_attention_v1_kernelIttLi32ELi32ELi128ELNS_18Fp8KVCacheDataTypeE0ELb1EEEvPT_PKS2_PKT0_S8_ifPKiSA_iPKfiiiSC_SC_iiiii.num_vgpr, 51
	.set _ZN4vllm25paged_attention_v1_kernelIttLi32ELi32ELi128ELNS_18Fp8KVCacheDataTypeE0ELb1EEEvPT_PKS2_PKT0_S8_ifPKiSA_iPKfiiiSC_SC_iiiii.num_agpr, 0
	.set _ZN4vllm25paged_attention_v1_kernelIttLi32ELi32ELi128ELNS_18Fp8KVCacheDataTypeE0ELb1EEEvPT_PKS2_PKT0_S8_ifPKiSA_iPKfiiiSC_SC_iiiii.numbered_sgpr, 44
	.set _ZN4vllm25paged_attention_v1_kernelIttLi32ELi32ELi128ELNS_18Fp8KVCacheDataTypeE0ELb1EEEvPT_PKS2_PKT0_S8_ifPKiSA_iPKfiiiSC_SC_iiiii.num_named_barrier, 0
	.set _ZN4vllm25paged_attention_v1_kernelIttLi32ELi32ELi128ELNS_18Fp8KVCacheDataTypeE0ELb1EEEvPT_PKS2_PKT0_S8_ifPKiSA_iPKfiiiSC_SC_iiiii.private_seg_size, 0
	.set _ZN4vllm25paged_attention_v1_kernelIttLi32ELi32ELi128ELNS_18Fp8KVCacheDataTypeE0ELb1EEEvPT_PKS2_PKT0_S8_ifPKiSA_iPKfiiiSC_SC_iiiii.uses_vcc, 1
	.set _ZN4vllm25paged_attention_v1_kernelIttLi32ELi32ELi128ELNS_18Fp8KVCacheDataTypeE0ELb1EEEvPT_PKS2_PKT0_S8_ifPKiSA_iPKfiiiSC_SC_iiiii.uses_flat_scratch, 0
	.set _ZN4vllm25paged_attention_v1_kernelIttLi32ELi32ELi128ELNS_18Fp8KVCacheDataTypeE0ELb1EEEvPT_PKS2_PKT0_S8_ifPKiSA_iPKfiiiSC_SC_iiiii.has_dyn_sized_stack, 0
	.set _ZN4vllm25paged_attention_v1_kernelIttLi32ELi32ELi128ELNS_18Fp8KVCacheDataTypeE0ELb1EEEvPT_PKS2_PKT0_S8_ifPKiSA_iPKfiiiSC_SC_iiiii.has_recursion, 0
	.set _ZN4vllm25paged_attention_v1_kernelIttLi32ELi32ELi128ELNS_18Fp8KVCacheDataTypeE0ELb1EEEvPT_PKS2_PKT0_S8_ifPKiSA_iPKfiiiSC_SC_iiiii.has_indirect_call, 0
	.section	.AMDGPU.csdata,"",@progbits
; Kernel info:
; codeLenInByte = 5460
; TotalNumSgprs: 50
; NumVgprs: 51
; NumAgprs: 0
; TotalNumVgprs: 51
; ScratchSize: 0
; MemoryBound: 0
; FloatMode: 240
; IeeeMode: 1
; LDSByteSize: 80 bytes/workgroup (compile time only)
; SGPRBlocks: 6
; VGPRBlocks: 6
; NumSGPRsForWavesPerEU: 50
; NumVGPRsForWavesPerEU: 51
; AccumOffset: 52
; Occupancy: 8
; WaveLimiterHint : 1
; COMPUTE_PGM_RSRC2:SCRATCH_EN: 0
; COMPUTE_PGM_RSRC2:USER_SGPR: 2
; COMPUTE_PGM_RSRC2:TRAP_HANDLER: 0
; COMPUTE_PGM_RSRC2:TGID_X_EN: 1
; COMPUTE_PGM_RSRC2:TGID_Y_EN: 1
; COMPUTE_PGM_RSRC2:TGID_Z_EN: 1
; COMPUTE_PGM_RSRC2:TIDIG_COMP_CNT: 0
; COMPUTE_PGM_RSRC3_GFX90A:ACCUM_OFFSET: 12
; COMPUTE_PGM_RSRC3_GFX90A:TG_SPLIT: 0
	.section	.text._ZN4vllm25paged_attention_v1_kernelIttLi64ELi32ELi128ELNS_18Fp8KVCacheDataTypeE0ELb1EEEvPT_PKS2_PKT0_S8_ifPKiSA_iPKfiiiSC_SC_iiiii,"axG",@progbits,_ZN4vllm25paged_attention_v1_kernelIttLi64ELi32ELi128ELNS_18Fp8KVCacheDataTypeE0ELb1EEEvPT_PKS2_PKT0_S8_ifPKiSA_iPKfiiiSC_SC_iiiii,comdat
	.protected	_ZN4vllm25paged_attention_v1_kernelIttLi64ELi32ELi128ELNS_18Fp8KVCacheDataTypeE0ELb1EEEvPT_PKS2_PKT0_S8_ifPKiSA_iPKfiiiSC_SC_iiiii ; -- Begin function _ZN4vllm25paged_attention_v1_kernelIttLi64ELi32ELi128ELNS_18Fp8KVCacheDataTypeE0ELb1EEEvPT_PKS2_PKT0_S8_ifPKiSA_iPKfiiiSC_SC_iiiii
	.globl	_ZN4vllm25paged_attention_v1_kernelIttLi64ELi32ELi128ELNS_18Fp8KVCacheDataTypeE0ELb1EEEvPT_PKS2_PKT0_S8_ifPKiSA_iPKfiiiSC_SC_iiiii
	.p2align	8
	.type	_ZN4vllm25paged_attention_v1_kernelIttLi64ELi32ELi128ELNS_18Fp8KVCacheDataTypeE0ELb1EEEvPT_PKS2_PKT0_S8_ifPKiSA_iPKfiiiSC_SC_iiiii,@function
_ZN4vllm25paged_attention_v1_kernelIttLi64ELi32ELi128ELNS_18Fp8KVCacheDataTypeE0ELb1EEEvPT_PKS2_PKT0_S8_ifPKiSA_iPKfiiiSC_SC_iiiii: ; @_ZN4vllm25paged_attention_v1_kernelIttLi64ELi32ELi128ELNS_18Fp8KVCacheDataTypeE0ELb1EEEvPT_PKS2_PKT0_S8_ifPKiSA_iPKfiiiSC_SC_iiiii
; %bb.0:
	s_load_dword s5, s[0:1], 0x80
	s_load_dwordx2 s[6:7], s[0:1], 0x30
	s_load_dwordx2 s[30:31], s[0:1], 0x20
	s_mov_b32 s10, s3
	s_ashr_i32 s11, s3, 31
	s_lshl_b64 s[8:9], s[10:11], 2
	s_waitcnt lgkmcnt(0)
	s_add_u32 s6, s6, s8
	s_addc_u32 s7, s7, s9
	s_abs_i32 s3, s30
	v_cvt_f32_u32_e32 v1, s3
	s_sub_i32 s11, 0, s3
	s_abs_i32 s9, s5
	s_xor_b32 s8, s5, s30
	v_rcp_iflag_f32_e32 v1, v1
	s_ashr_i32 s8, s8, 31
	s_mov_b32 s42, 0
	v_mul_f32_e32 v1, 0x4f7ffffe, v1
	v_cvt_u32_f32_e32 v1, v1
	s_nop 0
	v_readfirstlane_b32 s12, v1
	s_mul_i32 s11, s11, s12
	s_mul_hi_u32 s11, s12, s11
	s_add_i32 s12, s12, s11
	s_mul_hi_u32 s11, s9, s12
	s_mul_i32 s12, s11, s3
	s_sub_i32 s9, s9, s12
	s_add_i32 s12, s11, 1
	s_sub_i32 s13, s9, s3
	s_cmp_ge_u32 s9, s3
	s_cselect_b32 s11, s12, s11
	s_cselect_b32 s9, s13, s9
	s_add_i32 s12, s11, 1
	s_cmp_ge_u32 s9, s3
	s_cselect_b32 s3, s12, s11
	s_xor_b32 s3, s3, s8
	s_sub_i32 s12, s3, s8
	s_abs_i32 s11, s12
	v_cvt_f32_u32_e32 v1, s11
	s_load_dwordx2 s[8:9], s[0:1], 0x40
	s_sub_i32 s3, 0, s11
	s_abs_i32 s22, s2
	v_rcp_iflag_f32_e32 v1, v1
	s_nop 0
	v_mul_f32_e32 v1, 0x4f7ffffe, v1
	v_cvt_u32_f32_e32 v1, v1
	s_nop 0
	v_readfirstlane_b32 s13, v1
	s_mul_i32 s3, s3, s13
	s_mul_hi_u32 s3, s13, s3
	s_add_i32 s13, s13, s3
	s_waitcnt lgkmcnt(0)
	s_cmp_eq_u64 s[8:9], 0
	s_mul_hi_u32 s23, s22, s13
	s_cbranch_scc1 .LBB91_2
; %bb.1:
	s_ashr_i32 s3, s2, 31
	s_lshl_b64 s[14:15], s[2:3], 2
	s_add_u32 s8, s8, s14
	s_addc_u32 s9, s9, s15
	s_load_dword s42, s[8:9], 0x0
.LBB91_2:
	s_load_dword s33, s[6:7], 0x0
	s_ashr_i32 s9, s12, 31
	s_load_dwordx4 s[12:15], s[0:1], 0x48
	s_ashr_i32 s3, s2, 31
	v_and_b32_e32 v4, 1, v0
	s_lshl_b32 s20, s2, 6
	v_cmp_gt_u32_e32 vcc, 16, v0
	v_lshlrev_b32_e32 v1, 3, v0
	s_and_saveexec_b64 s[6:7], vcc
	s_cbranch_execz .LBB91_4
; %bb.3:
	s_load_dwordx2 s[16:17], s[0:1], 0x8
	s_waitcnt lgkmcnt(0)
	s_mul_i32 s18, s12, s10
	s_ashr_i32 s19, s18, 31
	s_lshl_b64 s[18:19], s[18:19], 1
	v_lshlrev_b32_e32 v5, 2, v0
	s_add_u32 s8, s16, s18
	s_addc_u32 s12, s17, s19
	s_ashr_i32 s21, s20, 31
	s_lshl_b64 s[16:17], s[20:21], 1
	s_add_u32 s16, s8, s16
	s_addc_u32 s17, s12, s17
	global_load_dwordx2 v[2:3], v1, s[16:17]
	v_and_b32_e32 v5, 0xff8, v5
	v_lshl_add_u32 v5, v4, 6, v5
	s_waitcnt vmcnt(0)
	ds_write_b64 v5, v[2:3]
.LBB91_4:
	s_or_b64 exec, exec, s[6:7]
	s_mul_i32 s6, s23, s11
	s_sub_i32 s6, s22, s6
	s_xor_b32 s3, s3, s9
	s_add_i32 s7, s23, 1
	s_sub_i32 s9, s6, s11
	s_load_dwordx4 s[16:19], s[0:1], 0x68
	s_load_dword s8, s[0:1], 0x78
	s_cmp_ge_u32 s6, s11
	s_cselect_b32 s7, s7, s23
	s_cselect_b32 s6, s9, s6
	s_add_i32 s9, s7, 1
	s_cmp_ge_u32 s6, s11
	s_cselect_b32 s6, s9, s7
	s_waitcnt lgkmcnt(0)
	s_abs_i32 s21, s19
	v_cvt_f32_u32_e32 v2, s21
	s_xor_b32 s6, s6, s3
	s_sub_i32 s3, s6, s3
	s_sub_i32 s6, 0, s21
	v_rcp_iflag_f32_e32 v2, v2
	s_add_i32 s11, s33, -1
	s_abs_i32 s9, s11
	v_mul_f32_e32 v2, 0x4f7ffffe, v2
	v_cvt_u32_f32_e32 v2, v2
	s_barrier
	v_readfirstlane_b32 s40, v2
	s_mul_i32 s6, s6, s40
	s_mul_hi_u32 s6, s40, s6
	s_add_i32 s40, s40, s6
	s_cmp_lt_i32 s8, 0
	s_mul_hi_u32 s12, s9, s40
	s_cbranch_scc0 .LBB91_6
; %bb.5:
	s_mul_i32 s6, s16, s30
	s_add_i32 s6, s3, s6
	s_mul_i32 s6, s6, s8
	s_sub_i32 s41, 1, s6
	s_mov_b64 s[6:7], 0
	s_branch .LBB91_7
.LBB91_6:
	s_mov_b64 s[6:7], -1
                                        ; implicit-def: $sgpr41
.LBB91_7:
	s_load_dwordx2 s[24:25], s[0:1], 0x28
	s_ashr_i32 s15, s11, 31
	s_andn2_b64 vcc, exec, s[6:7]
	s_ashr_i32 s19, s19, 31
	s_cbranch_vccnz .LBB91_9
; %bb.8:
	s_mul_i32 s6, s5, s16
	s_add_i32 s2, s6, s2
	s_mul_i32 s2, s2, s8
	s_add_i32 s41, s2, 1
.LBB91_9:
	s_load_dword s2, s[0:1], 0x38
	s_load_dwordx2 s[22:23], s[0:1], 0x0
	s_load_dwordx2 s[28:29], s[0:1], 0x18
	s_load_dword s11, s[0:1], 0x88
	s_xor_b32 s6, s15, s19
	s_waitcnt lgkmcnt(0)
	s_mul_i32 s26, s2, s10
	s_mul_i32 s2, s12, s21
	s_sub_i32 s2, s9, s2
	s_ashr_i32 s27, s26, 31
	s_add_i32 s7, s12, 1
	s_sub_i32 s8, s2, s21
	s_cmp_ge_u32 s2, s21
	s_cselect_b32 s7, s7, s12
	s_cselect_b32 s2, s8, s2
	s_add_i32 s8, s7, 1
	s_cmp_ge_u32 s2, s21
	s_cselect_b32 s2, s8, s7
	s_xor_b32 s2, s2, s6
	s_sub_i32 s12, s2, s6
	s_add_i32 s2, s33, 31
	s_ashr_i32 s6, s2, 31
	s_lshr_b32 s6, s6, 27
	s_add_i32 s2, s2, s6
	s_ashr_i32 s16, s2, 5
	v_lshrrev_b32_e32 v24, 6, v0
	v_cmp_gt_i32_e64 s[6:7], s16, v24
	v_mov_b32_e32 v30, 0xff7fffff
	s_mul_i32 s14, s3, s14
	v_lshrrev_b32_e32 v26, 4, v0
	v_lshlrev_b32_e32 v25, 5, v24
	v_mbcnt_lo_u32_b32 v27, -1, 0
	s_and_saveexec_b64 s[34:35], s[6:7]
	s_cbranch_execz .LBB91_21
; %bb.10:
	s_load_dwordx2 s[0:1], s[0:1], 0x10
	s_ashr_i32 s15, s14, 31
	s_sub_i32 s30, s12, s17
	s_lshl_b64 s[2:3], s[14:15], 1
	v_bfe_u32 v28, v0, 1, 5
	s_waitcnt lgkmcnt(0)
	s_add_u32 s0, s0, s2
	s_addc_u32 s1, s1, s3
	s_abs_i32 s15, s18
	v_cvt_f32_u32_e32 v2, s15
	v_lshlrev_b32_e32 v6, 4, v28
	v_mov_b32_e32 v7, 0
	v_cmp_eq_u32_e32 vcc, 0, v4
	v_rcp_iflag_f32_e32 v5, v2
	v_lshl_add_u64 v[2:3], s[0:1], 0, v[6:7]
	s_sub_i32 s0, 0, s15
	v_lshlrev_b32_e32 v29, 6, v4
	v_mul_f32_e32 v5, 0x4f7ffffe, v5
	v_cvt_u32_f32_e32 v5, v5
	v_and_b32_e32 v6, 8, v1
	v_lshl_add_u64 v[2:3], v[2:3], 0, v[6:7]
	v_and_b32_e32 v6, 60, v26
	v_mul_lo_u32 v4, s0, v5
	s_lshl_b64 s[0:1], s[26:27], 2
	s_add_u32 s0, s24, s0
	v_mul_hi_u32 v4, v5, v4
	s_addc_u32 s1, s25, s1
	v_add_u32_e32 v31, v5, v4
	v_lshl_add_u64 v[4:5], s[0:1], 0, v[6:7]
	v_subrev_u32_e32 v6, s33, v28
	v_add_u32_e32 v33, 1, v6
	v_lshlrev_b32_e32 v6, 2, v28
	v_lshl_or_b32 v6, v24, 7, v6
	v_mbcnt_hi_u32_b32 v36, -1, v27
	v_add_u32_e32 v34, 0x90, v6
	v_and_b32_e32 v6, 64, v36
	s_mov_b32 s43, s13
	v_cmp_neq_f32_e64 s[2:3], s42, 0
	v_lshlrev_b32_e32 v32, 5, v24
	v_mov_b32_e32 v35, 0xff7fffff
	s_mov_b64 s[36:37], 0
	v_xor_b32_e32 v37, 1, v36
	v_add_u32_e32 v38, 64, v6
	v_mov_b32_e32 v30, 0xff7fffff
	v_mov_b32_e32 v39, v24
	s_branch .LBB91_13
.LBB91_11:                              ;   in Loop: Header=BB91_13 Depth=1
	s_or_b64 exec, exec, s[38:39]
.LBB91_12:                              ;   in Loop: Header=BB91_13 Depth=1
	s_or_b64 exec, exec, s[8:9]
	v_add_u32_e32 v39, 2, v39
	v_cmp_le_i32_e64 s[0:1], s16, v39
	v_lshl_add_u64 v[4:5], v[4:5], 0, 8
	v_add_u32_e32 v32, 64, v32
	s_or_b64 s[36:37], s[0:1], s[36:37]
	v_add_u32_e32 v34, 0x100, v34
	s_andn2_b64 exec, exec, s[36:37]
	s_cbranch_execz .LBB91_20
.LBB91_13:                              ; =>This Inner Loop Header: Depth=1
	v_mul_hi_u32 v6, v32, s40
	s_waitcnt lgkmcnt(0)
	v_mul_lo_u32 v7, v6, s21
	v_sub_u32_e32 v7, v32, v7
	v_add_u32_e32 v8, 1, v6
	v_cmp_le_u32_e64 s[0:1], s21, v7
	s_nop 1
	v_cndmask_b32_e64 v6, v6, v8, s[0:1]
	v_subrev_u32_e32 v8, s21, v7
	v_cndmask_b32_e64 v7, v7, v8, s[0:1]
	v_add_u32_e32 v8, 1, v6
	v_cmp_le_u32_e64 s[0:1], s21, v7
	s_nop 1
	v_cndmask_b32_e64 v6, v6, v8, s[0:1]
	v_xor_b32_e32 v6, s19, v6
	v_subrev_u32_e32 v6, s19, v6
	v_add_u32_e32 v7, s41, v6
	v_sub_u32_e32 v9, 0, v7
	v_ashrrev_i32_e32 v8, 31, v7
	v_max_i32_e32 v7, v7, v9
	v_mul_hi_u32 v9, v7, v31
	v_mul_lo_u32 v9, v9, s15
	v_sub_u32_e32 v7, v7, v9
	v_subrev_u32_e32 v9, s15, v7
	v_cmp_le_u32_e64 s[0:1], s15, v7
	v_cmp_ge_i32_e64 s[8:9], s30, v6
	s_nop 0
	v_cndmask_b32_e64 v7, v7, v9, s[0:1]
	v_subrev_u32_e32 v9, s15, v7
	v_cmp_le_u32_e64 s[0:1], s15, v7
	s_nop 1
	v_cndmask_b32_e64 v7, v7, v9, s[0:1]
	v_xor_b32_e32 v7, v7, v8
	v_sub_u32_e32 v7, v7, v8
	v_cmp_ne_u32_e64 s[0:1], 0, v7
	s_and_b64 s[0:1], s[0:1], s[8:9]
	s_and_saveexec_b64 s[8:9], s[0:1]
	s_xor_b64 s[0:1], exec, s[8:9]
	s_cbranch_execz .LBB91_17
; %bb.14:                               ;   in Loop: Header=BB91_13 Depth=1
	s_and_saveexec_b64 s[8:9], vcc
; %bb.15:                               ;   in Loop: Header=BB91_13 Depth=1
	ds_write_b32 v34, v35
; %bb.16:                               ;   in Loop: Header=BB91_13 Depth=1
	s_or_b64 exec, exec, s[8:9]
.LBB91_17:                              ;   in Loop: Header=BB91_13 Depth=1
	s_andn2_saveexec_b64 s[8:9], s[0:1]
	s_cbranch_execz .LBB91_12
; %bb.18:                               ;   in Loop: Header=BB91_13 Depth=1
	global_load_dword v6, v[4:5], off
	s_waitcnt vmcnt(0)
	v_mad_i64_i32 v[6:7], s[0:1], v6, s43, 0
	v_lshl_add_u64 v[22:23], v[6:7], 1, v[2:3]
	global_load_dwordx2 v[20:21], v[22:23], off
	global_load_dwordx2 v[18:19], v[22:23], off offset:512
	global_load_dwordx2 v[16:17], v[22:23], off offset:1024
	;; [unrolled: 1-line block ×7, first 2 shown]
	ds_read_b64 v[22:23], v29
	v_cmp_lt_i32_e64 s[0:1], v37, v38
	s_waitcnt lgkmcnt(0)
	v_lshrrev_b32_e32 v41, 16, v22
	v_and_b32_e32 v22, 0xffff, v22
	v_lshrrev_b32_e32 v42, 16, v23
	v_and_b32_e32 v43, 0xffff, v23
	;;#ASMSTART
	v_cvt_f32_f16 v22, v22;
	;;#ASMEND
	;;#ASMSTART
	v_cvt_f32_f16 v23, v41;
	;;#ASMEND
	v_cndmask_b32_e64 v40, v36, v37, s[0:1]
	s_waitcnt vmcnt(7)
	v_lshrrev_b32_e32 v41, 16, v20
	v_and_b32_e32 v20, 0xffff, v20
	v_lshrrev_b32_e32 v44, 16, v21
	v_and_b32_e32 v21, 0xffff, v21
	s_waitcnt vmcnt(4)
	v_lshrrev_b32_e32 v52, 16, v14
	v_and_b32_e32 v53, 0xffff, v14
	v_lshrrev_b32_e32 v54, 16, v15
	v_and_b32_e32 v55, 0xffff, v15
	s_waitcnt vmcnt(3)
	v_lshrrev_b32_e32 v56, 16, v12
	v_and_b32_e32 v57, 0xffff, v12
	v_lshrrev_b32_e32 v58, 16, v13
	v_and_b32_e32 v59, 0xffff, v13
	s_waitcnt vmcnt(2)
	v_lshrrev_b32_e32 v60, 16, v10
	v_and_b32_e32 v61, 0xffff, v10
	v_lshrrev_b32_e32 v62, 16, v11
	v_and_b32_e32 v63, 0xffff, v11
	s_waitcnt vmcnt(1)
	v_lshrrev_b32_e32 v64, 16, v8
	v_and_b32_e32 v65, 0xffff, v8
	v_lshrrev_b32_e32 v66, 16, v9
	v_and_b32_e32 v67, 0xffff, v9
	;;#ASMSTART
	v_cvt_f32_f16 v10, v20;
	;;#ASMEND
	;;#ASMSTART
	v_cvt_f32_f16 v11, v41;
	;;#ASMEND
	;; [unrolled: 3-line block ×6, first 2 shown]
	ds_read_b64 v[8:9], v29 offset:8
	v_lshrrev_b32_e32 v45, 16, v18
	v_and_b32_e32 v18, 0xffff, v18
	v_lshrrev_b32_e32 v46, 16, v19
	v_and_b32_e32 v47, 0xffff, v19
	s_waitcnt vmcnt(0)
	v_lshrrev_b32_e32 v41, 16, v6
	v_and_b32_e32 v42, 0xffff, v6
	v_lshrrev_b32_e32 v43, 16, v7
	v_and_b32_e32 v44, 0xffff, v7
	s_waitcnt lgkmcnt(0)
	v_lshrrev_b32_e32 v6, 16, v8
	v_and_b32_e32 v7, 0xffff, v8
	v_lshrrev_b32_e32 v19, 16, v9
	v_and_b32_e32 v20, 0xffff, v9
	;; [unrolled: 2-line block ×4, first 2 shown]
	;;#ASMSTART
	v_cvt_f32_f16 v8, v7;
	;;#ASMEND
	;;#ASMSTART
	v_cvt_f32_f16 v9, v6;
	;;#ASMEND
	;; [unrolled: 3-line block ×8, first 2 shown]
	ds_read_b64 v[6:7], v29 offset:16
	v_mul_f32_e32 v9, v9, v17
	v_mul_f32_e32 v17, v19, v21
	;; [unrolled: 1-line block ×4, first 2 shown]
	v_fmac_f32_e32 v9, v23, v11
	v_fmac_f32_e32 v17, v13, v15
	s_waitcnt lgkmcnt(0)
	v_lshrrev_b32_e32 v11, 16, v6
	v_and_b32_e32 v6, 0xffff, v6
	v_lshrrev_b32_e32 v15, 16, v7
	v_and_b32_e32 v7, 0xffff, v7
	v_fmac_f32_e32 v8, v22, v10
	v_fmac_f32_e32 v16, v12, v14
	;;#ASMSTART
	v_cvt_f32_f16 v10, v6;
	;;#ASMEND
	;;#ASMSTART
	v_cvt_f32_f16 v11, v11;
	;;#ASMEND
	;;#ASMSTART
	v_cvt_f32_f16 v12, v49;
	;;#ASMEND
	;;#ASMSTART
	v_cvt_f32_f16 v13, v48;
	;;#ASMEND
	;;#ASMSTART
	v_cvt_f32_f16 v14, v7;
	;;#ASMEND
	;;#ASMSTART
	v_cvt_f32_f16 v15, v15;
	;;#ASMEND
	;;#ASMSTART
	v_cvt_f32_f16 v18, v51;
	;;#ASMEND
	;;#ASMSTART
	v_cvt_f32_f16 v19, v50;
	;;#ASMEND
	ds_read_b64 v[6:7], v29 offset:24
	v_fmac_f32_e32 v9, v11, v13
	v_fmac_f32_e32 v17, v15, v19
	v_fmac_f32_e32 v8, v10, v12
	v_fmac_f32_e32 v16, v14, v18
	s_waitcnt lgkmcnt(0)
	v_lshrrev_b32_e32 v11, 16, v6
	v_and_b32_e32 v6, 0xffff, v6
	v_lshrrev_b32_e32 v15, 16, v7
	v_and_b32_e32 v7, 0xffff, v7
	;;#ASMSTART
	v_cvt_f32_f16 v10, v6;
	;;#ASMEND
	;;#ASMSTART
	v_cvt_f32_f16 v11, v11;
	;;#ASMEND
	;;#ASMSTART
	v_cvt_f32_f16 v12, v53;
	;;#ASMEND
	;;#ASMSTART
	v_cvt_f32_f16 v13, v52;
	;;#ASMEND
	;;#ASMSTART
	v_cvt_f32_f16 v14, v7;
	;;#ASMEND
	;;#ASMSTART
	v_cvt_f32_f16 v15, v15;
	;;#ASMEND
	;;#ASMSTART
	v_cvt_f32_f16 v18, v55;
	;;#ASMEND
	;;#ASMSTART
	v_cvt_f32_f16 v19, v54;
	;;#ASMEND
	ds_read_b64 v[6:7], v29 offset:32
	v_fmac_f32_e32 v9, v11, v13
	v_fmac_f32_e32 v17, v15, v19
	v_fmac_f32_e32 v8, v10, v12
	v_fmac_f32_e32 v16, v14, v18
	s_waitcnt lgkmcnt(0)
	v_lshrrev_b32_e32 v11, 16, v6
	v_and_b32_e32 v6, 0xffff, v6
	v_lshrrev_b32_e32 v15, 16, v7
	v_and_b32_e32 v7, 0xffff, v7
	;; [unrolled: 34-line block ×5, first 2 shown]
	;;#ASMSTART
	v_cvt_f32_f16 v6, v6;
	;;#ASMEND
	;;#ASMSTART
	v_cvt_f32_f16 v7, v10;
	;;#ASMEND
	;; [unrolled: 3-line block ×8, first 2 shown]
	s_nop 0
	v_fmac_f32_e32 v8, v6, v10
	v_fmac_f32_e32 v9, v7, v11
	;; [unrolled: 1-line block ×3, first 2 shown]
	v_add_f32_e32 v6, v8, v9
	v_fmac_f32_e32 v17, v13, v15
	v_add_f32_e32 v6, v6, v16
	v_add_f32_e32 v6, v17, v6
	v_lshlrev_b32_e32 v7, 2, v40
	ds_bpermute_b32 v7, v7, v6
	s_and_saveexec_b64 s[38:39], vcc
	s_cbranch_execz .LBB91_11
; %bb.19:                               ;   in Loop: Header=BB91_13 Depth=1
	v_add_u32_e32 v8, v33, v32
	v_cvt_f32_i32_e32 v8, v8
	s_waitcnt lgkmcnt(0)
	v_add_f32_e32 v6, v6, v7
	v_add_u32_e32 v9, v28, v32
	v_cmp_gt_i32_e64 s[0:1], s33, v9
	v_mul_f32_e32 v7, s42, v8
	v_cndmask_b32_e64 v7, 0, v7, s[2:3]
	v_fmac_f32_e32 v7, s31, v6
	v_cndmask_b32_e64 v6, 0, v7, s[0:1]
	ds_write_b32 v34, v6
	v_max_f32_e32 v6, v30, v30
	v_max_f32_e32 v6, v6, v7
	v_cndmask_b32_e64 v30, v30, v6, s[0:1]
	s_branch .LBB91_11
.LBB91_20:
	s_or_b64 exec, exec, s[36:37]
.LBB91_21:
	s_or_b64 exec, exec, s[34:35]
	v_mbcnt_hi_u32_b32 v2, -1, v27
	v_and_b32_e32 v9, 64, v2
	v_add_u32_e32 v10, 64, v9
	v_xor_b32_e32 v3, 32, v2
	v_cmp_lt_i32_e32 vcc, v3, v10
	v_xor_b32_e32 v6, 16, v2
	v_max_f32_e32 v5, v30, v30
	v_cndmask_b32_e32 v3, v2, v3, vcc
	v_lshlrev_b32_e32 v3, 2, v3
	ds_bpermute_b32 v4, v3, v30
	v_cmp_lt_i32_e32 vcc, v6, v10
	s_waitcnt lgkmcnt(1)
	v_xor_b32_e32 v7, 8, v2
	v_xor_b32_e32 v8, 4, v2
	;; [unrolled: 1-line block ×3, first 2 shown]
	s_waitcnt lgkmcnt(0)
	v_max_f32_e32 v4, v4, v4
	v_max_f32_e32 v5, v5, v4
	v_cndmask_b32_e32 v4, v2, v6, vcc
	v_lshlrev_b32_e32 v4, 2, v4
	ds_bpermute_b32 v6, v4, v5
	v_cmp_lt_i32_e32 vcc, v7, v10
	v_and_b32_e32 v18, 63, v0
	s_waitcnt lgkmcnt(0)
	v_max_f32_e32 v6, v6, v6
	v_max_f32_e32 v6, v5, v6
	v_cndmask_b32_e32 v5, v2, v7, vcc
	v_lshlrev_b32_e32 v5, 2, v5
	ds_bpermute_b32 v7, v5, v6
	v_cmp_lt_i32_e32 vcc, v8, v10
	s_waitcnt lgkmcnt(0)
	v_max_f32_e32 v7, v7, v7
	v_max_f32_e32 v7, v6, v7
	v_cndmask_b32_e32 v6, v2, v8, vcc
	v_lshlrev_b32_e32 v6, 2, v6
	ds_bpermute_b32 v8, v6, v7
	v_cmp_lt_i32_e32 vcc, v11, v10
	s_waitcnt lgkmcnt(0)
	v_max_f32_e32 v8, v8, v8
	v_max_f32_e32 v8, v7, v8
	v_cndmask_b32_e32 v7, v2, v11, vcc
	v_lshlrev_b32_e32 v19, 2, v7
	ds_bpermute_b32 v11, v19, v8
	v_cmp_eq_u32_e32 vcc, 0, v18
	v_lshlrev_b32_e32 v7, 2, v24
	s_and_saveexec_b64 s[0:1], vcc
	s_cbranch_execz .LBB91_23
; %bb.22:
	s_waitcnt lgkmcnt(0)
	v_max_f32_e32 v11, v11, v11
	v_max_f32_e32 v8, v8, v8
	;; [unrolled: 1-line block ×3, first 2 shown]
	ds_write_b32 v7, v8 offset:128
.LBB91_23:
	s_or_b64 exec, exec, s[0:1]
	v_cmp_gt_u32_e64 s[0:1], 2, v18
	s_waitcnt lgkmcnt(0)
	v_mov_b32_e32 v11, 0xff7fffff
	v_lshlrev_b32_e32 v8, 2, v18
	s_barrier
	s_and_saveexec_b64 s[2:3], s[0:1]
; %bb.24:
	ds_read_b32 v11, v8 offset:128
; %bb.25:
	s_or_b64 exec, exec, s[2:3]
	v_xor_b32_e32 v12, 1, v2
	v_cmp_lt_i32_e64 s[2:3], v12, v10
	v_lshlrev_b32_e32 v9, 2, v9
	s_nop 0
	v_cndmask_b32_e64 v10, v2, v12, s[2:3]
	v_lshlrev_b32_e32 v20, 2, v10
	s_waitcnt lgkmcnt(0)
	ds_bpermute_b32 v10, v20, v11
	v_max_f32_e32 v11, v11, v11
	s_lshl_b32 s2, s16, 5
	s_min_i32 s15, s2, s33
	v_cmp_gt_i32_e64 s[2:3], s15, v0
	s_waitcnt lgkmcnt(0)
	v_max_f32_e32 v10, v10, v10
	v_max_f32_e32 v10, v11, v10
	ds_bpermute_b32 v10, v9, v10
	v_mov_b32_e32 v9, 0
	s_and_saveexec_b64 s[30:31], s[2:3]
	s_cbranch_execz .LBB91_29
; %bb.26:
	v_mov_b32_e32 v9, 0x90
	v_lshl_add_u32 v11, v0, 2, v9
	v_mov_b32_e32 v9, 0
	s_mov_b64 s[34:35], 0
	v_mov_b32_e32 v12, v0
.LBB91_27:                              ; =>This Inner Loop Header: Depth=1
	ds_read_b32 v13, v11
	v_add_u32_e32 v12, 0x80, v12
	v_cmp_le_i32_e64 s[8:9], s15, v12
	s_or_b64 s[34:35], s[8:9], s[34:35]
	s_waitcnt lgkmcnt(0)
	v_sub_f32_e32 v13, v13, v10
	v_mul_f32_e32 v13, 0x3fb8aa3b, v13
	v_exp_f32_e32 v13, v13
	ds_write_b32 v11, v13
	v_add_f32_e32 v9, v9, v13
	v_add_u32_e32 v11, 0x200, v11
	s_andn2_b64 exec, exec, s[34:35]
	s_cbranch_execnz .LBB91_27
; %bb.28:
	s_or_b64 exec, exec, s[34:35]
.LBB91_29:
	s_or_b64 exec, exec, s[30:31]
	ds_bpermute_b32 v3, v3, v9
	s_waitcnt lgkmcnt(0)
	v_add_f32_e32 v3, v9, v3
	ds_bpermute_b32 v4, v4, v3
	s_waitcnt lgkmcnt(0)
	v_add_f32_e32 v3, v3, v4
	;; [unrolled: 3-line block ×6, first 2 shown]
	s_and_saveexec_b64 s[8:9], vcc
; %bb.30:
	ds_write_b32 v7, v3 offset:136
; %bb.31:
	s_or_b64 exec, exec, s[8:9]
	s_waitcnt lgkmcnt(0)
	s_barrier
	s_and_saveexec_b64 s[8:9], s[0:1]
; %bb.32:
	ds_read_b32 v3, v8 offset:136
; %bb.33:
	s_or_b64 exec, exec, s[8:9]
	s_waitcnt lgkmcnt(0)
	ds_bpermute_b32 v4, v20, v3
	v_lshlrev_b32_e32 v2, 2, v2
	v_and_b32_e32 v2, 0x100, v2
	s_waitcnt lgkmcnt(0)
	v_add_f32_e32 v3, v3, v4
	ds_bpermute_b32 v2, v2, v3
	s_and_saveexec_b64 s[0:1], s[2:3]
	s_cbranch_execz .LBB91_46
; %bb.34:
	s_waitcnt lgkmcnt(0)
	v_add_f32_e32 v2, 0x358637bd, v2
	v_div_scale_f32 v3, s[2:3], v2, v2, 1.0
	v_rcp_f32_e32 v4, v3
	v_div_scale_f32 v5, vcc, 1.0, v2, 1.0
	s_movk_i32 s2, 0x7f
	v_fma_f32 v6, -v3, v4, 1.0
	v_fmac_f32_e32 v4, v6, v4
	v_mul_f32_e32 v6, v5, v4
	v_fma_f32 v7, -v3, v6, v5
	v_fmac_f32_e32 v6, v7, v4
	v_fma_f32 v3, -v3, v6, v5
	v_div_fmas_f32 v3, v3, v4, v6
	v_xad_u32 v4, v0, -1, s15
	v_div_fixup_f32 v2, v3, v2, 1.0
	v_cmp_lt_u32_e32 vcc, s2, v4
	s_mov_b64 s[8:9], -1
	v_mov_b32_e32 v3, v0
	s_and_saveexec_b64 s[2:3], vcc
	s_cbranch_execz .LBB91_43
; %bb.35:
	v_lshrrev_b32_e32 v4, 7, v4
	v_add_u32_e32 v6, -1, v4
	v_lshrrev_b32_e32 v5, 1, v6
	v_mov_b32_e32 v3, v2
	v_add_u32_e32 v5, 1, v5
	v_cmp_lt_u32_e32 vcc, 13, v6
	v_mov_b32_e32 v8, 0
	s_and_saveexec_b64 s[8:9], vcc
	s_cbranch_execz .LBB91_39
; %bb.36:
	v_mov_b32_e32 v7, 0x90
	v_and_b32_e32 v6, -8, v5
	v_lshl_add_u32 v7, v0, 2, v7
	s_mov_b32 s34, 0
	s_mov_b64 s[30:31], 0
.LBB91_37:                              ; =>This Inner Loop Header: Depth=1
	ds_read2st64_b32 v[8:9], v7 offset1:2
	ds_read2st64_b32 v[10:11], v7 offset0:4 offset1:6
	ds_read2st64_b32 v[12:13], v7 offset0:8 offset1:10
	;; [unrolled: 1-line block ×3, first 2 shown]
	v_add_u32_e32 v6, -8, v6
	s_waitcnt lgkmcnt(3)
	v_pk_mul_f32 v[8:9], v[2:3], v[8:9]
	s_waitcnt lgkmcnt(2)
	v_pk_mul_f32 v[10:11], v[2:3], v[10:11]
	ds_write2st64_b32 v7, v8, v9 offset1:2
	ds_write2st64_b32 v7, v10, v11 offset0:4 offset1:6
	ds_read2st64_b32 v[10:11], v7 offset0:16 offset1:18
	s_waitcnt lgkmcnt(4)
	v_pk_mul_f32 v[8:9], v[2:3], v[12:13]
	ds_write2st64_b32 v7, v8, v9 offset0:8 offset1:10
	s_waitcnt lgkmcnt(4)
	v_pk_mul_f32 v[8:9], v[2:3], v[14:15]
	ds_write2st64_b32 v7, v8, v9 offset0:12 offset1:14
	ds_read2st64_b32 v[8:9], v7 offset0:20 offset1:22
	s_waitcnt lgkmcnt(3)
	v_pk_mul_f32 v[10:11], v[2:3], v[10:11]
	ds_read2st64_b32 v[12:13], v7 offset0:24 offset1:26
	ds_write2st64_b32 v7, v10, v11 offset0:16 offset1:18
	ds_read2st64_b32 v[10:11], v7 offset0:28 offset1:30
	s_waitcnt lgkmcnt(3)
	v_pk_mul_f32 v[8:9], v[2:3], v[8:9]
	ds_write2st64_b32 v7, v8, v9 offset0:20 offset1:22
	s_waitcnt lgkmcnt(3)
	v_pk_mul_f32 v[8:9], v[2:3], v[12:13]
	ds_write2st64_b32 v7, v8, v9 offset0:24 offset1:26
	s_waitcnt lgkmcnt(2)
	v_pk_mul_f32 v[8:9], v[2:3], v[10:11]
	s_add_i32 s34, s34, 16
	v_cmp_eq_u32_e32 vcc, 0, v6
	ds_write2st64_b32 v7, v8, v9 offset0:28 offset1:30
	v_add_u32_e32 v7, 0x2000, v7
	s_or_b64 s[30:31], vcc, s[30:31]
	v_mov_b32_e32 v8, s34
	s_andn2_b64 exec, exec, s[30:31]
	s_cbranch_execnz .LBB91_37
; %bb.38:
	s_or_b64 exec, exec, s[30:31]
.LBB91_39:
	s_or_b64 exec, exec, s[8:9]
	v_and_b32_e32 v5, 7, v5
	v_cmp_ne_u32_e32 vcc, 0, v5
	s_and_saveexec_b64 s[8:9], vcc
	s_cbranch_execz .LBB91_42
; %bb.40:
	v_lshlrev_b32_e32 v6, 9, v8
	v_lshlrev_b32_e32 v7, 2, v0
	s_movk_i32 s30, 0x90
	v_add3_u32 v6, v6, v7, s30
	s_mov_b64 s[30:31], 0
.LBB91_41:                              ; =>This Inner Loop Header: Depth=1
	ds_read2st64_b32 v[8:9], v6 offset1:2
	v_add_u32_e32 v5, -1, v5
	v_cmp_eq_u32_e32 vcc, 0, v5
	s_or_b64 s[30:31], vcc, s[30:31]
	s_waitcnt lgkmcnt(0)
	v_pk_mul_f32 v[8:9], v[2:3], v[8:9]
	ds_write2st64_b32 v6, v8, v9 offset1:2
	v_add_u32_e32 v6, 0x400, v6
	s_andn2_b64 exec, exec, s[30:31]
	s_cbranch_execnz .LBB91_41
.LBB91_42:
	s_or_b64 exec, exec, s[8:9]
	v_add_u32_e32 v4, 1, v4
	v_and_b32_e32 v5, 0x3fffffe, v4
	v_cmp_ne_u32_e32 vcc, v4, v5
	v_lshl_add_u32 v3, v5, 7, v0
	s_orn2_b64 s[8:9], vcc, exec
.LBB91_43:
	s_or_b64 exec, exec, s[2:3]
	s_and_b64 exec, exec, s[8:9]
	s_cbranch_execz .LBB91_46
; %bb.44:
	v_mov_b32_e32 v4, 0x90
	v_lshl_add_u32 v4, v3, 2, v4
	s_mov_b64 s[2:3], 0
.LBB91_45:                              ; =>This Inner Loop Header: Depth=1
	ds_read_b32 v5, v4
	v_add_u32_e32 v3, 0x80, v3
	v_cmp_le_i32_e32 vcc, s15, v3
	s_or_b64 s[2:3], vcc, s[2:3]
	s_waitcnt lgkmcnt(0)
	v_mul_f32_e32 v5, v2, v5
	ds_write_b32 v4, v5
	v_add_u32_e32 v4, 0x200, v4
	s_andn2_b64 exec, exec, s[2:3]
	s_cbranch_execnz .LBB91_45
.LBB91_46:
	s_or_b64 exec, exec, s[0:1]
	v_mov_b32_e32 v7, 0
	v_and_b32_e32 v21, 3, v0
	v_mov_b32_e32 v6, 0
	v_mov_b32_e32 v9, 0
	v_mov_b32_e32 v8, 0
	s_waitcnt lgkmcnt(0)
	s_barrier
	s_and_saveexec_b64 s[2:3], s[6:7]
	s_cbranch_execz .LBB91_60
; %bb.47:
	s_ashr_i32 s15, s14, 31
	s_sub_i32 s17, s12, s17
	s_lshl_b64 s[0:1], s[14:15], 1
	s_add_u32 s0, s28, s0
	s_addc_u32 s1, s29, s1
	s_abs_i32 s14, s18
	v_cvt_f32_u32_e32 v2, s14
	v_and_b32_e32 v22, 24, v1
	v_mov_b32_e32 v11, 0
	s_add_i32 s18, s16, -1
	v_rcp_iflag_f32_e32 v1, v2
	v_lshlrev_b32_e32 v2, 4, v0
	v_and_b32_e32 v10, 0x3f0, v2
	v_lshl_add_u64 v[12:13], s[0:1], 0, v[10:11]
	v_mul_f32_e32 v1, 0x4f7ffffe, v1
	v_cvt_u32_f32_e32 v1, v1
	s_sub_i32 s0, 0, s14
	v_and_b32_e32 v10, 60, v26
	s_mov_b32 s15, s13
	v_mul_lo_u32 v2, s0, v1
	v_mul_hi_u32 v2, v1, v2
	s_lshl_b64 s[0:1], s[26:27], 2
	v_add_u32_e32 v23, v1, v2
	s_add_u32 s0, s24, s0
	v_lshlrev_b32_e32 v1, 5, v21
	s_addc_u32 s1, s25, s1
	v_lshl_or_b32 v1, v24, 7, v1
	s_mov_b32 s28, s33
	v_lshl_add_u64 v[14:15], s[0:1], 0, v[10:11]
	v_add_u32_e32 v26, 0x90, v1
	s_mov_b64 s[6:7], 0
	s_mov_b32 s24, 0xffff
	v_mov_b32_e32 v8, 0
	v_mov_b32_e32 v9, 0
	;; [unrolled: 1-line block ×4, first 2 shown]
	s_branch .LBB91_50
.LBB91_48:                              ;   in Loop: Header=BB91_50 Depth=1
	s_or_b64 exec, exec, s[12:13]
	v_lshlrev_b32_e32 v10, 16, v10
	v_lshlrev_b32_e32 v1, 16, v1
	v_and_or_b32 v2, v2, s24, v10
	v_and_or_b32 v1, v3, s24, v1
	v_lshlrev_b32_e32 v3, 16, v16
	v_and_or_b32 v3, v4, s24, v3
	;;#ASMSTART
	v_pk_mul_f16 v2, v36, v2;

	;;#ASMEND
	;;#ASMSTART
	v_pk_mul_f16 v1, v37, v1;

	;;#ASMEND
	;; [unrolled: 4-line block ×4, first 2 shown]
	v_add_f32_e32 v17, v43, v44
	;;#ASMSTART
	v_pk_add_f16 v1, v2, v1;

	;;#ASMEND
	v_add_f32_e32 v6, v6, v17
	;;#ASMSTART
	v_pk_add_f16 v1, v1, v3;

	;;#ASMEND
	;; [unrolled: 5-line block ×3, first 2 shown]
	v_add_f32_e32 v9, v9, v17
	v_lshrrev_b32_e32 v2, 16, v1
	v_and_b32_e32 v1, 0xffff, v1
	;;#ASMSTART
	v_cvt_f32_f16 v1, v1;
	;;#ASMEND
	v_add_f32_e32 v17, v39, v40
	;;#ASMSTART
	v_cvt_f32_f16 v2, v2;
	;;#ASMEND
	v_add_f32_e32 v8, v8, v17
	v_add_f32_e32 v1, v1, v2
	;; [unrolled: 1-line block ×3, first 2 shown]
.LBB91_49:                              ;   in Loop: Header=BB91_50 Depth=1
	s_or_b64 exec, exec, s[8:9]
	v_add_u32_e32 v24, 2, v24
	v_cmp_le_i32_e32 vcc, s16, v24
	v_lshl_add_u64 v[14:15], v[14:15], 0, 8
	v_add_u32_e32 v25, 64, v25
	s_or_b64 s[6:7], vcc, s[6:7]
	v_add_u32_e32 v26, 0x100, v26
	s_andn2_b64 exec, exec, s[6:7]
	s_cbranch_execz .LBB91_59
.LBB91_50:                              ; =>This Inner Loop Header: Depth=1
	v_mul_hi_u32 v1, v25, s40
	v_mul_lo_u32 v2, v1, s21
	v_sub_u32_e32 v2, v25, v2
	v_add_u32_e32 v3, 1, v1
	v_cmp_le_u32_e32 vcc, s21, v2
	s_nop 1
	v_cndmask_b32_e32 v1, v1, v3, vcc
	v_subrev_u32_e32 v3, s21, v2
	v_cndmask_b32_e32 v2, v2, v3, vcc
	v_add_u32_e32 v3, 1, v1
	v_cmp_le_u32_e32 vcc, s21, v2
	s_nop 1
	v_cndmask_b32_e32 v1, v1, v3, vcc
	v_xor_b32_e32 v1, s19, v1
	v_subrev_u32_e32 v1, s19, v1
	v_add_u32_e32 v2, s41, v1
	v_sub_u32_e32 v4, 0, v2
	v_ashrrev_i32_e32 v3, 31, v2
	v_max_i32_e32 v2, v2, v4
	v_mul_hi_u32 v4, v2, v23
	v_mul_lo_u32 v4, v4, s14
	v_sub_u32_e32 v2, v2, v4
	v_subrev_u32_e32 v4, s14, v2
	v_cmp_le_u32_e32 vcc, s14, v2
	v_cmp_lt_i32_e64 s[0:1], s17, v1
	s_nop 0
	v_cndmask_b32_e32 v2, v2, v4, vcc
	v_subrev_u32_e32 v4, s14, v2
	v_cmp_le_u32_e32 vcc, s14, v2
	s_nop 1
	v_cndmask_b32_e32 v2, v2, v4, vcc
	v_xor_b32_e32 v2, v2, v3
	v_sub_u32_e32 v2, v2, v3
	v_cmp_eq_u32_e32 vcc, 0, v2
	s_or_b64 s[0:1], vcc, s[0:1]
	s_and_saveexec_b64 s[8:9], s[0:1]
	s_cbranch_execz .LBB91_49
; %bb.51:                               ;   in Loop: Header=BB91_50 Depth=1
	global_load_dword v1, v[14:15], off
	ds_read2_b64 v[2:5], v26 offset1:1
	ds_read2_b64 v[28:31], v26 offset0:2 offset1:3
	s_waitcnt lgkmcnt(1)
	;;#ASMSTART
	v_cvt_f16_f32 v35, v2;

	;;#ASMEND
	;;#ASMSTART
	v_cvt_f16_f32 v36, v3;

	;;#ASMEND
	;;#ASMSTART
	v_cvt_f16_f32 v37, v4;

	;;#ASMEND
	;;#ASMSTART
	v_cvt_f16_f32 v38, v5;

	;;#ASMEND
	s_waitcnt lgkmcnt(0)
	;;#ASMSTART
	v_cvt_f16_f32 v39, v28;

	;;#ASMEND
	;;#ASMSTART
	v_cvt_f16_f32 v40, v29;

	;;#ASMEND
	;; [unrolled: 4-line block ×4, first 2 shown]
	v_add_u32_e32 v30, v22, v25
	v_add_u32_e32 v32, 2, v30
	;; [unrolled: 1-line block ×6, first 2 shown]
	v_or_b32_e32 v33, 3, v30
	v_or_b32_e32 v34, 1, v30
	s_waitcnt vmcnt(0)
	v_mad_i64_i32 v[2:3], s[0:1], v1, s15, 0
	v_lshl_add_u64 v[16:17], v[2:3], 1, v[12:13]
	global_load_dwordx4 v[2:5], v[16:17], off
	v_cmp_eq_u32_e64 s[0:1], s18, v24
	s_waitcnt vmcnt(0)
	v_lshrrev_b32_e32 v1, 16, v3
	v_lshrrev_b32_e32 v10, 16, v2
	;; [unrolled: 1-line block ×3, first 2 shown]
	s_and_saveexec_b64 s[12:13], s[0:1]
	s_cbranch_execz .LBB91_53
; %bb.52:                               ;   in Loop: Header=BB91_50 Depth=1
	v_cmp_gt_i32_e32 vcc, s33, v30
	s_nop 1
	v_cndmask_b32_e32 v2, 0, v2, vcc
	v_cmp_gt_i32_e32 vcc, s33, v32
	s_nop 1
	v_cndmask_b32_e32 v3, 0, v3, vcc
	;; [unrolled: 3-line block ×6, first 2 shown]
	v_cmp_gt_i32_e32 vcc, s33, v28
	s_nop 1
	v_cndmask_b32_sdwa v44, v11, v5, vcc dst_sel:DWORD dst_unused:UNUSED_PAD src0_sel:DWORD src1_sel:WORD_0
	v_and_b32_e32 v5, 0xffff0000, v5
	v_cmp_gt_i32_e32 vcc, s33, v27
	s_nop 1
	v_cndmask_b32_e32 v5, 0, v5, vcc
	v_or_b32_e32 v5, v44, v5
.LBB91_53:                              ;   in Loop: Header=BB91_50 Depth=1
	s_or_b64 exec, exec, s[12:13]
	v_and_b32_e32 v35, 0xffff, v35
	v_lshl_or_b32 v36, v36, 16, v35
	v_and_b32_e32 v35, 0xffff, v37
	v_lshlrev_b32_e32 v10, 16, v10
	v_lshlrev_b32_e32 v1, 16, v1
	v_lshl_or_b32 v37, v38, 16, v35
	v_and_b32_e32 v35, 0xffff, v39
	v_and_or_b32 v2, v2, s24, v10
	v_and_or_b32 v1, v3, s24, v1
	v_lshlrev_b32_e32 v3, 16, v43
	v_lshl_or_b32 v38, v40, 16, v35
	v_and_b32_e32 v35, 0xffff, v41
	v_and_or_b32 v3, v4, s24, v3
	;;#ASMSTART
	v_pk_mul_f16 v2, v36, v2;

	;;#ASMEND
	;;#ASMSTART
	v_pk_mul_f16 v1, v37, v1;

	;;#ASMEND
	v_lshl_or_b32 v35, v42, 16, v35
	;;#ASMSTART
	v_pk_mul_f16 v3, v38, v3;

	;;#ASMEND
	;;#ASMSTART
	v_pk_mul_f16 v4, v35, v5;

	;;#ASMEND
	;;#ASMSTART
	v_pk_add_f16 v1, v2, v1;

	;;#ASMEND
	s_nop 0
	;;#ASMSTART
	v_pk_add_f16 v1, v1, v3;

	;;#ASMEND
	s_nop 0
	;; [unrolled: 5-line block ×3, first 2 shown]
	v_lshrrev_b32_e32 v2, 16, v1
	v_and_b32_e32 v1, 0xffff, v1
	;;#ASMSTART
	v_cvt_f32_f16 v39, v1;
	;;#ASMEND
	;;#ASMSTART
	v_cvt_f32_f16 v40, v2;
	;;#ASMEND
	global_load_dwordx4 v[2:5], v[16:17], off offset:1024
	s_waitcnt vmcnt(0)
	v_lshrrev_b32_e32 v1, 16, v3
	v_lshrrev_b32_e32 v10, 16, v2
	;; [unrolled: 1-line block ×3, first 2 shown]
	s_and_saveexec_b64 s[12:13], s[0:1]
	s_cbranch_execz .LBB91_55
; %bb.54:                               ;   in Loop: Header=BB91_50 Depth=1
	v_cmp_gt_i32_e32 vcc, s33, v30
	s_nop 1
	v_cndmask_b32_e32 v2, 0, v2, vcc
	v_cmp_gt_i32_e32 vcc, s33, v32
	s_nop 1
	v_cndmask_b32_e32 v3, 0, v3, vcc
	;; [unrolled: 3-line block ×6, first 2 shown]
	v_cmp_gt_i32_e32 vcc, s33, v28
	s_nop 1
	v_cndmask_b32_sdwa v42, v11, v5, vcc dst_sel:DWORD dst_unused:UNUSED_PAD src0_sel:DWORD src1_sel:WORD_0
	v_and_b32_e32 v5, 0xffff0000, v5
	v_cmp_gt_i32_e32 vcc, s33, v27
	s_nop 1
	v_cndmask_b32_e32 v5, 0, v5, vcc
	v_or_b32_e32 v5, v42, v5
.LBB91_55:                              ;   in Loop: Header=BB91_50 Depth=1
	s_or_b64 exec, exec, s[12:13]
	v_lshlrev_b32_e32 v10, 16, v10
	v_lshlrev_b32_e32 v1, 16, v1
	v_and_or_b32 v2, v2, s24, v10
	v_and_or_b32 v1, v3, s24, v1
	v_lshlrev_b32_e32 v3, 16, v41
	v_and_or_b32 v3, v4, s24, v3
	;;#ASMSTART
	v_pk_mul_f16 v2, v36, v2;

	;;#ASMEND
	;;#ASMSTART
	v_pk_mul_f16 v1, v37, v1;

	;;#ASMEND
	;; [unrolled: 4-line block ×4, first 2 shown]
	s_nop 0
	;;#ASMSTART
	v_pk_add_f16 v1, v2, v1;

	;;#ASMEND
	s_nop 0
	;;#ASMSTART
	v_pk_add_f16 v1, v1, v3;

	;;#ASMEND
	;; [unrolled: 5-line block ×3, first 2 shown]
	s_nop 0
	v_lshrrev_b32_e32 v2, 16, v1
	v_and_b32_e32 v1, 0xffff, v1
	;;#ASMSTART
	v_cvt_f32_f16 v41, v1;
	;;#ASMEND
	;;#ASMSTART
	v_cvt_f32_f16 v42, v2;
	;;#ASMEND
	global_load_dwordx4 v[2:5], v[16:17], off offset:2048
	s_waitcnt vmcnt(0)
	v_lshrrev_b32_e32 v1, 16, v3
	v_lshrrev_b32_e32 v10, 16, v2
	v_lshrrev_b32_e32 v43, 16, v4
	s_and_saveexec_b64 s[12:13], s[0:1]
	s_cbranch_execz .LBB91_57
; %bb.56:                               ;   in Loop: Header=BB91_50 Depth=1
	v_cmp_gt_i32_e32 vcc, s33, v30
	s_nop 1
	v_cndmask_b32_e32 v2, 0, v2, vcc
	v_cmp_gt_i32_e32 vcc, s33, v32
	s_nop 1
	v_cndmask_b32_e32 v3, 0, v3, vcc
	;; [unrolled: 3-line block ×6, first 2 shown]
	v_cmp_gt_i32_e32 vcc, s33, v28
	s_nop 1
	v_cndmask_b32_sdwa v44, v11, v5, vcc dst_sel:DWORD dst_unused:UNUSED_PAD src0_sel:DWORD src1_sel:WORD_0
	v_and_b32_e32 v5, 0xffff0000, v5
	v_cmp_gt_i32_e32 vcc, s33, v27
	s_nop 1
	v_cndmask_b32_e32 v5, 0, v5, vcc
	v_or_b32_e32 v5, v44, v5
.LBB91_57:                              ;   in Loop: Header=BB91_50 Depth=1
	s_or_b64 exec, exec, s[12:13]
	v_lshlrev_b32_e32 v10, 16, v10
	v_lshlrev_b32_e32 v1, 16, v1
	v_and_or_b32 v2, v2, s24, v10
	v_and_or_b32 v1, v3, s24, v1
	v_lshlrev_b32_e32 v3, 16, v43
	v_and_or_b32 v3, v4, s24, v3
	;;#ASMSTART
	v_pk_mul_f16 v2, v36, v2;

	;;#ASMEND
	;;#ASMSTART
	v_pk_mul_f16 v1, v37, v1;

	;;#ASMEND
	;; [unrolled: 4-line block ×4, first 2 shown]
	s_nop 0
	;;#ASMSTART
	v_pk_add_f16 v1, v2, v1;

	;;#ASMEND
	s_nop 0
	;;#ASMSTART
	v_pk_add_f16 v1, v1, v3;

	;;#ASMEND
	;; [unrolled: 5-line block ×3, first 2 shown]
	s_nop 0
	v_lshrrev_b32_e32 v2, 16, v1
	v_and_b32_e32 v1, 0xffff, v1
	;;#ASMSTART
	v_cvt_f32_f16 v43, v1;
	;;#ASMEND
	;;#ASMSTART
	v_cvt_f32_f16 v44, v2;
	;;#ASMEND
	global_load_dwordx4 v[2:5], v[16:17], off offset:3072
	s_waitcnt vmcnt(0)
	v_lshrrev_b32_e32 v1, 16, v3
	v_lshrrev_b32_e32 v10, 16, v2
	;; [unrolled: 1-line block ×3, first 2 shown]
	s_and_saveexec_b64 s[12:13], s[0:1]
	s_cbranch_execz .LBB91_48
; %bb.58:                               ;   in Loop: Header=BB91_50 Depth=1
	v_cmp_gt_i32_e32 vcc, s33, v30
	s_nop 1
	v_cndmask_b32_e32 v2, 0, v2, vcc
	v_cmp_gt_i32_e32 vcc, s33, v32
	s_nop 1
	v_cndmask_b32_e32 v3, 0, v3, vcc
	;; [unrolled: 3-line block ×6, first 2 shown]
	v_cmp_gt_i32_e32 vcc, s33, v28
	s_nop 1
	v_cndmask_b32_sdwa v17, v11, v5, vcc dst_sel:DWORD dst_unused:UNUSED_PAD src0_sel:DWORD src1_sel:WORD_0
	v_and_b32_e32 v5, 0xffff0000, v5
	v_cmp_gt_i32_e32 vcc, s33, v27
	s_nop 1
	v_cndmask_b32_e32 v5, 0, v5, vcc
	v_or_b32_e32 v5, v17, v5
	s_branch .LBB91_48
.LBB91_59:
	s_or_b64 exec, exec, s[6:7]
.LBB91_60:
	s_or_b64 exec, exec, s[2:3]
	ds_bpermute_b32 v2, v19, v8
	ds_bpermute_b32 v3, v19, v9
	;; [unrolled: 1-line block ×4, first 2 shown]
	v_and_b32_e32 v1, 0x3c3, v0
	v_cmp_ne_u32_e32 vcc, 64, v1
	s_waitcnt lgkmcnt(2)
	v_pk_add_f32 v[2:3], v[8:9], v[2:3]
	ds_bpermute_b32 v8, v20, v2
	ds_bpermute_b32 v9, v20, v3
	s_waitcnt lgkmcnt(2)
	v_pk_add_f32 v[4:5], v[6:7], v[4:5]
	ds_bpermute_b32 v6, v20, v4
	ds_bpermute_b32 v7, v20, v5
	s_waitcnt lgkmcnt(0)
	v_pk_add_f32 v[2:3], v[2:3], v[8:9]
	s_barrier
	s_and_saveexec_b64 s[0:1], vcc
	s_xor_b64 s[0:1], exec, s[0:1]
; %bb.61:
                                        ; implicit-def: $vgpr18
; %bb.62:
	s_or_saveexec_b64 s[0:1], s[0:1]
	v_pk_add_f32 v[4:5], v[4:5], v[6:7]
	s_xor_b64 exec, exec, s[0:1]
	s_cbranch_execz .LBB91_64
; %bb.63:
	v_add_u32_e32 v6, 0x90, v18
	ds_write2_b32 v6, v2, v3 offset1:16
	ds_write2_b32 v6, v4, v5 offset0:32 offset1:48
.LBB91_64:
	s_or_b64 exec, exec, s[0:1]
	v_cmp_gt_u32_e32 vcc, 64, v0
	v_lshrrev_b32_e32 v0, 2, v0
	s_waitcnt lgkmcnt(0)
	s_barrier
	s_and_saveexec_b64 s[0:1], vcc
	s_cbranch_execz .LBB91_71
; %bb.65:
	v_mov_b32_e32 v6, 0x90
	v_cmp_eq_u32_e32 vcc, 0, v21
	v_lshl_add_u32 v6, v0, 2, v6
	s_and_saveexec_b64 s[2:3], vcc
	s_cbranch_execnz .LBB91_74
; %bb.66:
	s_or_b64 exec, exec, s[2:3]
	s_and_saveexec_b64 s[2:3], vcc
	s_cbranch_execnz .LBB91_75
.LBB91_67:
	s_or_b64 exec, exec, s[2:3]
	s_and_saveexec_b64 s[2:3], vcc
	s_cbranch_execnz .LBB91_76
.LBB91_68:
	s_or_b64 exec, exec, s[2:3]
	s_and_saveexec_b64 s[2:3], vcc
	s_cbranch_execz .LBB91_70
.LBB91_69:
	ds_read_b32 v6, v6 offset:192
	s_waitcnt lgkmcnt(0)
	v_add_f32_e32 v5, v5, v6
.LBB91_70:
	s_or_b64 exec, exec, s[2:3]
.LBB91_71:
	s_or_b64 exec, exec, s[0:1]
	v_cmp_eq_u32_e32 vcc, 0, v1
	s_barrier
	s_and_saveexec_b64 s[0:1], vcc
	s_cbranch_execz .LBB91_73
; %bb.72:
	s_mul_i32 s0, s10, s11
	s_mul_i32 s0, s0, s5
	s_lshl_b32 s0, s0, 6
	s_ashr_i32 s1, s0, 31
	s_lshl_b64 s[0:1], s[0:1], 1
	s_add_u32 s2, s22, s0
	s_mul_i32 s0, s11, s20
	s_addc_u32 s3, s23, s1
	s_ashr_i32 s1, s0, 31
	s_lshl_b64 s[0:1], s[0:1], 1
	s_add_u32 s2, s2, s0
	s_addc_u32 s3, s3, s1
	s_lshl_b32 s0, s4, 6
	s_ashr_i32 s1, s0, 31
	s_lshl_b64 s[0:1], s[0:1], 1
	s_add_u32 s0, s2, s0
	s_addc_u32 s1, s3, s1
	v_lshlrev_b32_e32 v0, 1, v0
	;;#ASMSTART
	v_cvt_f16_f32 v1, v2;

	;;#ASMEND
	global_store_short v0, v1, s[0:1]
	;;#ASMSTART
	v_cvt_f16_f32 v1, v3;

	;;#ASMEND
	global_store_short v0, v1, s[0:1] offset:32
	;;#ASMSTART
	v_cvt_f16_f32 v1, v4;

	;;#ASMEND
	global_store_short v0, v1, s[0:1] offset:64
	;;#ASMSTART
	v_cvt_f16_f32 v1, v5;

	;;#ASMEND
	global_store_short v0, v1, s[0:1] offset:96
.LBB91_73:
	s_endpgm
.LBB91_74:
	ds_read_b32 v7, v6
	s_waitcnt lgkmcnt(0)
	v_add_f32_e32 v2, v2, v7
	s_or_b64 exec, exec, s[2:3]
	s_and_saveexec_b64 s[2:3], vcc
	s_cbranch_execz .LBB91_67
.LBB91_75:
	ds_read_b32 v7, v6 offset:64
	s_waitcnt lgkmcnt(0)
	v_add_f32_e32 v3, v3, v7
	s_or_b64 exec, exec, s[2:3]
	s_and_saveexec_b64 s[2:3], vcc
	s_cbranch_execz .LBB91_68
.LBB91_76:
	ds_read_b32 v7, v6 offset:128
	s_waitcnt lgkmcnt(0)
	v_add_f32_e32 v4, v4, v7
	s_or_b64 exec, exec, s[2:3]
	s_and_saveexec_b64 s[2:3], vcc
	s_cbranch_execnz .LBB91_69
	s_branch .LBB91_70
	.section	.rodata,"a",@progbits
	.p2align	6, 0x0
	.amdhsa_kernel _ZN4vllm25paged_attention_v1_kernelIttLi64ELi32ELi128ELNS_18Fp8KVCacheDataTypeE0ELb1EEEvPT_PKS2_PKT0_S8_ifPKiSA_iPKfiiiSC_SC_iiiii
		.amdhsa_group_segment_fixed_size 144
		.amdhsa_private_segment_fixed_size 0
		.amdhsa_kernarg_size 384
		.amdhsa_user_sgpr_count 2
		.amdhsa_user_sgpr_dispatch_ptr 0
		.amdhsa_user_sgpr_queue_ptr 0
		.amdhsa_user_sgpr_kernarg_segment_ptr 1
		.amdhsa_user_sgpr_dispatch_id 0
		.amdhsa_user_sgpr_kernarg_preload_length 0
		.amdhsa_user_sgpr_kernarg_preload_offset 0
		.amdhsa_user_sgpr_private_segment_size 0
		.amdhsa_uses_dynamic_stack 0
		.amdhsa_enable_private_segment 0
		.amdhsa_system_sgpr_workgroup_id_x 1
		.amdhsa_system_sgpr_workgroup_id_y 1
		.amdhsa_system_sgpr_workgroup_id_z 1
		.amdhsa_system_sgpr_workgroup_info 0
		.amdhsa_system_vgpr_workitem_id 0
		.amdhsa_next_free_vgpr 68
		.amdhsa_next_free_sgpr 44
		.amdhsa_accum_offset 68
		.amdhsa_reserve_vcc 1
		.amdhsa_float_round_mode_32 0
		.amdhsa_float_round_mode_16_64 0
		.amdhsa_float_denorm_mode_32 3
		.amdhsa_float_denorm_mode_16_64 3
		.amdhsa_dx10_clamp 1
		.amdhsa_ieee_mode 1
		.amdhsa_fp16_overflow 0
		.amdhsa_tg_split 0
		.amdhsa_exception_fp_ieee_invalid_op 0
		.amdhsa_exception_fp_denorm_src 0
		.amdhsa_exception_fp_ieee_div_zero 0
		.amdhsa_exception_fp_ieee_overflow 0
		.amdhsa_exception_fp_ieee_underflow 0
		.amdhsa_exception_fp_ieee_inexact 0
		.amdhsa_exception_int_div_zero 0
	.end_amdhsa_kernel
	.section	.text._ZN4vllm25paged_attention_v1_kernelIttLi64ELi32ELi128ELNS_18Fp8KVCacheDataTypeE0ELb1EEEvPT_PKS2_PKT0_S8_ifPKiSA_iPKfiiiSC_SC_iiiii,"axG",@progbits,_ZN4vllm25paged_attention_v1_kernelIttLi64ELi32ELi128ELNS_18Fp8KVCacheDataTypeE0ELb1EEEvPT_PKS2_PKT0_S8_ifPKiSA_iPKfiiiSC_SC_iiiii,comdat
.Lfunc_end91:
	.size	_ZN4vllm25paged_attention_v1_kernelIttLi64ELi32ELi128ELNS_18Fp8KVCacheDataTypeE0ELb1EEEvPT_PKS2_PKT0_S8_ifPKiSA_iPKfiiiSC_SC_iiiii, .Lfunc_end91-_ZN4vllm25paged_attention_v1_kernelIttLi64ELi32ELi128ELNS_18Fp8KVCacheDataTypeE0ELb1EEEvPT_PKS2_PKT0_S8_ifPKiSA_iPKfiiiSC_SC_iiiii
                                        ; -- End function
	.set _ZN4vllm25paged_attention_v1_kernelIttLi64ELi32ELi128ELNS_18Fp8KVCacheDataTypeE0ELb1EEEvPT_PKS2_PKT0_S8_ifPKiSA_iPKfiiiSC_SC_iiiii.num_vgpr, 68
	.set _ZN4vllm25paged_attention_v1_kernelIttLi64ELi32ELi128ELNS_18Fp8KVCacheDataTypeE0ELb1EEEvPT_PKS2_PKT0_S8_ifPKiSA_iPKfiiiSC_SC_iiiii.num_agpr, 0
	.set _ZN4vllm25paged_attention_v1_kernelIttLi64ELi32ELi128ELNS_18Fp8KVCacheDataTypeE0ELb1EEEvPT_PKS2_PKT0_S8_ifPKiSA_iPKfiiiSC_SC_iiiii.numbered_sgpr, 44
	.set _ZN4vllm25paged_attention_v1_kernelIttLi64ELi32ELi128ELNS_18Fp8KVCacheDataTypeE0ELb1EEEvPT_PKS2_PKT0_S8_ifPKiSA_iPKfiiiSC_SC_iiiii.num_named_barrier, 0
	.set _ZN4vllm25paged_attention_v1_kernelIttLi64ELi32ELi128ELNS_18Fp8KVCacheDataTypeE0ELb1EEEvPT_PKS2_PKT0_S8_ifPKiSA_iPKfiiiSC_SC_iiiii.private_seg_size, 0
	.set _ZN4vllm25paged_attention_v1_kernelIttLi64ELi32ELi128ELNS_18Fp8KVCacheDataTypeE0ELb1EEEvPT_PKS2_PKT0_S8_ifPKiSA_iPKfiiiSC_SC_iiiii.uses_vcc, 1
	.set _ZN4vllm25paged_attention_v1_kernelIttLi64ELi32ELi128ELNS_18Fp8KVCacheDataTypeE0ELb1EEEvPT_PKS2_PKT0_S8_ifPKiSA_iPKfiiiSC_SC_iiiii.uses_flat_scratch, 0
	.set _ZN4vllm25paged_attention_v1_kernelIttLi64ELi32ELi128ELNS_18Fp8KVCacheDataTypeE0ELb1EEEvPT_PKS2_PKT0_S8_ifPKiSA_iPKfiiiSC_SC_iiiii.has_dyn_sized_stack, 0
	.set _ZN4vllm25paged_attention_v1_kernelIttLi64ELi32ELi128ELNS_18Fp8KVCacheDataTypeE0ELb1EEEvPT_PKS2_PKT0_S8_ifPKiSA_iPKfiiiSC_SC_iiiii.has_recursion, 0
	.set _ZN4vllm25paged_attention_v1_kernelIttLi64ELi32ELi128ELNS_18Fp8KVCacheDataTypeE0ELb1EEEvPT_PKS2_PKT0_S8_ifPKiSA_iPKfiiiSC_SC_iiiii.has_indirect_call, 0
	.section	.AMDGPU.csdata,"",@progbits
; Kernel info:
; codeLenInByte = 7268
; TotalNumSgprs: 50
; NumVgprs: 68
; NumAgprs: 0
; TotalNumVgprs: 68
; ScratchSize: 0
; MemoryBound: 0
; FloatMode: 240
; IeeeMode: 1
; LDSByteSize: 144 bytes/workgroup (compile time only)
; SGPRBlocks: 6
; VGPRBlocks: 8
; NumSGPRsForWavesPerEU: 50
; NumVGPRsForWavesPerEU: 68
; AccumOffset: 68
; Occupancy: 7
; WaveLimiterHint : 1
; COMPUTE_PGM_RSRC2:SCRATCH_EN: 0
; COMPUTE_PGM_RSRC2:USER_SGPR: 2
; COMPUTE_PGM_RSRC2:TRAP_HANDLER: 0
; COMPUTE_PGM_RSRC2:TGID_X_EN: 1
; COMPUTE_PGM_RSRC2:TGID_Y_EN: 1
; COMPUTE_PGM_RSRC2:TGID_Z_EN: 1
; COMPUTE_PGM_RSRC2:TIDIG_COMP_CNT: 0
; COMPUTE_PGM_RSRC3_GFX90A:ACCUM_OFFSET: 16
; COMPUTE_PGM_RSRC3_GFX90A:TG_SPLIT: 0
	.section	.text._ZN4vllm25paged_attention_v1_kernelIttLi80ELi32ELi128ELNS_18Fp8KVCacheDataTypeE0ELb1EEEvPT_PKS2_PKT0_S8_ifPKiSA_iPKfiiiSC_SC_iiiii,"axG",@progbits,_ZN4vllm25paged_attention_v1_kernelIttLi80ELi32ELi128ELNS_18Fp8KVCacheDataTypeE0ELb1EEEvPT_PKS2_PKT0_S8_ifPKiSA_iPKfiiiSC_SC_iiiii,comdat
	.protected	_ZN4vllm25paged_attention_v1_kernelIttLi80ELi32ELi128ELNS_18Fp8KVCacheDataTypeE0ELb1EEEvPT_PKS2_PKT0_S8_ifPKiSA_iPKfiiiSC_SC_iiiii ; -- Begin function _ZN4vllm25paged_attention_v1_kernelIttLi80ELi32ELi128ELNS_18Fp8KVCacheDataTypeE0ELb1EEEvPT_PKS2_PKT0_S8_ifPKiSA_iPKfiiiSC_SC_iiiii
	.globl	_ZN4vllm25paged_attention_v1_kernelIttLi80ELi32ELi128ELNS_18Fp8KVCacheDataTypeE0ELb1EEEvPT_PKS2_PKT0_S8_ifPKiSA_iPKfiiiSC_SC_iiiii
	.p2align	8
	.type	_ZN4vllm25paged_attention_v1_kernelIttLi80ELi32ELi128ELNS_18Fp8KVCacheDataTypeE0ELb1EEEvPT_PKS2_PKT0_S8_ifPKiSA_iPKfiiiSC_SC_iiiii,@function
_ZN4vllm25paged_attention_v1_kernelIttLi80ELi32ELi128ELNS_18Fp8KVCacheDataTypeE0ELb1EEEvPT_PKS2_PKT0_S8_ifPKiSA_iPKfiiiSC_SC_iiiii: ; @_ZN4vllm25paged_attention_v1_kernelIttLi80ELi32ELi128ELNS_18Fp8KVCacheDataTypeE0ELb1EEEvPT_PKS2_PKT0_S8_ifPKiSA_iPKfiiiSC_SC_iiiii
; %bb.0:
	s_load_dword s5, s[0:1], 0x80
	s_load_dwordx2 s[6:7], s[0:1], 0x30
	s_load_dwordx2 s[30:31], s[0:1], 0x20
	s_mov_b32 s10, s3
	s_ashr_i32 s11, s3, 31
	s_lshl_b64 s[8:9], s[10:11], 2
	s_waitcnt lgkmcnt(0)
	s_add_u32 s6, s6, s8
	s_addc_u32 s7, s7, s9
	s_abs_i32 s3, s30
	v_cvt_f32_u32_e32 v1, s3
	s_sub_i32 s11, 0, s3
	s_abs_i32 s9, s5
	s_xor_b32 s8, s5, s30
	v_rcp_iflag_f32_e32 v1, v1
	s_ashr_i32 s8, s8, 31
	s_mov_b32 s42, 0
	v_mul_f32_e32 v1, 0x4f7ffffe, v1
	v_cvt_u32_f32_e32 v1, v1
	s_nop 0
	v_readfirstlane_b32 s12, v1
	s_mul_i32 s11, s11, s12
	s_mul_hi_u32 s11, s12, s11
	s_add_i32 s12, s12, s11
	s_mul_hi_u32 s11, s9, s12
	s_mul_i32 s12, s11, s3
	s_sub_i32 s9, s9, s12
	s_add_i32 s12, s11, 1
	s_sub_i32 s13, s9, s3
	s_cmp_ge_u32 s9, s3
	s_cselect_b32 s11, s12, s11
	s_cselect_b32 s9, s13, s9
	s_add_i32 s12, s11, 1
	s_cmp_ge_u32 s9, s3
	s_cselect_b32 s3, s12, s11
	s_xor_b32 s3, s3, s8
	s_sub_i32 s12, s3, s8
	s_abs_i32 s11, s12
	v_cvt_f32_u32_e32 v1, s11
	s_load_dwordx2 s[8:9], s[0:1], 0x40
	s_sub_i32 s3, 0, s11
	s_abs_i32 s22, s2
	v_rcp_iflag_f32_e32 v1, v1
	s_nop 0
	v_mul_f32_e32 v1, 0x4f7ffffe, v1
	v_cvt_u32_f32_e32 v1, v1
	s_nop 0
	v_readfirstlane_b32 s13, v1
	s_mul_i32 s3, s3, s13
	s_mul_hi_u32 s3, s13, s3
	s_add_i32 s13, s13, s3
	s_waitcnt lgkmcnt(0)
	s_cmp_eq_u64 s[8:9], 0
	s_mul_hi_u32 s23, s22, s13
	s_cbranch_scc1 .LBB92_2
; %bb.1:
	s_ashr_i32 s3, s2, 31
	s_lshl_b64 s[14:15], s[2:3], 2
	s_add_u32 s8, s8, s14
	s_addc_u32 s9, s9, s15
	s_load_dword s42, s[8:9], 0x0
.LBB92_2:
	s_load_dword s33, s[6:7], 0x0
	s_ashr_i32 s9, s12, 31
	s_load_dwordx4 s[12:15], s[0:1], 0x48
	s_ashr_i32 s3, s2, 31
	v_and_b32_e32 v4, 1, v0
	s_movk_i32 s8, 0x50
	s_mul_i32 s20, s2, 0x50
	v_cmp_gt_u32_e32 vcc, 20, v0
	v_lshlrev_b32_e32 v1, 3, v0
	s_and_saveexec_b64 s[6:7], vcc
	s_cbranch_execz .LBB92_4
; %bb.3:
	s_load_dwordx2 s[16:17], s[0:1], 0x8
	s_waitcnt lgkmcnt(0)
	s_mul_i32 s18, s12, s10
	s_ashr_i32 s19, s18, 31
	s_lshl_b64 s[18:19], s[18:19], 1
	v_lshlrev_b32_e32 v5, 2, v0
	s_add_u32 s12, s16, s18
	s_addc_u32 s15, s17, s19
	s_ashr_i32 s21, s20, 31
	s_lshl_b64 s[16:17], s[20:21], 1
	s_add_u32 s16, s12, s16
	s_addc_u32 s17, s15, s17
	global_load_dwordx2 v[2:3], v1, s[16:17]
	v_and_b32_e32 v5, 0xff8, v5
	v_mad_u32_u24 v5, v4, s8, v5
	s_waitcnt vmcnt(0)
	ds_write_b64 v5, v[2:3]
.LBB92_4:
	s_or_b64 exec, exec, s[6:7]
	s_mul_i32 s6, s23, s11
	s_sub_i32 s6, s22, s6
	s_xor_b32 s3, s3, s9
	s_add_i32 s7, s23, 1
	s_sub_i32 s9, s6, s11
	s_load_dwordx4 s[16:19], s[0:1], 0x68
	s_load_dword s8, s[0:1], 0x78
	s_cmp_ge_u32 s6, s11
	s_cselect_b32 s7, s7, s23
	s_cselect_b32 s6, s9, s6
	s_add_i32 s9, s7, 1
	s_cmp_ge_u32 s6, s11
	s_cselect_b32 s6, s9, s7
	s_waitcnt lgkmcnt(0)
	s_abs_i32 s21, s19
	v_cvt_f32_u32_e32 v2, s21
	s_xor_b32 s6, s6, s3
	s_sub_i32 s3, s6, s3
	s_sub_i32 s6, 0, s21
	v_rcp_iflag_f32_e32 v2, v2
	s_add_i32 s11, s33, -1
	s_abs_i32 s9, s11
	v_mul_f32_e32 v2, 0x4f7ffffe, v2
	v_cvt_u32_f32_e32 v2, v2
	s_barrier
	v_readfirstlane_b32 s40, v2
	s_mul_i32 s6, s6, s40
	s_mul_hi_u32 s6, s40, s6
	s_add_i32 s40, s40, s6
	s_cmp_lt_i32 s8, 0
	s_mul_hi_u32 s12, s9, s40
	s_cbranch_scc0 .LBB92_6
; %bb.5:
	s_mul_i32 s6, s16, s30
	s_add_i32 s6, s3, s6
	s_mul_i32 s6, s6, s8
	s_sub_i32 s41, 1, s6
	s_mov_b64 s[6:7], 0
	s_branch .LBB92_7
.LBB92_6:
	s_mov_b64 s[6:7], -1
                                        ; implicit-def: $sgpr41
.LBB92_7:
	s_load_dwordx2 s[24:25], s[0:1], 0x28
	s_ashr_i32 s15, s11, 31
	s_andn2_b64 vcc, exec, s[6:7]
	s_ashr_i32 s19, s19, 31
	s_cbranch_vccnz .LBB92_9
; %bb.8:
	s_mul_i32 s6, s5, s16
	s_add_i32 s2, s6, s2
	s_mul_i32 s2, s2, s8
	s_add_i32 s41, s2, 1
.LBB92_9:
	s_load_dword s2, s[0:1], 0x38
	s_load_dwordx2 s[22:23], s[0:1], 0x0
	s_load_dwordx2 s[28:29], s[0:1], 0x18
	s_load_dword s11, s[0:1], 0x88
	s_xor_b32 s6, s15, s19
	s_waitcnt lgkmcnt(0)
	s_mul_i32 s26, s2, s10
	s_mul_i32 s2, s12, s21
	s_sub_i32 s2, s9, s2
	s_ashr_i32 s27, s26, 31
	s_add_i32 s7, s12, 1
	s_sub_i32 s8, s2, s21
	s_cmp_ge_u32 s2, s21
	s_cselect_b32 s7, s7, s12
	s_cselect_b32 s2, s8, s2
	s_add_i32 s8, s7, 1
	s_cmp_ge_u32 s2, s21
	s_cselect_b32 s2, s8, s7
	s_xor_b32 s2, s2, s6
	s_sub_i32 s12, s2, s6
	s_add_i32 s2, s33, 31
	s_ashr_i32 s6, s2, 31
	s_lshr_b32 s6, s6, 27
	s_add_i32 s2, s2, s6
	s_ashr_i32 s16, s2, 5
	v_lshrrev_b32_e32 v20, 6, v0
	v_cmp_gt_i32_e64 s[6:7], s16, v20
	v_mov_b32_e32 v26, 0xff7fffff
	s_mul_i32 s14, s3, s14
	v_lshrrev_b32_e32 v22, 4, v0
	v_lshlrev_b32_e32 v21, 5, v20
	v_mbcnt_lo_u32_b32 v23, -1, 0
	s_and_saveexec_b64 s[34:35], s[6:7]
	s_cbranch_execz .LBB92_21
; %bb.10:
	s_load_dwordx2 s[0:1], s[0:1], 0x10
	s_ashr_i32 s15, s14, 31
	s_sub_i32 s30, s12, s17
	s_lshl_b64 s[8:9], s[14:15], 1
	v_bfe_u32 v24, v0, 1, 5
	s_waitcnt lgkmcnt(0)
	s_add_u32 s0, s0, s8
	s_addc_u32 s1, s1, s9
	s_abs_i32 s15, s18
	v_cvt_f32_u32_e32 v2, s15
	s_sub_i32 s8, 0, s15
	v_cmp_eq_u32_e64 s[2:3], 0, v4
	v_lshlrev_b32_e32 v6, 4, v24
	v_rcp_iflag_f32_e32 v5, v2
	v_mov_b32_e32 v7, 0
	v_mul_u32_u24_e32 v25, 0x50, v4
	v_lshl_add_u64 v[2:3], s[0:1], 0, v[6:7]
	v_mul_f32_e32 v5, 0x4f7ffffe, v5
	v_cvt_u32_f32_e32 v5, v5
	v_and_b32_e32 v6, 8, v1
	v_lshl_add_u64 v[2:3], v[2:3], 0, v[6:7]
	v_and_b32_e32 v6, 60, v22
	v_mul_lo_u32 v4, s8, v5
	s_lshl_b64 s[8:9], s[26:27], 2
	s_add_u32 s8, s24, s8
	v_mul_hi_u32 v4, v5, v4
	s_addc_u32 s9, s25, s9
	v_add_u32_e32 v27, v5, v4
	v_lshl_add_u64 v[4:5], s[8:9], 0, v[6:7]
	v_subrev_u32_e32 v6, s33, v24
	v_add_u32_e32 v29, 1, v6
	v_lshlrev_b32_e32 v6, 2, v24
	v_lshl_or_b32 v6, v20, 7, v6
	v_mbcnt_hi_u32_b32 v32, -1, v23
	v_add_u32_e32 v30, 0xb0, v6
	v_and_b32_e32 v6, 64, v32
	s_mov_b32 s43, s13
	v_cmp_neq_f32_e64 s[0:1], s42, 0
	v_lshlrev_b32_e32 v28, 5, v20
	v_mov_b32_e32 v31, 0xff7fffff
	s_mov_b64 s[36:37], 0
	s_movk_i32 s44, 0x1000
	v_xor_b32_e32 v33, 1, v32
	v_add_u32_e32 v34, 64, v6
	v_mov_b32_e32 v26, 0xff7fffff
	v_mov_b32_e32 v35, v20
	s_branch .LBB92_13
.LBB92_11:                              ;   in Loop: Header=BB92_13 Depth=1
	s_or_b64 exec, exec, s[38:39]
.LBB92_12:                              ;   in Loop: Header=BB92_13 Depth=1
	s_or_b64 exec, exec, s[8:9]
	v_add_u32_e32 v35, 2, v35
	v_cmp_le_i32_e32 vcc, s16, v35
	v_lshl_add_u64 v[4:5], v[4:5], 0, 8
	v_add_u32_e32 v28, 64, v28
	s_or_b64 s[36:37], vcc, s[36:37]
	v_add_u32_e32 v30, 0x100, v30
	s_andn2_b64 exec, exec, s[36:37]
	s_cbranch_execz .LBB92_20
.LBB92_13:                              ; =>This Inner Loop Header: Depth=1
	v_mul_hi_u32 v6, v28, s40
	s_waitcnt lgkmcnt(0)
	v_mul_lo_u32 v7, v6, s21
	v_sub_u32_e32 v7, v28, v7
	v_add_u32_e32 v8, 1, v6
	v_cmp_le_u32_e32 vcc, s21, v7
	s_nop 1
	v_cndmask_b32_e32 v6, v6, v8, vcc
	v_subrev_u32_e32 v8, s21, v7
	v_cndmask_b32_e32 v7, v7, v8, vcc
	v_add_u32_e32 v8, 1, v6
	v_cmp_le_u32_e32 vcc, s21, v7
	s_nop 1
	v_cndmask_b32_e32 v6, v6, v8, vcc
	v_xor_b32_e32 v6, s19, v6
	v_subrev_u32_e32 v6, s19, v6
	v_add_u32_e32 v7, s41, v6
	v_sub_u32_e32 v9, 0, v7
	v_ashrrev_i32_e32 v8, 31, v7
	v_max_i32_e32 v7, v7, v9
	v_mul_hi_u32 v9, v7, v27
	v_mul_lo_u32 v9, v9, s15
	v_sub_u32_e32 v7, v7, v9
	v_subrev_u32_e32 v9, s15, v7
	v_cmp_le_u32_e32 vcc, s15, v7
	v_cmp_ge_i32_e64 s[8:9], s30, v6
	s_nop 0
	v_cndmask_b32_e32 v7, v7, v9, vcc
	v_subrev_u32_e32 v9, s15, v7
	v_cmp_le_u32_e32 vcc, s15, v7
	s_nop 1
	v_cndmask_b32_e32 v7, v7, v9, vcc
	v_xor_b32_e32 v7, v7, v8
	v_sub_u32_e32 v7, v7, v8
	v_cmp_ne_u32_e32 vcc, 0, v7
	s_and_b64 s[8:9], vcc, s[8:9]
	s_and_saveexec_b64 s[38:39], s[8:9]
	s_xor_b64 s[8:9], exec, s[38:39]
	s_cbranch_execz .LBB92_17
; %bb.14:                               ;   in Loop: Header=BB92_13 Depth=1
	s_and_saveexec_b64 s[38:39], s[2:3]
; %bb.15:                               ;   in Loop: Header=BB92_13 Depth=1
	ds_write_b32 v30, v31
; %bb.16:                               ;   in Loop: Header=BB92_13 Depth=1
	s_or_b64 exec, exec, s[38:39]
.LBB92_17:                              ;   in Loop: Header=BB92_13 Depth=1
	s_andn2_saveexec_b64 s[8:9], s[8:9]
	s_cbranch_execz .LBB92_12
; %bb.18:                               ;   in Loop: Header=BB92_13 Depth=1
	global_load_dword v6, v[4:5], off
	s_waitcnt vmcnt(0)
	v_mad_i64_i32 v[6:7], s[38:39], v6, s43, 0
	v_lshl_add_u64 v[6:7], v[6:7], 1, v[2:3]
	global_load_dwordx2 v[38:39], v[6:7], off
	global_load_dwordx2 v[40:41], v[6:7], off offset:512
	global_load_dwordx2 v[44:45], v[6:7], off offset:1024
	;; [unrolled: 1-line block ×7, first 2 shown]
	v_add_co_u32_e32 v36, vcc, s44, v6
	s_waitcnt vmcnt(7)
	v_lshrrev_b32_e32 v48, 16, v38
	v_addc_co_u32_e32 v37, vcc, 0, v7, vcc
	global_load_dwordx2 v[8:9], v[36:37], off
	global_load_dwordx2 v[6:7], v[36:37], off offset:512
	ds_read_b64 v[36:37], v25
	v_and_b32_e32 v49, 0xffff, v38
	v_lshrrev_b32_e32 v50, 16, v39
	v_and_b32_e32 v51, 0xffff, v39
	s_waitcnt vmcnt(5)
	v_lshrrev_b32_e32 v56, 16, v16
	s_waitcnt lgkmcnt(0)
	v_lshrrev_b32_e32 v42, 16, v36
	v_and_b32_e32 v36, 0xffff, v36
	v_lshrrev_b32_e32 v46, 16, v37
	v_and_b32_e32 v47, 0xffff, v37
	;;#ASMSTART
	v_cvt_f32_f16 v36, v36;
	;;#ASMEND
	;;#ASMSTART
	v_cvt_f32_f16 v37, v42;
	;;#ASMEND
	v_and_b32_e32 v57, 0xffff, v16
	v_lshrrev_b32_e32 v58, 16, v17
	v_and_b32_e32 v59, 0xffff, v17
	s_waitcnt vmcnt(4)
	v_lshrrev_b32_e32 v60, 16, v14
	v_and_b32_e32 v61, 0xffff, v14
	v_lshrrev_b32_e32 v62, 16, v15
	v_and_b32_e32 v63, 0xffff, v15
	s_waitcnt vmcnt(3)
	v_lshrrev_b32_e32 v64, 16, v12
	;; [unrolled: 5-line block ×3, first 2 shown]
	v_and_b32_e32 v69, 0xffff, v10
	v_lshrrev_b32_e32 v70, 16, v11
	v_and_b32_e32 v71, 0xffff, v11
	;;#ASMSTART
	v_cvt_f32_f16 v12, v49;
	;;#ASMEND
	;;#ASMSTART
	v_cvt_f32_f16 v13, v48;
	;;#ASMEND
	;; [unrolled: 3-line block ×6, first 2 shown]
	ds_read_b64 v[10:11], v25 offset:8
	v_lshrrev_b32_e32 v38, 16, v40
	v_and_b32_e32 v39, 0xffff, v40
	v_lshrrev_b32_e32 v40, 16, v41
	v_lshrrev_b32_e32 v54, 16, v19
	v_and_b32_e32 v55, 0xffff, v19
	s_waitcnt lgkmcnt(0)
	v_and_b32_e32 v19, 0xffff, v11
	v_and_b32_e32 v41, 0xffff, v41
	v_lshrrev_b32_e32 v52, 16, v18
	v_and_b32_e32 v53, 0xffff, v18
	v_lshrrev_b32_e32 v42, 16, v44
	;; [unrolled: 2-line block ×3, first 2 shown]
	v_and_b32_e32 v45, 0xffff, v45
	v_cmp_lt_i32_e32 vcc, v33, v34
	s_waitcnt vmcnt(1)
	v_lshrrev_b32_e32 v46, 16, v8
	v_and_b32_e32 v47, 0xffff, v8
	v_lshrrev_b32_e32 v48, 16, v9
	v_and_b32_e32 v49, 0xffff, v9
	s_waitcnt vmcnt(0)
	v_lshrrev_b32_e32 v50, 16, v6
	v_and_b32_e32 v51, 0xffff, v6
	v_lshrrev_b32_e32 v8, 16, v10
	v_and_b32_e32 v6, 0xffff, v10
	v_lshrrev_b32_e32 v9, 16, v11
	;;#ASMSTART
	v_cvt_f32_f16 v6, v6;
	;;#ASMEND
	;;#ASMSTART
	v_cvt_f32_f16 v10, v8;
	;;#ASMEND
	;; [unrolled: 3-line block ×8, first 2 shown]
	ds_read_b64 v[8:9], v25 offset:16
	v_mul_f32_e32 v10, v10, v18
	v_mul_f32_e32 v18, v38, v40
	;; [unrolled: 1-line block ×4, first 2 shown]
	v_fmac_f32_e32 v10, v37, v13
	v_fmac_f32_e32 v18, v15, v17
	s_waitcnt lgkmcnt(0)
	v_lshrrev_b32_e32 v13, 16, v8
	v_and_b32_e32 v8, 0xffff, v8
	v_lshrrev_b32_e32 v17, 16, v9
	v_and_b32_e32 v9, 0xffff, v9
	v_fmac_f32_e32 v6, v36, v12
	v_fmac_f32_e32 v11, v14, v16
	;;#ASMSTART
	v_cvt_f32_f16 v12, v8;
	;;#ASMEND
	;;#ASMSTART
	v_cvt_f32_f16 v13, v13;
	;;#ASMEND
	;;#ASMSTART
	v_cvt_f32_f16 v14, v43;
	;;#ASMEND
	;;#ASMSTART
	v_cvt_f32_f16 v15, v42;
	;;#ASMEND
	;;#ASMSTART
	v_cvt_f32_f16 v16, v9;
	;;#ASMEND
	;;#ASMSTART
	v_cvt_f32_f16 v17, v17;
	;;#ASMEND
	;;#ASMSTART
	v_cvt_f32_f16 v19, v45;
	;;#ASMEND
	;;#ASMSTART
	v_cvt_f32_f16 v36, v44;
	;;#ASMEND
	ds_read_b64 v[8:9], v25 offset:24
	v_fmac_f32_e32 v10, v13, v15
	v_fmac_f32_e32 v18, v17, v36
	v_fmac_f32_e32 v6, v12, v14
	v_fmac_f32_e32 v11, v16, v19
	s_waitcnt lgkmcnt(0)
	v_lshrrev_b32_e32 v13, 16, v8
	v_and_b32_e32 v8, 0xffff, v8
	v_lshrrev_b32_e32 v17, 16, v9
	v_and_b32_e32 v9, 0xffff, v9
	;;#ASMSTART
	v_cvt_f32_f16 v12, v8;
	;;#ASMEND
	;;#ASMSTART
	v_cvt_f32_f16 v13, v13;
	;;#ASMEND
	;;#ASMSTART
	v_cvt_f32_f16 v14, v53;
	;;#ASMEND
	;;#ASMSTART
	v_cvt_f32_f16 v15, v52;
	;;#ASMEND
	;;#ASMSTART
	v_cvt_f32_f16 v16, v9;
	;;#ASMEND
	;;#ASMSTART
	v_cvt_f32_f16 v17, v17;
	;;#ASMEND
	;;#ASMSTART
	v_cvt_f32_f16 v19, v55;
	;;#ASMEND
	;;#ASMSTART
	v_cvt_f32_f16 v36, v54;
	;;#ASMEND
	ds_read_b64 v[8:9], v25 offset:32
	v_fmac_f32_e32 v10, v13, v15
	v_fmac_f32_e32 v18, v17, v36
	v_fmac_f32_e32 v6, v12, v14
	v_fmac_f32_e32 v11, v16, v19
	s_waitcnt lgkmcnt(0)
	v_lshrrev_b32_e32 v13, 16, v8
	v_and_b32_e32 v8, 0xffff, v8
	v_lshrrev_b32_e32 v17, 16, v9
	v_and_b32_e32 v9, 0xffff, v9
	;; [unrolled: 34-line block ×6, first 2 shown]
	;;#ASMSTART
	v_cvt_f32_f16 v12, v8;
	;;#ASMEND
	;;#ASMSTART
	v_cvt_f32_f16 v13, v13;
	;;#ASMEND
	;; [unrolled: 3-line block ×8, first 2 shown]
	ds_read_b64 v[8:9], v25 offset:72
	v_fmac_f32_e32 v6, v12, v14
	v_fmac_f32_e32 v10, v13, v15
	;; [unrolled: 1-line block ×4, first 2 shown]
	s_waitcnt lgkmcnt(0)
	v_lshrrev_b32_e32 v12, 16, v8
	v_and_b32_e32 v8, 0xffff, v8
	;;#ASMSTART
	v_cvt_f32_f16 v8, v8;
	;;#ASMEND
	;;#ASMSTART
	v_cvt_f32_f16 v12, v12;
	;;#ASMEND
	;; [unrolled: 3-line block ×4, first 2 shown]
	s_nop 0
	v_fmac_f32_e32 v6, v8, v13
	v_fmac_f32_e32 v10, v12, v14
	v_lshrrev_b32_e32 v12, 16, v9
	v_and_b32_e32 v8, 0xffff, v9
	;;#ASMSTART
	v_cvt_f32_f16 v8, v8;
	;;#ASMEND
	;;#ASMSTART
	v_cvt_f32_f16 v9, v12;
	;;#ASMEND
	v_lshrrev_b32_e32 v12, 16, v7
	v_and_b32_e32 v7, 0xffff, v7
	;;#ASMSTART
	v_cvt_f32_f16 v7, v7;
	;;#ASMEND
	v_add_f32_e32 v6, v6, v10
	v_fmac_f32_e32 v11, v8, v7
	;;#ASMSTART
	v_cvt_f32_f16 v12, v12;
	;;#ASMEND
	v_add_f32_e32 v6, v6, v11
	v_fmac_f32_e32 v18, v9, v12
	v_cndmask_b32_e32 v7, v32, v33, vcc
	v_add_f32_e32 v6, v18, v6
	v_lshlrev_b32_e32 v7, 2, v7
	ds_bpermute_b32 v7, v7, v6
	s_and_saveexec_b64 s[38:39], s[2:3]
	s_cbranch_execz .LBB92_11
; %bb.19:                               ;   in Loop: Header=BB92_13 Depth=1
	v_add_u32_e32 v8, v29, v28
	v_cvt_f32_i32_e32 v8, v8
	s_waitcnt lgkmcnt(0)
	v_add_f32_e32 v6, v6, v7
	v_add_u32_e32 v9, v24, v28
	v_cmp_gt_i32_e32 vcc, s33, v9
	v_mul_f32_e32 v7, s42, v8
	v_cndmask_b32_e64 v7, 0, v7, s[0:1]
	v_fmac_f32_e32 v7, s31, v6
	v_cndmask_b32_e32 v6, 0, v7, vcc
	ds_write_b32 v30, v6
	v_max_f32_e32 v6, v26, v26
	v_max_f32_e32 v6, v6, v7
	v_cndmask_b32_e32 v26, v26, v6, vcc
	s_branch .LBB92_11
.LBB92_20:
	s_or_b64 exec, exec, s[36:37]
.LBB92_21:
	s_or_b64 exec, exec, s[34:35]
	v_mbcnt_hi_u32_b32 v2, -1, v23
	v_and_b32_e32 v9, 64, v2
	v_add_u32_e32 v10, 64, v9
	v_xor_b32_e32 v3, 32, v2
	v_cmp_lt_i32_e32 vcc, v3, v10
	v_xor_b32_e32 v6, 16, v2
	v_max_f32_e32 v5, v26, v26
	v_cndmask_b32_e32 v3, v2, v3, vcc
	v_lshlrev_b32_e32 v3, 2, v3
	ds_bpermute_b32 v4, v3, v26
	v_cmp_lt_i32_e32 vcc, v6, v10
	s_waitcnt lgkmcnt(1)
	v_xor_b32_e32 v7, 8, v2
	v_xor_b32_e32 v8, 4, v2
	;; [unrolled: 1-line block ×3, first 2 shown]
	s_waitcnt lgkmcnt(0)
	v_max_f32_e32 v4, v4, v4
	v_max_f32_e32 v5, v5, v4
	v_cndmask_b32_e32 v4, v2, v6, vcc
	v_lshlrev_b32_e32 v4, 2, v4
	ds_bpermute_b32 v6, v4, v5
	v_cmp_lt_i32_e32 vcc, v7, v10
	v_and_b32_e32 v18, 63, v0
	s_waitcnt lgkmcnt(0)
	v_max_f32_e32 v6, v6, v6
	v_max_f32_e32 v6, v5, v6
	v_cndmask_b32_e32 v5, v2, v7, vcc
	v_lshlrev_b32_e32 v5, 2, v5
	ds_bpermute_b32 v7, v5, v6
	v_cmp_lt_i32_e32 vcc, v8, v10
	s_waitcnt lgkmcnt(0)
	v_max_f32_e32 v7, v7, v7
	v_max_f32_e32 v7, v6, v7
	v_cndmask_b32_e32 v6, v2, v8, vcc
	v_lshlrev_b32_e32 v6, 2, v6
	ds_bpermute_b32 v8, v6, v7
	v_cmp_lt_i32_e32 vcc, v11, v10
	s_waitcnt lgkmcnt(0)
	v_max_f32_e32 v8, v8, v8
	v_max_f32_e32 v8, v7, v8
	v_cndmask_b32_e32 v7, v2, v11, vcc
	v_lshlrev_b32_e32 v19, 2, v7
	ds_bpermute_b32 v11, v19, v8
	v_cmp_eq_u32_e32 vcc, 0, v18
	v_lshlrev_b32_e32 v7, 2, v20
	s_and_saveexec_b64 s[0:1], vcc
	s_cbranch_execz .LBB92_23
; %bb.22:
	s_waitcnt lgkmcnt(0)
	v_max_f32_e32 v11, v11, v11
	v_max_f32_e32 v8, v8, v8
	;; [unrolled: 1-line block ×3, first 2 shown]
	ds_write_b32 v7, v8 offset:160
.LBB92_23:
	s_or_b64 exec, exec, s[0:1]
	v_cmp_gt_u32_e64 s[0:1], 2, v18
	s_waitcnt lgkmcnt(0)
	v_mov_b32_e32 v11, 0xff7fffff
	v_lshlrev_b32_e32 v8, 2, v18
	s_barrier
	s_and_saveexec_b64 s[2:3], s[0:1]
; %bb.24:
	ds_read_b32 v11, v8 offset:160
; %bb.25:
	s_or_b64 exec, exec, s[2:3]
	v_xor_b32_e32 v12, 1, v2
	v_cmp_lt_i32_e64 s[2:3], v12, v10
	v_lshlrev_b32_e32 v9, 2, v9
	s_nop 0
	v_cndmask_b32_e64 v10, v2, v12, s[2:3]
	v_lshlrev_b32_e32 v23, 2, v10
	s_waitcnt lgkmcnt(0)
	ds_bpermute_b32 v10, v23, v11
	v_max_f32_e32 v11, v11, v11
	s_lshl_b32 s2, s16, 5
	s_min_i32 s15, s2, s33
	v_cmp_gt_i32_e64 s[2:3], s15, v0
	s_waitcnt lgkmcnt(0)
	v_max_f32_e32 v10, v10, v10
	v_max_f32_e32 v10, v11, v10
	ds_bpermute_b32 v10, v9, v10
	v_mov_b32_e32 v9, 0
	s_and_saveexec_b64 s[30:31], s[2:3]
	s_cbranch_execz .LBB92_29
; %bb.26:
	v_mov_b32_e32 v9, 0xb0
	v_lshl_add_u32 v11, v0, 2, v9
	v_mov_b32_e32 v9, 0
	s_mov_b64 s[34:35], 0
	v_mov_b32_e32 v12, v0
.LBB92_27:                              ; =>This Inner Loop Header: Depth=1
	ds_read_b32 v13, v11
	v_add_u32_e32 v12, 0x80, v12
	v_cmp_le_i32_e64 s[8:9], s15, v12
	s_or_b64 s[34:35], s[8:9], s[34:35]
	s_waitcnt lgkmcnt(0)
	v_sub_f32_e32 v13, v13, v10
	v_mul_f32_e32 v13, 0x3fb8aa3b, v13
	v_exp_f32_e32 v13, v13
	ds_write_b32 v11, v13
	v_add_f32_e32 v9, v9, v13
	v_add_u32_e32 v11, 0x200, v11
	s_andn2_b64 exec, exec, s[34:35]
	s_cbranch_execnz .LBB92_27
; %bb.28:
	s_or_b64 exec, exec, s[34:35]
.LBB92_29:
	s_or_b64 exec, exec, s[30:31]
	ds_bpermute_b32 v3, v3, v9
	s_waitcnt lgkmcnt(0)
	v_add_f32_e32 v3, v9, v3
	ds_bpermute_b32 v4, v4, v3
	s_waitcnt lgkmcnt(0)
	v_add_f32_e32 v3, v3, v4
	;; [unrolled: 3-line block ×6, first 2 shown]
	s_and_saveexec_b64 s[8:9], vcc
; %bb.30:
	ds_write_b32 v7, v3 offset:168
; %bb.31:
	s_or_b64 exec, exec, s[8:9]
	s_waitcnt lgkmcnt(0)
	s_barrier
	s_and_saveexec_b64 s[8:9], s[0:1]
; %bb.32:
	ds_read_b32 v3, v8 offset:168
; %bb.33:
	s_or_b64 exec, exec, s[8:9]
	s_waitcnt lgkmcnt(0)
	ds_bpermute_b32 v4, v23, v3
	v_lshlrev_b32_e32 v2, 2, v2
	v_and_b32_e32 v2, 0x100, v2
	s_waitcnt lgkmcnt(0)
	v_add_f32_e32 v3, v3, v4
	ds_bpermute_b32 v2, v2, v3
	s_and_saveexec_b64 s[0:1], s[2:3]
	s_cbranch_execz .LBB92_46
; %bb.34:
	s_waitcnt lgkmcnt(0)
	v_add_f32_e32 v2, 0x358637bd, v2
	v_div_scale_f32 v3, s[2:3], v2, v2, 1.0
	v_rcp_f32_e32 v4, v3
	v_div_scale_f32 v5, vcc, 1.0, v2, 1.0
	s_movk_i32 s2, 0x7f
	v_fma_f32 v6, -v3, v4, 1.0
	v_fmac_f32_e32 v4, v6, v4
	v_mul_f32_e32 v6, v5, v4
	v_fma_f32 v7, -v3, v6, v5
	v_fmac_f32_e32 v6, v7, v4
	v_fma_f32 v3, -v3, v6, v5
	v_div_fmas_f32 v3, v3, v4, v6
	v_xad_u32 v4, v0, -1, s15
	v_div_fixup_f32 v2, v3, v2, 1.0
	v_cmp_lt_u32_e32 vcc, s2, v4
	s_mov_b64 s[8:9], -1
	v_mov_b32_e32 v3, v0
	s_and_saveexec_b64 s[2:3], vcc
	s_cbranch_execz .LBB92_43
; %bb.35:
	v_lshrrev_b32_e32 v4, 7, v4
	v_add_u32_e32 v6, -1, v4
	v_lshrrev_b32_e32 v5, 1, v6
	v_mov_b32_e32 v3, v2
	v_add_u32_e32 v5, 1, v5
	v_cmp_lt_u32_e32 vcc, 13, v6
	v_mov_b32_e32 v8, 0
	s_and_saveexec_b64 s[8:9], vcc
	s_cbranch_execz .LBB92_39
; %bb.36:
	v_mov_b32_e32 v7, 0xb0
	v_and_b32_e32 v6, -8, v5
	v_lshl_add_u32 v7, v0, 2, v7
	s_mov_b32 s34, 0
	s_mov_b64 s[30:31], 0
.LBB92_37:                              ; =>This Inner Loop Header: Depth=1
	ds_read2st64_b32 v[8:9], v7 offset1:2
	ds_read2st64_b32 v[10:11], v7 offset0:4 offset1:6
	ds_read2st64_b32 v[12:13], v7 offset0:8 offset1:10
	;; [unrolled: 1-line block ×3, first 2 shown]
	v_add_u32_e32 v6, -8, v6
	s_waitcnt lgkmcnt(3)
	v_pk_mul_f32 v[8:9], v[2:3], v[8:9]
	s_waitcnt lgkmcnt(2)
	v_pk_mul_f32 v[10:11], v[2:3], v[10:11]
	ds_write2st64_b32 v7, v8, v9 offset1:2
	ds_write2st64_b32 v7, v10, v11 offset0:4 offset1:6
	ds_read2st64_b32 v[10:11], v7 offset0:16 offset1:18
	s_waitcnt lgkmcnt(4)
	v_pk_mul_f32 v[8:9], v[2:3], v[12:13]
	ds_write2st64_b32 v7, v8, v9 offset0:8 offset1:10
	s_waitcnt lgkmcnt(4)
	v_pk_mul_f32 v[8:9], v[2:3], v[14:15]
	ds_write2st64_b32 v7, v8, v9 offset0:12 offset1:14
	ds_read2st64_b32 v[8:9], v7 offset0:20 offset1:22
	s_waitcnt lgkmcnt(3)
	v_pk_mul_f32 v[10:11], v[2:3], v[10:11]
	ds_read2st64_b32 v[12:13], v7 offset0:24 offset1:26
	ds_write2st64_b32 v7, v10, v11 offset0:16 offset1:18
	ds_read2st64_b32 v[10:11], v7 offset0:28 offset1:30
	s_waitcnt lgkmcnt(3)
	v_pk_mul_f32 v[8:9], v[2:3], v[8:9]
	ds_write2st64_b32 v7, v8, v9 offset0:20 offset1:22
	s_waitcnt lgkmcnt(3)
	v_pk_mul_f32 v[8:9], v[2:3], v[12:13]
	ds_write2st64_b32 v7, v8, v9 offset0:24 offset1:26
	s_waitcnt lgkmcnt(2)
	v_pk_mul_f32 v[8:9], v[2:3], v[10:11]
	s_add_i32 s34, s34, 16
	v_cmp_eq_u32_e32 vcc, 0, v6
	ds_write2st64_b32 v7, v8, v9 offset0:28 offset1:30
	v_add_u32_e32 v7, 0x2000, v7
	s_or_b64 s[30:31], vcc, s[30:31]
	v_mov_b32_e32 v8, s34
	s_andn2_b64 exec, exec, s[30:31]
	s_cbranch_execnz .LBB92_37
; %bb.38:
	s_or_b64 exec, exec, s[30:31]
.LBB92_39:
	s_or_b64 exec, exec, s[8:9]
	v_and_b32_e32 v5, 7, v5
	v_cmp_ne_u32_e32 vcc, 0, v5
	s_and_saveexec_b64 s[8:9], vcc
	s_cbranch_execz .LBB92_42
; %bb.40:
	v_lshlrev_b32_e32 v6, 9, v8
	v_lshlrev_b32_e32 v7, 2, v0
	s_movk_i32 s30, 0xb0
	v_add3_u32 v6, v6, v7, s30
	s_mov_b64 s[30:31], 0
.LBB92_41:                              ; =>This Inner Loop Header: Depth=1
	ds_read2st64_b32 v[8:9], v6 offset1:2
	v_add_u32_e32 v5, -1, v5
	v_cmp_eq_u32_e32 vcc, 0, v5
	s_or_b64 s[30:31], vcc, s[30:31]
	s_waitcnt lgkmcnt(0)
	v_pk_mul_f32 v[8:9], v[2:3], v[8:9]
	ds_write2st64_b32 v6, v8, v9 offset1:2
	v_add_u32_e32 v6, 0x400, v6
	s_andn2_b64 exec, exec, s[30:31]
	s_cbranch_execnz .LBB92_41
.LBB92_42:
	s_or_b64 exec, exec, s[8:9]
	v_add_u32_e32 v4, 1, v4
	v_and_b32_e32 v5, 0x3fffffe, v4
	v_cmp_ne_u32_e32 vcc, v4, v5
	v_lshl_add_u32 v3, v5, 7, v0
	s_orn2_b64 s[8:9], vcc, exec
.LBB92_43:
	s_or_b64 exec, exec, s[2:3]
	s_and_b64 exec, exec, s[8:9]
	s_cbranch_execz .LBB92_46
; %bb.44:
	v_mov_b32_e32 v4, 0xb0
	v_lshl_add_u32 v4, v3, 2, v4
	s_mov_b64 s[2:3], 0
.LBB92_45:                              ; =>This Inner Loop Header: Depth=1
	ds_read_b32 v5, v4
	v_add_u32_e32 v3, 0x80, v3
	v_cmp_le_i32_e32 vcc, s15, v3
	s_or_b64 s[2:3], vcc, s[2:3]
	s_waitcnt lgkmcnt(0)
	v_mul_f32_e32 v5, v2, v5
	ds_write_b32 v4, v5
	v_add_u32_e32 v4, 0x200, v4
	s_andn2_b64 exec, exec, s[2:3]
	s_cbranch_execnz .LBB92_45
.LBB92_46:
	s_or_b64 exec, exec, s[0:1]
	v_mov_b32_e32 v7, 0
	v_and_b32_e32 v24, 3, v0
	v_mov_b32_e32 v6, 0
	v_mov_b32_e32 v9, 0
	;; [unrolled: 1-line block ×4, first 2 shown]
	s_waitcnt lgkmcnt(0)
	s_barrier
	s_and_saveexec_b64 s[2:3], s[6:7]
	s_cbranch_execz .LBB92_62
; %bb.47:
	s_ashr_i32 s15, s14, 31
	s_sub_i32 s17, s12, s17
	s_lshl_b64 s[0:1], s[14:15], 1
	s_add_u32 s0, s28, s0
	s_addc_u32 s1, s29, s1
	s_abs_i32 s14, s18
	v_cvt_f32_u32_e32 v2, s14
	v_and_b32_e32 v26, 24, v1
	v_mov_b32_e32 v11, 0
	s_add_i32 s18, s16, -1
	v_rcp_iflag_f32_e32 v1, v2
	v_lshlrev_b32_e32 v2, 4, v0
	v_and_b32_e32 v10, 0x3f0, v2
	v_lshl_add_u64 v[12:13], s[0:1], 0, v[10:11]
	v_mul_f32_e32 v1, 0x4f7ffffe, v1
	v_cvt_u32_f32_e32 v1, v1
	s_sub_i32 s0, 0, s14
	v_and_b32_e32 v10, 60, v22
	s_mov_b32 s15, s13
	v_mul_lo_u32 v2, s0, v1
	v_mul_hi_u32 v2, v1, v2
	s_lshl_b64 s[0:1], s[26:27], 2
	v_add_u32_e32 v27, v1, v2
	s_add_u32 s0, s24, s0
	v_lshlrev_b32_e32 v1, 5, v24
	s_addc_u32 s1, s25, s1
	v_lshl_or_b32 v1, v20, 7, v1
	s_mov_b32 s28, s33
	v_lshl_add_u64 v[14:15], s[0:1], 0, v[10:11]
	v_add_u32_e32 v22, 0xb0, v1
	s_mov_b64 s[6:7], 0
	s_mov_b32 s24, 0xffff
	s_movk_i32 s25, 0x1000
	v_mov_b32_e32 v25, 0
	v_mov_b32_e32 v8, 0
	v_mov_b32_e32 v9, 0
	v_mov_b32_e32 v6, 0
	v_mov_b32_e32 v7, 0
	s_branch .LBB92_50
.LBB92_48:                              ;   in Loop: Header=BB92_50 Depth=1
	s_or_b64 exec, exec, s[12:13]
	v_lshlrev_b32_e32 v10, 16, v10
	v_lshlrev_b32_e32 v1, 16, v1
	v_and_or_b32 v2, v2, s24, v10
	v_and_or_b32 v1, v3, s24, v1
	v_lshlrev_b32_e32 v3, 16, v16
	v_and_or_b32 v3, v4, s24, v3
	;;#ASMSTART
	v_pk_mul_f16 v2, v37, v2;

	;;#ASMEND
	;;#ASMSTART
	v_pk_mul_f16 v1, v38, v1;

	;;#ASMEND
	;;#ASMSTART
	v_pk_mul_f16 v3, v39, v3;

	;;#ASMEND
	;;#ASMSTART
	v_pk_mul_f16 v4, v36, v5;

	;;#ASMEND
	v_add_f32_e32 v17, v46, v47
	;;#ASMSTART
	v_pk_add_f16 v1, v2, v1;

	;;#ASMEND
	v_add_f32_e32 v7, v7, v17
	;;#ASMSTART
	v_pk_add_f16 v1, v1, v3;

	;;#ASMEND
	;; [unrolled: 5-line block ×3, first 2 shown]
	v_add_f32_e32 v6, v6, v17
	v_lshrrev_b32_e32 v2, 16, v1
	v_and_b32_e32 v1, 0xffff, v1
	v_add_f32_e32 v17, v42, v43
	;;#ASMSTART
	v_cvt_f32_f16 v1, v1;
	;;#ASMEND
	v_add_f32_e32 v9, v9, v17
	v_add_f32_e32 v17, v40, v41
	;;#ASMSTART
	v_cvt_f32_f16 v2, v2;
	;;#ASMEND
	v_add_f32_e32 v8, v8, v17
	v_add_f32_e32 v1, v1, v2
	;; [unrolled: 1-line block ×3, first 2 shown]
.LBB92_49:                              ;   in Loop: Header=BB92_50 Depth=1
	s_or_b64 exec, exec, s[8:9]
	v_add_u32_e32 v20, 2, v20
	v_cmp_le_i32_e32 vcc, s16, v20
	v_lshl_add_u64 v[14:15], v[14:15], 0, 8
	v_add_u32_e32 v21, 64, v21
	s_or_b64 s[6:7], vcc, s[6:7]
	v_add_u32_e32 v22, 0x100, v22
	s_andn2_b64 exec, exec, s[6:7]
	s_cbranch_execz .LBB92_61
.LBB92_50:                              ; =>This Inner Loop Header: Depth=1
	v_mul_hi_u32 v1, v21, s40
	v_mul_lo_u32 v2, v1, s21
	v_sub_u32_e32 v2, v21, v2
	v_add_u32_e32 v3, 1, v1
	v_cmp_le_u32_e32 vcc, s21, v2
	s_nop 1
	v_cndmask_b32_e32 v1, v1, v3, vcc
	v_subrev_u32_e32 v3, s21, v2
	v_cndmask_b32_e32 v2, v2, v3, vcc
	v_add_u32_e32 v3, 1, v1
	v_cmp_le_u32_e32 vcc, s21, v2
	s_nop 1
	v_cndmask_b32_e32 v1, v1, v3, vcc
	v_xor_b32_e32 v1, s19, v1
	v_subrev_u32_e32 v1, s19, v1
	v_add_u32_e32 v2, s41, v1
	v_sub_u32_e32 v4, 0, v2
	v_ashrrev_i32_e32 v3, 31, v2
	v_max_i32_e32 v2, v2, v4
	v_mul_hi_u32 v4, v2, v27
	v_mul_lo_u32 v4, v4, s14
	v_sub_u32_e32 v2, v2, v4
	v_subrev_u32_e32 v4, s14, v2
	v_cmp_le_u32_e32 vcc, s14, v2
	v_cmp_lt_i32_e64 s[0:1], s17, v1
	s_nop 0
	v_cndmask_b32_e32 v2, v2, v4, vcc
	v_subrev_u32_e32 v4, s14, v2
	v_cmp_le_u32_e32 vcc, s14, v2
	s_nop 1
	v_cndmask_b32_e32 v2, v2, v4, vcc
	v_xor_b32_e32 v2, v2, v3
	v_sub_u32_e32 v2, v2, v3
	v_cmp_eq_u32_e32 vcc, 0, v2
	s_or_b64 s[0:1], vcc, s[0:1]
	s_and_saveexec_b64 s[8:9], s[0:1]
	s_cbranch_execz .LBB92_49
; %bb.51:                               ;   in Loop: Header=BB92_50 Depth=1
	global_load_dword v1, v[14:15], off
	ds_read2_b64 v[2:5], v22 offset1:1
	ds_read2_b64 v[28:31], v22 offset0:2 offset1:3
	s_waitcnt lgkmcnt(1)
	;;#ASMSTART
	v_cvt_f16_f32 v36, v2;

	;;#ASMEND
	;;#ASMSTART
	v_cvt_f16_f32 v37, v3;

	;;#ASMEND
	;; [unrolled: 4-line block ×4, first 2 shown]
	s_waitcnt lgkmcnt(0)
	;;#ASMSTART
	v_cvt_f16_f32 v40, v28;

	;;#ASMEND
	;;#ASMSTART
	v_cvt_f16_f32 v41, v29;

	;;#ASMEND
	;; [unrolled: 4-line block ×4, first 2 shown]
	v_add_u32_e32 v31, v26, v21
	v_add_u32_e32 v33, 2, v31
	;; [unrolled: 1-line block ×6, first 2 shown]
	v_or_b32_e32 v34, 3, v31
	v_or_b32_e32 v35, 1, v31
	s_waitcnt vmcnt(0)
	v_mad_i64_i32 v[2:3], s[0:1], v1, s15, 0
	v_lshl_add_u64 v[16:17], v[2:3], 1, v[12:13]
	global_load_dwordx4 v[2:5], v[16:17], off
	v_cmp_eq_u32_e64 s[0:1], s18, v20
	s_waitcnt vmcnt(0)
	v_lshrrev_b32_e32 v1, 16, v3
	v_lshrrev_b32_e32 v10, 16, v2
	;; [unrolled: 1-line block ×3, first 2 shown]
	s_and_saveexec_b64 s[12:13], s[0:1]
	s_cbranch_execz .LBB92_53
; %bb.52:                               ;   in Loop: Header=BB92_50 Depth=1
	v_cmp_gt_i32_e32 vcc, s33, v31
	s_nop 1
	v_cndmask_b32_e32 v2, 0, v2, vcc
	v_cmp_gt_i32_e32 vcc, s33, v33
	s_nop 1
	v_cndmask_b32_e32 v3, 0, v3, vcc
	;; [unrolled: 3-line block ×6, first 2 shown]
	v_cmp_gt_i32_e32 vcc, s33, v29
	s_nop 1
	v_cndmask_b32_sdwa v45, v11, v5, vcc dst_sel:DWORD dst_unused:UNUSED_PAD src0_sel:DWORD src1_sel:WORD_0
	v_and_b32_e32 v5, 0xffff0000, v5
	v_cmp_gt_i32_e32 vcc, s33, v28
	s_nop 1
	v_cndmask_b32_e32 v5, 0, v5, vcc
	v_or_b32_e32 v5, v45, v5
.LBB92_53:                              ;   in Loop: Header=BB92_50 Depth=1
	s_or_b64 exec, exec, s[12:13]
	v_and_b32_e32 v36, 0xffff, v36
	v_lshl_or_b32 v37, v37, 16, v36
	v_and_b32_e32 v36, 0xffff, v38
	v_lshlrev_b32_e32 v10, 16, v10
	v_lshlrev_b32_e32 v1, 16, v1
	v_lshl_or_b32 v38, v39, 16, v36
	v_and_b32_e32 v36, 0xffff, v40
	v_and_or_b32 v2, v2, s24, v10
	v_and_or_b32 v1, v3, s24, v1
	v_lshlrev_b32_e32 v3, 16, v44
	v_lshl_or_b32 v39, v41, 16, v36
	v_and_b32_e32 v36, 0xffff, v42
	v_and_or_b32 v3, v4, s24, v3
	;;#ASMSTART
	v_pk_mul_f16 v2, v37, v2;

	;;#ASMEND
	;;#ASMSTART
	v_pk_mul_f16 v1, v38, v1;

	;;#ASMEND
	v_lshl_or_b32 v36, v43, 16, v36
	;;#ASMSTART
	v_pk_mul_f16 v3, v39, v3;

	;;#ASMEND
	;;#ASMSTART
	v_pk_mul_f16 v4, v36, v5;

	;;#ASMEND
	;;#ASMSTART
	v_pk_add_f16 v1, v2, v1;

	;;#ASMEND
	s_nop 0
	;;#ASMSTART
	v_pk_add_f16 v1, v1, v3;

	;;#ASMEND
	s_nop 0
	;; [unrolled: 5-line block ×3, first 2 shown]
	v_lshrrev_b32_e32 v2, 16, v1
	v_and_b32_e32 v1, 0xffff, v1
	;;#ASMSTART
	v_cvt_f32_f16 v40, v1;
	;;#ASMEND
	;;#ASMSTART
	v_cvt_f32_f16 v41, v2;
	;;#ASMEND
	global_load_dwordx4 v[2:5], v[16:17], off offset:1024
	s_waitcnt vmcnt(0)
	v_lshrrev_b32_e32 v1, 16, v3
	v_lshrrev_b32_e32 v10, 16, v2
	;; [unrolled: 1-line block ×3, first 2 shown]
	s_and_saveexec_b64 s[12:13], s[0:1]
	s_cbranch_execz .LBB92_55
; %bb.54:                               ;   in Loop: Header=BB92_50 Depth=1
	v_cmp_gt_i32_e32 vcc, s33, v31
	s_nop 1
	v_cndmask_b32_e32 v2, 0, v2, vcc
	v_cmp_gt_i32_e32 vcc, s33, v33
	s_nop 1
	v_cndmask_b32_e32 v3, 0, v3, vcc
	;; [unrolled: 3-line block ×6, first 2 shown]
	v_cmp_gt_i32_e32 vcc, s33, v29
	s_nop 1
	v_cndmask_b32_sdwa v43, v11, v5, vcc dst_sel:DWORD dst_unused:UNUSED_PAD src0_sel:DWORD src1_sel:WORD_0
	v_and_b32_e32 v5, 0xffff0000, v5
	v_cmp_gt_i32_e32 vcc, s33, v28
	s_nop 1
	v_cndmask_b32_e32 v5, 0, v5, vcc
	v_or_b32_e32 v5, v43, v5
.LBB92_55:                              ;   in Loop: Header=BB92_50 Depth=1
	s_or_b64 exec, exec, s[12:13]
	v_lshlrev_b32_e32 v10, 16, v10
	v_lshlrev_b32_e32 v1, 16, v1
	v_and_or_b32 v2, v2, s24, v10
	v_and_or_b32 v1, v3, s24, v1
	v_lshlrev_b32_e32 v3, 16, v42
	v_and_or_b32 v3, v4, s24, v3
	;;#ASMSTART
	v_pk_mul_f16 v2, v37, v2;

	;;#ASMEND
	;;#ASMSTART
	v_pk_mul_f16 v1, v38, v1;

	;;#ASMEND
	;; [unrolled: 4-line block ×4, first 2 shown]
	s_nop 0
	;;#ASMSTART
	v_pk_add_f16 v1, v2, v1;

	;;#ASMEND
	s_nop 0
	;;#ASMSTART
	v_pk_add_f16 v1, v1, v3;

	;;#ASMEND
	;; [unrolled: 5-line block ×3, first 2 shown]
	s_nop 0
	v_lshrrev_b32_e32 v2, 16, v1
	v_and_b32_e32 v1, 0xffff, v1
	;;#ASMSTART
	v_cvt_f32_f16 v42, v1;
	;;#ASMEND
	;;#ASMSTART
	v_cvt_f32_f16 v43, v2;
	;;#ASMEND
	global_load_dwordx4 v[2:5], v[16:17], off offset:2048
	s_waitcnt vmcnt(0)
	v_lshrrev_b32_e32 v1, 16, v3
	v_lshrrev_b32_e32 v10, 16, v2
	;; [unrolled: 1-line block ×3, first 2 shown]
	s_and_saveexec_b64 s[12:13], s[0:1]
	s_cbranch_execz .LBB92_57
; %bb.56:                               ;   in Loop: Header=BB92_50 Depth=1
	v_cmp_gt_i32_e32 vcc, s33, v31
	s_nop 1
	v_cndmask_b32_e32 v2, 0, v2, vcc
	v_cmp_gt_i32_e32 vcc, s33, v33
	s_nop 1
	v_cndmask_b32_e32 v3, 0, v3, vcc
	;; [unrolled: 3-line block ×6, first 2 shown]
	v_cmp_gt_i32_e32 vcc, s33, v29
	s_nop 1
	v_cndmask_b32_sdwa v45, v11, v5, vcc dst_sel:DWORD dst_unused:UNUSED_PAD src0_sel:DWORD src1_sel:WORD_0
	v_and_b32_e32 v5, 0xffff0000, v5
	v_cmp_gt_i32_e32 vcc, s33, v28
	s_nop 1
	v_cndmask_b32_e32 v5, 0, v5, vcc
	v_or_b32_e32 v5, v45, v5
.LBB92_57:                              ;   in Loop: Header=BB92_50 Depth=1
	s_or_b64 exec, exec, s[12:13]
	v_lshlrev_b32_e32 v10, 16, v10
	v_lshlrev_b32_e32 v1, 16, v1
	v_and_or_b32 v2, v2, s24, v10
	v_and_or_b32 v1, v3, s24, v1
	v_lshlrev_b32_e32 v3, 16, v44
	v_and_or_b32 v3, v4, s24, v3
	;;#ASMSTART
	v_pk_mul_f16 v2, v37, v2;

	;;#ASMEND
	;;#ASMSTART
	v_pk_mul_f16 v1, v38, v1;

	;;#ASMEND
	;; [unrolled: 4-line block ×4, first 2 shown]
	s_nop 0
	;;#ASMSTART
	v_pk_add_f16 v1, v2, v1;

	;;#ASMEND
	s_nop 0
	;;#ASMSTART
	v_pk_add_f16 v1, v1, v3;

	;;#ASMEND
	;; [unrolled: 5-line block ×3, first 2 shown]
	s_nop 0
	v_lshrrev_b32_e32 v2, 16, v1
	v_and_b32_e32 v1, 0xffff, v1
	;;#ASMSTART
	v_cvt_f32_f16 v44, v1;
	;;#ASMEND
	;;#ASMSTART
	v_cvt_f32_f16 v45, v2;
	;;#ASMEND
	global_load_dwordx4 v[2:5], v[16:17], off offset:3072
	s_waitcnt vmcnt(0)
	v_lshrrev_b32_e32 v1, 16, v3
	v_lshrrev_b32_e32 v10, 16, v2
	v_lshrrev_b32_e32 v46, 16, v4
	s_and_saveexec_b64 s[12:13], s[0:1]
	s_cbranch_execz .LBB92_59
; %bb.58:                               ;   in Loop: Header=BB92_50 Depth=1
	v_cmp_gt_i32_e32 vcc, s33, v31
	s_nop 1
	v_cndmask_b32_e32 v2, 0, v2, vcc
	v_cmp_gt_i32_e32 vcc, s33, v33
	s_nop 1
	v_cndmask_b32_e32 v3, 0, v3, vcc
	;; [unrolled: 3-line block ×6, first 2 shown]
	v_cmp_gt_i32_e32 vcc, s33, v29
	s_nop 1
	v_cndmask_b32_sdwa v47, v11, v5, vcc dst_sel:DWORD dst_unused:UNUSED_PAD src0_sel:DWORD src1_sel:WORD_0
	v_and_b32_e32 v5, 0xffff0000, v5
	v_cmp_gt_i32_e32 vcc, s33, v28
	s_nop 1
	v_cndmask_b32_e32 v5, 0, v5, vcc
	v_or_b32_e32 v5, v47, v5
.LBB92_59:                              ;   in Loop: Header=BB92_50 Depth=1
	s_or_b64 exec, exec, s[12:13]
	v_lshlrev_b32_e32 v10, 16, v10
	v_lshlrev_b32_e32 v1, 16, v1
	v_and_or_b32 v2, v2, s24, v10
	v_and_or_b32 v1, v3, s24, v1
	v_lshlrev_b32_e32 v3, 16, v46
	v_and_or_b32 v3, v4, s24, v3
	;;#ASMSTART
	v_pk_mul_f16 v2, v37, v2;

	;;#ASMEND
	;;#ASMSTART
	v_pk_mul_f16 v1, v38, v1;

	;;#ASMEND
	;; [unrolled: 4-line block ×4, first 2 shown]
	s_nop 0
	;;#ASMSTART
	v_pk_add_f16 v1, v2, v1;

	;;#ASMEND
	s_nop 0
	;;#ASMSTART
	v_pk_add_f16 v1, v1, v3;

	;;#ASMEND
	;; [unrolled: 5-line block ×3, first 2 shown]
	s_nop 0
	v_lshrrev_b32_e32 v2, 16, v1
	v_and_b32_e32 v1, 0xffff, v1
	;;#ASMSTART
	v_cvt_f32_f16 v46, v1;
	;;#ASMEND
	;;#ASMSTART
	v_cvt_f32_f16 v47, v2;
	;;#ASMEND
	v_add_co_u32_e32 v2, vcc, s25, v16
	s_nop 1
	v_addc_co_u32_e32 v3, vcc, 0, v17, vcc
	global_load_dwordx4 v[2:5], v[2:3], off
	s_waitcnt vmcnt(0)
	v_lshrrev_b32_e32 v1, 16, v3
	v_lshrrev_b32_e32 v10, 16, v2
	;; [unrolled: 1-line block ×3, first 2 shown]
	s_and_saveexec_b64 s[12:13], s[0:1]
	s_cbranch_execz .LBB92_48
; %bb.60:                               ;   in Loop: Header=BB92_50 Depth=1
	v_cmp_gt_i32_e32 vcc, s33, v31
	s_nop 1
	v_cndmask_b32_e32 v2, 0, v2, vcc
	v_cmp_gt_i32_e32 vcc, s33, v33
	s_nop 1
	v_cndmask_b32_e32 v3, 0, v3, vcc
	;; [unrolled: 3-line block ×6, first 2 shown]
	v_cmp_gt_i32_e32 vcc, s33, v29
	s_nop 1
	v_cndmask_b32_sdwa v17, v11, v5, vcc dst_sel:DWORD dst_unused:UNUSED_PAD src0_sel:DWORD src1_sel:WORD_0
	v_and_b32_e32 v5, 0xffff0000, v5
	v_cmp_gt_i32_e32 vcc, s33, v28
	s_nop 1
	v_cndmask_b32_e32 v5, 0, v5, vcc
	v_or_b32_e32 v5, v17, v5
	s_branch .LBB92_48
.LBB92_61:
	s_or_b64 exec, exec, s[6:7]
.LBB92_62:
	s_or_b64 exec, exec, s[2:3]
	ds_bpermute_b32 v2, v19, v8
	ds_bpermute_b32 v3, v19, v9
	;; [unrolled: 1-line block ×5, first 2 shown]
	s_waitcnt lgkmcnt(0)
	v_pk_add_f32 v[2:3], v[8:9], v[2:3]
	ds_bpermute_b32 v8, v23, v2
	v_pk_add_f32 v[6:7], v[6:7], v[4:5]
	ds_bpermute_b32 v9, v23, v3
	ds_bpermute_b32 v10, v23, v6
	;; [unrolled: 1-line block ×3, first 2 shown]
	v_add_f32_e32 v1, v25, v1
	s_barrier
	s_waitcnt lgkmcnt(2)
	v_pk_add_f32 v[4:5], v[2:3], v[8:9]
	s_waitcnt lgkmcnt(0)
	v_pk_add_f32 v[2:3], v[6:7], v[10:11]
	ds_bpermute_b32 v7, v23, v1
	v_and_b32_e32 v6, 0x3c3, v0
	v_cmp_ne_u32_e32 vcc, 64, v6
	s_and_saveexec_b64 s[0:1], vcc
	s_xor_b64 s[0:1], exec, s[0:1]
; %bb.63:
                                        ; implicit-def: $vgpr18
; %bb.64:
	s_or_saveexec_b64 s[0:1], s[0:1]
	s_waitcnt lgkmcnt(0)
	v_add_f32_e32 v1, v1, v7
	s_xor_b64 exec, exec, s[0:1]
	s_cbranch_execz .LBB92_66
; %bb.65:
	v_add_u32_e32 v7, 0xb0, v18
	ds_write2_b32 v7, v4, v5 offset1:16
	ds_write2_b32 v7, v2, v3 offset0:32 offset1:48
	ds_write_b32 v7, v1 offset:256
.LBB92_66:
	s_or_b64 exec, exec, s[0:1]
	v_cmp_gt_u32_e32 vcc, 64, v0
	v_lshrrev_b32_e32 v0, 2, v0
	s_waitcnt lgkmcnt(0)
	s_barrier
	s_and_saveexec_b64 s[0:1], vcc
	s_cbranch_execz .LBB92_74
; %bb.67:
	v_mov_b32_e32 v7, 0xb0
	v_cmp_eq_u32_e32 vcc, 0, v24
	v_lshl_add_u32 v7, v0, 2, v7
	s_and_saveexec_b64 s[2:3], vcc
	s_cbranch_execnz .LBB92_77
; %bb.68:
	s_or_b64 exec, exec, s[2:3]
	s_and_saveexec_b64 s[2:3], vcc
	s_cbranch_execnz .LBB92_78
.LBB92_69:
	s_or_b64 exec, exec, s[2:3]
	s_and_saveexec_b64 s[2:3], vcc
	s_cbranch_execnz .LBB92_79
.LBB92_70:
	s_or_b64 exec, exec, s[2:3]
	s_and_saveexec_b64 s[2:3], vcc
	s_cbranch_execnz .LBB92_80
.LBB92_71:
	s_or_b64 exec, exec, s[2:3]
	s_and_saveexec_b64 s[2:3], vcc
	s_cbranch_execz .LBB92_73
.LBB92_72:
	ds_read_b32 v7, v7 offset:256
	s_waitcnt lgkmcnt(0)
	v_add_f32_e32 v1, v1, v7
.LBB92_73:
	s_or_b64 exec, exec, s[2:3]
.LBB92_74:
	s_or_b64 exec, exec, s[0:1]
	v_cmp_eq_u32_e32 vcc, 0, v6
	s_barrier
	s_and_saveexec_b64 s[0:1], vcc
	s_cbranch_execz .LBB92_76
; %bb.75:
	s_mul_i32 s0, s10, s11
	s_mul_i32 s0, s0, s5
	s_mulk_i32 s0, 0x50
	s_ashr_i32 s1, s0, 31
	s_lshl_b64 s[0:1], s[0:1], 1
	s_add_u32 s2, s22, s0
	s_mul_i32 s0, s11, s20
	s_addc_u32 s3, s23, s1
	s_ashr_i32 s1, s0, 31
	s_lshl_b64 s[0:1], s[0:1], 1
	s_add_u32 s2, s2, s0
	s_mul_i32 s0, s4, 0x50
	s_addc_u32 s3, s3, s1
	s_ashr_i32 s1, s0, 31
	s_lshl_b64 s[0:1], s[0:1], 1
	s_add_u32 s0, s2, s0
	s_addc_u32 s1, s3, s1
	v_lshlrev_b32_e32 v0, 1, v0
	;;#ASMSTART
	v_cvt_f16_f32 v4, v4;

	;;#ASMEND
	global_store_short v0, v4, s[0:1]
	;;#ASMSTART
	v_cvt_f16_f32 v4, v5;

	;;#ASMEND
	global_store_short v0, v4, s[0:1] offset:32
	;;#ASMSTART
	v_cvt_f16_f32 v2, v2;

	;;#ASMEND
	global_store_short v0, v2, s[0:1] offset:64
	;; [unrolled: 5-line block ×4, first 2 shown]
.LBB92_76:
	s_endpgm
.LBB92_77:
	ds_read_b32 v8, v7
	s_waitcnt lgkmcnt(0)
	v_add_f32_e32 v4, v4, v8
	s_or_b64 exec, exec, s[2:3]
	s_and_saveexec_b64 s[2:3], vcc
	s_cbranch_execz .LBB92_69
.LBB92_78:
	ds_read_b32 v8, v7 offset:64
	s_waitcnt lgkmcnt(0)
	v_add_f32_e32 v5, v5, v8
	s_or_b64 exec, exec, s[2:3]
	s_and_saveexec_b64 s[2:3], vcc
	s_cbranch_execz .LBB92_70
.LBB92_79:
	ds_read_b32 v8, v7 offset:128
	s_waitcnt lgkmcnt(0)
	v_add_f32_e32 v2, v2, v8
	s_or_b64 exec, exec, s[2:3]
	s_and_saveexec_b64 s[2:3], vcc
	s_cbranch_execz .LBB92_71
.LBB92_80:
	ds_read_b32 v8, v7 offset:192
	s_waitcnt lgkmcnt(0)
	v_add_f32_e32 v3, v3, v8
	s_or_b64 exec, exec, s[2:3]
	s_and_saveexec_b64 s[2:3], vcc
	s_cbranch_execnz .LBB92_72
	s_branch .LBB92_73
	.section	.rodata,"a",@progbits
	.p2align	6, 0x0
	.amdhsa_kernel _ZN4vllm25paged_attention_v1_kernelIttLi80ELi32ELi128ELNS_18Fp8KVCacheDataTypeE0ELb1EEEvPT_PKS2_PKT0_S8_ifPKiSA_iPKfiiiSC_SC_iiiii
		.amdhsa_group_segment_fixed_size 176
		.amdhsa_private_segment_fixed_size 0
		.amdhsa_kernarg_size 384
		.amdhsa_user_sgpr_count 2
		.amdhsa_user_sgpr_dispatch_ptr 0
		.amdhsa_user_sgpr_queue_ptr 0
		.amdhsa_user_sgpr_kernarg_segment_ptr 1
		.amdhsa_user_sgpr_dispatch_id 0
		.amdhsa_user_sgpr_kernarg_preload_length 0
		.amdhsa_user_sgpr_kernarg_preload_offset 0
		.amdhsa_user_sgpr_private_segment_size 0
		.amdhsa_uses_dynamic_stack 0
		.amdhsa_enable_private_segment 0
		.amdhsa_system_sgpr_workgroup_id_x 1
		.amdhsa_system_sgpr_workgroup_id_y 1
		.amdhsa_system_sgpr_workgroup_id_z 1
		.amdhsa_system_sgpr_workgroup_info 0
		.amdhsa_system_vgpr_workitem_id 0
		.amdhsa_next_free_vgpr 72
		.amdhsa_next_free_sgpr 45
		.amdhsa_accum_offset 72
		.amdhsa_reserve_vcc 1
		.amdhsa_float_round_mode_32 0
		.amdhsa_float_round_mode_16_64 0
		.amdhsa_float_denorm_mode_32 3
		.amdhsa_float_denorm_mode_16_64 3
		.amdhsa_dx10_clamp 1
		.amdhsa_ieee_mode 1
		.amdhsa_fp16_overflow 0
		.amdhsa_tg_split 0
		.amdhsa_exception_fp_ieee_invalid_op 0
		.amdhsa_exception_fp_denorm_src 0
		.amdhsa_exception_fp_ieee_div_zero 0
		.amdhsa_exception_fp_ieee_overflow 0
		.amdhsa_exception_fp_ieee_underflow 0
		.amdhsa_exception_fp_ieee_inexact 0
		.amdhsa_exception_int_div_zero 0
	.end_amdhsa_kernel
	.section	.text._ZN4vllm25paged_attention_v1_kernelIttLi80ELi32ELi128ELNS_18Fp8KVCacheDataTypeE0ELb1EEEvPT_PKS2_PKT0_S8_ifPKiSA_iPKfiiiSC_SC_iiiii,"axG",@progbits,_ZN4vllm25paged_attention_v1_kernelIttLi80ELi32ELi128ELNS_18Fp8KVCacheDataTypeE0ELb1EEEvPT_PKS2_PKT0_S8_ifPKiSA_iPKfiiiSC_SC_iiiii,comdat
.Lfunc_end92:
	.size	_ZN4vllm25paged_attention_v1_kernelIttLi80ELi32ELi128ELNS_18Fp8KVCacheDataTypeE0ELb1EEEvPT_PKS2_PKT0_S8_ifPKiSA_iPKfiiiSC_SC_iiiii, .Lfunc_end92-_ZN4vllm25paged_attention_v1_kernelIttLi80ELi32ELi128ELNS_18Fp8KVCacheDataTypeE0ELb1EEEvPT_PKS2_PKT0_S8_ifPKiSA_iPKfiiiSC_SC_iiiii
                                        ; -- End function
	.set _ZN4vllm25paged_attention_v1_kernelIttLi80ELi32ELi128ELNS_18Fp8KVCacheDataTypeE0ELb1EEEvPT_PKS2_PKT0_S8_ifPKiSA_iPKfiiiSC_SC_iiiii.num_vgpr, 72
	.set _ZN4vllm25paged_attention_v1_kernelIttLi80ELi32ELi128ELNS_18Fp8KVCacheDataTypeE0ELb1EEEvPT_PKS2_PKT0_S8_ifPKiSA_iPKfiiiSC_SC_iiiii.num_agpr, 0
	.set _ZN4vllm25paged_attention_v1_kernelIttLi80ELi32ELi128ELNS_18Fp8KVCacheDataTypeE0ELb1EEEvPT_PKS2_PKT0_S8_ifPKiSA_iPKfiiiSC_SC_iiiii.numbered_sgpr, 45
	.set _ZN4vllm25paged_attention_v1_kernelIttLi80ELi32ELi128ELNS_18Fp8KVCacheDataTypeE0ELb1EEEvPT_PKS2_PKT0_S8_ifPKiSA_iPKfiiiSC_SC_iiiii.num_named_barrier, 0
	.set _ZN4vllm25paged_attention_v1_kernelIttLi80ELi32ELi128ELNS_18Fp8KVCacheDataTypeE0ELb1EEEvPT_PKS2_PKT0_S8_ifPKiSA_iPKfiiiSC_SC_iiiii.private_seg_size, 0
	.set _ZN4vllm25paged_attention_v1_kernelIttLi80ELi32ELi128ELNS_18Fp8KVCacheDataTypeE0ELb1EEEvPT_PKS2_PKT0_S8_ifPKiSA_iPKfiiiSC_SC_iiiii.uses_vcc, 1
	.set _ZN4vllm25paged_attention_v1_kernelIttLi80ELi32ELi128ELNS_18Fp8KVCacheDataTypeE0ELb1EEEvPT_PKS2_PKT0_S8_ifPKiSA_iPKfiiiSC_SC_iiiii.uses_flat_scratch, 0
	.set _ZN4vllm25paged_attention_v1_kernelIttLi80ELi32ELi128ELNS_18Fp8KVCacheDataTypeE0ELb1EEEvPT_PKS2_PKT0_S8_ifPKiSA_iPKfiiiSC_SC_iiiii.has_dyn_sized_stack, 0
	.set _ZN4vllm25paged_attention_v1_kernelIttLi80ELi32ELi128ELNS_18Fp8KVCacheDataTypeE0ELb1EEEvPT_PKS2_PKT0_S8_ifPKiSA_iPKfiiiSC_SC_iiiii.has_recursion, 0
	.set _ZN4vllm25paged_attention_v1_kernelIttLi80ELi32ELi128ELNS_18Fp8KVCacheDataTypeE0ELb1EEEvPT_PKS2_PKT0_S8_ifPKiSA_iPKfiiiSC_SC_iiiii.has_indirect_call, 0
	.section	.AMDGPU.csdata,"",@progbits
; Kernel info:
; codeLenInByte = 8152
; TotalNumSgprs: 51
; NumVgprs: 72
; NumAgprs: 0
; TotalNumVgprs: 72
; ScratchSize: 0
; MemoryBound: 0
; FloatMode: 240
; IeeeMode: 1
; LDSByteSize: 176 bytes/workgroup (compile time only)
; SGPRBlocks: 6
; VGPRBlocks: 8
; NumSGPRsForWavesPerEU: 51
; NumVGPRsForWavesPerEU: 72
; AccumOffset: 72
; Occupancy: 7
; WaveLimiterHint : 1
; COMPUTE_PGM_RSRC2:SCRATCH_EN: 0
; COMPUTE_PGM_RSRC2:USER_SGPR: 2
; COMPUTE_PGM_RSRC2:TRAP_HANDLER: 0
; COMPUTE_PGM_RSRC2:TGID_X_EN: 1
; COMPUTE_PGM_RSRC2:TGID_Y_EN: 1
; COMPUTE_PGM_RSRC2:TGID_Z_EN: 1
; COMPUTE_PGM_RSRC2:TIDIG_COMP_CNT: 0
; COMPUTE_PGM_RSRC3_GFX90A:ACCUM_OFFSET: 17
; COMPUTE_PGM_RSRC3_GFX90A:TG_SPLIT: 0
	.section	.text._ZN4vllm25paged_attention_v1_kernelIttLi96ELi32ELi128ELNS_18Fp8KVCacheDataTypeE0ELb1EEEvPT_PKS2_PKT0_S8_ifPKiSA_iPKfiiiSC_SC_iiiii,"axG",@progbits,_ZN4vllm25paged_attention_v1_kernelIttLi96ELi32ELi128ELNS_18Fp8KVCacheDataTypeE0ELb1EEEvPT_PKS2_PKT0_S8_ifPKiSA_iPKfiiiSC_SC_iiiii,comdat
	.protected	_ZN4vllm25paged_attention_v1_kernelIttLi96ELi32ELi128ELNS_18Fp8KVCacheDataTypeE0ELb1EEEvPT_PKS2_PKT0_S8_ifPKiSA_iPKfiiiSC_SC_iiiii ; -- Begin function _ZN4vllm25paged_attention_v1_kernelIttLi96ELi32ELi128ELNS_18Fp8KVCacheDataTypeE0ELb1EEEvPT_PKS2_PKT0_S8_ifPKiSA_iPKfiiiSC_SC_iiiii
	.globl	_ZN4vllm25paged_attention_v1_kernelIttLi96ELi32ELi128ELNS_18Fp8KVCacheDataTypeE0ELb1EEEvPT_PKS2_PKT0_S8_ifPKiSA_iPKfiiiSC_SC_iiiii
	.p2align	8
	.type	_ZN4vllm25paged_attention_v1_kernelIttLi96ELi32ELi128ELNS_18Fp8KVCacheDataTypeE0ELb1EEEvPT_PKS2_PKT0_S8_ifPKiSA_iPKfiiiSC_SC_iiiii,@function
_ZN4vllm25paged_attention_v1_kernelIttLi96ELi32ELi128ELNS_18Fp8KVCacheDataTypeE0ELb1EEEvPT_PKS2_PKT0_S8_ifPKiSA_iPKfiiiSC_SC_iiiii: ; @_ZN4vllm25paged_attention_v1_kernelIttLi96ELi32ELi128ELNS_18Fp8KVCacheDataTypeE0ELb1EEEvPT_PKS2_PKT0_S8_ifPKiSA_iPKfiiiSC_SC_iiiii
; %bb.0:
	s_load_dword s5, s[0:1], 0x80
	s_load_dwordx2 s[6:7], s[0:1], 0x30
	s_load_dwordx2 s[30:31], s[0:1], 0x20
	s_mov_b32 s10, s3
	s_ashr_i32 s11, s3, 31
	s_lshl_b64 s[8:9], s[10:11], 2
	s_waitcnt lgkmcnt(0)
	s_add_u32 s6, s6, s8
	s_addc_u32 s7, s7, s9
	s_abs_i32 s3, s30
	v_cvt_f32_u32_e32 v1, s3
	s_sub_i32 s11, 0, s3
	s_abs_i32 s9, s5
	s_xor_b32 s8, s5, s30
	v_rcp_iflag_f32_e32 v1, v1
	s_ashr_i32 s8, s8, 31
	s_mov_b32 s42, 0
	v_mul_f32_e32 v1, 0x4f7ffffe, v1
	v_cvt_u32_f32_e32 v1, v1
	s_nop 0
	v_readfirstlane_b32 s12, v1
	s_mul_i32 s11, s11, s12
	s_mul_hi_u32 s11, s12, s11
	s_add_i32 s12, s12, s11
	s_mul_hi_u32 s11, s9, s12
	s_mul_i32 s12, s11, s3
	s_sub_i32 s9, s9, s12
	s_add_i32 s12, s11, 1
	s_sub_i32 s13, s9, s3
	s_cmp_ge_u32 s9, s3
	s_cselect_b32 s11, s12, s11
	s_cselect_b32 s9, s13, s9
	s_add_i32 s12, s11, 1
	s_cmp_ge_u32 s9, s3
	s_cselect_b32 s3, s12, s11
	s_xor_b32 s3, s3, s8
	s_sub_i32 s12, s3, s8
	s_abs_i32 s11, s12
	v_cvt_f32_u32_e32 v1, s11
	s_load_dwordx2 s[8:9], s[0:1], 0x40
	s_sub_i32 s3, 0, s11
	s_abs_i32 s22, s2
	v_rcp_iflag_f32_e32 v1, v1
	s_nop 0
	v_mul_f32_e32 v1, 0x4f7ffffe, v1
	v_cvt_u32_f32_e32 v1, v1
	s_nop 0
	v_readfirstlane_b32 s13, v1
	s_mul_i32 s3, s3, s13
	s_mul_hi_u32 s3, s13, s3
	s_add_i32 s13, s13, s3
	s_waitcnt lgkmcnt(0)
	s_cmp_eq_u64 s[8:9], 0
	s_mul_hi_u32 s23, s22, s13
	s_cbranch_scc1 .LBB93_2
; %bb.1:
	s_ashr_i32 s3, s2, 31
	s_lshl_b64 s[14:15], s[2:3], 2
	s_add_u32 s8, s8, s14
	s_addc_u32 s9, s9, s15
	s_load_dword s42, s[8:9], 0x0
.LBB93_2:
	s_load_dword s33, s[6:7], 0x0
	s_ashr_i32 s9, s12, 31
	s_load_dwordx4 s[12:15], s[0:1], 0x48
	s_ashr_i32 s3, s2, 31
	v_and_b32_e32 v4, 1, v0
	s_movk_i32 s8, 0x60
	s_mul_i32 s20, s2, 0x60
	v_cmp_gt_u32_e32 vcc, 24, v0
	v_lshlrev_b32_e32 v1, 3, v0
	s_and_saveexec_b64 s[6:7], vcc
	s_cbranch_execz .LBB93_4
; %bb.3:
	s_load_dwordx2 s[16:17], s[0:1], 0x8
	s_waitcnt lgkmcnt(0)
	s_mul_i32 s18, s12, s10
	s_ashr_i32 s19, s18, 31
	s_lshl_b64 s[18:19], s[18:19], 1
	v_lshlrev_b32_e32 v5, 2, v0
	s_add_u32 s12, s16, s18
	s_addc_u32 s15, s17, s19
	s_ashr_i32 s21, s20, 31
	s_lshl_b64 s[16:17], s[20:21], 1
	s_add_u32 s16, s12, s16
	s_addc_u32 s17, s15, s17
	global_load_dwordx2 v[2:3], v1, s[16:17]
	v_and_b32_e32 v5, 0xff8, v5
	v_mad_u32_u24 v5, v4, s8, v5
	s_waitcnt vmcnt(0)
	ds_write_b64 v5, v[2:3]
.LBB93_4:
	s_or_b64 exec, exec, s[6:7]
	s_mul_i32 s6, s23, s11
	s_sub_i32 s6, s22, s6
	s_xor_b32 s3, s3, s9
	s_add_i32 s7, s23, 1
	s_sub_i32 s9, s6, s11
	s_load_dwordx4 s[16:19], s[0:1], 0x68
	s_load_dword s8, s[0:1], 0x78
	s_cmp_ge_u32 s6, s11
	s_cselect_b32 s7, s7, s23
	s_cselect_b32 s6, s9, s6
	s_add_i32 s9, s7, 1
	s_cmp_ge_u32 s6, s11
	s_cselect_b32 s6, s9, s7
	s_waitcnt lgkmcnt(0)
	s_abs_i32 s21, s19
	v_cvt_f32_u32_e32 v2, s21
	s_xor_b32 s6, s6, s3
	s_sub_i32 s3, s6, s3
	s_sub_i32 s6, 0, s21
	v_rcp_iflag_f32_e32 v2, v2
	s_add_i32 s11, s33, -1
	s_abs_i32 s9, s11
	v_mul_f32_e32 v2, 0x4f7ffffe, v2
	v_cvt_u32_f32_e32 v2, v2
	s_barrier
	v_readfirstlane_b32 s40, v2
	s_mul_i32 s6, s6, s40
	s_mul_hi_u32 s6, s40, s6
	s_add_i32 s40, s40, s6
	s_cmp_lt_i32 s8, 0
	s_mul_hi_u32 s12, s9, s40
	s_cbranch_scc0 .LBB93_6
; %bb.5:
	s_mul_i32 s6, s16, s30
	s_add_i32 s6, s3, s6
	s_mul_i32 s6, s6, s8
	s_sub_i32 s41, 1, s6
	s_mov_b64 s[6:7], 0
	s_branch .LBB93_7
.LBB93_6:
	s_mov_b64 s[6:7], -1
                                        ; implicit-def: $sgpr41
.LBB93_7:
	s_load_dwordx2 s[24:25], s[0:1], 0x28
	s_ashr_i32 s15, s11, 31
	s_andn2_b64 vcc, exec, s[6:7]
	s_ashr_i32 s19, s19, 31
	s_cbranch_vccnz .LBB93_9
; %bb.8:
	s_mul_i32 s6, s5, s16
	s_add_i32 s2, s6, s2
	s_mul_i32 s2, s2, s8
	s_add_i32 s41, s2, 1
.LBB93_9:
	s_load_dword s2, s[0:1], 0x38
	s_load_dwordx2 s[22:23], s[0:1], 0x0
	s_load_dwordx2 s[28:29], s[0:1], 0x18
	s_load_dword s11, s[0:1], 0x88
	s_xor_b32 s6, s15, s19
	s_waitcnt lgkmcnt(0)
	s_mul_i32 s26, s2, s10
	s_mul_i32 s2, s12, s21
	s_sub_i32 s2, s9, s2
	s_ashr_i32 s27, s26, 31
	s_add_i32 s7, s12, 1
	s_sub_i32 s8, s2, s21
	s_cmp_ge_u32 s2, s21
	s_cselect_b32 s7, s7, s12
	s_cselect_b32 s2, s8, s2
	s_add_i32 s8, s7, 1
	s_cmp_ge_u32 s2, s21
	s_cselect_b32 s2, s8, s7
	s_xor_b32 s2, s2, s6
	s_sub_i32 s12, s2, s6
	s_add_i32 s2, s33, 31
	s_ashr_i32 s6, s2, 31
	s_lshr_b32 s6, s6, 27
	s_add_i32 s2, s2, s6
	s_ashr_i32 s16, s2, 5
	v_lshrrev_b32_e32 v24, 6, v0
	v_cmp_gt_i32_e64 s[6:7], s16, v24
	v_mov_b32_e32 v30, 0xff7fffff
	s_mul_i32 s14, s3, s14
	v_lshrrev_b32_e32 v26, 4, v0
	v_lshlrev_b32_e32 v25, 5, v24
	v_mbcnt_lo_u32_b32 v27, -1, 0
	s_and_saveexec_b64 s[34:35], s[6:7]
	s_cbranch_execz .LBB93_21
; %bb.10:
	s_load_dwordx2 s[0:1], s[0:1], 0x10
	s_ashr_i32 s15, s14, 31
	s_sub_i32 s30, s12, s17
	s_lshl_b64 s[8:9], s[14:15], 1
	v_bfe_u32 v28, v0, 1, 5
	s_waitcnt lgkmcnt(0)
	s_add_u32 s0, s0, s8
	s_addc_u32 s1, s1, s9
	s_abs_i32 s15, s18
	v_cvt_f32_u32_e32 v2, s15
	s_sub_i32 s8, 0, s15
	v_cmp_eq_u32_e64 s[2:3], 0, v4
	v_lshlrev_b32_e32 v6, 4, v28
	v_rcp_iflag_f32_e32 v5, v2
	v_mov_b32_e32 v7, 0
	v_mul_u32_u24_e32 v29, 0x60, v4
	v_lshl_add_u64 v[2:3], s[0:1], 0, v[6:7]
	v_mul_f32_e32 v5, 0x4f7ffffe, v5
	v_cvt_u32_f32_e32 v5, v5
	v_and_b32_e32 v6, 8, v1
	v_lshl_add_u64 v[2:3], v[2:3], 0, v[6:7]
	v_and_b32_e32 v6, 60, v26
	v_mul_lo_u32 v4, s8, v5
	s_lshl_b64 s[8:9], s[26:27], 2
	s_add_u32 s8, s24, s8
	v_mul_hi_u32 v4, v5, v4
	s_addc_u32 s9, s25, s9
	v_add_u32_e32 v31, v5, v4
	v_lshl_add_u64 v[4:5], s[8:9], 0, v[6:7]
	v_subrev_u32_e32 v6, s33, v28
	v_add_u32_e32 v33, 1, v6
	v_lshlrev_b32_e32 v6, 2, v28
	v_lshl_or_b32 v6, v24, 7, v6
	v_mbcnt_hi_u32_b32 v36, -1, v27
	v_add_u32_e32 v34, 0xd0, v6
	v_and_b32_e32 v6, 64, v36
	s_mov_b32 s43, s13
	v_cmp_neq_f32_e64 s[0:1], s42, 0
	v_lshlrev_b32_e32 v32, 5, v24
	v_mov_b32_e32 v35, 0xff7fffff
	s_mov_b64 s[36:37], 0
	s_movk_i32 s44, 0x1000
	v_xor_b32_e32 v37, 1, v36
	v_add_u32_e32 v38, 64, v6
	v_mov_b32_e32 v30, 0xff7fffff
	v_mov_b32_e32 v39, v24
	s_branch .LBB93_13
.LBB93_11:                              ;   in Loop: Header=BB93_13 Depth=1
	s_or_b64 exec, exec, s[38:39]
.LBB93_12:                              ;   in Loop: Header=BB93_13 Depth=1
	s_or_b64 exec, exec, s[8:9]
	v_add_u32_e32 v39, 2, v39
	v_cmp_le_i32_e32 vcc, s16, v39
	v_lshl_add_u64 v[4:5], v[4:5], 0, 8
	v_add_u32_e32 v32, 64, v32
	s_or_b64 s[36:37], vcc, s[36:37]
	v_add_u32_e32 v34, 0x100, v34
	s_andn2_b64 exec, exec, s[36:37]
	s_cbranch_execz .LBB93_20
.LBB93_13:                              ; =>This Inner Loop Header: Depth=1
	v_mul_hi_u32 v6, v32, s40
	s_waitcnt lgkmcnt(0)
	v_mul_lo_u32 v7, v6, s21
	v_sub_u32_e32 v7, v32, v7
	v_add_u32_e32 v8, 1, v6
	v_cmp_le_u32_e32 vcc, s21, v7
	s_nop 1
	v_cndmask_b32_e32 v6, v6, v8, vcc
	v_subrev_u32_e32 v8, s21, v7
	v_cndmask_b32_e32 v7, v7, v8, vcc
	v_add_u32_e32 v8, 1, v6
	v_cmp_le_u32_e32 vcc, s21, v7
	s_nop 1
	v_cndmask_b32_e32 v6, v6, v8, vcc
	v_xor_b32_e32 v6, s19, v6
	v_subrev_u32_e32 v6, s19, v6
	v_add_u32_e32 v7, s41, v6
	v_sub_u32_e32 v9, 0, v7
	v_ashrrev_i32_e32 v8, 31, v7
	v_max_i32_e32 v7, v7, v9
	v_mul_hi_u32 v9, v7, v31
	v_mul_lo_u32 v9, v9, s15
	v_sub_u32_e32 v7, v7, v9
	v_subrev_u32_e32 v9, s15, v7
	v_cmp_le_u32_e32 vcc, s15, v7
	v_cmp_ge_i32_e64 s[8:9], s30, v6
	s_nop 0
	v_cndmask_b32_e32 v7, v7, v9, vcc
	v_subrev_u32_e32 v9, s15, v7
	v_cmp_le_u32_e32 vcc, s15, v7
	s_nop 1
	v_cndmask_b32_e32 v7, v7, v9, vcc
	v_xor_b32_e32 v7, v7, v8
	v_sub_u32_e32 v7, v7, v8
	v_cmp_ne_u32_e32 vcc, 0, v7
	s_and_b64 s[8:9], vcc, s[8:9]
	s_and_saveexec_b64 s[38:39], s[8:9]
	s_xor_b64 s[8:9], exec, s[38:39]
	s_cbranch_execz .LBB93_17
; %bb.14:                               ;   in Loop: Header=BB93_13 Depth=1
	s_and_saveexec_b64 s[38:39], s[2:3]
; %bb.15:                               ;   in Loop: Header=BB93_13 Depth=1
	ds_write_b32 v34, v35
; %bb.16:                               ;   in Loop: Header=BB93_13 Depth=1
	s_or_b64 exec, exec, s[38:39]
.LBB93_17:                              ;   in Loop: Header=BB93_13 Depth=1
	s_andn2_saveexec_b64 s[8:9], s[8:9]
	s_cbranch_execz .LBB93_12
; %bb.18:                               ;   in Loop: Header=BB93_13 Depth=1
	global_load_dword v6, v[4:5], off
	s_waitcnt vmcnt(0)
	v_mad_i64_i32 v[6:7], s[38:39], v6, s43, 0
	v_lshl_add_u64 v[6:7], v[6:7], 1, v[2:3]
	global_load_dwordx2 v[42:43], v[6:7], off
	global_load_dwordx2 v[44:45], v[6:7], off offset:512
	global_load_dwordx2 v[48:49], v[6:7], off offset:1024
	global_load_dwordx2 v[22:23], v[6:7], off offset:1536
	global_load_dwordx2 v[20:21], v[6:7], off offset:2048
	global_load_dwordx2 v[18:19], v[6:7], off offset:2560
	global_load_dwordx2 v[16:17], v[6:7], off offset:3072
	global_load_dwordx2 v[14:15], v[6:7], off offset:3584
	v_add_co_u32_e32 v40, vcc, s44, v6
	s_waitcnt vmcnt(7)
	v_lshrrev_b32_e32 v53, 16, v42
	v_addc_co_u32_e32 v41, vcc, 0, v7, vcc
	global_load_dwordx2 v[12:13], v[40:41], off
	global_load_dwordx2 v[10:11], v[40:41], off offset:512
	ds_read_b64 v[6:7], v29
	v_and_b32_e32 v54, 0xffff, v42
	v_lshrrev_b32_e32 v55, 16, v43
	v_and_b32_e32 v56, 0xffff, v43
	s_waitcnt vmcnt(5)
	v_lshrrev_b32_e32 v60, 16, v20
	s_waitcnt lgkmcnt(0)
	v_lshrrev_b32_e32 v46, 16, v6
	v_and_b32_e32 v47, 0xffff, v6
	v_lshrrev_b32_e32 v51, 16, v7
	v_and_b32_e32 v52, 0xffff, v7
	global_load_dwordx2 v[8:9], v[40:41], off offset:1024
	global_load_dwordx2 v[6:7], v[40:41], off offset:1536
	;;#ASMSTART
	v_cvt_f32_f16 v40, v47;
	;;#ASMEND
	;;#ASMSTART
	v_cvt_f32_f16 v41, v46;
	;;#ASMEND
	v_and_b32_e32 v61, 0xffff, v20
	v_lshrrev_b32_e32 v62, 16, v21
	v_and_b32_e32 v63, 0xffff, v21
	s_waitcnt vmcnt(6)
	v_lshrrev_b32_e32 v64, 16, v18
	v_and_b32_e32 v65, 0xffff, v18
	v_lshrrev_b32_e32 v66, 16, v19
	v_and_b32_e32 v67, 0xffff, v19
	s_waitcnt vmcnt(5)
	v_lshrrev_b32_e32 v68, 16, v16
	;; [unrolled: 5-line block ×3, first 2 shown]
	v_and_b32_e32 v73, 0xffff, v14
	v_lshrrev_b32_e32 v74, 16, v15
	v_and_b32_e32 v75, 0xffff, v15
	;;#ASMSTART
	v_cvt_f32_f16 v16, v54;
	;;#ASMEND
	;;#ASMSTART
	v_cvt_f32_f16 v17, v53;
	;;#ASMEND
	;; [unrolled: 3-line block ×6, first 2 shown]
	ds_read_b64 v[14:15], v29 offset:8
	v_lshrrev_b32_e32 v42, 16, v44
	v_and_b32_e32 v43, 0xffff, v44
	v_lshrrev_b32_e32 v44, 16, v45
	v_lshrrev_b32_e32 v58, 16, v23
	v_and_b32_e32 v59, 0xffff, v23
	s_waitcnt lgkmcnt(0)
	v_and_b32_e32 v23, 0xffff, v15
	v_and_b32_e32 v46, 0xffff, v45
	v_lshrrev_b32_e32 v50, 16, v22
	v_and_b32_e32 v57, 0xffff, v22
	v_lshrrev_b32_e32 v45, 16, v48
	;; [unrolled: 2-line block ×3, first 2 shown]
	v_and_b32_e32 v49, 0xffff, v49
	v_cmp_lt_i32_e32 vcc, v37, v38
	s_waitcnt vmcnt(3)
	v_lshrrev_b32_e32 v51, 16, v12
	v_and_b32_e32 v52, 0xffff, v12
	v_lshrrev_b32_e32 v53, 16, v13
	v_and_b32_e32 v54, 0xffff, v13
	s_waitcnt vmcnt(2)
	v_lshrrev_b32_e32 v55, 16, v10
	v_and_b32_e32 v56, 0xffff, v10
	v_lshrrev_b32_e32 v12, 16, v14
	v_and_b32_e32 v10, 0xffff, v14
	v_lshrrev_b32_e32 v13, 16, v15
	;;#ASMSTART
	v_cvt_f32_f16 v10, v10;
	;;#ASMEND
	;;#ASMSTART
	v_cvt_f32_f16 v14, v12;
	;;#ASMEND
	;; [unrolled: 3-line block ×8, first 2 shown]
	ds_read_b64 v[12:13], v29 offset:16
	v_mul_f32_e32 v15, v10, v15
	v_mul_f32_e32 v14, v14, v22
	;; [unrolled: 1-line block ×4, first 2 shown]
	v_fmac_f32_e32 v15, v40, v16
	s_waitcnt lgkmcnt(0)
	v_lshrrev_b32_e32 v16, 16, v12
	v_and_b32_e32 v10, 0xffff, v12
	v_lshrrev_b32_e32 v12, 16, v13
	v_and_b32_e32 v13, 0xffff, v13
	v_fmac_f32_e32 v14, v41, v17
	v_fmac_f32_e32 v22, v18, v20
	;; [unrolled: 1-line block ×3, first 2 shown]
	;;#ASMSTART
	v_cvt_f32_f16 v10, v10;
	;;#ASMEND
	;;#ASMSTART
	v_cvt_f32_f16 v16, v16;
	;;#ASMEND
	;;#ASMSTART
	v_cvt_f32_f16 v17, v47;
	;;#ASMEND
	;;#ASMSTART
	v_cvt_f32_f16 v18, v45;
	;;#ASMEND
	;;#ASMSTART
	v_cvt_f32_f16 v19, v13;
	;;#ASMEND
	;;#ASMSTART
	v_cvt_f32_f16 v20, v12;
	;;#ASMEND
	;;#ASMSTART
	v_cvt_f32_f16 v21, v49;
	;;#ASMEND
	;;#ASMSTART
	v_cvt_f32_f16 v40, v48;
	;;#ASMEND
	ds_read_b64 v[12:13], v29 offset:24
	v_fmac_f32_e32 v15, v10, v17
	v_fmac_f32_e32 v14, v16, v18
	v_fmac_f32_e32 v22, v19, v21
	v_fmac_f32_e32 v23, v20, v40
	s_waitcnt lgkmcnt(0)
	v_lshrrev_b32_e32 v16, 16, v12
	v_and_b32_e32 v10, 0xffff, v12
	v_lshrrev_b32_e32 v12, 16, v13
	v_and_b32_e32 v13, 0xffff, v13
	;;#ASMSTART
	v_cvt_f32_f16 v10, v10;
	;;#ASMEND
	;;#ASMSTART
	v_cvt_f32_f16 v16, v16;
	;;#ASMEND
	;;#ASMSTART
	v_cvt_f32_f16 v17, v57;
	;;#ASMEND
	;;#ASMSTART
	v_cvt_f32_f16 v18, v50;
	;;#ASMEND
	;;#ASMSTART
	v_cvt_f32_f16 v19, v13;
	;;#ASMEND
	;;#ASMSTART
	v_cvt_f32_f16 v20, v12;
	;;#ASMEND
	;;#ASMSTART
	v_cvt_f32_f16 v21, v59;
	;;#ASMEND
	;;#ASMSTART
	v_cvt_f32_f16 v40, v58;
	;;#ASMEND
	ds_read_b64 v[12:13], v29 offset:32
	v_fmac_f32_e32 v15, v10, v17
	v_fmac_f32_e32 v14, v16, v18
	v_fmac_f32_e32 v22, v19, v21
	v_fmac_f32_e32 v23, v20, v40
	s_waitcnt lgkmcnt(0)
	v_lshrrev_b32_e32 v16, 16, v12
	v_and_b32_e32 v10, 0xffff, v12
	v_lshrrev_b32_e32 v12, 16, v13
	v_and_b32_e32 v13, 0xffff, v13
	;; [unrolled: 34-line block ×6, first 2 shown]
	;;#ASMSTART
	v_cvt_f32_f16 v10, v10;
	;;#ASMEND
	;;#ASMSTART
	v_cvt_f32_f16 v16, v16;
	;;#ASMEND
	;;#ASMSTART
	v_cvt_f32_f16 v17, v52;
	;;#ASMEND
	;;#ASMSTART
	v_cvt_f32_f16 v18, v51;
	;;#ASMEND
	;;#ASMSTART
	v_cvt_f32_f16 v19, v13;
	;;#ASMEND
	;;#ASMSTART
	v_cvt_f32_f16 v20, v12;
	;;#ASMEND
	;;#ASMSTART
	v_cvt_f32_f16 v21, v54;
	;;#ASMEND
	;;#ASMSTART
	v_cvt_f32_f16 v40, v53;
	;;#ASMEND
	ds_read_b64 v[12:13], v29 offset:72
	v_fmac_f32_e32 v15, v10, v17
	v_fmac_f32_e32 v14, v16, v18
	;; [unrolled: 1-line block ×4, first 2 shown]
	s_waitcnt lgkmcnt(0)
	v_lshrrev_b32_e32 v10, 16, v12
	v_and_b32_e32 v12, 0xffff, v12
	;;#ASMSTART
	v_cvt_f32_f16 v12, v12;
	;;#ASMEND
	;;#ASMSTART
	v_cvt_f32_f16 v16, v10;
	;;#ASMEND
	v_lshrrev_b32_e32 v10, 16, v13
	v_and_b32_e32 v13, 0xffff, v13
	;;#ASMSTART
	v_cvt_f32_f16 v17, v56;
	;;#ASMEND
	;;#ASMSTART
	v_cvt_f32_f16 v18, v55;
	;;#ASMEND
	;; [unrolled: 3-line block ×4, first 2 shown]
	v_lshrrev_b32_e32 v10, 16, v11
	v_and_b32_e32 v11, 0xffff, v11
	;;#ASMSTART
	v_cvt_f32_f16 v20, v11;
	;;#ASMEND
	;;#ASMSTART
	v_cvt_f32_f16 v21, v10;
	;;#ASMEND
	ds_read_b64 v[10:11], v29 offset:80
	v_fmac_f32_e32 v15, v12, v17
	v_fmac_f32_e32 v14, v16, v18
	s_waitcnt vmcnt(1)
	v_lshrrev_b32_e32 v16, 16, v8
	v_and_b32_e32 v8, 0xffff, v8
	s_waitcnt lgkmcnt(0)
	v_lshrrev_b32_e32 v12, 16, v10
	v_and_b32_e32 v10, 0xffff, v10
	v_fmac_f32_e32 v22, v13, v20
	;;#ASMSTART
	v_cvt_f32_f16 v10, v10;
	;;#ASMEND
	;;#ASMSTART
	v_cvt_f32_f16 v12, v12;
	;;#ASMEND
	;; [unrolled: 3-line block ×3, first 2 shown]
	v_lshrrev_b32_e32 v8, 16, v11
	v_and_b32_e32 v11, 0xffff, v11
	;;#ASMSTART
	v_cvt_f32_f16 v16, v16;
	;;#ASMEND
	;;#ASMSTART
	v_cvt_f32_f16 v11, v11;
	;;#ASMEND
	;; [unrolled: 3-line block ×3, first 2 shown]
	v_lshrrev_b32_e32 v8, 16, v9
	v_and_b32_e32 v9, 0xffff, v9
	v_fmac_f32_e32 v23, v19, v21
	;;#ASMSTART
	v_cvt_f32_f16 v18, v9;
	;;#ASMEND
	;;#ASMSTART
	v_cvt_f32_f16 v19, v8;
	;;#ASMEND
	ds_read_b64 v[8:9], v29 offset:88
	v_fmac_f32_e32 v15, v10, v13
	v_fmac_f32_e32 v22, v11, v18
	s_waitcnt vmcnt(0)
	v_lshrrev_b32_e32 v11, 16, v6
	v_and_b32_e32 v6, 0xffff, v6
	s_waitcnt lgkmcnt(0)
	v_lshrrev_b32_e32 v10, 16, v8
	v_and_b32_e32 v8, 0xffff, v8
	;;#ASMSTART
	v_cvt_f32_f16 v8, v8;
	;;#ASMEND
	;;#ASMSTART
	v_cvt_f32_f16 v10, v10;
	;;#ASMEND
	;; [unrolled: 3-line block ×3, first 2 shown]
	v_fmac_f32_e32 v14, v12, v16
	v_fmac_f32_e32 v15, v8, v6
	v_and_b32_e32 v6, 0xffff, v9
	;;#ASMSTART
	v_cvt_f32_f16 v11, v11;
	;;#ASMEND
	v_lshrrev_b32_e32 v8, 16, v9
	v_fmac_f32_e32 v14, v10, v11
	;;#ASMSTART
	v_cvt_f32_f16 v6, v6;
	;;#ASMEND
	v_lshrrev_b32_e32 v9, 16, v7
	v_and_b32_e32 v7, 0xffff, v7
	v_fmac_f32_e32 v23, v17, v19
	;;#ASMSTART
	v_cvt_f32_f16 v8, v8;
	;;#ASMEND
	;;#ASMSTART
	v_cvt_f32_f16 v7, v7;
	;;#ASMEND
	;; [unrolled: 3-line block ×3, first 2 shown]
	s_nop 0
	v_fmac_f32_e32 v22, v6, v7
	v_add_f32_e32 v6, v15, v14
	v_fmac_f32_e32 v23, v8, v9
	v_add_f32_e32 v6, v6, v22
	v_cndmask_b32_e32 v7, v36, v37, vcc
	v_add_f32_e32 v6, v23, v6
	v_lshlrev_b32_e32 v7, 2, v7
	ds_bpermute_b32 v7, v7, v6
	s_and_saveexec_b64 s[38:39], s[2:3]
	s_cbranch_execz .LBB93_11
; %bb.19:                               ;   in Loop: Header=BB93_13 Depth=1
	v_add_u32_e32 v8, v33, v32
	v_cvt_f32_i32_e32 v8, v8
	s_waitcnt lgkmcnt(0)
	v_add_f32_e32 v6, v6, v7
	v_add_u32_e32 v9, v28, v32
	v_cmp_gt_i32_e32 vcc, s33, v9
	v_mul_f32_e32 v7, s42, v8
	v_cndmask_b32_e64 v7, 0, v7, s[0:1]
	v_fmac_f32_e32 v7, s31, v6
	v_cndmask_b32_e32 v6, 0, v7, vcc
	ds_write_b32 v34, v6
	v_max_f32_e32 v6, v30, v30
	v_max_f32_e32 v6, v6, v7
	v_cndmask_b32_e32 v30, v30, v6, vcc
	s_branch .LBB93_11
.LBB93_20:
	s_or_b64 exec, exec, s[36:37]
.LBB93_21:
	s_or_b64 exec, exec, s[34:35]
	v_mbcnt_hi_u32_b32 v2, -1, v27
	v_and_b32_e32 v9, 64, v2
	v_add_u32_e32 v10, 64, v9
	v_xor_b32_e32 v3, 32, v2
	v_cmp_lt_i32_e32 vcc, v3, v10
	v_xor_b32_e32 v6, 16, v2
	v_max_f32_e32 v5, v30, v30
	v_cndmask_b32_e32 v3, v2, v3, vcc
	v_lshlrev_b32_e32 v3, 2, v3
	ds_bpermute_b32 v4, v3, v30
	v_cmp_lt_i32_e32 vcc, v6, v10
	s_waitcnt lgkmcnt(1)
	v_xor_b32_e32 v7, 8, v2
	v_xor_b32_e32 v8, 4, v2
	;; [unrolled: 1-line block ×3, first 2 shown]
	s_waitcnt lgkmcnt(0)
	v_max_f32_e32 v4, v4, v4
	v_max_f32_e32 v5, v5, v4
	v_cndmask_b32_e32 v4, v2, v6, vcc
	v_lshlrev_b32_e32 v4, 2, v4
	ds_bpermute_b32 v6, v4, v5
	v_cmp_lt_i32_e32 vcc, v7, v10
	v_and_b32_e32 v20, 63, v0
	s_waitcnt lgkmcnt(0)
	v_max_f32_e32 v6, v6, v6
	v_max_f32_e32 v6, v5, v6
	v_cndmask_b32_e32 v5, v2, v7, vcc
	v_lshlrev_b32_e32 v5, 2, v5
	ds_bpermute_b32 v7, v5, v6
	v_cmp_lt_i32_e32 vcc, v8, v10
	s_waitcnt lgkmcnt(0)
	v_max_f32_e32 v7, v7, v7
	v_max_f32_e32 v7, v6, v7
	v_cndmask_b32_e32 v6, v2, v8, vcc
	v_lshlrev_b32_e32 v6, 2, v6
	ds_bpermute_b32 v8, v6, v7
	v_cmp_lt_i32_e32 vcc, v11, v10
	s_waitcnt lgkmcnt(0)
	v_max_f32_e32 v8, v8, v8
	v_max_f32_e32 v8, v7, v8
	v_cndmask_b32_e32 v7, v2, v11, vcc
	v_lshlrev_b32_e32 v21, 2, v7
	ds_bpermute_b32 v11, v21, v8
	v_cmp_eq_u32_e32 vcc, 0, v20
	v_lshlrev_b32_e32 v7, 2, v24
	s_and_saveexec_b64 s[0:1], vcc
	s_cbranch_execz .LBB93_23
; %bb.22:
	s_waitcnt lgkmcnt(0)
	v_max_f32_e32 v11, v11, v11
	v_max_f32_e32 v8, v8, v8
	;; [unrolled: 1-line block ×3, first 2 shown]
	ds_write_b32 v7, v8 offset:192
.LBB93_23:
	s_or_b64 exec, exec, s[0:1]
	v_cmp_gt_u32_e64 s[0:1], 2, v20
	s_waitcnt lgkmcnt(0)
	v_mov_b32_e32 v11, 0xff7fffff
	v_lshlrev_b32_e32 v8, 2, v20
	s_barrier
	s_and_saveexec_b64 s[2:3], s[0:1]
; %bb.24:
	ds_read_b32 v11, v8 offset:192
; %bb.25:
	s_or_b64 exec, exec, s[2:3]
	v_xor_b32_e32 v12, 1, v2
	v_cmp_lt_i32_e64 s[2:3], v12, v10
	v_lshlrev_b32_e32 v9, 2, v9
	s_nop 0
	v_cndmask_b32_e64 v10, v2, v12, s[2:3]
	v_lshlrev_b32_e32 v22, 2, v10
	s_waitcnt lgkmcnt(0)
	ds_bpermute_b32 v10, v22, v11
	v_max_f32_e32 v11, v11, v11
	s_lshl_b32 s2, s16, 5
	s_min_i32 s15, s2, s33
	v_cmp_gt_i32_e64 s[2:3], s15, v0
	s_waitcnt lgkmcnt(0)
	v_max_f32_e32 v10, v10, v10
	v_max_f32_e32 v10, v11, v10
	ds_bpermute_b32 v10, v9, v10
	v_mov_b32_e32 v9, 0
	s_and_saveexec_b64 s[30:31], s[2:3]
	s_cbranch_execz .LBB93_29
; %bb.26:
	v_mov_b32_e32 v9, 0xd0
	v_lshl_add_u32 v11, v0, 2, v9
	v_mov_b32_e32 v9, 0
	s_mov_b64 s[34:35], 0
	v_mov_b32_e32 v12, v0
.LBB93_27:                              ; =>This Inner Loop Header: Depth=1
	ds_read_b32 v13, v11
	v_add_u32_e32 v12, 0x80, v12
	v_cmp_le_i32_e64 s[8:9], s15, v12
	s_or_b64 s[34:35], s[8:9], s[34:35]
	s_waitcnt lgkmcnt(0)
	v_sub_f32_e32 v13, v13, v10
	v_mul_f32_e32 v13, 0x3fb8aa3b, v13
	v_exp_f32_e32 v13, v13
	ds_write_b32 v11, v13
	v_add_f32_e32 v9, v9, v13
	v_add_u32_e32 v11, 0x200, v11
	s_andn2_b64 exec, exec, s[34:35]
	s_cbranch_execnz .LBB93_27
; %bb.28:
	s_or_b64 exec, exec, s[34:35]
.LBB93_29:
	s_or_b64 exec, exec, s[30:31]
	ds_bpermute_b32 v3, v3, v9
	s_waitcnt lgkmcnt(0)
	v_add_f32_e32 v3, v9, v3
	ds_bpermute_b32 v4, v4, v3
	s_waitcnt lgkmcnt(0)
	v_add_f32_e32 v3, v3, v4
	;; [unrolled: 3-line block ×6, first 2 shown]
	s_and_saveexec_b64 s[8:9], vcc
; %bb.30:
	ds_write_b32 v7, v3 offset:200
; %bb.31:
	s_or_b64 exec, exec, s[8:9]
	s_waitcnt lgkmcnt(0)
	s_barrier
	s_and_saveexec_b64 s[8:9], s[0:1]
; %bb.32:
	ds_read_b32 v3, v8 offset:200
; %bb.33:
	s_or_b64 exec, exec, s[8:9]
	s_waitcnt lgkmcnt(0)
	ds_bpermute_b32 v4, v22, v3
	v_lshlrev_b32_e32 v2, 2, v2
	v_and_b32_e32 v2, 0x100, v2
	s_waitcnt lgkmcnt(0)
	v_add_f32_e32 v3, v3, v4
	ds_bpermute_b32 v2, v2, v3
	s_and_saveexec_b64 s[0:1], s[2:3]
	s_cbranch_execz .LBB93_46
; %bb.34:
	s_waitcnt lgkmcnt(0)
	v_add_f32_e32 v2, 0x358637bd, v2
	v_div_scale_f32 v3, s[2:3], v2, v2, 1.0
	v_rcp_f32_e32 v4, v3
	v_div_scale_f32 v5, vcc, 1.0, v2, 1.0
	s_movk_i32 s2, 0x7f
	v_fma_f32 v6, -v3, v4, 1.0
	v_fmac_f32_e32 v4, v6, v4
	v_mul_f32_e32 v6, v5, v4
	v_fma_f32 v7, -v3, v6, v5
	v_fmac_f32_e32 v6, v7, v4
	v_fma_f32 v3, -v3, v6, v5
	v_div_fmas_f32 v3, v3, v4, v6
	v_xad_u32 v4, v0, -1, s15
	v_div_fixup_f32 v2, v3, v2, 1.0
	v_cmp_lt_u32_e32 vcc, s2, v4
	s_mov_b64 s[8:9], -1
	v_mov_b32_e32 v3, v0
	s_and_saveexec_b64 s[2:3], vcc
	s_cbranch_execz .LBB93_43
; %bb.35:
	v_lshrrev_b32_e32 v4, 7, v4
	v_add_u32_e32 v6, -1, v4
	v_lshrrev_b32_e32 v5, 1, v6
	v_mov_b32_e32 v3, v2
	v_add_u32_e32 v5, 1, v5
	v_cmp_lt_u32_e32 vcc, 13, v6
	v_mov_b32_e32 v8, 0
	s_and_saveexec_b64 s[8:9], vcc
	s_cbranch_execz .LBB93_39
; %bb.36:
	v_mov_b32_e32 v7, 0xd0
	v_and_b32_e32 v6, -8, v5
	v_lshl_add_u32 v7, v0, 2, v7
	s_mov_b32 s34, 0
	s_mov_b64 s[30:31], 0
.LBB93_37:                              ; =>This Inner Loop Header: Depth=1
	ds_read2st64_b32 v[8:9], v7 offset1:2
	ds_read2st64_b32 v[10:11], v7 offset0:4 offset1:6
	ds_read2st64_b32 v[12:13], v7 offset0:8 offset1:10
	;; [unrolled: 1-line block ×3, first 2 shown]
	v_add_u32_e32 v6, -8, v6
	s_waitcnt lgkmcnt(3)
	v_pk_mul_f32 v[8:9], v[2:3], v[8:9]
	s_waitcnt lgkmcnt(2)
	v_pk_mul_f32 v[10:11], v[2:3], v[10:11]
	ds_write2st64_b32 v7, v8, v9 offset1:2
	ds_write2st64_b32 v7, v10, v11 offset0:4 offset1:6
	ds_read2st64_b32 v[10:11], v7 offset0:16 offset1:18
	s_waitcnt lgkmcnt(4)
	v_pk_mul_f32 v[8:9], v[2:3], v[12:13]
	ds_write2st64_b32 v7, v8, v9 offset0:8 offset1:10
	s_waitcnt lgkmcnt(4)
	v_pk_mul_f32 v[8:9], v[2:3], v[14:15]
	ds_write2st64_b32 v7, v8, v9 offset0:12 offset1:14
	ds_read2st64_b32 v[8:9], v7 offset0:20 offset1:22
	s_waitcnt lgkmcnt(3)
	v_pk_mul_f32 v[10:11], v[2:3], v[10:11]
	ds_read2st64_b32 v[12:13], v7 offset0:24 offset1:26
	ds_write2st64_b32 v7, v10, v11 offset0:16 offset1:18
	ds_read2st64_b32 v[10:11], v7 offset0:28 offset1:30
	s_waitcnt lgkmcnt(3)
	v_pk_mul_f32 v[8:9], v[2:3], v[8:9]
	ds_write2st64_b32 v7, v8, v9 offset0:20 offset1:22
	s_waitcnt lgkmcnt(3)
	v_pk_mul_f32 v[8:9], v[2:3], v[12:13]
	ds_write2st64_b32 v7, v8, v9 offset0:24 offset1:26
	s_waitcnt lgkmcnt(2)
	v_pk_mul_f32 v[8:9], v[2:3], v[10:11]
	s_add_i32 s34, s34, 16
	v_cmp_eq_u32_e32 vcc, 0, v6
	ds_write2st64_b32 v7, v8, v9 offset0:28 offset1:30
	v_add_u32_e32 v7, 0x2000, v7
	s_or_b64 s[30:31], vcc, s[30:31]
	v_mov_b32_e32 v8, s34
	s_andn2_b64 exec, exec, s[30:31]
	s_cbranch_execnz .LBB93_37
; %bb.38:
	s_or_b64 exec, exec, s[30:31]
.LBB93_39:
	s_or_b64 exec, exec, s[8:9]
	v_and_b32_e32 v5, 7, v5
	v_cmp_ne_u32_e32 vcc, 0, v5
	s_and_saveexec_b64 s[8:9], vcc
	s_cbranch_execz .LBB93_42
; %bb.40:
	v_lshlrev_b32_e32 v6, 9, v8
	v_lshlrev_b32_e32 v7, 2, v0
	s_movk_i32 s30, 0xd0
	v_add3_u32 v6, v6, v7, s30
	s_mov_b64 s[30:31], 0
.LBB93_41:                              ; =>This Inner Loop Header: Depth=1
	ds_read2st64_b32 v[8:9], v6 offset1:2
	v_add_u32_e32 v5, -1, v5
	v_cmp_eq_u32_e32 vcc, 0, v5
	s_or_b64 s[30:31], vcc, s[30:31]
	s_waitcnt lgkmcnt(0)
	v_pk_mul_f32 v[8:9], v[2:3], v[8:9]
	ds_write2st64_b32 v6, v8, v9 offset1:2
	v_add_u32_e32 v6, 0x400, v6
	s_andn2_b64 exec, exec, s[30:31]
	s_cbranch_execnz .LBB93_41
.LBB93_42:
	s_or_b64 exec, exec, s[8:9]
	v_add_u32_e32 v4, 1, v4
	v_and_b32_e32 v5, 0x3fffffe, v4
	v_cmp_ne_u32_e32 vcc, v4, v5
	v_lshl_add_u32 v3, v5, 7, v0
	s_orn2_b64 s[8:9], vcc, exec
.LBB93_43:
	s_or_b64 exec, exec, s[2:3]
	s_and_b64 exec, exec, s[8:9]
	s_cbranch_execz .LBB93_46
; %bb.44:
	v_mov_b32_e32 v4, 0xd0
	v_lshl_add_u32 v4, v3, 2, v4
	s_mov_b64 s[2:3], 0
.LBB93_45:                              ; =>This Inner Loop Header: Depth=1
	ds_read_b32 v5, v4
	v_add_u32_e32 v3, 0x80, v3
	v_cmp_le_i32_e32 vcc, s15, v3
	s_or_b64 s[2:3], vcc, s[2:3]
	s_waitcnt lgkmcnt(0)
	v_mul_f32_e32 v5, v2, v5
	ds_write_b32 v4, v5
	v_add_u32_e32 v4, 0x200, v4
	s_andn2_b64 exec, exec, s[2:3]
	s_cbranch_execnz .LBB93_45
.LBB93_46:
	s_or_b64 exec, exec, s[0:1]
	v_mov_b32_e32 v7, 0
	v_and_b32_e32 v23, 3, v0
	v_mov_b32_e32 v6, 0
	v_mov_b32_e32 v9, 0
	v_mov_b32_e32 v8, 0
	v_mov_b32_e32 v11, 0
	v_mov_b32_e32 v10, 0
	s_waitcnt lgkmcnt(0)
	s_barrier
	s_and_saveexec_b64 s[2:3], s[6:7]
	s_cbranch_execz .LBB93_64
; %bb.47:
	s_ashr_i32 s15, s14, 31
	s_sub_i32 s17, s12, s17
	s_lshl_b64 s[0:1], s[14:15], 1
	s_add_u32 s0, s28, s0
	s_addc_u32 s1, s29, s1
	s_abs_i32 s14, s18
	v_cvt_f32_u32_e32 v2, s14
	v_and_b32_e32 v27, 24, v1
	v_mov_b32_e32 v13, 0
	s_add_i32 s18, s16, -1
	v_rcp_iflag_f32_e32 v1, v2
	v_lshlrev_b32_e32 v2, 4, v0
	v_and_b32_e32 v12, 0x3f0, v2
	v_lshl_add_u64 v[14:15], s[0:1], 0, v[12:13]
	v_mul_f32_e32 v1, 0x4f7ffffe, v1
	v_cvt_u32_f32_e32 v1, v1
	s_sub_i32 s0, 0, s14
	v_and_b32_e32 v12, 60, v26
	s_mov_b32 s15, s13
	v_mul_lo_u32 v2, s0, v1
	v_mul_hi_u32 v2, v1, v2
	s_lshl_b64 s[0:1], s[26:27], 2
	v_add_u32_e32 v28, v1, v2
	s_add_u32 s0, s24, s0
	v_lshlrev_b32_e32 v1, 5, v23
	s_addc_u32 s1, s25, s1
	v_lshl_or_b32 v1, v24, 7, v1
	s_mov_b32 s28, s33
	v_lshl_add_u64 v[16:17], s[0:1], 0, v[12:13]
	v_add_u32_e32 v26, 0xd0, v1
	s_mov_b64 s[6:7], 0
	s_mov_b32 s24, 0xffff
	s_movk_i32 s25, 0x1000
	v_mov_b32_e32 v10, 0
	v_mov_b32_e32 v11, 0
	;; [unrolled: 1-line block ×6, first 2 shown]
	s_branch .LBB93_50
.LBB93_48:                              ;   in Loop: Header=BB93_50 Depth=1
	s_or_b64 exec, exec, s[12:13]
	v_lshlrev_b32_e32 v12, 16, v12
	v_lshlrev_b32_e32 v1, 16, v1
	v_and_or_b32 v2, v2, s24, v12
	v_and_or_b32 v1, v3, s24, v1
	v_lshlrev_b32_e32 v3, 16, v18
	v_and_or_b32 v3, v4, s24, v3
	;;#ASMSTART
	v_pk_mul_f16 v2, v38, v2;

	;;#ASMEND
	;;#ASMSTART
	v_pk_mul_f16 v1, v39, v1;

	;;#ASMEND
	;; [unrolled: 4-line block ×4, first 2 shown]
	v_add_f32_e32 v19, v49, v50
	;;#ASMSTART
	v_pk_add_f16 v1, v2, v1;

	;;#ASMEND
	v_add_f32_e32 v6, v6, v19
	;;#ASMSTART
	v_pk_add_f16 v1, v1, v3;

	;;#ASMEND
	;; [unrolled: 5-line block ×3, first 2 shown]
	v_add_f32_e32 v9, v9, v19
	v_add_f32_e32 v19, v45, v46
	v_lshrrev_b32_e32 v2, 16, v1
	v_and_b32_e32 v1, 0xffff, v1
	v_add_f32_e32 v8, v8, v19
	v_add_f32_e32 v19, v43, v44
	;;#ASMSTART
	v_cvt_f32_f16 v1, v1;
	;;#ASMEND
	v_add_f32_e32 v11, v11, v19
	v_add_f32_e32 v19, v41, v42
	;;#ASMSTART
	v_cvt_f32_f16 v2, v2;
	;;#ASMEND
	v_add_f32_e32 v10, v10, v19
	v_add_f32_e32 v1, v1, v2
	;; [unrolled: 1-line block ×3, first 2 shown]
.LBB93_49:                              ;   in Loop: Header=BB93_50 Depth=1
	s_or_b64 exec, exec, s[8:9]
	v_add_u32_e32 v24, 2, v24
	v_cmp_le_i32_e32 vcc, s16, v24
	v_lshl_add_u64 v[16:17], v[16:17], 0, 8
	v_add_u32_e32 v25, 64, v25
	s_or_b64 s[6:7], vcc, s[6:7]
	v_add_u32_e32 v26, 0x100, v26
	s_andn2_b64 exec, exec, s[6:7]
	s_cbranch_execz .LBB93_63
.LBB93_50:                              ; =>This Inner Loop Header: Depth=1
	v_mul_hi_u32 v1, v25, s40
	v_mul_lo_u32 v2, v1, s21
	v_sub_u32_e32 v2, v25, v2
	v_add_u32_e32 v3, 1, v1
	v_cmp_le_u32_e32 vcc, s21, v2
	s_nop 1
	v_cndmask_b32_e32 v1, v1, v3, vcc
	v_subrev_u32_e32 v3, s21, v2
	v_cndmask_b32_e32 v2, v2, v3, vcc
	v_add_u32_e32 v3, 1, v1
	v_cmp_le_u32_e32 vcc, s21, v2
	s_nop 1
	v_cndmask_b32_e32 v1, v1, v3, vcc
	v_xor_b32_e32 v1, s19, v1
	v_subrev_u32_e32 v1, s19, v1
	v_add_u32_e32 v2, s41, v1
	v_sub_u32_e32 v4, 0, v2
	v_ashrrev_i32_e32 v3, 31, v2
	v_max_i32_e32 v2, v2, v4
	v_mul_hi_u32 v4, v2, v28
	v_mul_lo_u32 v4, v4, s14
	v_sub_u32_e32 v2, v2, v4
	v_subrev_u32_e32 v4, s14, v2
	v_cmp_le_u32_e32 vcc, s14, v2
	v_cmp_lt_i32_e64 s[0:1], s17, v1
	s_nop 0
	v_cndmask_b32_e32 v2, v2, v4, vcc
	v_subrev_u32_e32 v4, s14, v2
	v_cmp_le_u32_e32 vcc, s14, v2
	s_nop 1
	v_cndmask_b32_e32 v2, v2, v4, vcc
	v_xor_b32_e32 v2, v2, v3
	v_sub_u32_e32 v2, v2, v3
	v_cmp_eq_u32_e32 vcc, 0, v2
	s_or_b64 s[0:1], vcc, s[0:1]
	s_and_saveexec_b64 s[8:9], s[0:1]
	s_cbranch_execz .LBB93_49
; %bb.51:                               ;   in Loop: Header=BB93_50 Depth=1
	global_load_dword v1, v[16:17], off
	ds_read2_b64 v[2:5], v26 offset1:1
	ds_read2_b64 v[30:33], v26 offset0:2 offset1:3
	s_waitcnt lgkmcnt(1)
	;;#ASMSTART
	v_cvt_f16_f32 v37, v2;

	;;#ASMEND
	;;#ASMSTART
	v_cvt_f16_f32 v38, v3;

	;;#ASMEND
	;; [unrolled: 4-line block ×4, first 2 shown]
	s_waitcnt lgkmcnt(0)
	;;#ASMSTART
	v_cvt_f16_f32 v41, v30;

	;;#ASMEND
	;;#ASMSTART
	v_cvt_f16_f32 v42, v31;

	;;#ASMEND
	;; [unrolled: 4-line block ×4, first 2 shown]
	v_add_u32_e32 v32, v27, v25
	v_add_u32_e32 v34, 2, v32
	;; [unrolled: 1-line block ×6, first 2 shown]
	v_or_b32_e32 v35, 3, v32
	v_or_b32_e32 v36, 1, v32
	s_waitcnt vmcnt(0)
	v_mad_i64_i32 v[2:3], s[0:1], v1, s15, 0
	v_lshl_add_u64 v[18:19], v[2:3], 1, v[14:15]
	global_load_dwordx4 v[2:5], v[18:19], off
	v_cmp_eq_u32_e64 s[0:1], s18, v24
	s_waitcnt vmcnt(0)
	v_lshrrev_b32_e32 v1, 16, v3
	v_lshrrev_b32_e32 v12, 16, v2
	v_lshrrev_b32_e32 v45, 16, v4
	s_and_saveexec_b64 s[12:13], s[0:1]
	s_cbranch_execz .LBB93_53
; %bb.52:                               ;   in Loop: Header=BB93_50 Depth=1
	v_cmp_gt_i32_e32 vcc, s33, v32
	s_nop 1
	v_cndmask_b32_e32 v2, 0, v2, vcc
	v_cmp_gt_i32_e32 vcc, s33, v34
	s_nop 1
	v_cndmask_b32_e32 v3, 0, v3, vcc
	;; [unrolled: 3-line block ×6, first 2 shown]
	v_cmp_gt_i32_e32 vcc, s33, v30
	s_nop 1
	v_cndmask_b32_sdwa v46, v13, v5, vcc dst_sel:DWORD dst_unused:UNUSED_PAD src0_sel:DWORD src1_sel:WORD_0
	v_and_b32_e32 v5, 0xffff0000, v5
	v_cmp_gt_i32_e32 vcc, s33, v29
	s_nop 1
	v_cndmask_b32_e32 v5, 0, v5, vcc
	v_or_b32_e32 v5, v46, v5
.LBB93_53:                              ;   in Loop: Header=BB93_50 Depth=1
	s_or_b64 exec, exec, s[12:13]
	v_and_b32_e32 v37, 0xffff, v37
	v_lshl_or_b32 v38, v38, 16, v37
	v_and_b32_e32 v37, 0xffff, v39
	v_lshlrev_b32_e32 v12, 16, v12
	v_lshlrev_b32_e32 v1, 16, v1
	v_lshl_or_b32 v39, v40, 16, v37
	v_and_b32_e32 v37, 0xffff, v41
	v_and_or_b32 v2, v2, s24, v12
	v_and_or_b32 v1, v3, s24, v1
	v_lshlrev_b32_e32 v3, 16, v45
	v_lshl_or_b32 v40, v42, 16, v37
	v_and_b32_e32 v37, 0xffff, v43
	v_and_or_b32 v3, v4, s24, v3
	;;#ASMSTART
	v_pk_mul_f16 v2, v38, v2;

	;;#ASMEND
	;;#ASMSTART
	v_pk_mul_f16 v1, v39, v1;

	;;#ASMEND
	v_lshl_or_b32 v37, v44, 16, v37
	;;#ASMSTART
	v_pk_mul_f16 v3, v40, v3;

	;;#ASMEND
	;;#ASMSTART
	v_pk_mul_f16 v4, v37, v5;

	;;#ASMEND
	;;#ASMSTART
	v_pk_add_f16 v1, v2, v1;

	;;#ASMEND
	s_nop 0
	;;#ASMSTART
	v_pk_add_f16 v1, v1, v3;

	;;#ASMEND
	s_nop 0
	;;#ASMSTART
	v_pk_add_f16 v1, v1, v4;

	;;#ASMEND
	s_nop 0
	v_lshrrev_b32_e32 v2, 16, v1
	v_and_b32_e32 v1, 0xffff, v1
	;;#ASMSTART
	v_cvt_f32_f16 v41, v1;
	;;#ASMEND
	;;#ASMSTART
	v_cvt_f32_f16 v42, v2;
	;;#ASMEND
	global_load_dwordx4 v[2:5], v[18:19], off offset:1024
	s_waitcnt vmcnt(0)
	v_lshrrev_b32_e32 v1, 16, v3
	v_lshrrev_b32_e32 v12, 16, v2
	;; [unrolled: 1-line block ×3, first 2 shown]
	s_and_saveexec_b64 s[12:13], s[0:1]
	s_cbranch_execz .LBB93_55
; %bb.54:                               ;   in Loop: Header=BB93_50 Depth=1
	v_cmp_gt_i32_e32 vcc, s33, v32
	s_nop 1
	v_cndmask_b32_e32 v2, 0, v2, vcc
	v_cmp_gt_i32_e32 vcc, s33, v34
	s_nop 1
	v_cndmask_b32_e32 v3, 0, v3, vcc
	;; [unrolled: 3-line block ×6, first 2 shown]
	v_cmp_gt_i32_e32 vcc, s33, v30
	s_nop 1
	v_cndmask_b32_sdwa v44, v13, v5, vcc dst_sel:DWORD dst_unused:UNUSED_PAD src0_sel:DWORD src1_sel:WORD_0
	v_and_b32_e32 v5, 0xffff0000, v5
	v_cmp_gt_i32_e32 vcc, s33, v29
	s_nop 1
	v_cndmask_b32_e32 v5, 0, v5, vcc
	v_or_b32_e32 v5, v44, v5
.LBB93_55:                              ;   in Loop: Header=BB93_50 Depth=1
	s_or_b64 exec, exec, s[12:13]
	v_lshlrev_b32_e32 v12, 16, v12
	v_lshlrev_b32_e32 v1, 16, v1
	v_and_or_b32 v2, v2, s24, v12
	v_and_or_b32 v1, v3, s24, v1
	v_lshlrev_b32_e32 v3, 16, v43
	v_and_or_b32 v3, v4, s24, v3
	;;#ASMSTART
	v_pk_mul_f16 v2, v38, v2;

	;;#ASMEND
	;;#ASMSTART
	v_pk_mul_f16 v1, v39, v1;

	;;#ASMEND
	;; [unrolled: 4-line block ×4, first 2 shown]
	s_nop 0
	;;#ASMSTART
	v_pk_add_f16 v1, v2, v1;

	;;#ASMEND
	s_nop 0
	;;#ASMSTART
	v_pk_add_f16 v1, v1, v3;

	;;#ASMEND
	;; [unrolled: 5-line block ×3, first 2 shown]
	s_nop 0
	v_lshrrev_b32_e32 v2, 16, v1
	v_and_b32_e32 v1, 0xffff, v1
	;;#ASMSTART
	v_cvt_f32_f16 v43, v1;
	;;#ASMEND
	;;#ASMSTART
	v_cvt_f32_f16 v44, v2;
	;;#ASMEND
	global_load_dwordx4 v[2:5], v[18:19], off offset:2048
	s_waitcnt vmcnt(0)
	v_lshrrev_b32_e32 v1, 16, v3
	v_lshrrev_b32_e32 v12, 16, v2
	v_lshrrev_b32_e32 v45, 16, v4
	s_and_saveexec_b64 s[12:13], s[0:1]
	s_cbranch_execz .LBB93_57
; %bb.56:                               ;   in Loop: Header=BB93_50 Depth=1
	v_cmp_gt_i32_e32 vcc, s33, v32
	s_nop 1
	v_cndmask_b32_e32 v2, 0, v2, vcc
	v_cmp_gt_i32_e32 vcc, s33, v34
	s_nop 1
	v_cndmask_b32_e32 v3, 0, v3, vcc
	;; [unrolled: 3-line block ×6, first 2 shown]
	v_cmp_gt_i32_e32 vcc, s33, v30
	s_nop 1
	v_cndmask_b32_sdwa v46, v13, v5, vcc dst_sel:DWORD dst_unused:UNUSED_PAD src0_sel:DWORD src1_sel:WORD_0
	v_and_b32_e32 v5, 0xffff0000, v5
	v_cmp_gt_i32_e32 vcc, s33, v29
	s_nop 1
	v_cndmask_b32_e32 v5, 0, v5, vcc
	v_or_b32_e32 v5, v46, v5
.LBB93_57:                              ;   in Loop: Header=BB93_50 Depth=1
	s_or_b64 exec, exec, s[12:13]
	v_lshlrev_b32_e32 v12, 16, v12
	v_lshlrev_b32_e32 v1, 16, v1
	v_and_or_b32 v2, v2, s24, v12
	v_and_or_b32 v1, v3, s24, v1
	v_lshlrev_b32_e32 v3, 16, v45
	v_and_or_b32 v3, v4, s24, v3
	;;#ASMSTART
	v_pk_mul_f16 v2, v38, v2;

	;;#ASMEND
	;;#ASMSTART
	v_pk_mul_f16 v1, v39, v1;

	;;#ASMEND
	;; [unrolled: 4-line block ×4, first 2 shown]
	s_nop 0
	;;#ASMSTART
	v_pk_add_f16 v1, v2, v1;

	;;#ASMEND
	s_nop 0
	;;#ASMSTART
	v_pk_add_f16 v1, v1, v3;

	;;#ASMEND
	;; [unrolled: 5-line block ×3, first 2 shown]
	s_nop 0
	v_lshrrev_b32_e32 v2, 16, v1
	v_and_b32_e32 v1, 0xffff, v1
	;;#ASMSTART
	v_cvt_f32_f16 v45, v1;
	;;#ASMEND
	;;#ASMSTART
	v_cvt_f32_f16 v46, v2;
	;;#ASMEND
	global_load_dwordx4 v[2:5], v[18:19], off offset:3072
	s_waitcnt vmcnt(0)
	v_lshrrev_b32_e32 v1, 16, v3
	v_lshrrev_b32_e32 v12, 16, v2
	;; [unrolled: 1-line block ×3, first 2 shown]
	s_and_saveexec_b64 s[12:13], s[0:1]
	s_cbranch_execz .LBB93_59
; %bb.58:                               ;   in Loop: Header=BB93_50 Depth=1
	v_cmp_gt_i32_e32 vcc, s33, v32
	s_nop 1
	v_cndmask_b32_e32 v2, 0, v2, vcc
	v_cmp_gt_i32_e32 vcc, s33, v34
	s_nop 1
	v_cndmask_b32_e32 v3, 0, v3, vcc
	;; [unrolled: 3-line block ×6, first 2 shown]
	v_cmp_gt_i32_e32 vcc, s33, v30
	s_nop 1
	v_cndmask_b32_sdwa v48, v13, v5, vcc dst_sel:DWORD dst_unused:UNUSED_PAD src0_sel:DWORD src1_sel:WORD_0
	v_and_b32_e32 v5, 0xffff0000, v5
	v_cmp_gt_i32_e32 vcc, s33, v29
	s_nop 1
	v_cndmask_b32_e32 v5, 0, v5, vcc
	v_or_b32_e32 v5, v48, v5
.LBB93_59:                              ;   in Loop: Header=BB93_50 Depth=1
	s_or_b64 exec, exec, s[12:13]
	v_lshlrev_b32_e32 v12, 16, v12
	v_lshlrev_b32_e32 v1, 16, v1
	v_and_or_b32 v2, v2, s24, v12
	v_and_or_b32 v1, v3, s24, v1
	v_lshlrev_b32_e32 v3, 16, v47
	v_and_or_b32 v3, v4, s24, v3
	;;#ASMSTART
	v_pk_mul_f16 v2, v38, v2;

	;;#ASMEND
	;;#ASMSTART
	v_pk_mul_f16 v1, v39, v1;

	;;#ASMEND
	;; [unrolled: 4-line block ×4, first 2 shown]
	v_add_co_u32_e32 v18, vcc, s25, v18
	;;#ASMSTART
	v_pk_add_f16 v1, v2, v1;

	;;#ASMEND
	s_nop 0
	;;#ASMSTART
	v_pk_add_f16 v1, v1, v3;

	;;#ASMEND
	s_nop 0
	v_addc_co_u32_e32 v19, vcc, 0, v19, vcc
	;;#ASMSTART
	v_pk_add_f16 v1, v1, v4;

	;;#ASMEND
	s_nop 0
	v_lshrrev_b32_e32 v2, 16, v1
	v_and_b32_e32 v1, 0xffff, v1
	;;#ASMSTART
	v_cvt_f32_f16 v47, v1;
	;;#ASMEND
	;;#ASMSTART
	v_cvt_f32_f16 v48, v2;
	;;#ASMEND
	global_load_dwordx4 v[2:5], v[18:19], off
	s_waitcnt vmcnt(0)
	v_lshrrev_b32_e32 v1, 16, v3
	v_lshrrev_b32_e32 v12, 16, v2
	;; [unrolled: 1-line block ×3, first 2 shown]
	s_and_saveexec_b64 s[12:13], s[0:1]
	s_cbranch_execz .LBB93_61
; %bb.60:                               ;   in Loop: Header=BB93_50 Depth=1
	v_cmp_gt_i32_e32 vcc, s33, v32
	s_nop 1
	v_cndmask_b32_e32 v2, 0, v2, vcc
	v_cmp_gt_i32_e32 vcc, s33, v34
	s_nop 1
	v_cndmask_b32_e32 v3, 0, v3, vcc
	;; [unrolled: 3-line block ×6, first 2 shown]
	v_cmp_gt_i32_e32 vcc, s33, v30
	s_nop 1
	v_cndmask_b32_sdwa v50, v13, v5, vcc dst_sel:DWORD dst_unused:UNUSED_PAD src0_sel:DWORD src1_sel:WORD_0
	v_and_b32_e32 v5, 0xffff0000, v5
	v_cmp_gt_i32_e32 vcc, s33, v29
	s_nop 1
	v_cndmask_b32_e32 v5, 0, v5, vcc
	v_or_b32_e32 v5, v50, v5
.LBB93_61:                              ;   in Loop: Header=BB93_50 Depth=1
	s_or_b64 exec, exec, s[12:13]
	v_lshlrev_b32_e32 v12, 16, v12
	v_lshlrev_b32_e32 v1, 16, v1
	v_and_or_b32 v2, v2, s24, v12
	v_and_or_b32 v1, v3, s24, v1
	v_lshlrev_b32_e32 v3, 16, v49
	v_and_or_b32 v3, v4, s24, v3
	;;#ASMSTART
	v_pk_mul_f16 v2, v38, v2;

	;;#ASMEND
	;;#ASMSTART
	v_pk_mul_f16 v1, v39, v1;

	;;#ASMEND
	;; [unrolled: 4-line block ×4, first 2 shown]
	s_nop 0
	;;#ASMSTART
	v_pk_add_f16 v1, v2, v1;

	;;#ASMEND
	s_nop 0
	;;#ASMSTART
	v_pk_add_f16 v1, v1, v3;

	;;#ASMEND
	;; [unrolled: 5-line block ×3, first 2 shown]
	s_nop 0
	v_lshrrev_b32_e32 v2, 16, v1
	v_and_b32_e32 v1, 0xffff, v1
	;;#ASMSTART
	v_cvt_f32_f16 v49, v1;
	;;#ASMEND
	;;#ASMSTART
	v_cvt_f32_f16 v50, v2;
	;;#ASMEND
	global_load_dwordx4 v[2:5], v[18:19], off offset:1024
	s_waitcnt vmcnt(0)
	v_lshrrev_b32_e32 v1, 16, v3
	v_lshrrev_b32_e32 v12, 16, v2
	;; [unrolled: 1-line block ×3, first 2 shown]
	s_and_saveexec_b64 s[12:13], s[0:1]
	s_cbranch_execz .LBB93_48
; %bb.62:                               ;   in Loop: Header=BB93_50 Depth=1
	v_cmp_gt_i32_e32 vcc, s33, v32
	s_nop 1
	v_cndmask_b32_e32 v2, 0, v2, vcc
	v_cmp_gt_i32_e32 vcc, s33, v34
	s_nop 1
	v_cndmask_b32_e32 v3, 0, v3, vcc
	;; [unrolled: 3-line block ×6, first 2 shown]
	v_cmp_gt_i32_e32 vcc, s33, v30
	s_nop 1
	v_cndmask_b32_sdwa v19, v13, v5, vcc dst_sel:DWORD dst_unused:UNUSED_PAD src0_sel:DWORD src1_sel:WORD_0
	v_and_b32_e32 v5, 0xffff0000, v5
	v_cmp_gt_i32_e32 vcc, s33, v29
	s_nop 1
	v_cndmask_b32_e32 v5, 0, v5, vcc
	v_or_b32_e32 v5, v19, v5
	s_branch .LBB93_48
.LBB93_63:
	s_or_b64 exec, exec, s[6:7]
.LBB93_64:
	s_or_b64 exec, exec, s[2:3]
	ds_bpermute_b32 v2, v21, v10
	ds_bpermute_b32 v3, v21, v11
	;; [unrolled: 1-line block ×6, first 2 shown]
	s_waitcnt lgkmcnt(4)
	v_pk_add_f32 v[2:3], v[10:11], v[2:3]
	ds_bpermute_b32 v10, v22, v2
	s_waitcnt lgkmcnt(3)
	v_pk_add_f32 v[8:9], v[8:9], v[4:5]
	ds_bpermute_b32 v11, v22, v3
	ds_bpermute_b32 v12, v22, v8
	;; [unrolled: 1-line block ×3, first 2 shown]
	s_waitcnt lgkmcnt(4)
	v_pk_add_f32 v[6:7], v[6:7], v[14:15]
	v_and_b32_e32 v1, 0x3c3, v0
	s_waitcnt lgkmcnt(2)
	v_pk_add_f32 v[4:5], v[2:3], v[10:11]
	v_cmp_ne_u32_e32 vcc, 64, v1
	s_waitcnt lgkmcnt(0)
	v_pk_add_f32 v[2:3], v[8:9], v[12:13]
	ds_bpermute_b32 v8, v22, v6
	ds_bpermute_b32 v9, v22, v7
	s_waitcnt lgkmcnt(0)
	s_barrier
	s_and_saveexec_b64 s[0:1], vcc
	s_xor_b64 s[0:1], exec, s[0:1]
; %bb.65:
                                        ; implicit-def: $vgpr20
; %bb.66:
	s_or_saveexec_b64 s[0:1], s[0:1]
	v_pk_add_f32 v[6:7], v[6:7], v[8:9]
	s_xor_b64 exec, exec, s[0:1]
	s_cbranch_execz .LBB93_68
; %bb.67:
	v_add_u32_e32 v8, 0xd0, v20
	ds_write2_b32 v8, v4, v5 offset1:16
	ds_write2_b32 v8, v2, v3 offset0:32 offset1:48
	ds_write2_b32 v8, v6, v7 offset0:64 offset1:80
.LBB93_68:
	s_or_b64 exec, exec, s[0:1]
	v_cmp_gt_u32_e32 vcc, 64, v0
	v_lshrrev_b32_e32 v0, 2, v0
	s_waitcnt lgkmcnt(0)
	s_barrier
	s_and_saveexec_b64 s[0:1], vcc
	s_cbranch_execz .LBB93_77
; %bb.69:
	v_mov_b32_e32 v8, 0xd0
	v_cmp_eq_u32_e32 vcc, 0, v23
	v_lshl_add_u32 v8, v0, 2, v8
	s_and_saveexec_b64 s[2:3], vcc
	s_cbranch_execnz .LBB93_80
; %bb.70:
	s_or_b64 exec, exec, s[2:3]
	s_and_saveexec_b64 s[2:3], vcc
	s_cbranch_execnz .LBB93_81
.LBB93_71:
	s_or_b64 exec, exec, s[2:3]
	s_and_saveexec_b64 s[2:3], vcc
	s_cbranch_execnz .LBB93_82
.LBB93_72:
	s_or_b64 exec, exec, s[2:3]
	s_and_saveexec_b64 s[2:3], vcc
	s_cbranch_execnz .LBB93_83
.LBB93_73:
	s_or_b64 exec, exec, s[2:3]
	s_and_saveexec_b64 s[2:3], vcc
	s_cbranch_execnz .LBB93_84
.LBB93_74:
	s_or_b64 exec, exec, s[2:3]
	s_and_saveexec_b64 s[2:3], vcc
	s_cbranch_execz .LBB93_76
.LBB93_75:
	ds_read_b32 v8, v8 offset:320
	s_waitcnt lgkmcnt(0)
	v_add_f32_e32 v7, v7, v8
.LBB93_76:
	s_or_b64 exec, exec, s[2:3]
.LBB93_77:
	s_or_b64 exec, exec, s[0:1]
	v_cmp_eq_u32_e32 vcc, 0, v1
	s_barrier
	s_and_saveexec_b64 s[0:1], vcc
	s_cbranch_execz .LBB93_79
; %bb.78:
	s_mul_i32 s0, s10, s11
	s_mul_i32 s0, s0, s5
	s_mulk_i32 s0, 0x60
	s_ashr_i32 s1, s0, 31
	s_lshl_b64 s[0:1], s[0:1], 1
	s_add_u32 s2, s22, s0
	s_mul_i32 s0, s11, s20
	s_addc_u32 s3, s23, s1
	s_ashr_i32 s1, s0, 31
	s_lshl_b64 s[0:1], s[0:1], 1
	s_add_u32 s2, s2, s0
	s_mul_i32 s0, s4, 0x60
	s_addc_u32 s3, s3, s1
	s_ashr_i32 s1, s0, 31
	s_lshl_b64 s[0:1], s[0:1], 1
	s_add_u32 s0, s2, s0
	s_addc_u32 s1, s3, s1
	v_lshlrev_b32_e32 v0, 1, v0
	;;#ASMSTART
	v_cvt_f16_f32 v1, v4;

	;;#ASMEND
	global_store_short v0, v1, s[0:1]
	;;#ASMSTART
	v_cvt_f16_f32 v1, v5;

	;;#ASMEND
	global_store_short v0, v1, s[0:1] offset:32
	;;#ASMSTART
	v_cvt_f16_f32 v1, v2;

	;;#ASMEND
	global_store_short v0, v1, s[0:1] offset:64
	;; [unrolled: 5-line block ×5, first 2 shown]
.LBB93_79:
	s_endpgm
.LBB93_80:
	ds_read_b32 v9, v8
	s_waitcnt lgkmcnt(0)
	v_add_f32_e32 v4, v4, v9
	s_or_b64 exec, exec, s[2:3]
	s_and_saveexec_b64 s[2:3], vcc
	s_cbranch_execz .LBB93_71
.LBB93_81:
	ds_read_b32 v9, v8 offset:64
	s_waitcnt lgkmcnt(0)
	v_add_f32_e32 v5, v5, v9
	s_or_b64 exec, exec, s[2:3]
	s_and_saveexec_b64 s[2:3], vcc
	s_cbranch_execz .LBB93_72
.LBB93_82:
	ds_read_b32 v9, v8 offset:128
	s_waitcnt lgkmcnt(0)
	v_add_f32_e32 v2, v2, v9
	s_or_b64 exec, exec, s[2:3]
	s_and_saveexec_b64 s[2:3], vcc
	s_cbranch_execz .LBB93_73
.LBB93_83:
	ds_read_b32 v9, v8 offset:192
	s_waitcnt lgkmcnt(0)
	v_add_f32_e32 v3, v3, v9
	s_or_b64 exec, exec, s[2:3]
	s_and_saveexec_b64 s[2:3], vcc
	s_cbranch_execz .LBB93_74
.LBB93_84:
	ds_read_b32 v9, v8 offset:256
	s_waitcnt lgkmcnt(0)
	v_add_f32_e32 v6, v6, v9
	s_or_b64 exec, exec, s[2:3]
	s_and_saveexec_b64 s[2:3], vcc
	s_cbranch_execnz .LBB93_75
	s_branch .LBB93_76
	.section	.rodata,"a",@progbits
	.p2align	6, 0x0
	.amdhsa_kernel _ZN4vllm25paged_attention_v1_kernelIttLi96ELi32ELi128ELNS_18Fp8KVCacheDataTypeE0ELb1EEEvPT_PKS2_PKT0_S8_ifPKiSA_iPKfiiiSC_SC_iiiii
		.amdhsa_group_segment_fixed_size 208
		.amdhsa_private_segment_fixed_size 0
		.amdhsa_kernarg_size 384
		.amdhsa_user_sgpr_count 2
		.amdhsa_user_sgpr_dispatch_ptr 0
		.amdhsa_user_sgpr_queue_ptr 0
		.amdhsa_user_sgpr_kernarg_segment_ptr 1
		.amdhsa_user_sgpr_dispatch_id 0
		.amdhsa_user_sgpr_kernarg_preload_length 0
		.amdhsa_user_sgpr_kernarg_preload_offset 0
		.amdhsa_user_sgpr_private_segment_size 0
		.amdhsa_uses_dynamic_stack 0
		.amdhsa_enable_private_segment 0
		.amdhsa_system_sgpr_workgroup_id_x 1
		.amdhsa_system_sgpr_workgroup_id_y 1
		.amdhsa_system_sgpr_workgroup_id_z 1
		.amdhsa_system_sgpr_workgroup_info 0
		.amdhsa_system_vgpr_workitem_id 0
		.amdhsa_next_free_vgpr 76
		.amdhsa_next_free_sgpr 45
		.amdhsa_accum_offset 76
		.amdhsa_reserve_vcc 1
		.amdhsa_float_round_mode_32 0
		.amdhsa_float_round_mode_16_64 0
		.amdhsa_float_denorm_mode_32 3
		.amdhsa_float_denorm_mode_16_64 3
		.amdhsa_dx10_clamp 1
		.amdhsa_ieee_mode 1
		.amdhsa_fp16_overflow 0
		.amdhsa_tg_split 0
		.amdhsa_exception_fp_ieee_invalid_op 0
		.amdhsa_exception_fp_denorm_src 0
		.amdhsa_exception_fp_ieee_div_zero 0
		.amdhsa_exception_fp_ieee_overflow 0
		.amdhsa_exception_fp_ieee_underflow 0
		.amdhsa_exception_fp_ieee_inexact 0
		.amdhsa_exception_int_div_zero 0
	.end_amdhsa_kernel
	.section	.text._ZN4vllm25paged_attention_v1_kernelIttLi96ELi32ELi128ELNS_18Fp8KVCacheDataTypeE0ELb1EEEvPT_PKS2_PKT0_S8_ifPKiSA_iPKfiiiSC_SC_iiiii,"axG",@progbits,_ZN4vllm25paged_attention_v1_kernelIttLi96ELi32ELi128ELNS_18Fp8KVCacheDataTypeE0ELb1EEEvPT_PKS2_PKT0_S8_ifPKiSA_iPKfiiiSC_SC_iiiii,comdat
.Lfunc_end93:
	.size	_ZN4vllm25paged_attention_v1_kernelIttLi96ELi32ELi128ELNS_18Fp8KVCacheDataTypeE0ELb1EEEvPT_PKS2_PKT0_S8_ifPKiSA_iPKfiiiSC_SC_iiiii, .Lfunc_end93-_ZN4vllm25paged_attention_v1_kernelIttLi96ELi32ELi128ELNS_18Fp8KVCacheDataTypeE0ELb1EEEvPT_PKS2_PKT0_S8_ifPKiSA_iPKfiiiSC_SC_iiiii
                                        ; -- End function
	.set _ZN4vllm25paged_attention_v1_kernelIttLi96ELi32ELi128ELNS_18Fp8KVCacheDataTypeE0ELb1EEEvPT_PKS2_PKT0_S8_ifPKiSA_iPKfiiiSC_SC_iiiii.num_vgpr, 76
	.set _ZN4vllm25paged_attention_v1_kernelIttLi96ELi32ELi128ELNS_18Fp8KVCacheDataTypeE0ELb1EEEvPT_PKS2_PKT0_S8_ifPKiSA_iPKfiiiSC_SC_iiiii.num_agpr, 0
	.set _ZN4vllm25paged_attention_v1_kernelIttLi96ELi32ELi128ELNS_18Fp8KVCacheDataTypeE0ELb1EEEvPT_PKS2_PKT0_S8_ifPKiSA_iPKfiiiSC_SC_iiiii.numbered_sgpr, 45
	.set _ZN4vllm25paged_attention_v1_kernelIttLi96ELi32ELi128ELNS_18Fp8KVCacheDataTypeE0ELb1EEEvPT_PKS2_PKT0_S8_ifPKiSA_iPKfiiiSC_SC_iiiii.num_named_barrier, 0
	.set _ZN4vllm25paged_attention_v1_kernelIttLi96ELi32ELi128ELNS_18Fp8KVCacheDataTypeE0ELb1EEEvPT_PKS2_PKT0_S8_ifPKiSA_iPKfiiiSC_SC_iiiii.private_seg_size, 0
	.set _ZN4vllm25paged_attention_v1_kernelIttLi96ELi32ELi128ELNS_18Fp8KVCacheDataTypeE0ELb1EEEvPT_PKS2_PKT0_S8_ifPKiSA_iPKfiiiSC_SC_iiiii.uses_vcc, 1
	.set _ZN4vllm25paged_attention_v1_kernelIttLi96ELi32ELi128ELNS_18Fp8KVCacheDataTypeE0ELb1EEEvPT_PKS2_PKT0_S8_ifPKiSA_iPKfiiiSC_SC_iiiii.uses_flat_scratch, 0
	.set _ZN4vllm25paged_attention_v1_kernelIttLi96ELi32ELi128ELNS_18Fp8KVCacheDataTypeE0ELb1EEEvPT_PKS2_PKT0_S8_ifPKiSA_iPKfiiiSC_SC_iiiii.has_dyn_sized_stack, 0
	.set _ZN4vllm25paged_attention_v1_kernelIttLi96ELi32ELi128ELNS_18Fp8KVCacheDataTypeE0ELb1EEEvPT_PKS2_PKT0_S8_ifPKiSA_iPKfiiiSC_SC_iiiii.has_recursion, 0
	.set _ZN4vllm25paged_attention_v1_kernelIttLi96ELi32ELi128ELNS_18Fp8KVCacheDataTypeE0ELb1EEEvPT_PKS2_PKT0_S8_ifPKiSA_iPKfiiiSC_SC_iiiii.has_indirect_call, 0
	.section	.AMDGPU.csdata,"",@progbits
; Kernel info:
; codeLenInByte = 9044
; TotalNumSgprs: 51
; NumVgprs: 76
; NumAgprs: 0
; TotalNumVgprs: 76
; ScratchSize: 0
; MemoryBound: 0
; FloatMode: 240
; IeeeMode: 1
; LDSByteSize: 208 bytes/workgroup (compile time only)
; SGPRBlocks: 6
; VGPRBlocks: 9
; NumSGPRsForWavesPerEU: 51
; NumVGPRsForWavesPerEU: 76
; AccumOffset: 76
; Occupancy: 6
; WaveLimiterHint : 1
; COMPUTE_PGM_RSRC2:SCRATCH_EN: 0
; COMPUTE_PGM_RSRC2:USER_SGPR: 2
; COMPUTE_PGM_RSRC2:TRAP_HANDLER: 0
; COMPUTE_PGM_RSRC2:TGID_X_EN: 1
; COMPUTE_PGM_RSRC2:TGID_Y_EN: 1
; COMPUTE_PGM_RSRC2:TGID_Z_EN: 1
; COMPUTE_PGM_RSRC2:TIDIG_COMP_CNT: 0
; COMPUTE_PGM_RSRC3_GFX90A:ACCUM_OFFSET: 18
; COMPUTE_PGM_RSRC3_GFX90A:TG_SPLIT: 0
	.section	.text._ZN4vllm25paged_attention_v1_kernelIttLi112ELi32ELi128ELNS_18Fp8KVCacheDataTypeE0ELb1EEEvPT_PKS2_PKT0_S8_ifPKiSA_iPKfiiiSC_SC_iiiii,"axG",@progbits,_ZN4vllm25paged_attention_v1_kernelIttLi112ELi32ELi128ELNS_18Fp8KVCacheDataTypeE0ELb1EEEvPT_PKS2_PKT0_S8_ifPKiSA_iPKfiiiSC_SC_iiiii,comdat
	.protected	_ZN4vllm25paged_attention_v1_kernelIttLi112ELi32ELi128ELNS_18Fp8KVCacheDataTypeE0ELb1EEEvPT_PKS2_PKT0_S8_ifPKiSA_iPKfiiiSC_SC_iiiii ; -- Begin function _ZN4vllm25paged_attention_v1_kernelIttLi112ELi32ELi128ELNS_18Fp8KVCacheDataTypeE0ELb1EEEvPT_PKS2_PKT0_S8_ifPKiSA_iPKfiiiSC_SC_iiiii
	.globl	_ZN4vllm25paged_attention_v1_kernelIttLi112ELi32ELi128ELNS_18Fp8KVCacheDataTypeE0ELb1EEEvPT_PKS2_PKT0_S8_ifPKiSA_iPKfiiiSC_SC_iiiii
	.p2align	8
	.type	_ZN4vllm25paged_attention_v1_kernelIttLi112ELi32ELi128ELNS_18Fp8KVCacheDataTypeE0ELb1EEEvPT_PKS2_PKT0_S8_ifPKiSA_iPKfiiiSC_SC_iiiii,@function
_ZN4vllm25paged_attention_v1_kernelIttLi112ELi32ELi128ELNS_18Fp8KVCacheDataTypeE0ELb1EEEvPT_PKS2_PKT0_S8_ifPKiSA_iPKfiiiSC_SC_iiiii: ; @_ZN4vllm25paged_attention_v1_kernelIttLi112ELi32ELi128ELNS_18Fp8KVCacheDataTypeE0ELb1EEEvPT_PKS2_PKT0_S8_ifPKiSA_iPKfiiiSC_SC_iiiii
; %bb.0:
	s_load_dword s5, s[0:1], 0x80
	s_load_dwordx2 s[6:7], s[0:1], 0x30
	s_load_dwordx2 s[30:31], s[0:1], 0x20
	s_mov_b32 s10, s3
	s_ashr_i32 s11, s3, 31
	s_lshl_b64 s[8:9], s[10:11], 2
	s_waitcnt lgkmcnt(0)
	s_add_u32 s6, s6, s8
	s_addc_u32 s7, s7, s9
	s_abs_i32 s3, s30
	v_cvt_f32_u32_e32 v1, s3
	s_sub_i32 s11, 0, s3
	s_abs_i32 s9, s5
	s_xor_b32 s8, s5, s30
	v_rcp_iflag_f32_e32 v1, v1
	s_ashr_i32 s8, s8, 31
	s_mov_b32 s42, 0
	v_mul_f32_e32 v1, 0x4f7ffffe, v1
	v_cvt_u32_f32_e32 v1, v1
	s_nop 0
	v_readfirstlane_b32 s12, v1
	s_mul_i32 s11, s11, s12
	s_mul_hi_u32 s11, s12, s11
	s_add_i32 s12, s12, s11
	s_mul_hi_u32 s11, s9, s12
	s_mul_i32 s12, s11, s3
	s_sub_i32 s9, s9, s12
	s_add_i32 s12, s11, 1
	s_sub_i32 s13, s9, s3
	s_cmp_ge_u32 s9, s3
	s_cselect_b32 s11, s12, s11
	s_cselect_b32 s9, s13, s9
	s_add_i32 s12, s11, 1
	s_cmp_ge_u32 s9, s3
	s_cselect_b32 s3, s12, s11
	s_xor_b32 s3, s3, s8
	s_sub_i32 s12, s3, s8
	s_abs_i32 s11, s12
	v_cvt_f32_u32_e32 v1, s11
	s_load_dwordx2 s[8:9], s[0:1], 0x40
	s_sub_i32 s3, 0, s11
	s_abs_i32 s22, s2
	v_rcp_iflag_f32_e32 v1, v1
	s_nop 0
	v_mul_f32_e32 v1, 0x4f7ffffe, v1
	v_cvt_u32_f32_e32 v1, v1
	s_nop 0
	v_readfirstlane_b32 s13, v1
	s_mul_i32 s3, s3, s13
	s_mul_hi_u32 s3, s13, s3
	s_add_i32 s13, s13, s3
	s_waitcnt lgkmcnt(0)
	s_cmp_eq_u64 s[8:9], 0
	s_mul_hi_u32 s23, s22, s13
	s_cbranch_scc1 .LBB94_2
; %bb.1:
	s_ashr_i32 s3, s2, 31
	s_lshl_b64 s[14:15], s[2:3], 2
	s_add_u32 s8, s8, s14
	s_addc_u32 s9, s9, s15
	s_load_dword s42, s[8:9], 0x0
.LBB94_2:
	s_load_dword s33, s[6:7], 0x0
	s_ashr_i32 s9, s12, 31
	s_load_dwordx4 s[12:15], s[0:1], 0x48
	s_ashr_i32 s3, s2, 31
	v_and_b32_e32 v4, 1, v0
	s_movk_i32 s8, 0x70
	s_mul_i32 s20, s2, 0x70
	v_cmp_gt_u32_e32 vcc, 28, v0
	v_lshlrev_b32_e32 v1, 3, v0
	s_and_saveexec_b64 s[6:7], vcc
	s_cbranch_execz .LBB94_4
; %bb.3:
	s_load_dwordx2 s[16:17], s[0:1], 0x8
	s_waitcnt lgkmcnt(0)
	s_mul_i32 s18, s12, s10
	s_ashr_i32 s19, s18, 31
	s_lshl_b64 s[18:19], s[18:19], 1
	v_lshlrev_b32_e32 v5, 2, v0
	s_add_u32 s12, s16, s18
	s_addc_u32 s15, s17, s19
	s_ashr_i32 s21, s20, 31
	s_lshl_b64 s[16:17], s[20:21], 1
	s_add_u32 s16, s12, s16
	s_addc_u32 s17, s15, s17
	global_load_dwordx2 v[2:3], v1, s[16:17]
	v_and_b32_e32 v5, 0xff8, v5
	v_mad_u32_u24 v5, v4, s8, v5
	s_waitcnt vmcnt(0)
	ds_write_b64 v5, v[2:3]
.LBB94_4:
	s_or_b64 exec, exec, s[6:7]
	s_mul_i32 s6, s23, s11
	s_sub_i32 s6, s22, s6
	s_xor_b32 s3, s3, s9
	s_add_i32 s7, s23, 1
	s_sub_i32 s9, s6, s11
	s_load_dwordx4 s[16:19], s[0:1], 0x68
	s_load_dword s8, s[0:1], 0x78
	s_cmp_ge_u32 s6, s11
	s_cselect_b32 s7, s7, s23
	s_cselect_b32 s6, s9, s6
	s_add_i32 s9, s7, 1
	s_cmp_ge_u32 s6, s11
	s_cselect_b32 s6, s9, s7
	s_waitcnt lgkmcnt(0)
	s_abs_i32 s21, s19
	v_cvt_f32_u32_e32 v2, s21
	s_xor_b32 s6, s6, s3
	s_sub_i32 s3, s6, s3
	s_sub_i32 s6, 0, s21
	v_rcp_iflag_f32_e32 v2, v2
	s_add_i32 s11, s33, -1
	s_abs_i32 s9, s11
	v_mul_f32_e32 v2, 0x4f7ffffe, v2
	v_cvt_u32_f32_e32 v2, v2
	s_barrier
	v_readfirstlane_b32 s40, v2
	s_mul_i32 s6, s6, s40
	s_mul_hi_u32 s6, s40, s6
	s_add_i32 s40, s40, s6
	s_cmp_lt_i32 s8, 0
	s_mul_hi_u32 s12, s9, s40
	s_cbranch_scc0 .LBB94_6
; %bb.5:
	s_mul_i32 s6, s16, s30
	s_add_i32 s6, s3, s6
	s_mul_i32 s6, s6, s8
	s_sub_i32 s41, 1, s6
	s_mov_b64 s[6:7], 0
	s_branch .LBB94_7
.LBB94_6:
	s_mov_b64 s[6:7], -1
                                        ; implicit-def: $sgpr41
.LBB94_7:
	s_load_dwordx2 s[24:25], s[0:1], 0x28
	s_ashr_i32 s15, s11, 31
	s_andn2_b64 vcc, exec, s[6:7]
	s_ashr_i32 s19, s19, 31
	s_cbranch_vccnz .LBB94_9
; %bb.8:
	s_mul_i32 s6, s5, s16
	s_add_i32 s2, s6, s2
	s_mul_i32 s2, s2, s8
	s_add_i32 s41, s2, 1
.LBB94_9:
	s_load_dword s2, s[0:1], 0x38
	s_load_dwordx2 s[22:23], s[0:1], 0x0
	s_load_dwordx2 s[28:29], s[0:1], 0x18
	s_load_dword s11, s[0:1], 0x88
	s_xor_b32 s6, s15, s19
	s_waitcnt lgkmcnt(0)
	s_mul_i32 s26, s2, s10
	s_mul_i32 s2, s12, s21
	s_sub_i32 s2, s9, s2
	s_ashr_i32 s27, s26, 31
	s_add_i32 s7, s12, 1
	s_sub_i32 s8, s2, s21
	s_cmp_ge_u32 s2, s21
	s_cselect_b32 s7, s7, s12
	s_cselect_b32 s2, s8, s2
	s_add_i32 s8, s7, 1
	s_cmp_ge_u32 s2, s21
	s_cselect_b32 s2, s8, s7
	s_xor_b32 s2, s2, s6
	s_sub_i32 s12, s2, s6
	s_add_i32 s2, s33, 31
	s_ashr_i32 s6, s2, 31
	s_lshr_b32 s6, s6, 27
	s_add_i32 s2, s2, s6
	s_ashr_i32 s16, s2, 5
	v_lshrrev_b32_e32 v28, 6, v0
	v_cmp_gt_i32_e64 s[6:7], s16, v28
	v_mov_b32_e32 v34, 0xff7fffff
	s_mul_i32 s14, s3, s14
	v_lshrrev_b32_e32 v30, 4, v0
	v_lshlrev_b32_e32 v29, 5, v28
	v_mbcnt_lo_u32_b32 v31, -1, 0
	s_and_saveexec_b64 s[34:35], s[6:7]
	s_cbranch_execz .LBB94_21
; %bb.10:
	s_load_dwordx2 s[0:1], s[0:1], 0x10
	s_ashr_i32 s15, s14, 31
	s_sub_i32 s30, s12, s17
	s_lshl_b64 s[8:9], s[14:15], 1
	v_bfe_u32 v32, v0, 1, 5
	s_waitcnt lgkmcnt(0)
	s_add_u32 s0, s0, s8
	s_addc_u32 s1, s1, s9
	s_abs_i32 s15, s18
	v_cvt_f32_u32_e32 v2, s15
	s_sub_i32 s8, 0, s15
	v_cmp_eq_u32_e64 s[2:3], 0, v4
	v_lshlrev_b32_e32 v6, 4, v32
	v_rcp_iflag_f32_e32 v5, v2
	v_mov_b32_e32 v7, 0
	v_mul_u32_u24_e32 v33, 0x70, v4
	v_lshl_add_u64 v[2:3], s[0:1], 0, v[6:7]
	v_mul_f32_e32 v5, 0x4f7ffffe, v5
	v_cvt_u32_f32_e32 v5, v5
	v_and_b32_e32 v6, 8, v1
	v_lshl_add_u64 v[2:3], v[2:3], 0, v[6:7]
	v_and_b32_e32 v6, 60, v30
	v_mul_lo_u32 v4, s8, v5
	s_lshl_b64 s[8:9], s[26:27], 2
	s_add_u32 s8, s24, s8
	v_mul_hi_u32 v4, v5, v4
	s_addc_u32 s9, s25, s9
	v_add_u32_e32 v35, v5, v4
	v_lshl_add_u64 v[4:5], s[8:9], 0, v[6:7]
	v_subrev_u32_e32 v6, s33, v32
	v_add_u32_e32 v37, 1, v6
	v_lshlrev_b32_e32 v6, 2, v32
	v_lshl_or_b32 v6, v28, 7, v6
	v_mbcnt_hi_u32_b32 v40, -1, v31
	v_add_u32_e32 v38, 0xf0, v6
	v_and_b32_e32 v6, 64, v40
	s_mov_b32 s43, s13
	v_cmp_neq_f32_e64 s[0:1], s42, 0
	v_lshlrev_b32_e32 v36, 5, v28
	v_mov_b32_e32 v39, 0xff7fffff
	s_mov_b64 s[36:37], 0
	s_movk_i32 s44, 0x1000
	v_xor_b32_e32 v41, 1, v40
	v_add_u32_e32 v42, 64, v6
	v_mov_b32_e32 v34, 0xff7fffff
	v_mov_b32_e32 v43, v28
	s_branch .LBB94_13
.LBB94_11:                              ;   in Loop: Header=BB94_13 Depth=1
	s_or_b64 exec, exec, s[38:39]
.LBB94_12:                              ;   in Loop: Header=BB94_13 Depth=1
	s_or_b64 exec, exec, s[8:9]
	v_add_u32_e32 v43, 2, v43
	v_cmp_le_i32_e32 vcc, s16, v43
	v_lshl_add_u64 v[4:5], v[4:5], 0, 8
	v_add_u32_e32 v36, 64, v36
	s_or_b64 s[36:37], vcc, s[36:37]
	v_add_u32_e32 v38, 0x100, v38
	s_andn2_b64 exec, exec, s[36:37]
	s_cbranch_execz .LBB94_20
.LBB94_13:                              ; =>This Inner Loop Header: Depth=1
	v_mul_hi_u32 v6, v36, s40
	s_waitcnt lgkmcnt(0)
	v_mul_lo_u32 v7, v6, s21
	v_sub_u32_e32 v7, v36, v7
	v_add_u32_e32 v8, 1, v6
	v_cmp_le_u32_e32 vcc, s21, v7
	s_nop 1
	v_cndmask_b32_e32 v6, v6, v8, vcc
	v_subrev_u32_e32 v8, s21, v7
	v_cndmask_b32_e32 v7, v7, v8, vcc
	v_add_u32_e32 v8, 1, v6
	v_cmp_le_u32_e32 vcc, s21, v7
	s_nop 1
	v_cndmask_b32_e32 v6, v6, v8, vcc
	v_xor_b32_e32 v6, s19, v6
	v_subrev_u32_e32 v6, s19, v6
	v_add_u32_e32 v7, s41, v6
	v_sub_u32_e32 v9, 0, v7
	v_ashrrev_i32_e32 v8, 31, v7
	v_max_i32_e32 v7, v7, v9
	v_mul_hi_u32 v9, v7, v35
	v_mul_lo_u32 v9, v9, s15
	v_sub_u32_e32 v7, v7, v9
	v_subrev_u32_e32 v9, s15, v7
	v_cmp_le_u32_e32 vcc, s15, v7
	v_cmp_ge_i32_e64 s[8:9], s30, v6
	s_nop 0
	v_cndmask_b32_e32 v7, v7, v9, vcc
	v_subrev_u32_e32 v9, s15, v7
	v_cmp_le_u32_e32 vcc, s15, v7
	s_nop 1
	v_cndmask_b32_e32 v7, v7, v9, vcc
	v_xor_b32_e32 v7, v7, v8
	v_sub_u32_e32 v7, v7, v8
	v_cmp_ne_u32_e32 vcc, 0, v7
	s_and_b64 s[8:9], vcc, s[8:9]
	s_and_saveexec_b64 s[38:39], s[8:9]
	s_xor_b64 s[8:9], exec, s[38:39]
	s_cbranch_execz .LBB94_17
; %bb.14:                               ;   in Loop: Header=BB94_13 Depth=1
	s_and_saveexec_b64 s[38:39], s[2:3]
; %bb.15:                               ;   in Loop: Header=BB94_13 Depth=1
	ds_write_b32 v38, v39
; %bb.16:                               ;   in Loop: Header=BB94_13 Depth=1
	s_or_b64 exec, exec, s[38:39]
.LBB94_17:                              ;   in Loop: Header=BB94_13 Depth=1
	s_andn2_saveexec_b64 s[8:9], s[8:9]
	s_cbranch_execz .LBB94_12
; %bb.18:                               ;   in Loop: Header=BB94_13 Depth=1
	global_load_dword v6, v[4:5], off
	s_waitcnt vmcnt(0)
	v_mad_i64_i32 v[6:7], s[38:39], v6, s43, 0
	v_lshl_add_u64 v[6:7], v[6:7], 1, v[2:3]
	global_load_dwordx2 v[46:47], v[6:7], off
	global_load_dwordx2 v[50:51], v[6:7], off offset:512
	global_load_dwordx2 v[52:53], v[6:7], off offset:1024
	;; [unrolled: 1-line block ×7, first 2 shown]
	v_add_co_u32_e32 v44, vcc, s44, v6
	s_waitcnt vmcnt(7)
	v_lshrrev_b32_e32 v59, 16, v46
	v_addc_co_u32_e32 v45, vcc, 0, v7, vcc
	global_load_dwordx2 v[16:17], v[44:45], off
	global_load_dwordx2 v[14:15], v[44:45], off offset:512
	ds_read_b64 v[6:7], v33
	v_and_b32_e32 v60, 0xffff, v46
	v_lshrrev_b32_e32 v61, 16, v47
	v_and_b32_e32 v62, 0xffff, v47
	s_waitcnt vmcnt(5)
	v_lshrrev_b32_e32 v56, 16, v24
	s_waitcnt lgkmcnt(0)
	v_lshrrev_b32_e32 v48, 16, v6
	v_and_b32_e32 v49, 0xffff, v6
	v_lshrrev_b32_e32 v57, 16, v7
	v_and_b32_e32 v58, 0xffff, v7
	global_load_dwordx2 v[12:13], v[44:45], off offset:1024
	global_load_dwordx2 v[10:11], v[44:45], off offset:1536
	;; [unrolled: 1-line block ×4, first 2 shown]
	;;#ASMSTART
	v_cvt_f32_f16 v44, v49;
	;;#ASMEND
	;;#ASMSTART
	v_cvt_f32_f16 v45, v48;
	;;#ASMEND
	v_and_b32_e32 v63, 0xffff, v24
	v_lshrrev_b32_e32 v64, 16, v25
	v_and_b32_e32 v65, 0xffff, v25
	s_waitcnt vmcnt(8)
	v_lshrrev_b32_e32 v66, 16, v22
	v_and_b32_e32 v67, 0xffff, v22
	v_lshrrev_b32_e32 v68, 16, v23
	v_and_b32_e32 v69, 0xffff, v23
	s_waitcnt vmcnt(6)
	v_lshrrev_b32_e32 v74, 16, v18
	v_and_b32_e32 v75, 0xffff, v18
	v_lshrrev_b32_e32 v76, 16, v19
	v_and_b32_e32 v77, 0xffff, v19
	;;#ASMSTART
	v_cvt_f32_f16 v22, v60;
	;;#ASMEND
	;;#ASMSTART
	v_cvt_f32_f16 v23, v59;
	;;#ASMEND
	;; [unrolled: 3-line block ×6, first 2 shown]
	ds_read_b64 v[18:19], v33 offset:8
	v_lshrrev_b32_e32 v46, 16, v50
	v_and_b32_e32 v47, 0xffff, v50
	v_lshrrev_b32_e32 v49, 16, v51
	v_and_b32_e32 v51, 0xffff, v51
	;; [unrolled: 2-line block ×4, first 2 shown]
	s_waitcnt lgkmcnt(0)
	v_lshrrev_b32_e32 v20, 16, v19
	v_and_b32_e32 v21, 0xffff, v19
	v_lshrrev_b32_e32 v48, 16, v52
	v_and_b32_e32 v50, 0xffff, v52
	;; [unrolled: 2-line block ×5, first 2 shown]
	v_cmp_lt_i32_e32 vcc, v41, v42
	s_waitcnt vmcnt(5)
	v_lshrrev_b32_e32 v59, 16, v16
	v_and_b32_e32 v60, 0xffff, v16
	v_lshrrev_b32_e32 v61, 16, v17
	v_and_b32_e32 v62, 0xffff, v17
	;; [unrolled: 2-line block ×3, first 2 shown]
	;;#ASMSTART
	v_cvt_f32_f16 v16, v16;
	;;#ASMEND
	;;#ASMSTART
	v_cvt_f32_f16 v17, v17;
	;;#ASMEND
	;; [unrolled: 3-line block ×8, first 2 shown]
	ds_read_b64 v[20:21], v33 offset:16
	v_mul_f32_e32 v17, v17, v19
	v_mul_f32_e32 v16, v16, v18
	;; [unrolled: 1-line block ×4, first 2 shown]
	v_fmac_f32_e32 v17, v45, v23
	s_waitcnt lgkmcnt(0)
	v_lshrrev_b32_e32 v23, 16, v20
	v_and_b32_e32 v20, 0xffff, v20
	v_lshrrev_b32_e32 v45, 16, v21
	v_and_b32_e32 v21, 0xffff, v21
	v_fmac_f32_e32 v16, v44, v22
	v_fmac_f32_e32 v18, v24, v57
	;; [unrolled: 1-line block ×3, first 2 shown]
	;;#ASMSTART
	v_cvt_f32_f16 v22, v20;
	;;#ASMEND
	;;#ASMSTART
	v_cvt_f32_f16 v23, v23;
	;;#ASMEND
	;;#ASMSTART
	v_cvt_f32_f16 v24, v50;
	;;#ASMEND
	;;#ASMSTART
	v_cvt_f32_f16 v25, v48;
	;;#ASMEND
	;;#ASMSTART
	v_cvt_f32_f16 v44, v21;
	;;#ASMEND
	;;#ASMSTART
	v_cvt_f32_f16 v45, v45;
	;;#ASMEND
	;;#ASMSTART
	v_cvt_f32_f16 v46, v53;
	;;#ASMEND
	;;#ASMSTART
	v_cvt_f32_f16 v47, v52;
	;;#ASMEND
	ds_read_b64 v[20:21], v33 offset:24
	v_fmac_f32_e32 v17, v23, v25
	v_fmac_f32_e32 v18, v44, v46
	v_fmac_f32_e32 v16, v22, v24
	v_fmac_f32_e32 v19, v45, v47
	s_waitcnt lgkmcnt(0)
	v_lshrrev_b32_e32 v23, 16, v20
	v_and_b32_e32 v20, 0xffff, v20
	v_lshrrev_b32_e32 v44, 16, v21
	v_and_b32_e32 v21, 0xffff, v21
	;;#ASMSTART
	v_cvt_f32_f16 v22, v20;
	;;#ASMEND
	;;#ASMSTART
	v_cvt_f32_f16 v23, v23;
	;;#ASMEND
	;;#ASMSTART
	v_cvt_f32_f16 v24, v26;
	;;#ASMEND
	;;#ASMSTART
	v_cvt_f32_f16 v25, v54;
	;;#ASMEND
	;;#ASMSTART
	v_cvt_f32_f16 v26, v21;
	;;#ASMEND
	;;#ASMSTART
	v_cvt_f32_f16 v44, v44;
	;;#ASMEND
	;;#ASMSTART
	v_cvt_f32_f16 v27, v27;
	;;#ASMEND
	;;#ASMSTART
	v_cvt_f32_f16 v45, v55;
	;;#ASMEND
	ds_read_b64 v[20:21], v33 offset:32
	v_fmac_f32_e32 v17, v23, v25
	v_fmac_f32_e32 v18, v26, v27
	v_fmac_f32_e32 v16, v22, v24
	v_fmac_f32_e32 v19, v44, v45
	s_waitcnt lgkmcnt(0)
	v_lshrrev_b32_e32 v23, 16, v20
	v_and_b32_e32 v20, 0xffff, v20
	v_lshrrev_b32_e32 v27, 16, v21
	v_and_b32_e32 v21, 0xffff, v21
	;; [unrolled: 34-line block ×6, first 2 shown]
	;;#ASMSTART
	v_cvt_f32_f16 v22, v20;
	;;#ASMEND
	;;#ASMSTART
	v_cvt_f32_f16 v23, v23;
	;;#ASMEND
	;; [unrolled: 3-line block ×8, first 2 shown]
	ds_read_b64 v[20:21], v33 offset:72
	s_waitcnt vmcnt(4)
	v_lshrrev_b32_e32 v78, 16, v14
	v_fmac_f32_e32 v16, v22, v24
	v_and_b32_e32 v14, 0xffff, v14
	v_fmac_f32_e32 v17, v23, v25
	s_waitcnt lgkmcnt(0)
	v_lshrrev_b32_e32 v22, 16, v20
	v_and_b32_e32 v20, 0xffff, v20
	;;#ASMSTART
	v_cvt_f32_f16 v20, v20;
	;;#ASMEND
	;;#ASMSTART
	v_cvt_f32_f16 v22, v22;
	;;#ASMEND
	;; [unrolled: 3-line block ×3, first 2 shown]
	v_lshrrev_b32_e32 v14, 16, v21
	v_and_b32_e32 v21, 0xffff, v21
	;;#ASMSTART
	v_cvt_f32_f16 v24, v78;
	;;#ASMEND
	;;#ASMSTART
	v_cvt_f32_f16 v21, v21;
	;;#ASMEND
	;; [unrolled: 3-line block ×3, first 2 shown]
	v_lshrrev_b32_e32 v14, 16, v15
	v_and_b32_e32 v15, 0xffff, v15
	v_fmac_f32_e32 v18, v26, v44
	v_fmac_f32_e32 v19, v27, v45
	;;#ASMSTART
	v_cvt_f32_f16 v26, v15;
	;;#ASMEND
	;;#ASMSTART
	v_cvt_f32_f16 v27, v14;
	;;#ASMEND
	ds_read_b64 v[14:15], v33 offset:80
	v_fmac_f32_e32 v16, v20, v23
	v_fmac_f32_e32 v17, v22, v24
	s_waitcnt vmcnt(3)
	v_lshrrev_b32_e32 v22, 16, v12
	v_and_b32_e32 v12, 0xffff, v12
	s_waitcnt lgkmcnt(0)
	v_lshrrev_b32_e32 v20, 16, v14
	v_and_b32_e32 v14, 0xffff, v14
	v_fmac_f32_e32 v18, v21, v26
	;;#ASMSTART
	v_cvt_f32_f16 v14, v14;
	;;#ASMEND
	;;#ASMSTART
	v_cvt_f32_f16 v20, v20;
	;;#ASMEND
	;;#ASMSTART
	v_cvt_f32_f16 v21, v12;
	;;#ASMEND
	v_lshrrev_b32_e32 v12, 16, v15
	v_and_b32_e32 v15, 0xffff, v15
	;;#ASMSTART
	v_cvt_f32_f16 v22, v22;
	;;#ASMEND
	;;#ASMSTART
	v_cvt_f32_f16 v15, v15;
	;;#ASMEND
	;;#ASMSTART
	v_cvt_f32_f16 v23, v12;
	;;#ASMEND
	v_lshrrev_b32_e32 v12, 16, v13
	v_and_b32_e32 v13, 0xffff, v13
	v_fmac_f32_e32 v19, v25, v27
	;;#ASMSTART
	v_cvt_f32_f16 v24, v13;
	;;#ASMEND
	;;#ASMSTART
	v_cvt_f32_f16 v25, v12;
	;;#ASMEND
	ds_read_b64 v[12:13], v33 offset:88
	v_fmac_f32_e32 v16, v14, v21
	v_fmac_f32_e32 v17, v20, v22
	s_waitcnt vmcnt(2)
	v_lshrrev_b32_e32 v20, 16, v10
	v_and_b32_e32 v10, 0xffff, v10
	s_waitcnt lgkmcnt(0)
	v_lshrrev_b32_e32 v14, 16, v12
	v_and_b32_e32 v12, 0xffff, v12
	v_fmac_f32_e32 v18, v15, v24
	;;#ASMSTART
	v_cvt_f32_f16 v12, v12;
	;;#ASMEND
	;;#ASMSTART
	v_cvt_f32_f16 v14, v14;
	;;#ASMEND
	;;#ASMSTART
	v_cvt_f32_f16 v15, v10;
	;;#ASMEND
	v_lshrrev_b32_e32 v10, 16, v13
	v_and_b32_e32 v13, 0xffff, v13
	;;#ASMSTART
	v_cvt_f32_f16 v20, v20;
	;;#ASMEND
	;;#ASMSTART
	v_cvt_f32_f16 v13, v13;
	;;#ASMEND
	;;#ASMSTART
	v_cvt_f32_f16 v21, v10;
	;;#ASMEND
	v_lshrrev_b32_e32 v10, 16, v11
	v_and_b32_e32 v11, 0xffff, v11
	v_fmac_f32_e32 v19, v23, v25
	;;#ASMSTART
	v_cvt_f32_f16 v22, v11;
	;;#ASMEND
	;;#ASMSTART
	v_cvt_f32_f16 v23, v10;
	;;#ASMEND
	ds_read_b64 v[10:11], v33 offset:96
	v_fmac_f32_e32 v16, v12, v15
	v_fmac_f32_e32 v17, v14, v20
	s_waitcnt vmcnt(1)
	v_lshrrev_b32_e32 v14, 16, v8
	v_and_b32_e32 v8, 0xffff, v8
	s_waitcnt lgkmcnt(0)
	v_lshrrev_b32_e32 v12, 16, v10
	v_and_b32_e32 v10, 0xffff, v10
	v_fmac_f32_e32 v18, v13, v22
	;;#ASMSTART
	v_cvt_f32_f16 v10, v10;
	;;#ASMEND
	;;#ASMSTART
	v_cvt_f32_f16 v12, v12;
	;;#ASMEND
	;;#ASMSTART
	v_cvt_f32_f16 v13, v8;
	;;#ASMEND
	v_lshrrev_b32_e32 v8, 16, v11
	v_and_b32_e32 v11, 0xffff, v11
	;;#ASMSTART
	v_cvt_f32_f16 v14, v14;
	;;#ASMEND
	;;#ASMSTART
	v_cvt_f32_f16 v11, v11;
	;;#ASMEND
	;;#ASMSTART
	v_cvt_f32_f16 v15, v8;
	;;#ASMEND
	v_lshrrev_b32_e32 v8, 16, v9
	v_and_b32_e32 v9, 0xffff, v9
	v_fmac_f32_e32 v19, v21, v23
	;;#ASMSTART
	v_cvt_f32_f16 v20, v9;
	;;#ASMEND
	;;#ASMSTART
	v_cvt_f32_f16 v21, v8;
	;;#ASMEND
	ds_read_b64 v[8:9], v33 offset:104
	v_fmac_f32_e32 v16, v10, v13
	v_fmac_f32_e32 v18, v11, v20
	s_waitcnt vmcnt(0)
	v_lshrrev_b32_e32 v11, 16, v6
	v_and_b32_e32 v6, 0xffff, v6
	s_waitcnt lgkmcnt(0)
	v_lshrrev_b32_e32 v10, 16, v8
	v_and_b32_e32 v8, 0xffff, v8
	;;#ASMSTART
	v_cvt_f32_f16 v8, v8;
	;;#ASMEND
	;;#ASMSTART
	v_cvt_f32_f16 v10, v10;
	;;#ASMEND
	;; [unrolled: 3-line block ×3, first 2 shown]
	v_fmac_f32_e32 v17, v12, v14
	v_fmac_f32_e32 v16, v8, v6
	v_and_b32_e32 v6, 0xffff, v9
	;;#ASMSTART
	v_cvt_f32_f16 v11, v11;
	;;#ASMEND
	v_lshrrev_b32_e32 v8, 16, v9
	v_fmac_f32_e32 v17, v10, v11
	;;#ASMSTART
	v_cvt_f32_f16 v6, v6;
	;;#ASMEND
	v_lshrrev_b32_e32 v9, 16, v7
	v_and_b32_e32 v7, 0xffff, v7
	v_fmac_f32_e32 v19, v15, v21
	;;#ASMSTART
	v_cvt_f32_f16 v8, v8;
	;;#ASMEND
	;;#ASMSTART
	v_cvt_f32_f16 v7, v7;
	;;#ASMEND
	;; [unrolled: 3-line block ×3, first 2 shown]
	s_nop 0
	v_fmac_f32_e32 v18, v6, v7
	v_add_f32_e32 v6, v16, v17
	v_fmac_f32_e32 v19, v8, v9
	v_add_f32_e32 v6, v6, v18
	v_cndmask_b32_e32 v7, v40, v41, vcc
	v_add_f32_e32 v6, v19, v6
	v_lshlrev_b32_e32 v7, 2, v7
	ds_bpermute_b32 v7, v7, v6
	s_and_saveexec_b64 s[38:39], s[2:3]
	s_cbranch_execz .LBB94_11
; %bb.19:                               ;   in Loop: Header=BB94_13 Depth=1
	v_add_u32_e32 v8, v37, v36
	v_cvt_f32_i32_e32 v8, v8
	s_waitcnt lgkmcnt(0)
	v_add_f32_e32 v6, v6, v7
	v_add_u32_e32 v9, v32, v36
	v_cmp_gt_i32_e32 vcc, s33, v9
	v_mul_f32_e32 v7, s42, v8
	v_cndmask_b32_e64 v7, 0, v7, s[0:1]
	v_fmac_f32_e32 v7, s31, v6
	v_cndmask_b32_e32 v6, 0, v7, vcc
	ds_write_b32 v38, v6
	v_max_f32_e32 v6, v34, v34
	v_max_f32_e32 v6, v6, v7
	v_cndmask_b32_e32 v34, v34, v6, vcc
	s_branch .LBB94_11
.LBB94_20:
	s_or_b64 exec, exec, s[36:37]
.LBB94_21:
	s_or_b64 exec, exec, s[34:35]
	v_mbcnt_hi_u32_b32 v2, -1, v31
	v_and_b32_e32 v9, 64, v2
	v_add_u32_e32 v10, 64, v9
	v_xor_b32_e32 v3, 32, v2
	v_cmp_lt_i32_e32 vcc, v3, v10
	v_xor_b32_e32 v6, 16, v2
	v_max_f32_e32 v5, v34, v34
	v_cndmask_b32_e32 v3, v2, v3, vcc
	v_lshlrev_b32_e32 v3, 2, v3
	ds_bpermute_b32 v4, v3, v34
	v_cmp_lt_i32_e32 vcc, v6, v10
	s_waitcnt lgkmcnt(1)
	v_xor_b32_e32 v7, 8, v2
	v_xor_b32_e32 v8, 4, v2
	;; [unrolled: 1-line block ×3, first 2 shown]
	s_waitcnt lgkmcnt(0)
	v_max_f32_e32 v4, v4, v4
	v_max_f32_e32 v5, v5, v4
	v_cndmask_b32_e32 v4, v2, v6, vcc
	v_lshlrev_b32_e32 v4, 2, v4
	ds_bpermute_b32 v6, v4, v5
	v_cmp_lt_i32_e32 vcc, v7, v10
	v_and_b32_e32 v20, 63, v0
	s_waitcnt lgkmcnt(0)
	v_max_f32_e32 v6, v6, v6
	v_max_f32_e32 v6, v5, v6
	v_cndmask_b32_e32 v5, v2, v7, vcc
	v_lshlrev_b32_e32 v5, 2, v5
	ds_bpermute_b32 v7, v5, v6
	v_cmp_lt_i32_e32 vcc, v8, v10
	s_waitcnt lgkmcnt(0)
	v_max_f32_e32 v7, v7, v7
	v_max_f32_e32 v7, v6, v7
	v_cndmask_b32_e32 v6, v2, v8, vcc
	v_lshlrev_b32_e32 v6, 2, v6
	ds_bpermute_b32 v8, v6, v7
	v_cmp_lt_i32_e32 vcc, v11, v10
	s_waitcnt lgkmcnt(0)
	v_max_f32_e32 v8, v8, v8
	v_max_f32_e32 v8, v7, v8
	v_cndmask_b32_e32 v7, v2, v11, vcc
	v_lshlrev_b32_e32 v21, 2, v7
	ds_bpermute_b32 v11, v21, v8
	v_cmp_eq_u32_e32 vcc, 0, v20
	v_lshlrev_b32_e32 v7, 2, v28
	s_and_saveexec_b64 s[0:1], vcc
	s_cbranch_execz .LBB94_23
; %bb.22:
	s_waitcnt lgkmcnt(0)
	v_max_f32_e32 v11, v11, v11
	v_max_f32_e32 v8, v8, v8
	;; [unrolled: 1-line block ×3, first 2 shown]
	ds_write_b32 v7, v8 offset:224
.LBB94_23:
	s_or_b64 exec, exec, s[0:1]
	v_cmp_gt_u32_e64 s[0:1], 2, v20
	s_waitcnt lgkmcnt(0)
	v_mov_b32_e32 v11, 0xff7fffff
	v_lshlrev_b32_e32 v8, 2, v20
	s_barrier
	s_and_saveexec_b64 s[2:3], s[0:1]
; %bb.24:
	ds_read_b32 v11, v8 offset:224
; %bb.25:
	s_or_b64 exec, exec, s[2:3]
	v_xor_b32_e32 v12, 1, v2
	v_cmp_lt_i32_e64 s[2:3], v12, v10
	v_lshlrev_b32_e32 v9, 2, v9
	s_nop 0
	v_cndmask_b32_e64 v10, v2, v12, s[2:3]
	v_lshlrev_b32_e32 v22, 2, v10
	s_waitcnt lgkmcnt(0)
	ds_bpermute_b32 v10, v22, v11
	v_max_f32_e32 v11, v11, v11
	s_lshl_b32 s2, s16, 5
	s_min_i32 s15, s2, s33
	v_cmp_gt_i32_e64 s[2:3], s15, v0
	s_waitcnt lgkmcnt(0)
	v_max_f32_e32 v10, v10, v10
	v_max_f32_e32 v10, v11, v10
	ds_bpermute_b32 v10, v9, v10
	v_mov_b32_e32 v9, 0
	s_and_saveexec_b64 s[30:31], s[2:3]
	s_cbranch_execz .LBB94_29
; %bb.26:
	v_mov_b32_e32 v9, 0xf0
	v_lshl_add_u32 v11, v0, 2, v9
	v_mov_b32_e32 v9, 0
	s_mov_b64 s[34:35], 0
	v_mov_b32_e32 v12, v0
.LBB94_27:                              ; =>This Inner Loop Header: Depth=1
	ds_read_b32 v13, v11
	v_add_u32_e32 v12, 0x80, v12
	v_cmp_le_i32_e64 s[8:9], s15, v12
	s_or_b64 s[34:35], s[8:9], s[34:35]
	s_waitcnt lgkmcnt(0)
	v_sub_f32_e32 v13, v13, v10
	v_mul_f32_e32 v13, 0x3fb8aa3b, v13
	v_exp_f32_e32 v13, v13
	ds_write_b32 v11, v13
	v_add_f32_e32 v9, v9, v13
	v_add_u32_e32 v11, 0x200, v11
	s_andn2_b64 exec, exec, s[34:35]
	s_cbranch_execnz .LBB94_27
; %bb.28:
	s_or_b64 exec, exec, s[34:35]
.LBB94_29:
	s_or_b64 exec, exec, s[30:31]
	ds_bpermute_b32 v3, v3, v9
	s_waitcnt lgkmcnt(0)
	v_add_f32_e32 v3, v9, v3
	ds_bpermute_b32 v4, v4, v3
	s_waitcnt lgkmcnt(0)
	v_add_f32_e32 v3, v3, v4
	;; [unrolled: 3-line block ×6, first 2 shown]
	s_and_saveexec_b64 s[8:9], vcc
; %bb.30:
	ds_write_b32 v7, v3 offset:232
; %bb.31:
	s_or_b64 exec, exec, s[8:9]
	s_waitcnt lgkmcnt(0)
	s_barrier
	s_and_saveexec_b64 s[8:9], s[0:1]
; %bb.32:
	ds_read_b32 v3, v8 offset:232
; %bb.33:
	s_or_b64 exec, exec, s[8:9]
	s_waitcnt lgkmcnt(0)
	ds_bpermute_b32 v4, v22, v3
	v_lshlrev_b32_e32 v2, 2, v2
	v_and_b32_e32 v2, 0x100, v2
	s_waitcnt lgkmcnt(0)
	v_add_f32_e32 v3, v3, v4
	ds_bpermute_b32 v2, v2, v3
	s_and_saveexec_b64 s[0:1], s[2:3]
	s_cbranch_execz .LBB94_46
; %bb.34:
	s_waitcnt lgkmcnt(0)
	v_add_f32_e32 v2, 0x358637bd, v2
	v_div_scale_f32 v3, s[2:3], v2, v2, 1.0
	v_rcp_f32_e32 v4, v3
	v_div_scale_f32 v5, vcc, 1.0, v2, 1.0
	s_movk_i32 s2, 0x7f
	v_fma_f32 v6, -v3, v4, 1.0
	v_fmac_f32_e32 v4, v6, v4
	v_mul_f32_e32 v6, v5, v4
	v_fma_f32 v7, -v3, v6, v5
	v_fmac_f32_e32 v6, v7, v4
	v_fma_f32 v3, -v3, v6, v5
	v_div_fmas_f32 v3, v3, v4, v6
	v_xad_u32 v4, v0, -1, s15
	v_div_fixup_f32 v2, v3, v2, 1.0
	v_cmp_lt_u32_e32 vcc, s2, v4
	s_mov_b64 s[8:9], -1
	v_mov_b32_e32 v3, v0
	s_and_saveexec_b64 s[2:3], vcc
	s_cbranch_execz .LBB94_43
; %bb.35:
	v_lshrrev_b32_e32 v4, 7, v4
	v_add_u32_e32 v6, -1, v4
	v_lshrrev_b32_e32 v5, 1, v6
	v_mov_b32_e32 v3, v2
	v_add_u32_e32 v5, 1, v5
	v_cmp_lt_u32_e32 vcc, 13, v6
	v_mov_b32_e32 v8, 0
	s_and_saveexec_b64 s[8:9], vcc
	s_cbranch_execz .LBB94_39
; %bb.36:
	v_mov_b32_e32 v7, 0xf0
	v_and_b32_e32 v6, -8, v5
	v_lshl_add_u32 v7, v0, 2, v7
	s_mov_b32 s34, 0
	s_mov_b64 s[30:31], 0
.LBB94_37:                              ; =>This Inner Loop Header: Depth=1
	ds_read2st64_b32 v[8:9], v7 offset1:2
	ds_read2st64_b32 v[10:11], v7 offset0:4 offset1:6
	ds_read2st64_b32 v[12:13], v7 offset0:8 offset1:10
	;; [unrolled: 1-line block ×3, first 2 shown]
	v_add_u32_e32 v6, -8, v6
	s_waitcnt lgkmcnt(3)
	v_pk_mul_f32 v[8:9], v[2:3], v[8:9]
	s_waitcnt lgkmcnt(2)
	v_pk_mul_f32 v[10:11], v[2:3], v[10:11]
	ds_write2st64_b32 v7, v8, v9 offset1:2
	ds_write2st64_b32 v7, v10, v11 offset0:4 offset1:6
	ds_read2st64_b32 v[10:11], v7 offset0:16 offset1:18
	s_waitcnt lgkmcnt(4)
	v_pk_mul_f32 v[8:9], v[2:3], v[12:13]
	ds_write2st64_b32 v7, v8, v9 offset0:8 offset1:10
	s_waitcnt lgkmcnt(4)
	v_pk_mul_f32 v[8:9], v[2:3], v[14:15]
	ds_write2st64_b32 v7, v8, v9 offset0:12 offset1:14
	ds_read2st64_b32 v[8:9], v7 offset0:20 offset1:22
	s_waitcnt lgkmcnt(3)
	v_pk_mul_f32 v[10:11], v[2:3], v[10:11]
	ds_read2st64_b32 v[12:13], v7 offset0:24 offset1:26
	ds_write2st64_b32 v7, v10, v11 offset0:16 offset1:18
	ds_read2st64_b32 v[10:11], v7 offset0:28 offset1:30
	s_waitcnt lgkmcnt(3)
	v_pk_mul_f32 v[8:9], v[2:3], v[8:9]
	ds_write2st64_b32 v7, v8, v9 offset0:20 offset1:22
	s_waitcnt lgkmcnt(3)
	v_pk_mul_f32 v[8:9], v[2:3], v[12:13]
	ds_write2st64_b32 v7, v8, v9 offset0:24 offset1:26
	s_waitcnt lgkmcnt(2)
	v_pk_mul_f32 v[8:9], v[2:3], v[10:11]
	s_add_i32 s34, s34, 16
	v_cmp_eq_u32_e32 vcc, 0, v6
	ds_write2st64_b32 v7, v8, v9 offset0:28 offset1:30
	v_add_u32_e32 v7, 0x2000, v7
	s_or_b64 s[30:31], vcc, s[30:31]
	v_mov_b32_e32 v8, s34
	s_andn2_b64 exec, exec, s[30:31]
	s_cbranch_execnz .LBB94_37
; %bb.38:
	s_or_b64 exec, exec, s[30:31]
.LBB94_39:
	s_or_b64 exec, exec, s[8:9]
	v_and_b32_e32 v5, 7, v5
	v_cmp_ne_u32_e32 vcc, 0, v5
	s_and_saveexec_b64 s[8:9], vcc
	s_cbranch_execz .LBB94_42
; %bb.40:
	v_lshlrev_b32_e32 v6, 9, v8
	v_lshlrev_b32_e32 v7, 2, v0
	s_movk_i32 s30, 0xf0
	v_add3_u32 v6, v6, v7, s30
	s_mov_b64 s[30:31], 0
.LBB94_41:                              ; =>This Inner Loop Header: Depth=1
	ds_read2st64_b32 v[8:9], v6 offset1:2
	v_add_u32_e32 v5, -1, v5
	v_cmp_eq_u32_e32 vcc, 0, v5
	s_or_b64 s[30:31], vcc, s[30:31]
	s_waitcnt lgkmcnt(0)
	v_pk_mul_f32 v[8:9], v[2:3], v[8:9]
	ds_write2st64_b32 v6, v8, v9 offset1:2
	v_add_u32_e32 v6, 0x400, v6
	s_andn2_b64 exec, exec, s[30:31]
	s_cbranch_execnz .LBB94_41
.LBB94_42:
	s_or_b64 exec, exec, s[8:9]
	v_add_u32_e32 v4, 1, v4
	v_and_b32_e32 v5, 0x3fffffe, v4
	v_cmp_ne_u32_e32 vcc, v4, v5
	v_lshl_add_u32 v3, v5, 7, v0
	s_orn2_b64 s[8:9], vcc, exec
.LBB94_43:
	s_or_b64 exec, exec, s[2:3]
	s_and_b64 exec, exec, s[8:9]
	s_cbranch_execz .LBB94_46
; %bb.44:
	v_mov_b32_e32 v4, 0xf0
	v_lshl_add_u32 v4, v3, 2, v4
	s_mov_b64 s[2:3], 0
.LBB94_45:                              ; =>This Inner Loop Header: Depth=1
	ds_read_b32 v5, v4
	v_add_u32_e32 v3, 0x80, v3
	v_cmp_le_i32_e32 vcc, s15, v3
	s_or_b64 s[2:3], vcc, s[2:3]
	s_waitcnt lgkmcnt(0)
	v_mul_f32_e32 v5, v2, v5
	ds_write_b32 v4, v5
	v_add_u32_e32 v4, 0x200, v4
	s_andn2_b64 exec, exec, s[2:3]
	s_cbranch_execnz .LBB94_45
.LBB94_46:
	s_or_b64 exec, exec, s[0:1]
	v_mov_b32_e32 v7, 0
	v_and_b32_e32 v23, 3, v0
	v_mov_b32_e32 v6, 0
	v_mov_b32_e32 v9, 0
	;; [unrolled: 1-line block ×6, first 2 shown]
	s_waitcnt lgkmcnt(0)
	s_barrier
	s_and_saveexec_b64 s[2:3], s[6:7]
	s_cbranch_execz .LBB94_66
; %bb.47:
	s_ashr_i32 s15, s14, 31
	s_sub_i32 s17, s12, s17
	s_lshl_b64 s[0:1], s[14:15], 1
	s_add_u32 s0, s28, s0
	s_addc_u32 s1, s29, s1
	s_abs_i32 s14, s18
	v_cvt_f32_u32_e32 v2, s14
	v_and_b32_e32 v25, 24, v1
	v_mov_b32_e32 v13, 0
	s_add_i32 s18, s16, -1
	v_rcp_iflag_f32_e32 v1, v2
	v_lshlrev_b32_e32 v2, 4, v0
	v_and_b32_e32 v12, 0x3f0, v2
	v_lshl_add_u64 v[14:15], s[0:1], 0, v[12:13]
	v_mul_f32_e32 v1, 0x4f7ffffe, v1
	v_cvt_u32_f32_e32 v1, v1
	s_sub_i32 s0, 0, s14
	v_and_b32_e32 v12, 60, v30
	s_mov_b32 s15, s13
	v_mul_lo_u32 v2, s0, v1
	v_mul_hi_u32 v2, v1, v2
	s_lshl_b64 s[0:1], s[26:27], 2
	v_add_u32_e32 v26, v1, v2
	s_add_u32 s0, s24, s0
	v_lshlrev_b32_e32 v1, 5, v23
	s_addc_u32 s1, s25, s1
	v_lshl_or_b32 v1, v28, 7, v1
	s_mov_b32 s28, s33
	v_lshl_add_u64 v[16:17], s[0:1], 0, v[12:13]
	v_add_u32_e32 v27, 0xf0, v1
	s_mov_b64 s[6:7], 0
	s_mov_b32 s24, 0xffff
	s_movk_i32 s25, 0x1000
	v_mov_b32_e32 v24, 0
	v_mov_b32_e32 v10, 0
	;; [unrolled: 1-line block ×7, first 2 shown]
	s_branch .LBB94_50
.LBB94_48:                              ;   in Loop: Header=BB94_50 Depth=1
	s_or_b64 exec, exec, s[12:13]
	v_lshlrev_b32_e32 v12, 16, v12
	v_lshlrev_b32_e32 v1, 16, v1
	v_and_or_b32 v2, v2, s24, v12
	v_and_or_b32 v1, v3, s24, v1
	v_lshlrev_b32_e32 v3, 16, v18
	v_and_or_b32 v3, v4, s24, v3
	;;#ASMSTART
	v_pk_mul_f16 v2, v39, v2;

	;;#ASMEND
	;;#ASMSTART
	v_pk_mul_f16 v1, v40, v1;

	;;#ASMEND
	v_add_f32_e32 v19, v52, v53
	;;#ASMSTART
	v_pk_mul_f16 v3, v41, v3;

	;;#ASMEND
	;;#ASMSTART
	v_pk_mul_f16 v4, v38, v5;

	;;#ASMEND
	;;#ASMSTART
	v_pk_add_f16 v1, v2, v1;

	;;#ASMEND
	v_add_f32_e32 v7, v7, v19
	v_add_f32_e32 v19, v50, v51
	;;#ASMSTART
	v_pk_add_f16 v1, v1, v3;

	;;#ASMEND
	v_add_f32_e32 v6, v6, v19
	v_add_f32_e32 v19, v48, v49
	;; [unrolled: 6-line block ×3, first 2 shown]
	v_lshrrev_b32_e32 v2, 16, v1
	v_and_b32_e32 v1, 0xffff, v1
	v_add_f32_e32 v8, v8, v19
	v_add_f32_e32 v19, v44, v45
	;;#ASMSTART
	v_cvt_f32_f16 v1, v1;
	;;#ASMEND
	v_add_f32_e32 v11, v11, v19
	v_add_f32_e32 v19, v42, v43
	;;#ASMSTART
	v_cvt_f32_f16 v2, v2;
	;;#ASMEND
	v_add_f32_e32 v10, v10, v19
	v_add_f32_e32 v1, v1, v2
	;; [unrolled: 1-line block ×3, first 2 shown]
.LBB94_49:                              ;   in Loop: Header=BB94_50 Depth=1
	s_or_b64 exec, exec, s[8:9]
	v_add_u32_e32 v28, 2, v28
	v_cmp_le_i32_e32 vcc, s16, v28
	v_lshl_add_u64 v[16:17], v[16:17], 0, 8
	v_add_u32_e32 v29, 64, v29
	s_or_b64 s[6:7], vcc, s[6:7]
	v_add_u32_e32 v27, 0x100, v27
	s_andn2_b64 exec, exec, s[6:7]
	s_cbranch_execz .LBB94_65
.LBB94_50:                              ; =>This Inner Loop Header: Depth=1
	v_mul_hi_u32 v1, v29, s40
	v_mul_lo_u32 v2, v1, s21
	v_sub_u32_e32 v2, v29, v2
	v_add_u32_e32 v3, 1, v1
	v_cmp_le_u32_e32 vcc, s21, v2
	s_nop 1
	v_cndmask_b32_e32 v1, v1, v3, vcc
	v_subrev_u32_e32 v3, s21, v2
	v_cndmask_b32_e32 v2, v2, v3, vcc
	v_add_u32_e32 v3, 1, v1
	v_cmp_le_u32_e32 vcc, s21, v2
	s_nop 1
	v_cndmask_b32_e32 v1, v1, v3, vcc
	v_xor_b32_e32 v1, s19, v1
	v_subrev_u32_e32 v1, s19, v1
	v_add_u32_e32 v2, s41, v1
	v_sub_u32_e32 v4, 0, v2
	v_ashrrev_i32_e32 v3, 31, v2
	v_max_i32_e32 v2, v2, v4
	v_mul_hi_u32 v4, v2, v26
	v_mul_lo_u32 v4, v4, s14
	v_sub_u32_e32 v2, v2, v4
	v_subrev_u32_e32 v4, s14, v2
	v_cmp_le_u32_e32 vcc, s14, v2
	v_cmp_lt_i32_e64 s[0:1], s17, v1
	s_nop 0
	v_cndmask_b32_e32 v2, v2, v4, vcc
	v_subrev_u32_e32 v4, s14, v2
	v_cmp_le_u32_e32 vcc, s14, v2
	s_nop 1
	v_cndmask_b32_e32 v2, v2, v4, vcc
	v_xor_b32_e32 v2, v2, v3
	v_sub_u32_e32 v2, v2, v3
	v_cmp_eq_u32_e32 vcc, 0, v2
	s_or_b64 s[0:1], vcc, s[0:1]
	s_and_saveexec_b64 s[8:9], s[0:1]
	s_cbranch_execz .LBB94_49
; %bb.51:                               ;   in Loop: Header=BB94_50 Depth=1
	global_load_dword v1, v[16:17], off
	ds_read2_b64 v[2:5], v27 offset1:1
	ds_read2_b64 v[30:33], v27 offset0:2 offset1:3
	s_waitcnt lgkmcnt(1)
	;;#ASMSTART
	v_cvt_f16_f32 v38, v2;

	;;#ASMEND
	;;#ASMSTART
	v_cvt_f16_f32 v39, v3;

	;;#ASMEND
	;; [unrolled: 4-line block ×4, first 2 shown]
	s_waitcnt lgkmcnt(0)
	;;#ASMSTART
	v_cvt_f16_f32 v42, v30;

	;;#ASMEND
	;;#ASMSTART
	v_cvt_f16_f32 v43, v31;

	;;#ASMEND
	;; [unrolled: 4-line block ×4, first 2 shown]
	v_add_u32_e32 v33, v25, v29
	v_add_u32_e32 v35, 2, v33
	;; [unrolled: 1-line block ×6, first 2 shown]
	v_or_b32_e32 v36, 3, v33
	v_or_b32_e32 v37, 1, v33
	s_waitcnt vmcnt(0)
	v_mad_i64_i32 v[2:3], s[0:1], v1, s15, 0
	v_lshl_add_u64 v[18:19], v[2:3], 1, v[14:15]
	global_load_dwordx4 v[2:5], v[18:19], off
	v_cmp_eq_u32_e64 s[0:1], s18, v28
	s_waitcnt vmcnt(0)
	v_lshrrev_b32_e32 v1, 16, v3
	v_lshrrev_b32_e32 v12, 16, v2
	;; [unrolled: 1-line block ×3, first 2 shown]
	s_and_saveexec_b64 s[12:13], s[0:1]
	s_cbranch_execz .LBB94_53
; %bb.52:                               ;   in Loop: Header=BB94_50 Depth=1
	v_cmp_gt_i32_e32 vcc, s33, v33
	s_nop 1
	v_cndmask_b32_e32 v2, 0, v2, vcc
	v_cmp_gt_i32_e32 vcc, s33, v35
	s_nop 1
	v_cndmask_b32_e32 v3, 0, v3, vcc
	;; [unrolled: 3-line block ×6, first 2 shown]
	v_cmp_gt_i32_e32 vcc, s33, v31
	s_nop 1
	v_cndmask_b32_sdwa v47, v13, v5, vcc dst_sel:DWORD dst_unused:UNUSED_PAD src0_sel:DWORD src1_sel:WORD_0
	v_and_b32_e32 v5, 0xffff0000, v5
	v_cmp_gt_i32_e32 vcc, s33, v30
	s_nop 1
	v_cndmask_b32_e32 v5, 0, v5, vcc
	v_or_b32_e32 v5, v47, v5
.LBB94_53:                              ;   in Loop: Header=BB94_50 Depth=1
	s_or_b64 exec, exec, s[12:13]
	v_and_b32_e32 v38, 0xffff, v38
	v_lshl_or_b32 v39, v39, 16, v38
	v_and_b32_e32 v38, 0xffff, v40
	v_lshlrev_b32_e32 v12, 16, v12
	v_lshlrev_b32_e32 v1, 16, v1
	v_lshl_or_b32 v40, v41, 16, v38
	v_and_b32_e32 v38, 0xffff, v42
	v_and_or_b32 v2, v2, s24, v12
	v_and_or_b32 v1, v3, s24, v1
	v_lshlrev_b32_e32 v3, 16, v46
	v_lshl_or_b32 v41, v43, 16, v38
	v_and_b32_e32 v38, 0xffff, v44
	v_and_or_b32 v3, v4, s24, v3
	;;#ASMSTART
	v_pk_mul_f16 v2, v39, v2;

	;;#ASMEND
	;;#ASMSTART
	v_pk_mul_f16 v1, v40, v1;

	;;#ASMEND
	v_lshl_or_b32 v38, v45, 16, v38
	;;#ASMSTART
	v_pk_mul_f16 v3, v41, v3;

	;;#ASMEND
	;;#ASMSTART
	v_pk_mul_f16 v4, v38, v5;

	;;#ASMEND
	;;#ASMSTART
	v_pk_add_f16 v1, v2, v1;

	;;#ASMEND
	s_nop 0
	;;#ASMSTART
	v_pk_add_f16 v1, v1, v3;

	;;#ASMEND
	s_nop 0
	;; [unrolled: 5-line block ×3, first 2 shown]
	v_lshrrev_b32_e32 v2, 16, v1
	v_and_b32_e32 v1, 0xffff, v1
	;;#ASMSTART
	v_cvt_f32_f16 v42, v1;
	;;#ASMEND
	;;#ASMSTART
	v_cvt_f32_f16 v43, v2;
	;;#ASMEND
	global_load_dwordx4 v[2:5], v[18:19], off offset:1024
	s_waitcnt vmcnt(0)
	v_lshrrev_b32_e32 v1, 16, v3
	v_lshrrev_b32_e32 v12, 16, v2
	v_lshrrev_b32_e32 v44, 16, v4
	s_and_saveexec_b64 s[12:13], s[0:1]
	s_cbranch_execz .LBB94_55
; %bb.54:                               ;   in Loop: Header=BB94_50 Depth=1
	v_cmp_gt_i32_e32 vcc, s33, v33
	s_nop 1
	v_cndmask_b32_e32 v2, 0, v2, vcc
	v_cmp_gt_i32_e32 vcc, s33, v35
	s_nop 1
	v_cndmask_b32_e32 v3, 0, v3, vcc
	;; [unrolled: 3-line block ×6, first 2 shown]
	v_cmp_gt_i32_e32 vcc, s33, v31
	s_nop 1
	v_cndmask_b32_sdwa v45, v13, v5, vcc dst_sel:DWORD dst_unused:UNUSED_PAD src0_sel:DWORD src1_sel:WORD_0
	v_and_b32_e32 v5, 0xffff0000, v5
	v_cmp_gt_i32_e32 vcc, s33, v30
	s_nop 1
	v_cndmask_b32_e32 v5, 0, v5, vcc
	v_or_b32_e32 v5, v45, v5
.LBB94_55:                              ;   in Loop: Header=BB94_50 Depth=1
	s_or_b64 exec, exec, s[12:13]
	v_lshlrev_b32_e32 v12, 16, v12
	v_lshlrev_b32_e32 v1, 16, v1
	v_and_or_b32 v2, v2, s24, v12
	v_and_or_b32 v1, v3, s24, v1
	v_lshlrev_b32_e32 v3, 16, v44
	v_and_or_b32 v3, v4, s24, v3
	;;#ASMSTART
	v_pk_mul_f16 v2, v39, v2;

	;;#ASMEND
	;;#ASMSTART
	v_pk_mul_f16 v1, v40, v1;

	;;#ASMEND
	;; [unrolled: 4-line block ×4, first 2 shown]
	s_nop 0
	;;#ASMSTART
	v_pk_add_f16 v1, v2, v1;

	;;#ASMEND
	s_nop 0
	;;#ASMSTART
	v_pk_add_f16 v1, v1, v3;

	;;#ASMEND
	s_nop 0
	;;#ASMSTART
	v_pk_add_f16 v1, v1, v4;

	;;#ASMEND
	s_nop 0
	v_lshrrev_b32_e32 v2, 16, v1
	v_and_b32_e32 v1, 0xffff, v1
	;;#ASMSTART
	v_cvt_f32_f16 v44, v1;
	;;#ASMEND
	;;#ASMSTART
	v_cvt_f32_f16 v45, v2;
	;;#ASMEND
	global_load_dwordx4 v[2:5], v[18:19], off offset:2048
	s_waitcnt vmcnt(0)
	v_lshrrev_b32_e32 v1, 16, v3
	v_lshrrev_b32_e32 v12, 16, v2
	;; [unrolled: 1-line block ×3, first 2 shown]
	s_and_saveexec_b64 s[12:13], s[0:1]
	s_cbranch_execz .LBB94_57
; %bb.56:                               ;   in Loop: Header=BB94_50 Depth=1
	v_cmp_gt_i32_e32 vcc, s33, v33
	s_nop 1
	v_cndmask_b32_e32 v2, 0, v2, vcc
	v_cmp_gt_i32_e32 vcc, s33, v35
	s_nop 1
	v_cndmask_b32_e32 v3, 0, v3, vcc
	;; [unrolled: 3-line block ×6, first 2 shown]
	v_cmp_gt_i32_e32 vcc, s33, v31
	s_nop 1
	v_cndmask_b32_sdwa v47, v13, v5, vcc dst_sel:DWORD dst_unused:UNUSED_PAD src0_sel:DWORD src1_sel:WORD_0
	v_and_b32_e32 v5, 0xffff0000, v5
	v_cmp_gt_i32_e32 vcc, s33, v30
	s_nop 1
	v_cndmask_b32_e32 v5, 0, v5, vcc
	v_or_b32_e32 v5, v47, v5
.LBB94_57:                              ;   in Loop: Header=BB94_50 Depth=1
	s_or_b64 exec, exec, s[12:13]
	v_lshlrev_b32_e32 v12, 16, v12
	v_lshlrev_b32_e32 v1, 16, v1
	v_and_or_b32 v2, v2, s24, v12
	v_and_or_b32 v1, v3, s24, v1
	v_lshlrev_b32_e32 v3, 16, v46
	v_and_or_b32 v3, v4, s24, v3
	;;#ASMSTART
	v_pk_mul_f16 v2, v39, v2;

	;;#ASMEND
	;;#ASMSTART
	v_pk_mul_f16 v1, v40, v1;

	;;#ASMEND
	;; [unrolled: 4-line block ×4, first 2 shown]
	s_nop 0
	;;#ASMSTART
	v_pk_add_f16 v1, v2, v1;

	;;#ASMEND
	s_nop 0
	;;#ASMSTART
	v_pk_add_f16 v1, v1, v3;

	;;#ASMEND
	;; [unrolled: 5-line block ×3, first 2 shown]
	s_nop 0
	v_lshrrev_b32_e32 v2, 16, v1
	v_and_b32_e32 v1, 0xffff, v1
	;;#ASMSTART
	v_cvt_f32_f16 v46, v1;
	;;#ASMEND
	;;#ASMSTART
	v_cvt_f32_f16 v47, v2;
	;;#ASMEND
	global_load_dwordx4 v[2:5], v[18:19], off offset:3072
	s_waitcnt vmcnt(0)
	v_lshrrev_b32_e32 v1, 16, v3
	v_lshrrev_b32_e32 v12, 16, v2
	;; [unrolled: 1-line block ×3, first 2 shown]
	s_and_saveexec_b64 s[12:13], s[0:1]
	s_cbranch_execz .LBB94_59
; %bb.58:                               ;   in Loop: Header=BB94_50 Depth=1
	v_cmp_gt_i32_e32 vcc, s33, v33
	s_nop 1
	v_cndmask_b32_e32 v2, 0, v2, vcc
	v_cmp_gt_i32_e32 vcc, s33, v35
	s_nop 1
	v_cndmask_b32_e32 v3, 0, v3, vcc
	;; [unrolled: 3-line block ×6, first 2 shown]
	v_cmp_gt_i32_e32 vcc, s33, v31
	s_nop 1
	v_cndmask_b32_sdwa v49, v13, v5, vcc dst_sel:DWORD dst_unused:UNUSED_PAD src0_sel:DWORD src1_sel:WORD_0
	v_and_b32_e32 v5, 0xffff0000, v5
	v_cmp_gt_i32_e32 vcc, s33, v30
	s_nop 1
	v_cndmask_b32_e32 v5, 0, v5, vcc
	v_or_b32_e32 v5, v49, v5
.LBB94_59:                              ;   in Loop: Header=BB94_50 Depth=1
	s_or_b64 exec, exec, s[12:13]
	v_lshlrev_b32_e32 v12, 16, v12
	v_lshlrev_b32_e32 v1, 16, v1
	v_and_or_b32 v2, v2, s24, v12
	v_and_or_b32 v1, v3, s24, v1
	v_lshlrev_b32_e32 v3, 16, v48
	v_and_or_b32 v3, v4, s24, v3
	;;#ASMSTART
	v_pk_mul_f16 v2, v39, v2;

	;;#ASMEND
	;;#ASMSTART
	v_pk_mul_f16 v1, v40, v1;

	;;#ASMEND
	;; [unrolled: 4-line block ×4, first 2 shown]
	v_add_co_u32_e32 v18, vcc, s25, v18
	;;#ASMSTART
	v_pk_add_f16 v1, v2, v1;

	;;#ASMEND
	s_nop 0
	;;#ASMSTART
	v_pk_add_f16 v1, v1, v3;

	;;#ASMEND
	s_nop 0
	v_addc_co_u32_e32 v19, vcc, 0, v19, vcc
	;;#ASMSTART
	v_pk_add_f16 v1, v1, v4;

	;;#ASMEND
	s_nop 0
	v_lshrrev_b32_e32 v2, 16, v1
	v_and_b32_e32 v1, 0xffff, v1
	;;#ASMSTART
	v_cvt_f32_f16 v48, v1;
	;;#ASMEND
	;;#ASMSTART
	v_cvt_f32_f16 v49, v2;
	;;#ASMEND
	global_load_dwordx4 v[2:5], v[18:19], off
	s_waitcnt vmcnt(0)
	v_lshrrev_b32_e32 v1, 16, v3
	v_lshrrev_b32_e32 v12, 16, v2
	;; [unrolled: 1-line block ×3, first 2 shown]
	s_and_saveexec_b64 s[12:13], s[0:1]
	s_cbranch_execz .LBB94_61
; %bb.60:                               ;   in Loop: Header=BB94_50 Depth=1
	v_cmp_gt_i32_e32 vcc, s33, v33
	s_nop 1
	v_cndmask_b32_e32 v2, 0, v2, vcc
	v_cmp_gt_i32_e32 vcc, s33, v35
	s_nop 1
	v_cndmask_b32_e32 v3, 0, v3, vcc
	v_cmp_gt_i32_e32 vcc, s28, v36
	s_nop 1
	v_cndmask_b32_e32 v1, 0, v1, vcc
	v_cmp_gt_i32_e32 vcc, s33, v37
	s_nop 1
	v_cndmask_b32_e32 v12, 0, v12, vcc
	v_cmp_gt_i32_e32 vcc, s33, v34
	s_nop 1
	v_cndmask_b32_e32 v4, 0, v4, vcc
	v_cmp_gt_i32_e32 vcc, s33, v32
	s_nop 1
	v_cndmask_b32_e32 v50, 0, v50, vcc
	v_cmp_gt_i32_e32 vcc, s33, v31
	s_nop 1
	v_cndmask_b32_sdwa v51, v13, v5, vcc dst_sel:DWORD dst_unused:UNUSED_PAD src0_sel:DWORD src1_sel:WORD_0
	v_and_b32_e32 v5, 0xffff0000, v5
	v_cmp_gt_i32_e32 vcc, s33, v30
	s_nop 1
	v_cndmask_b32_e32 v5, 0, v5, vcc
	v_or_b32_e32 v5, v51, v5
.LBB94_61:                              ;   in Loop: Header=BB94_50 Depth=1
	s_or_b64 exec, exec, s[12:13]
	v_lshlrev_b32_e32 v12, 16, v12
	v_lshlrev_b32_e32 v1, 16, v1
	v_and_or_b32 v2, v2, s24, v12
	v_and_or_b32 v1, v3, s24, v1
	v_lshlrev_b32_e32 v3, 16, v50
	v_and_or_b32 v3, v4, s24, v3
	;;#ASMSTART
	v_pk_mul_f16 v2, v39, v2;

	;;#ASMEND
	;;#ASMSTART
	v_pk_mul_f16 v1, v40, v1;

	;;#ASMEND
	;; [unrolled: 4-line block ×4, first 2 shown]
	s_nop 0
	;;#ASMSTART
	v_pk_add_f16 v1, v2, v1;

	;;#ASMEND
	s_nop 0
	;;#ASMSTART
	v_pk_add_f16 v1, v1, v3;

	;;#ASMEND
	;; [unrolled: 5-line block ×3, first 2 shown]
	s_nop 0
	v_lshrrev_b32_e32 v2, 16, v1
	v_and_b32_e32 v1, 0xffff, v1
	;;#ASMSTART
	v_cvt_f32_f16 v50, v1;
	;;#ASMEND
	;;#ASMSTART
	v_cvt_f32_f16 v51, v2;
	;;#ASMEND
	global_load_dwordx4 v[2:5], v[18:19], off offset:1024
	s_waitcnt vmcnt(0)
	v_lshrrev_b32_e32 v1, 16, v3
	v_lshrrev_b32_e32 v12, 16, v2
	;; [unrolled: 1-line block ×3, first 2 shown]
	s_and_saveexec_b64 s[12:13], s[0:1]
	s_cbranch_execz .LBB94_63
; %bb.62:                               ;   in Loop: Header=BB94_50 Depth=1
	v_cmp_gt_i32_e32 vcc, s33, v33
	s_nop 1
	v_cndmask_b32_e32 v2, 0, v2, vcc
	v_cmp_gt_i32_e32 vcc, s33, v35
	s_nop 1
	v_cndmask_b32_e32 v3, 0, v3, vcc
	;; [unrolled: 3-line block ×6, first 2 shown]
	v_cmp_gt_i32_e32 vcc, s33, v31
	s_nop 1
	v_cndmask_b32_sdwa v53, v13, v5, vcc dst_sel:DWORD dst_unused:UNUSED_PAD src0_sel:DWORD src1_sel:WORD_0
	v_and_b32_e32 v5, 0xffff0000, v5
	v_cmp_gt_i32_e32 vcc, s33, v30
	s_nop 1
	v_cndmask_b32_e32 v5, 0, v5, vcc
	v_or_b32_e32 v5, v53, v5
.LBB94_63:                              ;   in Loop: Header=BB94_50 Depth=1
	s_or_b64 exec, exec, s[12:13]
	v_lshlrev_b32_e32 v12, 16, v12
	v_lshlrev_b32_e32 v1, 16, v1
	v_and_or_b32 v2, v2, s24, v12
	v_and_or_b32 v1, v3, s24, v1
	v_lshlrev_b32_e32 v3, 16, v52
	v_and_or_b32 v3, v4, s24, v3
	;;#ASMSTART
	v_pk_mul_f16 v2, v39, v2;

	;;#ASMEND
	;;#ASMSTART
	v_pk_mul_f16 v1, v40, v1;

	;;#ASMEND
	;; [unrolled: 4-line block ×4, first 2 shown]
	s_nop 0
	;;#ASMSTART
	v_pk_add_f16 v1, v2, v1;

	;;#ASMEND
	s_nop 0
	;;#ASMSTART
	v_pk_add_f16 v1, v1, v3;

	;;#ASMEND
	;; [unrolled: 5-line block ×3, first 2 shown]
	s_nop 0
	v_lshrrev_b32_e32 v2, 16, v1
	v_and_b32_e32 v1, 0xffff, v1
	;;#ASMSTART
	v_cvt_f32_f16 v52, v1;
	;;#ASMEND
	;;#ASMSTART
	v_cvt_f32_f16 v53, v2;
	;;#ASMEND
	global_load_dwordx4 v[2:5], v[18:19], off offset:2048
	s_waitcnt vmcnt(0)
	v_lshrrev_b32_e32 v1, 16, v3
	v_lshrrev_b32_e32 v12, 16, v2
	;; [unrolled: 1-line block ×3, first 2 shown]
	s_and_saveexec_b64 s[12:13], s[0:1]
	s_cbranch_execz .LBB94_48
; %bb.64:                               ;   in Loop: Header=BB94_50 Depth=1
	v_cmp_gt_i32_e32 vcc, s33, v33
	s_nop 1
	v_cndmask_b32_e32 v2, 0, v2, vcc
	v_cmp_gt_i32_e32 vcc, s33, v35
	s_nop 1
	v_cndmask_b32_e32 v3, 0, v3, vcc
	;; [unrolled: 3-line block ×6, first 2 shown]
	v_cmp_gt_i32_e32 vcc, s33, v31
	s_nop 1
	v_cndmask_b32_sdwa v19, v13, v5, vcc dst_sel:DWORD dst_unused:UNUSED_PAD src0_sel:DWORD src1_sel:WORD_0
	v_and_b32_e32 v5, 0xffff0000, v5
	v_cmp_gt_i32_e32 vcc, s33, v30
	s_nop 1
	v_cndmask_b32_e32 v5, 0, v5, vcc
	v_or_b32_e32 v5, v19, v5
	s_branch .LBB94_48
.LBB94_65:
	s_or_b64 exec, exec, s[6:7]
.LBB94_66:
	s_or_b64 exec, exec, s[2:3]
	ds_bpermute_b32 v4, v21, v8
	ds_bpermute_b32 v5, v21, v9
	;; [unrolled: 1-line block ×6, first 2 shown]
	s_waitcnt lgkmcnt(4)
	v_pk_add_f32 v[4:5], v[8:9], v[4:5]
	ds_bpermute_b32 v8, v22, v4
	ds_bpermute_b32 v9, v22, v5
	;; [unrolled: 1-line block ×3, first 2 shown]
	s_waitcnt lgkmcnt(5)
	v_pk_add_f32 v[2:3], v[10:11], v[2:3]
	s_waitcnt lgkmcnt(3)
	v_pk_add_f32 v[12:13], v[6:7], v[12:13]
	ds_bpermute_b32 v10, v22, v2
	ds_bpermute_b32 v11, v22, v3
	;; [unrolled: 1-line block ×4, first 2 shown]
	s_waitcnt lgkmcnt(5)
	v_pk_add_f32 v[4:5], v[4:5], v[8:9]
	s_waitcnt lgkmcnt(4)
	v_add_f32_e32 v8, v24, v1
	ds_bpermute_b32 v9, v22, v8
	v_and_b32_e32 v1, 0x3c3, v0
	s_waitcnt lgkmcnt(3)
	v_pk_add_f32 v[6:7], v[2:3], v[10:11]
	s_waitcnt lgkmcnt(1)
	v_pk_add_f32 v[2:3], v[12:13], v[14:15]
	v_cmp_ne_u32_e32 vcc, 64, v1
	s_waitcnt lgkmcnt(0)
	s_barrier
	s_and_saveexec_b64 s[0:1], vcc
	s_xor_b64 s[0:1], exec, s[0:1]
; %bb.67:
                                        ; implicit-def: $vgpr20
; %bb.68:
	s_or_saveexec_b64 s[0:1], s[0:1]
	v_add_f32_e32 v8, v8, v9
	s_xor_b64 exec, exec, s[0:1]
	s_cbranch_execz .LBB94_70
; %bb.69:
	v_add_u32_e32 v9, 0xf0, v20
	ds_write2_b32 v9, v6, v7 offset1:16
	ds_write2_b32 v9, v4, v5 offset0:32 offset1:48
	ds_write2_b32 v9, v2, v3 offset0:64 offset1:80
	ds_write_b32 v9, v8 offset:384
.LBB94_70:
	s_or_b64 exec, exec, s[0:1]
	v_cmp_gt_u32_e32 vcc, 64, v0
	v_lshrrev_b32_e32 v0, 2, v0
	s_waitcnt lgkmcnt(0)
	s_barrier
	s_and_saveexec_b64 s[0:1], vcc
	s_cbranch_execz .LBB94_80
; %bb.71:
	v_mov_b32_e32 v9, 0xf0
	v_cmp_eq_u32_e32 vcc, 0, v23
	v_lshl_add_u32 v9, v0, 2, v9
	s_and_saveexec_b64 s[2:3], vcc
	s_cbranch_execnz .LBB94_83
; %bb.72:
	s_or_b64 exec, exec, s[2:3]
	s_and_saveexec_b64 s[2:3], vcc
	s_cbranch_execnz .LBB94_84
.LBB94_73:
	s_or_b64 exec, exec, s[2:3]
	s_and_saveexec_b64 s[2:3], vcc
	s_cbranch_execnz .LBB94_85
.LBB94_74:
	s_or_b64 exec, exec, s[2:3]
	s_and_saveexec_b64 s[2:3], vcc
	s_cbranch_execnz .LBB94_86
.LBB94_75:
	s_or_b64 exec, exec, s[2:3]
	s_and_saveexec_b64 s[2:3], vcc
	s_cbranch_execnz .LBB94_87
.LBB94_76:
	s_or_b64 exec, exec, s[2:3]
	s_and_saveexec_b64 s[2:3], vcc
	s_cbranch_execnz .LBB94_88
.LBB94_77:
	s_or_b64 exec, exec, s[2:3]
	s_and_saveexec_b64 s[2:3], vcc
	s_cbranch_execz .LBB94_79
.LBB94_78:
	ds_read_b32 v9, v9 offset:384
	s_waitcnt lgkmcnt(0)
	v_add_f32_e32 v8, v8, v9
.LBB94_79:
	s_or_b64 exec, exec, s[2:3]
.LBB94_80:
	s_or_b64 exec, exec, s[0:1]
	v_cmp_eq_u32_e32 vcc, 0, v1
	s_barrier
	s_and_saveexec_b64 s[0:1], vcc
	s_cbranch_execz .LBB94_82
; %bb.81:
	s_mul_i32 s0, s10, s11
	s_mul_i32 s0, s0, s5
	s_mulk_i32 s0, 0x70
	s_ashr_i32 s1, s0, 31
	s_lshl_b64 s[0:1], s[0:1], 1
	s_add_u32 s2, s22, s0
	s_mul_i32 s0, s11, s20
	s_addc_u32 s3, s23, s1
	s_ashr_i32 s1, s0, 31
	s_lshl_b64 s[0:1], s[0:1], 1
	s_add_u32 s2, s2, s0
	s_mul_i32 s0, s4, 0x70
	s_addc_u32 s3, s3, s1
	s_ashr_i32 s1, s0, 31
	s_lshl_b64 s[0:1], s[0:1], 1
	s_add_u32 s0, s2, s0
	s_addc_u32 s1, s3, s1
	v_lshlrev_b32_e32 v0, 1, v0
	;;#ASMSTART
	v_cvt_f16_f32 v1, v6;

	;;#ASMEND
	global_store_short v0, v1, s[0:1]
	;;#ASMSTART
	v_cvt_f16_f32 v1, v7;

	;;#ASMEND
	global_store_short v0, v1, s[0:1] offset:32
	;;#ASMSTART
	v_cvt_f16_f32 v1, v4;

	;;#ASMEND
	global_store_short v0, v1, s[0:1] offset:64
	;; [unrolled: 5-line block ×6, first 2 shown]
.LBB94_82:
	s_endpgm
.LBB94_83:
	ds_read_b32 v10, v9
	s_waitcnt lgkmcnt(0)
	v_add_f32_e32 v6, v6, v10
	s_or_b64 exec, exec, s[2:3]
	s_and_saveexec_b64 s[2:3], vcc
	s_cbranch_execz .LBB94_73
.LBB94_84:
	ds_read_b32 v10, v9 offset:64
	s_waitcnt lgkmcnt(0)
	v_add_f32_e32 v7, v7, v10
	s_or_b64 exec, exec, s[2:3]
	s_and_saveexec_b64 s[2:3], vcc
	s_cbranch_execz .LBB94_74
.LBB94_85:
	ds_read_b32 v10, v9 offset:128
	s_waitcnt lgkmcnt(0)
	v_add_f32_e32 v4, v4, v10
	s_or_b64 exec, exec, s[2:3]
	s_and_saveexec_b64 s[2:3], vcc
	s_cbranch_execz .LBB94_75
.LBB94_86:
	ds_read_b32 v10, v9 offset:192
	s_waitcnt lgkmcnt(0)
	v_add_f32_e32 v5, v5, v10
	s_or_b64 exec, exec, s[2:3]
	s_and_saveexec_b64 s[2:3], vcc
	s_cbranch_execz .LBB94_76
.LBB94_87:
	ds_read_b32 v10, v9 offset:256
	s_waitcnt lgkmcnt(0)
	v_add_f32_e32 v2, v2, v10
	s_or_b64 exec, exec, s[2:3]
	s_and_saveexec_b64 s[2:3], vcc
	s_cbranch_execz .LBB94_77
.LBB94_88:
	ds_read_b32 v10, v9 offset:320
	s_waitcnt lgkmcnt(0)
	v_add_f32_e32 v3, v3, v10
	s_or_b64 exec, exec, s[2:3]
	s_and_saveexec_b64 s[2:3], vcc
	s_cbranch_execnz .LBB94_78
	s_branch .LBB94_79
	.section	.rodata,"a",@progbits
	.p2align	6, 0x0
	.amdhsa_kernel _ZN4vllm25paged_attention_v1_kernelIttLi112ELi32ELi128ELNS_18Fp8KVCacheDataTypeE0ELb1EEEvPT_PKS2_PKT0_S8_ifPKiSA_iPKfiiiSC_SC_iiiii
		.amdhsa_group_segment_fixed_size 240
		.amdhsa_private_segment_fixed_size 0
		.amdhsa_kernarg_size 384
		.amdhsa_user_sgpr_count 2
		.amdhsa_user_sgpr_dispatch_ptr 0
		.amdhsa_user_sgpr_queue_ptr 0
		.amdhsa_user_sgpr_kernarg_segment_ptr 1
		.amdhsa_user_sgpr_dispatch_id 0
		.amdhsa_user_sgpr_kernarg_preload_length 0
		.amdhsa_user_sgpr_kernarg_preload_offset 0
		.amdhsa_user_sgpr_private_segment_size 0
		.amdhsa_uses_dynamic_stack 0
		.amdhsa_enable_private_segment 0
		.amdhsa_system_sgpr_workgroup_id_x 1
		.amdhsa_system_sgpr_workgroup_id_y 1
		.amdhsa_system_sgpr_workgroup_id_z 1
		.amdhsa_system_sgpr_workgroup_info 0
		.amdhsa_system_vgpr_workitem_id 0
		.amdhsa_next_free_vgpr 79
		.amdhsa_next_free_sgpr 45
		.amdhsa_accum_offset 80
		.amdhsa_reserve_vcc 1
		.amdhsa_float_round_mode_32 0
		.amdhsa_float_round_mode_16_64 0
		.amdhsa_float_denorm_mode_32 3
		.amdhsa_float_denorm_mode_16_64 3
		.amdhsa_dx10_clamp 1
		.amdhsa_ieee_mode 1
		.amdhsa_fp16_overflow 0
		.amdhsa_tg_split 0
		.amdhsa_exception_fp_ieee_invalid_op 0
		.amdhsa_exception_fp_denorm_src 0
		.amdhsa_exception_fp_ieee_div_zero 0
		.amdhsa_exception_fp_ieee_overflow 0
		.amdhsa_exception_fp_ieee_underflow 0
		.amdhsa_exception_fp_ieee_inexact 0
		.amdhsa_exception_int_div_zero 0
	.end_amdhsa_kernel
	.section	.text._ZN4vllm25paged_attention_v1_kernelIttLi112ELi32ELi128ELNS_18Fp8KVCacheDataTypeE0ELb1EEEvPT_PKS2_PKT0_S8_ifPKiSA_iPKfiiiSC_SC_iiiii,"axG",@progbits,_ZN4vllm25paged_attention_v1_kernelIttLi112ELi32ELi128ELNS_18Fp8KVCacheDataTypeE0ELb1EEEvPT_PKS2_PKT0_S8_ifPKiSA_iPKfiiiSC_SC_iiiii,comdat
.Lfunc_end94:
	.size	_ZN4vllm25paged_attention_v1_kernelIttLi112ELi32ELi128ELNS_18Fp8KVCacheDataTypeE0ELb1EEEvPT_PKS2_PKT0_S8_ifPKiSA_iPKfiiiSC_SC_iiiii, .Lfunc_end94-_ZN4vllm25paged_attention_v1_kernelIttLi112ELi32ELi128ELNS_18Fp8KVCacheDataTypeE0ELb1EEEvPT_PKS2_PKT0_S8_ifPKiSA_iPKfiiiSC_SC_iiiii
                                        ; -- End function
	.set _ZN4vllm25paged_attention_v1_kernelIttLi112ELi32ELi128ELNS_18Fp8KVCacheDataTypeE0ELb1EEEvPT_PKS2_PKT0_S8_ifPKiSA_iPKfiiiSC_SC_iiiii.num_vgpr, 79
	.set _ZN4vllm25paged_attention_v1_kernelIttLi112ELi32ELi128ELNS_18Fp8KVCacheDataTypeE0ELb1EEEvPT_PKS2_PKT0_S8_ifPKiSA_iPKfiiiSC_SC_iiiii.num_agpr, 0
	.set _ZN4vllm25paged_attention_v1_kernelIttLi112ELi32ELi128ELNS_18Fp8KVCacheDataTypeE0ELb1EEEvPT_PKS2_PKT0_S8_ifPKiSA_iPKfiiiSC_SC_iiiii.numbered_sgpr, 45
	.set _ZN4vllm25paged_attention_v1_kernelIttLi112ELi32ELi128ELNS_18Fp8KVCacheDataTypeE0ELb1EEEvPT_PKS2_PKT0_S8_ifPKiSA_iPKfiiiSC_SC_iiiii.num_named_barrier, 0
	.set _ZN4vllm25paged_attention_v1_kernelIttLi112ELi32ELi128ELNS_18Fp8KVCacheDataTypeE0ELb1EEEvPT_PKS2_PKT0_S8_ifPKiSA_iPKfiiiSC_SC_iiiii.private_seg_size, 0
	.set _ZN4vllm25paged_attention_v1_kernelIttLi112ELi32ELi128ELNS_18Fp8KVCacheDataTypeE0ELb1EEEvPT_PKS2_PKT0_S8_ifPKiSA_iPKfiiiSC_SC_iiiii.uses_vcc, 1
	.set _ZN4vllm25paged_attention_v1_kernelIttLi112ELi32ELi128ELNS_18Fp8KVCacheDataTypeE0ELb1EEEvPT_PKS2_PKT0_S8_ifPKiSA_iPKfiiiSC_SC_iiiii.uses_flat_scratch, 0
	.set _ZN4vllm25paged_attention_v1_kernelIttLi112ELi32ELi128ELNS_18Fp8KVCacheDataTypeE0ELb1EEEvPT_PKS2_PKT0_S8_ifPKiSA_iPKfiiiSC_SC_iiiii.has_dyn_sized_stack, 0
	.set _ZN4vllm25paged_attention_v1_kernelIttLi112ELi32ELi128ELNS_18Fp8KVCacheDataTypeE0ELb1EEEvPT_PKS2_PKT0_S8_ifPKiSA_iPKfiiiSC_SC_iiiii.has_recursion, 0
	.set _ZN4vllm25paged_attention_v1_kernelIttLi112ELi32ELi128ELNS_18Fp8KVCacheDataTypeE0ELb1EEEvPT_PKS2_PKT0_S8_ifPKiSA_iPKfiiiSC_SC_iiiii.has_indirect_call, 0
	.section	.AMDGPU.csdata,"",@progbits
; Kernel info:
; codeLenInByte = 9948
; TotalNumSgprs: 51
; NumVgprs: 79
; NumAgprs: 0
; TotalNumVgprs: 79
; ScratchSize: 0
; MemoryBound: 0
; FloatMode: 240
; IeeeMode: 1
; LDSByteSize: 240 bytes/workgroup (compile time only)
; SGPRBlocks: 6
; VGPRBlocks: 9
; NumSGPRsForWavesPerEU: 51
; NumVGPRsForWavesPerEU: 79
; AccumOffset: 80
; Occupancy: 6
; WaveLimiterHint : 1
; COMPUTE_PGM_RSRC2:SCRATCH_EN: 0
; COMPUTE_PGM_RSRC2:USER_SGPR: 2
; COMPUTE_PGM_RSRC2:TRAP_HANDLER: 0
; COMPUTE_PGM_RSRC2:TGID_X_EN: 1
; COMPUTE_PGM_RSRC2:TGID_Y_EN: 1
; COMPUTE_PGM_RSRC2:TGID_Z_EN: 1
; COMPUTE_PGM_RSRC2:TIDIG_COMP_CNT: 0
; COMPUTE_PGM_RSRC3_GFX90A:ACCUM_OFFSET: 19
; COMPUTE_PGM_RSRC3_GFX90A:TG_SPLIT: 0
	.section	.text._ZN4vllm25paged_attention_v1_kernelIttLi120ELi32ELi128ELNS_18Fp8KVCacheDataTypeE0ELb1EEEvPT_PKS2_PKT0_S8_ifPKiSA_iPKfiiiSC_SC_iiiii,"axG",@progbits,_ZN4vllm25paged_attention_v1_kernelIttLi120ELi32ELi128ELNS_18Fp8KVCacheDataTypeE0ELb1EEEvPT_PKS2_PKT0_S8_ifPKiSA_iPKfiiiSC_SC_iiiii,comdat
	.protected	_ZN4vllm25paged_attention_v1_kernelIttLi120ELi32ELi128ELNS_18Fp8KVCacheDataTypeE0ELb1EEEvPT_PKS2_PKT0_S8_ifPKiSA_iPKfiiiSC_SC_iiiii ; -- Begin function _ZN4vllm25paged_attention_v1_kernelIttLi120ELi32ELi128ELNS_18Fp8KVCacheDataTypeE0ELb1EEEvPT_PKS2_PKT0_S8_ifPKiSA_iPKfiiiSC_SC_iiiii
	.globl	_ZN4vllm25paged_attention_v1_kernelIttLi120ELi32ELi128ELNS_18Fp8KVCacheDataTypeE0ELb1EEEvPT_PKS2_PKT0_S8_ifPKiSA_iPKfiiiSC_SC_iiiii
	.p2align	8
	.type	_ZN4vllm25paged_attention_v1_kernelIttLi120ELi32ELi128ELNS_18Fp8KVCacheDataTypeE0ELb1EEEvPT_PKS2_PKT0_S8_ifPKiSA_iPKfiiiSC_SC_iiiii,@function
_ZN4vllm25paged_attention_v1_kernelIttLi120ELi32ELi128ELNS_18Fp8KVCacheDataTypeE0ELb1EEEvPT_PKS2_PKT0_S8_ifPKiSA_iPKfiiiSC_SC_iiiii: ; @_ZN4vllm25paged_attention_v1_kernelIttLi120ELi32ELi128ELNS_18Fp8KVCacheDataTypeE0ELb1EEEvPT_PKS2_PKT0_S8_ifPKiSA_iPKfiiiSC_SC_iiiii
; %bb.0:
	s_load_dword s5, s[0:1], 0x80
	s_load_dwordx2 s[6:7], s[0:1], 0x30
	s_load_dwordx2 s[30:31], s[0:1], 0x20
	s_mov_b32 s10, s3
	s_ashr_i32 s11, s3, 31
	s_lshl_b64 s[8:9], s[10:11], 2
	s_waitcnt lgkmcnt(0)
	s_add_u32 s6, s6, s8
	s_addc_u32 s7, s7, s9
	s_abs_i32 s3, s30
	v_cvt_f32_u32_e32 v1, s3
	s_sub_i32 s11, 0, s3
	s_abs_i32 s9, s5
	s_xor_b32 s8, s5, s30
	v_rcp_iflag_f32_e32 v1, v1
	s_ashr_i32 s8, s8, 31
	s_mov_b32 s44, 0
	v_mul_f32_e32 v1, 0x4f7ffffe, v1
	v_cvt_u32_f32_e32 v1, v1
	s_nop 0
	v_readfirstlane_b32 s12, v1
	s_mul_i32 s11, s11, s12
	s_mul_hi_u32 s11, s12, s11
	s_add_i32 s12, s12, s11
	s_mul_hi_u32 s11, s9, s12
	s_mul_i32 s12, s11, s3
	s_sub_i32 s9, s9, s12
	s_add_i32 s12, s11, 1
	s_sub_i32 s13, s9, s3
	s_cmp_ge_u32 s9, s3
	s_cselect_b32 s11, s12, s11
	s_cselect_b32 s9, s13, s9
	s_add_i32 s12, s11, 1
	s_cmp_ge_u32 s9, s3
	s_cselect_b32 s3, s12, s11
	s_xor_b32 s3, s3, s8
	s_sub_i32 s12, s3, s8
	s_abs_i32 s11, s12
	v_cvt_f32_u32_e32 v1, s11
	s_load_dwordx2 s[8:9], s[0:1], 0x40
	s_sub_i32 s3, 0, s11
	s_abs_i32 s22, s2
	v_rcp_iflag_f32_e32 v1, v1
	s_nop 0
	v_mul_f32_e32 v1, 0x4f7ffffe, v1
	v_cvt_u32_f32_e32 v1, v1
	s_nop 0
	v_readfirstlane_b32 s13, v1
	s_mul_i32 s3, s3, s13
	s_mul_hi_u32 s3, s13, s3
	s_add_i32 s13, s13, s3
	s_waitcnt lgkmcnt(0)
	s_cmp_eq_u64 s[8:9], 0
	s_mul_hi_u32 s23, s22, s13
	s_cbranch_scc1 .LBB95_2
; %bb.1:
	s_ashr_i32 s3, s2, 31
	s_lshl_b64 s[14:15], s[2:3], 2
	s_add_u32 s8, s8, s14
	s_addc_u32 s9, s9, s15
	s_load_dword s44, s[8:9], 0x0
.LBB95_2:
	s_load_dword s33, s[6:7], 0x0
	s_ashr_i32 s9, s12, 31
	s_load_dwordx4 s[12:15], s[0:1], 0x48
	s_ashr_i32 s3, s2, 31
	v_and_b32_e32 v4, 1, v0
	s_movk_i32 s8, 0x78
	s_mul_i32 s20, s2, 0x78
	v_cmp_gt_u32_e32 vcc, 30, v0
	v_lshlrev_b32_e32 v1, 3, v0
	s_and_saveexec_b64 s[6:7], vcc
	s_cbranch_execz .LBB95_4
; %bb.3:
	s_load_dwordx2 s[16:17], s[0:1], 0x8
	s_waitcnt lgkmcnt(0)
	s_mul_i32 s18, s12, s10
	s_ashr_i32 s19, s18, 31
	s_lshl_b64 s[18:19], s[18:19], 1
	v_lshlrev_b32_e32 v5, 2, v0
	s_add_u32 s12, s16, s18
	s_addc_u32 s15, s17, s19
	s_ashr_i32 s21, s20, 31
	s_lshl_b64 s[16:17], s[20:21], 1
	s_add_u32 s16, s12, s16
	s_addc_u32 s17, s15, s17
	global_load_dwordx2 v[2:3], v1, s[16:17]
	v_and_b32_e32 v5, 0xff8, v5
	v_mad_u32_u24 v5, v4, s8, v5
	s_waitcnt vmcnt(0)
	ds_write_b64 v5, v[2:3]
.LBB95_4:
	s_or_b64 exec, exec, s[6:7]
	s_mul_i32 s6, s23, s11
	s_sub_i32 s6, s22, s6
	s_xor_b32 s3, s3, s9
	s_add_i32 s7, s23, 1
	s_sub_i32 s9, s6, s11
	s_load_dwordx4 s[16:19], s[0:1], 0x68
	s_load_dword s8, s[0:1], 0x78
	s_cmp_ge_u32 s6, s11
	s_cselect_b32 s7, s7, s23
	s_cselect_b32 s6, s9, s6
	s_add_i32 s9, s7, 1
	s_cmp_ge_u32 s6, s11
	s_cselect_b32 s6, s9, s7
	s_waitcnt lgkmcnt(0)
	s_abs_i32 s21, s19
	v_cvt_f32_u32_e32 v2, s21
	s_xor_b32 s6, s6, s3
	s_sub_i32 s3, s6, s3
	s_sub_i32 s6, 0, s21
	v_rcp_iflag_f32_e32 v2, v2
	s_add_i32 s11, s33, -1
	s_abs_i32 s9, s11
	v_mul_f32_e32 v2, 0x4f7ffffe, v2
	v_cvt_u32_f32_e32 v2, v2
	s_barrier
	v_readfirstlane_b32 s40, v2
	s_mul_i32 s6, s6, s40
	s_mul_hi_u32 s6, s40, s6
	s_add_i32 s40, s40, s6
	s_cmp_lt_i32 s8, 0
	s_mul_hi_u32 s12, s9, s40
	s_cbranch_scc0 .LBB95_6
; %bb.5:
	s_mul_i32 s6, s16, s30
	s_add_i32 s6, s3, s6
	s_mul_i32 s6, s6, s8
	s_sub_i32 s41, 1, s6
	s_mov_b64 s[6:7], 0
	s_branch .LBB95_7
.LBB95_6:
	s_mov_b64 s[6:7], -1
                                        ; implicit-def: $sgpr41
.LBB95_7:
	s_load_dwordx2 s[24:25], s[0:1], 0x28
	s_ashr_i32 s15, s11, 31
	s_andn2_b64 vcc, exec, s[6:7]
	s_ashr_i32 s42, s19, 31
	s_cbranch_vccnz .LBB95_9
; %bb.8:
	s_mul_i32 s6, s5, s16
	s_add_i32 s2, s6, s2
	s_mul_i32 s2, s2, s8
	s_add_i32 s41, s2, 1
.LBB95_9:
	s_load_dword s2, s[0:1], 0x38
	s_load_dwordx2 s[22:23], s[0:1], 0x0
	s_load_dwordx2 s[28:29], s[0:1], 0x18
	s_load_dword s11, s[0:1], 0x88
	s_xor_b32 s6, s15, s42
	s_waitcnt lgkmcnt(0)
	s_mul_i32 s26, s2, s10
	s_mul_i32 s2, s12, s21
	s_sub_i32 s2, s9, s2
	s_ashr_i32 s27, s26, 31
	s_add_i32 s7, s12, 1
	s_sub_i32 s8, s2, s21
	s_cmp_ge_u32 s2, s21
	s_cselect_b32 s7, s7, s12
	s_cselect_b32 s2, s8, s2
	s_add_i32 s8, s7, 1
	s_cmp_ge_u32 s2, s21
	s_cselect_b32 s2, s8, s7
	s_xor_b32 s2, s2, s6
	s_sub_i32 s12, s2, s6
	s_add_i32 s2, s33, 31
	s_ashr_i32 s6, s2, 31
	s_lshr_b32 s6, s6, 27
	s_add_i32 s2, s2, s6
	s_ashr_i32 s43, s2, 5
	v_lshrrev_b32_e32 v32, 6, v0
	v_cmp_le_i32_e64 s[6:7], s43, v32
	v_cmp_gt_i32_e32 vcc, s43, v32
	v_mov_b32_e32 v38, 0xff7fffff
	s_mul_i32 s14, s3, s14
	v_lshrrev_b32_e32 v34, 4, v0
	v_lshlrev_b32_e32 v33, 5, v32
	v_mbcnt_lo_u32_b32 v35, -1, 0
	s_and_saveexec_b64 s[34:35], vcc
	s_cbranch_execz .LBB95_21
; %bb.10:
	s_load_dwordx2 s[0:1], s[0:1], 0x10
	s_ashr_i32 s15, s14, 31
	s_sub_i32 s16, s12, s17
	s_lshl_b64 s[8:9], s[14:15], 1
	v_bfe_u32 v36, v0, 1, 5
	s_waitcnt lgkmcnt(0)
	s_add_u32 s0, s0, s8
	s_addc_u32 s1, s1, s9
	s_abs_i32 s15, s18
	v_cvt_f32_u32_e32 v2, s15
	s_sub_i32 s8, 0, s15
	v_cmp_eq_u32_e64 s[2:3], 0, v4
	v_lshlrev_b32_e32 v6, 4, v36
	v_rcp_iflag_f32_e32 v5, v2
	v_mov_b32_e32 v7, 0
	v_mul_u32_u24_e32 v37, 0x78, v4
	v_lshl_add_u64 v[2:3], s[0:1], 0, v[6:7]
	v_mul_f32_e32 v5, 0x4f7ffffe, v5
	v_cvt_u32_f32_e32 v5, v5
	v_and_b32_e32 v6, 8, v1
	v_lshl_add_u64 v[2:3], v[2:3], 0, v[6:7]
	v_and_b32_e32 v6, 60, v34
	v_mul_lo_u32 v4, s8, v5
	s_lshl_b64 s[8:9], s[26:27], 2
	s_add_u32 s8, s24, s8
	v_mul_hi_u32 v4, v5, v4
	s_addc_u32 s9, s25, s9
	v_add_u32_e32 v39, v5, v4
	v_lshl_add_u64 v[4:5], s[8:9], 0, v[6:7]
	v_subrev_u32_e32 v6, s33, v36
	v_add_u32_e32 v41, 1, v6
	v_lshlrev_b32_e32 v6, 2, v36
	v_lshl_or_b32 v6, v32, 7, v6
	v_mbcnt_hi_u32_b32 v43, -1, v35
	v_add_u32_e32 v42, 0x100, v6
	v_and_b32_e32 v6, 64, v43
	s_mov_b32 s19, s13
	v_cmp_neq_f32_e64 s[0:1], s44, 0
	v_lshlrev_b32_e32 v40, 5, v32
	s_mov_b64 s[36:37], 0
	s_movk_i32 s30, 0x1000
	v_xor_b32_e32 v44, 1, v43
	v_add_u32_e32 v45, 64, v6
	v_mov_b32_e32 v38, 0xff7fffff
	v_mov_b32_e32 v46, v32
	s_branch .LBB95_13
.LBB95_11:                              ;   in Loop: Header=BB95_13 Depth=1
	s_or_b64 exec, exec, s[38:39]
.LBB95_12:                              ;   in Loop: Header=BB95_13 Depth=1
	s_or_b64 exec, exec, s[8:9]
	v_add_u32_e32 v46, 2, v46
	v_cmp_le_i32_e32 vcc, s43, v46
	v_lshl_add_u64 v[4:5], v[4:5], 0, 8
	v_add_u32_e32 v40, 64, v40
	s_or_b64 s[36:37], vcc, s[36:37]
	v_add_u32_e32 v42, 0x100, v42
	s_andn2_b64 exec, exec, s[36:37]
	s_cbranch_execz .LBB95_20
.LBB95_13:                              ; =>This Inner Loop Header: Depth=1
	v_mul_hi_u32 v6, v40, s40
	s_waitcnt lgkmcnt(0)
	v_mul_lo_u32 v7, v6, s21
	v_sub_u32_e32 v7, v40, v7
	v_add_u32_e32 v8, 1, v6
	v_cmp_le_u32_e32 vcc, s21, v7
	s_nop 1
	v_cndmask_b32_e32 v6, v6, v8, vcc
	v_subrev_u32_e32 v8, s21, v7
	v_cndmask_b32_e32 v7, v7, v8, vcc
	v_add_u32_e32 v8, 1, v6
	v_cmp_le_u32_e32 vcc, s21, v7
	s_nop 1
	v_cndmask_b32_e32 v6, v6, v8, vcc
	v_xor_b32_e32 v6, s42, v6
	v_subrev_u32_e32 v6, s42, v6
	v_add_u32_e32 v7, s41, v6
	v_sub_u32_e32 v9, 0, v7
	v_ashrrev_i32_e32 v8, 31, v7
	v_max_i32_e32 v7, v7, v9
	v_mul_hi_u32 v9, v7, v39
	v_mul_lo_u32 v9, v9, s15
	v_sub_u32_e32 v7, v7, v9
	v_subrev_u32_e32 v9, s15, v7
	v_cmp_le_u32_e32 vcc, s15, v7
	v_cmp_ge_i32_e64 s[8:9], s16, v6
	s_nop 0
	v_cndmask_b32_e32 v7, v7, v9, vcc
	v_subrev_u32_e32 v9, s15, v7
	v_cmp_le_u32_e32 vcc, s15, v7
	s_nop 1
	v_cndmask_b32_e32 v7, v7, v9, vcc
	v_xor_b32_e32 v7, v7, v8
	v_sub_u32_e32 v7, v7, v8
	v_cmp_ne_u32_e32 vcc, 0, v7
	s_and_b64 s[8:9], vcc, s[8:9]
	s_and_saveexec_b64 s[38:39], s[8:9]
	s_xor_b64 s[8:9], exec, s[38:39]
	s_cbranch_execz .LBB95_17
; %bb.14:                               ;   in Loop: Header=BB95_13 Depth=1
	s_and_saveexec_b64 s[38:39], s[2:3]
; %bb.15:                               ;   in Loop: Header=BB95_13 Depth=1
	v_mov_b32_e32 v6, 0xff7fffff
	ds_write_b32 v42, v6
; %bb.16:                               ;   in Loop: Header=BB95_13 Depth=1
	s_or_b64 exec, exec, s[38:39]
.LBB95_17:                              ;   in Loop: Header=BB95_13 Depth=1
	s_andn2_saveexec_b64 s[8:9], s[8:9]
	s_cbranch_execz .LBB95_12
; %bb.18:                               ;   in Loop: Header=BB95_13 Depth=1
	global_load_dword v6, v[4:5], off
	s_waitcnt vmcnt(0)
	v_mad_i64_i32 v[6:7], s[38:39], v6, s19, 0
	v_lshl_add_u64 v[6:7], v[6:7], 1, v[2:3]
	v_add_co_u32_e32 v12, vcc, s30, v6
	global_load_dwordx2 v[30:31], v[6:7], off
	global_load_dwordx2 v[28:29], v[6:7], off offset:512
	global_load_dwordx2 v[26:27], v[6:7], off offset:1024
	;; [unrolled: 1-line block ×7, first 2 shown]
	v_addc_co_u32_e32 v13, vcc, 0, v7, vcc
	global_load_dwordx2 v[14:15], v[12:13], off
	ds_read_b64 v[6:7], v37
	v_cmp_lt_i32_e32 vcc, v44, v45
	s_waitcnt lgkmcnt(0)
	v_lshrrev_b32_e32 v47, 16, v6
	v_and_b32_e32 v48, 0xffff, v6
	v_lshrrev_b32_e32 v49, 16, v7
	v_and_b32_e32 v50, 0xffff, v7
	global_load_dwordx2 v[10:11], v[12:13], off offset:512
	global_load_dwordx2 v[8:9], v[12:13], off offset:1024
	;; [unrolled: 1-line block ×3, first 2 shown]
	s_waitcnt vmcnt(11)
	v_lshrrev_b32_e32 v51, 16, v30
	v_and_b32_e32 v30, 0xffff, v30
	v_lshrrev_b32_e32 v52, 16, v31
	v_and_b32_e32 v31, 0xffff, v31
	s_waitcnt vmcnt(10)
	v_lshrrev_b32_e32 v53, 16, v28
	v_and_b32_e32 v54, 0xffff, v28
	v_lshrrev_b32_e32 v55, 16, v29
	v_and_b32_e32 v56, 0xffff, v29
	;; [unrolled: 5-line block ×8, first 2 shown]
	global_load_dwordx2 v[16:17], v[12:13], off offset:2048
	global_load_dwordx2 v[14:15], v[12:13], off offset:2560
	s_nop 0
	global_load_dwordx2 v[12:13], v[12:13], off offset:3072
	;;#ASMSTART
	v_cvt_f32_f16 v22, v48;
	;;#ASMEND
	;;#ASMSTART
	v_cvt_f32_f16 v24, v47;
	;;#ASMEND
	;;#ASMSTART
	v_cvt_f32_f16 v23, v30;
	;;#ASMEND
	;;#ASMSTART
	v_cvt_f32_f16 v25, v51;
	;;#ASMEND
	;;#ASMSTART
	v_cvt_f32_f16 v26, v50;
	;;#ASMEND
	;;#ASMSTART
	v_cvt_f32_f16 v27, v49;
	;;#ASMEND
	;;#ASMSTART
	v_cvt_f32_f16 v28, v31;
	;;#ASMEND
	;;#ASMSTART
	v_cvt_f32_f16 v29, v52;
	;;#ASMEND
	ds_read_b64 v[18:19], v37 offset:8
	v_lshrrev_b32_e32 v69, 16, v20
	v_and_b32_e32 v70, 0xffff, v20
	v_lshrrev_b32_e32 v71, 16, v21
	v_and_b32_e32 v72, 0xffff, v21
	s_waitcnt lgkmcnt(0)
	v_lshrrev_b32_e32 v20, 16, v18
	v_and_b32_e32 v18, 0xffff, v18
	v_lshrrev_b32_e32 v21, 16, v19
	v_and_b32_e32 v30, 0xffff, v19
	;;#ASMSTART
	v_cvt_f32_f16 v18, v18;
	;;#ASMEND
	;;#ASMSTART
	v_cvt_f32_f16 v19, v20;
	;;#ASMEND
	;; [unrolled: 3-line block ×3, first 2 shown]
	s_nop 0
	v_mul_f32_e32 v18, v18, v20
	;;#ASMSTART
	v_cvt_f32_f16 v20, v53;
	;;#ASMEND
	v_fmac_f32_e32 v18, v22, v23
	v_mul_f32_e32 v19, v19, v20
	;;#ASMSTART
	v_cvt_f32_f16 v20, v30;
	;;#ASMEND
	;;#ASMSTART
	v_cvt_f32_f16 v21, v21;
	;;#ASMEND
	;; [unrolled: 3-line block ×3, first 2 shown]
	v_fmac_f32_e32 v19, v24, v25
	v_mul_f32_e32 v20, v20, v30
	;;#ASMSTART
	v_cvt_f32_f16 v30, v55;
	;;#ASMEND
	ds_read_b64 v[22:23], v37 offset:16
	v_mul_f32_e32 v21, v21, v30
	v_fmac_f32_e32 v21, v27, v29
	v_fmac_f32_e32 v20, v26, v28
	s_waitcnt lgkmcnt(0)
	v_lshrrev_b32_e32 v25, 16, v22
	v_and_b32_e32 v22, 0xffff, v22
	v_lshrrev_b32_e32 v29, 16, v23
	v_and_b32_e32 v23, 0xffff, v23
	;;#ASMSTART
	v_cvt_f32_f16 v24, v22;
	;;#ASMEND
	;;#ASMSTART
	v_cvt_f32_f16 v25, v25;
	;;#ASMEND
	;;#ASMSTART
	v_cvt_f32_f16 v26, v58;
	;;#ASMEND
	;;#ASMSTART
	v_cvt_f32_f16 v27, v57;
	;;#ASMEND
	;;#ASMSTART
	v_cvt_f32_f16 v28, v23;
	;;#ASMEND
	;;#ASMSTART
	v_cvt_f32_f16 v29, v29;
	;;#ASMEND
	;;#ASMSTART
	v_cvt_f32_f16 v30, v60;
	;;#ASMEND
	;;#ASMSTART
	v_cvt_f32_f16 v31, v59;
	;;#ASMEND
	ds_read_b64 v[22:23], v37 offset:24
	v_fmac_f32_e32 v19, v25, v27
	v_fmac_f32_e32 v21, v29, v31
	v_fmac_f32_e32 v18, v24, v26
	v_fmac_f32_e32 v20, v28, v30
	s_waitcnt lgkmcnt(0)
	v_lshrrev_b32_e32 v25, 16, v22
	v_and_b32_e32 v22, 0xffff, v22
	v_lshrrev_b32_e32 v29, 16, v23
	v_and_b32_e32 v23, 0xffff, v23
	;;#ASMSTART
	v_cvt_f32_f16 v24, v22;
	;;#ASMEND
	;;#ASMSTART
	v_cvt_f32_f16 v25, v25;
	;;#ASMEND
	;;#ASMSTART
	v_cvt_f32_f16 v26, v62;
	;;#ASMEND
	;;#ASMSTART
	v_cvt_f32_f16 v27, v61;
	;;#ASMEND
	;;#ASMSTART
	v_cvt_f32_f16 v28, v23;
	;;#ASMEND
	;;#ASMSTART
	v_cvt_f32_f16 v29, v29;
	;;#ASMEND
	;;#ASMSTART
	v_cvt_f32_f16 v30, v64;
	;;#ASMEND
	;;#ASMSTART
	v_cvt_f32_f16 v31, v63;
	;;#ASMEND
	ds_read_b64 v[22:23], v37 offset:32
	v_fmac_f32_e32 v19, v25, v27
	v_fmac_f32_e32 v21, v29, v31
	;; [unrolled: 34-line block ×6, first 2 shown]
	v_fmac_f32_e32 v18, v24, v26
	v_fmac_f32_e32 v20, v28, v30
	s_waitcnt lgkmcnt(0)
	v_lshrrev_b32_e32 v25, 16, v22
	v_and_b32_e32 v22, 0xffff, v22
	v_lshrrev_b32_e32 v29, 16, v23
	v_and_b32_e32 v23, 0xffff, v23
	;;#ASMSTART
	v_cvt_f32_f16 v24, v22;
	;;#ASMEND
	;;#ASMSTART
	v_cvt_f32_f16 v25, v25;
	;;#ASMEND
	;; [unrolled: 3-line block ×8, first 2 shown]
	ds_read_b64 v[22:23], v37 offset:72
	v_fmac_f32_e32 v18, v24, v26
	s_waitcnt vmcnt(5)
	v_lshrrev_b32_e32 v26, 16, v10
	v_and_b32_e32 v10, 0xffff, v10
	v_fmac_f32_e32 v19, v25, v27
	s_waitcnt lgkmcnt(0)
	v_lshrrev_b32_e32 v24, 16, v22
	v_and_b32_e32 v22, 0xffff, v22
	;;#ASMSTART
	v_cvt_f32_f16 v22, v22;
	;;#ASMEND
	;;#ASMSTART
	v_cvt_f32_f16 v24, v24;
	;;#ASMEND
	;; [unrolled: 3-line block ×3, first 2 shown]
	v_lshrrev_b32_e32 v10, 16, v23
	v_and_b32_e32 v23, 0xffff, v23
	;;#ASMSTART
	v_cvt_f32_f16 v26, v26;
	;;#ASMEND
	;;#ASMSTART
	v_cvt_f32_f16 v23, v23;
	;;#ASMEND
	;; [unrolled: 3-line block ×3, first 2 shown]
	v_lshrrev_b32_e32 v10, 16, v11
	v_and_b32_e32 v11, 0xffff, v11
	v_fmac_f32_e32 v20, v28, v30
	v_fmac_f32_e32 v21, v29, v31
	;;#ASMSTART
	v_cvt_f32_f16 v28, v11;
	;;#ASMEND
	;;#ASMSTART
	v_cvt_f32_f16 v29, v10;
	;;#ASMEND
	ds_read_b64 v[10:11], v37 offset:80
	v_fmac_f32_e32 v18, v22, v25
	v_fmac_f32_e32 v19, v24, v26
	s_waitcnt vmcnt(4)
	v_lshrrev_b32_e32 v24, 16, v8
	v_and_b32_e32 v8, 0xffff, v8
	s_waitcnt lgkmcnt(0)
	v_lshrrev_b32_e32 v22, 16, v10
	v_and_b32_e32 v10, 0xffff, v10
	v_fmac_f32_e32 v20, v23, v28
	;;#ASMSTART
	v_cvt_f32_f16 v10, v10;
	;;#ASMEND
	;;#ASMSTART
	v_cvt_f32_f16 v22, v22;
	;;#ASMEND
	;; [unrolled: 3-line block ×3, first 2 shown]
	v_lshrrev_b32_e32 v8, 16, v11
	v_and_b32_e32 v11, 0xffff, v11
	;;#ASMSTART
	v_cvt_f32_f16 v24, v24;
	;;#ASMEND
	;;#ASMSTART
	v_cvt_f32_f16 v11, v11;
	;;#ASMEND
	;; [unrolled: 3-line block ×3, first 2 shown]
	v_lshrrev_b32_e32 v8, 16, v9
	v_and_b32_e32 v9, 0xffff, v9
	v_fmac_f32_e32 v21, v27, v29
	;;#ASMSTART
	v_cvt_f32_f16 v26, v9;
	;;#ASMEND
	;;#ASMSTART
	v_cvt_f32_f16 v27, v8;
	;;#ASMEND
	ds_read_b64 v[8:9], v37 offset:88
	v_fmac_f32_e32 v18, v10, v23
	v_fmac_f32_e32 v19, v22, v24
	s_waitcnt vmcnt(3)
	v_lshrrev_b32_e32 v22, 16, v6
	v_and_b32_e32 v6, 0xffff, v6
	s_waitcnt lgkmcnt(0)
	v_lshrrev_b32_e32 v10, 16, v8
	v_and_b32_e32 v8, 0xffff, v8
	v_fmac_f32_e32 v20, v11, v26
	;;#ASMSTART
	v_cvt_f32_f16 v8, v8;
	;;#ASMEND
	;;#ASMSTART
	v_cvt_f32_f16 v10, v10;
	;;#ASMEND
	;; [unrolled: 3-line block ×3, first 2 shown]
	v_lshrrev_b32_e32 v6, 16, v9
	v_and_b32_e32 v9, 0xffff, v9
	;;#ASMSTART
	v_cvt_f32_f16 v22, v22;
	;;#ASMEND
	;;#ASMSTART
	v_cvt_f32_f16 v9, v9;
	;;#ASMEND
	;;#ASMSTART
	v_cvt_f32_f16 v23, v6;
	;;#ASMEND
	v_lshrrev_b32_e32 v6, 16, v7
	v_and_b32_e32 v7, 0xffff, v7
	v_fmac_f32_e32 v21, v25, v27
	;;#ASMSTART
	v_cvt_f32_f16 v24, v7;
	;;#ASMEND
	;;#ASMSTART
	v_cvt_f32_f16 v25, v6;
	;;#ASMEND
	ds_read_b64 v[6:7], v37 offset:96
	v_fmac_f32_e32 v20, v9, v24
	v_fmac_f32_e32 v18, v8, v11
	;; [unrolled: 1-line block ×3, first 2 shown]
	s_waitcnt vmcnt(2)
	v_and_b32_e32 v10, 0xffff, v16
	s_waitcnt lgkmcnt(0)
	v_lshrrev_b32_e32 v9, 16, v6
	v_and_b32_e32 v6, 0xffff, v6
	;;#ASMSTART
	v_cvt_f32_f16 v8, v6;
	;;#ASMEND
	v_lshrrev_b32_e32 v6, 16, v16
	;;#ASMSTART
	v_cvt_f32_f16 v9, v9;
	;;#ASMEND
	;;#ASMSTART
	v_cvt_f32_f16 v10, v10;
	;;#ASMEND
	;;#ASMSTART
	v_cvt_f32_f16 v11, v6;
	;;#ASMEND
	v_lshrrev_b32_e32 v6, 16, v7
	v_and_b32_e32 v7, 0xffff, v7
	;;#ASMSTART
	v_cvt_f32_f16 v16, v7;
	;;#ASMEND
	;;#ASMSTART
	v_cvt_f32_f16 v22, v6;
	;;#ASMEND
	v_lshrrev_b32_e32 v6, 16, v17
	v_and_b32_e32 v7, 0xffff, v17
	v_fmac_f32_e32 v21, v23, v25
	;;#ASMSTART
	v_cvt_f32_f16 v17, v7;
	;;#ASMEND
	;;#ASMSTART
	v_cvt_f32_f16 v23, v6;
	;;#ASMEND
	ds_read_b64 v[6:7], v37 offset:104
	v_fmac_f32_e32 v19, v9, v11
	v_fmac_f32_e32 v18, v8, v10
	s_waitcnt vmcnt(1)
	v_and_b32_e32 v10, 0xffff, v14
	v_fmac_f32_e32 v20, v16, v17
	s_waitcnt lgkmcnt(0)
	v_lshrrev_b32_e32 v9, 16, v6
	v_and_b32_e32 v6, 0xffff, v6
	;;#ASMSTART
	v_cvt_f32_f16 v8, v6;
	;;#ASMEND
	v_lshrrev_b32_e32 v6, 16, v14
	;;#ASMSTART
	v_cvt_f32_f16 v9, v9;
	;;#ASMEND
	;;#ASMSTART
	v_cvt_f32_f16 v10, v10;
	;;#ASMEND
	;; [unrolled: 3-line block ×3, first 2 shown]
	v_lshrrev_b32_e32 v6, 16, v7
	v_and_b32_e32 v7, 0xffff, v7
	;;#ASMSTART
	v_cvt_f32_f16 v14, v7;
	;;#ASMEND
	;;#ASMSTART
	v_cvt_f32_f16 v16, v6;
	;;#ASMEND
	v_lshrrev_b32_e32 v6, 16, v15
	v_and_b32_e32 v7, 0xffff, v15
	;;#ASMSTART
	v_cvt_f32_f16 v15, v7;
	;;#ASMEND
	;;#ASMSTART
	v_cvt_f32_f16 v17, v6;
	;;#ASMEND
	ds_read_b64 v[6:7], v37 offset:112
	v_fmac_f32_e32 v18, v8, v10
	v_fmac_f32_e32 v19, v9, v11
	s_waitcnt vmcnt(0)
	v_lshrrev_b32_e32 v10, 16, v12
	v_and_b32_e32 v9, 0xffff, v12
	s_waitcnt lgkmcnt(0)
	v_lshrrev_b32_e32 v8, 16, v6
	v_and_b32_e32 v6, 0xffff, v6
	;;#ASMSTART
	v_cvt_f32_f16 v6, v6;
	;;#ASMEND
	;;#ASMSTART
	v_cvt_f32_f16 v8, v8;
	;;#ASMEND
	;;#ASMSTART
	v_cvt_f32_f16 v9, v9;
	;;#ASMEND
	;;#ASMSTART
	v_cvt_f32_f16 v10, v10;
	;;#ASMEND
	v_fmac_f32_e32 v21, v22, v23
	v_fmac_f32_e32 v18, v6, v9
	;; [unrolled: 1-line block ×3, first 2 shown]
	v_lshrrev_b32_e32 v8, 16, v7
	v_and_b32_e32 v6, 0xffff, v7
	v_fmac_f32_e32 v20, v14, v15
	;;#ASMSTART
	v_cvt_f32_f16 v6, v6;
	;;#ASMEND
	;;#ASMSTART
	v_cvt_f32_f16 v7, v8;
	;;#ASMEND
	v_and_b32_e32 v8, 0xffff, v13
	v_fmac_f32_e32 v21, v16, v17
	v_lshrrev_b32_e32 v9, 16, v13
	;;#ASMSTART
	v_cvt_f32_f16 v8, v8;
	;;#ASMEND
	;;#ASMSTART
	v_cvt_f32_f16 v9, v9;
	;;#ASMEND
	s_nop 0
	v_fmac_f32_e32 v20, v6, v8
	v_add_f32_e32 v6, v18, v19
	v_fmac_f32_e32 v21, v7, v9
	v_add_f32_e32 v6, v6, v20
	v_cndmask_b32_e32 v7, v43, v44, vcc
	v_add_f32_e32 v6, v21, v6
	v_lshlrev_b32_e32 v7, 2, v7
	ds_bpermute_b32 v7, v7, v6
	s_and_saveexec_b64 s[38:39], s[2:3]
	s_cbranch_execz .LBB95_11
; %bb.19:                               ;   in Loop: Header=BB95_13 Depth=1
	v_add_u32_e32 v8, v41, v40
	v_cvt_f32_i32_e32 v8, v8
	s_waitcnt lgkmcnt(0)
	v_add_f32_e32 v6, v6, v7
	v_add_u32_e32 v9, v36, v40
	v_cmp_gt_i32_e32 vcc, s33, v9
	v_mul_f32_e32 v7, s44, v8
	v_cndmask_b32_e64 v7, 0, v7, s[0:1]
	v_fmac_f32_e32 v7, s31, v6
	v_cndmask_b32_e32 v6, 0, v7, vcc
	ds_write_b32 v42, v6
	v_max_f32_e32 v6, v38, v38
	v_max_f32_e32 v6, v6, v7
	v_cndmask_b32_e32 v38, v38, v6, vcc
	s_branch .LBB95_11
.LBB95_20:
	s_or_b64 exec, exec, s[36:37]
.LBB95_21:
	s_or_b64 exec, exec, s[34:35]
	v_mbcnt_hi_u32_b32 v2, -1, v35
	v_and_b32_e32 v10, 64, v2
	v_add_u32_e32 v11, 64, v10
	v_xor_b32_e32 v3, 32, v2
	v_cmp_lt_i32_e32 vcc, v3, v11
	v_xor_b32_e32 v6, 16, v2
	v_max_f32_e32 v5, v38, v38
	v_cndmask_b32_e32 v3, v2, v3, vcc
	v_lshlrev_b32_e32 v3, 2, v3
	ds_bpermute_b32 v4, v3, v38
	v_cmp_lt_i32_e32 vcc, v6, v11
	s_waitcnt lgkmcnt(1)
	v_xor_b32_e32 v7, 8, v2
	v_xor_b32_e32 v8, 4, v2
	;; [unrolled: 1-line block ×3, first 2 shown]
	s_waitcnt lgkmcnt(0)
	v_max_f32_e32 v4, v4, v4
	v_max_f32_e32 v4, v5, v4
	v_cndmask_b32_e32 v5, v2, v6, vcc
	v_lshlrev_b32_e32 v5, 2, v5
	ds_bpermute_b32 v6, v5, v4
	v_cmp_lt_i32_e32 vcc, v7, v11
	s_waitcnt lgkmcnt(0)
	v_max_f32_e32 v6, v6, v6
	v_max_f32_e32 v4, v4, v6
	v_cndmask_b32_e32 v6, v2, v7, vcc
	v_lshlrev_b32_e32 v6, 2, v6
	ds_bpermute_b32 v7, v6, v4
	v_cmp_lt_i32_e32 vcc, v8, v11
	;; [unrolled: 7-line block ×3, first 2 shown]
	s_waitcnt lgkmcnt(0)
	v_max_f32_e32 v8, v8, v8
	v_max_f32_e32 v9, v4, v8
	v_cndmask_b32_e32 v4, v2, v12, vcc
	v_lshlrev_b32_e32 v25, 2, v4
	ds_bpermute_b32 v12, v25, v9
	v_and_b32_e32 v4, 63, v0
	v_cmp_eq_u32_e32 vcc, 0, v4
	v_lshlrev_b32_e32 v8, 2, v32
	s_and_saveexec_b64 s[0:1], vcc
	s_cbranch_execz .LBB95_23
; %bb.22:
	s_waitcnt lgkmcnt(0)
	v_max_f32_e32 v12, v12, v12
	v_max_f32_e32 v9, v9, v9
	;; [unrolled: 1-line block ×3, first 2 shown]
	ds_write_b32 v8, v9 offset:240
.LBB95_23:
	s_or_b64 exec, exec, s[0:1]
	v_cmp_gt_u32_e64 s[0:1], 2, v4
	s_waitcnt lgkmcnt(0)
	v_mov_b32_e32 v12, 0xff7fffff
	v_lshlrev_b32_e32 v9, 2, v4
	s_barrier
	s_and_saveexec_b64 s[2:3], s[0:1]
; %bb.24:
	ds_read_b32 v12, v9 offset:240
; %bb.25:
	s_or_b64 exec, exec, s[2:3]
	v_xor_b32_e32 v13, 1, v2
	v_cmp_lt_i32_e64 s[2:3], v13, v11
	v_lshlrev_b32_e32 v10, 2, v10
	s_nop 0
	v_cndmask_b32_e64 v11, v2, v13, s[2:3]
	v_lshlrev_b32_e32 v26, 2, v11
	s_waitcnt lgkmcnt(0)
	ds_bpermute_b32 v11, v26, v12
	v_max_f32_e32 v12, v12, v12
	s_lshl_b32 s2, s43, 5
	s_min_i32 s15, s2, s33
	v_cmp_gt_i32_e64 s[2:3], s15, v0
	s_waitcnt lgkmcnt(0)
	v_max_f32_e32 v11, v11, v11
	v_max_f32_e32 v11, v12, v11
	ds_bpermute_b32 v11, v10, v11
	v_mov_b32_e32 v10, 0
	s_and_saveexec_b64 s[30:31], s[2:3]
	s_cbranch_execz .LBB95_29
; %bb.26:
	v_mov_b32_e32 v10, 0x100
	v_lshl_add_u32 v12, v0, 2, v10
	v_mov_b32_e32 v10, 0
	s_mov_b64 s[34:35], 0
	v_mov_b32_e32 v13, v0
.LBB95_27:                              ; =>This Inner Loop Header: Depth=1
	ds_read_b32 v14, v12
	v_add_u32_e32 v13, 0x80, v13
	v_cmp_le_i32_e64 s[8:9], s15, v13
	s_or_b64 s[34:35], s[8:9], s[34:35]
	s_waitcnt lgkmcnt(0)
	v_sub_f32_e32 v14, v14, v11
	v_mul_f32_e32 v14, 0x3fb8aa3b, v14
	v_exp_f32_e32 v14, v14
	ds_write_b32 v12, v14
	v_add_f32_e32 v10, v10, v14
	v_add_u32_e32 v12, 0x200, v12
	s_andn2_b64 exec, exec, s[34:35]
	s_cbranch_execnz .LBB95_27
; %bb.28:
	s_or_b64 exec, exec, s[34:35]
.LBB95_29:
	s_or_b64 exec, exec, s[30:31]
	ds_bpermute_b32 v3, v3, v10
	s_waitcnt lgkmcnt(0)
	v_add_f32_e32 v3, v10, v3
	ds_bpermute_b32 v5, v5, v3
	s_waitcnt lgkmcnt(0)
	v_add_f32_e32 v3, v3, v5
	;; [unrolled: 3-line block ×6, first 2 shown]
	s_and_saveexec_b64 s[8:9], vcc
; %bb.30:
	ds_write_b32 v8, v3 offset:248
; %bb.31:
	s_or_b64 exec, exec, s[8:9]
	s_waitcnt lgkmcnt(0)
	s_barrier
	s_and_saveexec_b64 s[8:9], s[0:1]
; %bb.32:
	ds_read_b32 v3, v9 offset:248
; %bb.33:
	s_or_b64 exec, exec, s[8:9]
	s_waitcnt lgkmcnt(0)
	ds_bpermute_b32 v5, v26, v3
	v_lshlrev_b32_e32 v2, 2, v2
	v_and_b32_e32 v2, 0x100, v2
	s_waitcnt lgkmcnt(0)
	v_add_f32_e32 v3, v3, v5
	ds_bpermute_b32 v2, v2, v3
	s_and_saveexec_b64 s[0:1], s[2:3]
	s_cbranch_execz .LBB95_46
; %bb.34:
	s_waitcnt lgkmcnt(0)
	v_add_f32_e32 v2, 0x358637bd, v2
	v_div_scale_f32 v3, s[2:3], v2, v2, 1.0
	v_rcp_f32_e32 v5, v3
	v_div_scale_f32 v6, vcc, 1.0, v2, 1.0
	s_movk_i32 s2, 0x7f
	v_fma_f32 v7, -v3, v5, 1.0
	v_fmac_f32_e32 v5, v7, v5
	v_mul_f32_e32 v7, v6, v5
	v_fma_f32 v8, -v3, v7, v6
	v_fmac_f32_e32 v7, v8, v5
	v_fma_f32 v3, -v3, v7, v6
	v_div_fmas_f32 v3, v3, v5, v7
	v_xad_u32 v5, v0, -1, s15
	v_div_fixup_f32 v2, v3, v2, 1.0
	v_cmp_lt_u32_e32 vcc, s2, v5
	s_mov_b64 s[8:9], -1
	v_mov_b32_e32 v3, v0
	s_and_saveexec_b64 s[2:3], vcc
	s_cbranch_execz .LBB95_43
; %bb.35:
	v_lshrrev_b32_e32 v5, 7, v5
	v_add_u32_e32 v7, -1, v5
	v_lshrrev_b32_e32 v6, 1, v7
	v_mov_b32_e32 v3, v2
	v_add_u32_e32 v6, 1, v6
	v_cmp_lt_u32_e32 vcc, 13, v7
	v_mov_b32_e32 v9, 0
	s_and_saveexec_b64 s[8:9], vcc
	s_cbranch_execz .LBB95_39
; %bb.36:
	v_mov_b32_e32 v8, 0x100
	v_and_b32_e32 v7, -8, v6
	v_lshl_add_u32 v8, v0, 2, v8
	s_mov_b32 s16, 0
	s_mov_b64 s[30:31], 0
.LBB95_37:                              ; =>This Inner Loop Header: Depth=1
	ds_read2st64_b32 v[10:11], v8 offset1:2
	ds_read2st64_b32 v[12:13], v8 offset0:4 offset1:6
	ds_read2st64_b32 v[14:15], v8 offset0:8 offset1:10
	;; [unrolled: 1-line block ×3, first 2 shown]
	v_add_u32_e32 v7, -8, v7
	s_waitcnt lgkmcnt(3)
	v_pk_mul_f32 v[10:11], v[2:3], v[10:11]
	s_waitcnt lgkmcnt(2)
	v_pk_mul_f32 v[12:13], v[2:3], v[12:13]
	ds_write2st64_b32 v8, v10, v11 offset1:2
	ds_write2st64_b32 v8, v12, v13 offset0:4 offset1:6
	ds_read2st64_b32 v[12:13], v8 offset0:16 offset1:18
	s_waitcnt lgkmcnt(4)
	v_pk_mul_f32 v[10:11], v[2:3], v[14:15]
	ds_write2st64_b32 v8, v10, v11 offset0:8 offset1:10
	s_waitcnt lgkmcnt(4)
	v_pk_mul_f32 v[10:11], v[2:3], v[16:17]
	ds_write2st64_b32 v8, v10, v11 offset0:12 offset1:14
	ds_read2st64_b32 v[10:11], v8 offset0:20 offset1:22
	s_waitcnt lgkmcnt(3)
	v_pk_mul_f32 v[12:13], v[2:3], v[12:13]
	ds_read2st64_b32 v[14:15], v8 offset0:24 offset1:26
	ds_write2st64_b32 v8, v12, v13 offset0:16 offset1:18
	ds_read2st64_b32 v[12:13], v8 offset0:28 offset1:30
	s_waitcnt lgkmcnt(3)
	v_pk_mul_f32 v[10:11], v[2:3], v[10:11]
	ds_write2st64_b32 v8, v10, v11 offset0:20 offset1:22
	s_waitcnt lgkmcnt(3)
	v_pk_mul_f32 v[10:11], v[2:3], v[14:15]
	ds_write2st64_b32 v8, v10, v11 offset0:24 offset1:26
	s_waitcnt lgkmcnt(2)
	v_pk_mul_f32 v[10:11], v[2:3], v[12:13]
	s_add_i32 s16, s16, 16
	v_cmp_eq_u32_e32 vcc, 0, v7
	ds_write2st64_b32 v8, v10, v11 offset0:28 offset1:30
	v_add_u32_e32 v8, 0x2000, v8
	s_or_b64 s[30:31], vcc, s[30:31]
	v_mov_b32_e32 v9, s16
	s_andn2_b64 exec, exec, s[30:31]
	s_cbranch_execnz .LBB95_37
; %bb.38:
	s_or_b64 exec, exec, s[30:31]
.LBB95_39:
	s_or_b64 exec, exec, s[8:9]
	v_and_b32_e32 v6, 7, v6
	v_cmp_ne_u32_e32 vcc, 0, v6
	s_and_saveexec_b64 s[8:9], vcc
	s_cbranch_execz .LBB95_42
; %bb.40:
	v_lshlrev_b32_e32 v7, 9, v9
	v_lshlrev_b32_e32 v8, 2, v0
	s_movk_i32 s16, 0x100
	v_add3_u32 v7, v7, v8, s16
	s_mov_b64 s[30:31], 0
.LBB95_41:                              ; =>This Inner Loop Header: Depth=1
	ds_read2st64_b32 v[8:9], v7 offset1:2
	v_add_u32_e32 v6, -1, v6
	v_cmp_eq_u32_e32 vcc, 0, v6
	s_or_b64 s[30:31], vcc, s[30:31]
	s_waitcnt lgkmcnt(0)
	v_pk_mul_f32 v[8:9], v[2:3], v[8:9]
	ds_write2st64_b32 v7, v8, v9 offset1:2
	v_add_u32_e32 v7, 0x400, v7
	s_andn2_b64 exec, exec, s[30:31]
	s_cbranch_execnz .LBB95_41
.LBB95_42:
	s_or_b64 exec, exec, s[8:9]
	v_add_u32_e32 v5, 1, v5
	v_and_b32_e32 v6, 0x3fffffe, v5
	v_cmp_ne_u32_e32 vcc, v5, v6
	v_lshl_add_u32 v3, v6, 7, v0
	s_orn2_b64 s[8:9], vcc, exec
.LBB95_43:
	s_or_b64 exec, exec, s[2:3]
	s_and_b64 exec, exec, s[8:9]
	s_cbranch_execz .LBB95_46
; %bb.44:
	v_mov_b32_e32 v5, 0x100
	v_lshl_add_u32 v5, v3, 2, v5
	s_mov_b64 s[2:3], 0
.LBB95_45:                              ; =>This Inner Loop Header: Depth=1
	ds_read_b32 v6, v5
	v_add_u32_e32 v3, 0x80, v3
	v_cmp_le_i32_e32 vcc, s15, v3
	s_or_b64 s[2:3], vcc, s[2:3]
	s_waitcnt lgkmcnt(0)
	v_mul_f32_e32 v6, v2, v6
	ds_write_b32 v5, v6
	v_add_u32_e32 v5, 0x200, v5
	s_andn2_b64 exec, exec, s[2:3]
	s_cbranch_execnz .LBB95_45
.LBB95_46:
	s_or_b64 exec, exec, s[0:1]
	v_lshrrev_b32_e32 v27, 2, v4
	s_waitcnt lgkmcnt(0)
	s_barrier
	s_and_saveexec_b64 s[0:1], s[6:7]
	s_xor_b64 s[0:1], exec, s[0:1]
; %bb.47:
	v_lshrrev_b32_e32 v27, 2, v4
                                        ; implicit-def: $vgpr33
                                        ; implicit-def: $vgpr32
                                        ; implicit-def: $vgpr1
                                        ; implicit-def: $vgpr34
; %bb.48:
	s_or_saveexec_b64 s[6:7], s[0:1]
	v_mov_b32_e32 v7, 0
	v_and_b32_e32 v28, 3, v0
	v_mov_b32_e32 v6, 0
	v_mov_b32_e32 v9, 0
	;; [unrolled: 1-line block ×7, first 2 shown]
	s_xor_b64 exec, exec, s[6:7]
	s_cbranch_execz .LBB95_72
; %bb.49:
	s_ashr_i32 s15, s14, 31
	s_sub_i32 s30, s12, s17
	s_lshl_b64 s[0:1], s[14:15], 1
	s_add_u32 s8, s28, s0
	s_addc_u32 s9, s29, s1
	s_abs_i32 s28, s18
	v_and_b32_e32 v29, 24, v1
	v_cvt_f32_u32_e32 v1, s28
	v_or_b32_e32 v3, 0x70, v27
	s_movk_i32 s0, 0x78
	s_sub_i32 s2, 0, s28
	v_rcp_iflag_f32_e32 v1, v1
	v_cmp_gt_u32_e64 s[0:1], s0, v3
	v_lshl_or_b32 v4, v3, 5, v29
	s_add_i32 s29, s43, -1
	v_mul_f32_e32 v1, 0x4f7ffffe, v1
	v_cvt_u32_f32_e32 v1, v1
	v_lshl_or_b32 v2, v27, 5, v29
	v_mov_b32_e32 v15, 0
	v_and_b32_e32 v14, 60, v34
	v_mul_lo_u32 v3, s2, v1
	v_mul_hi_u32 v3, v1, v3
	s_lshl_b64 s[2:3], s[26:27], 2
	v_add_u32_e32 v30, v1, v3
	s_add_u32 s2, s24, s2
	v_lshlrev_b32_e32 v1, 5, v28
	s_addc_u32 s3, s25, s3
	v_lshl_or_b32 v1, v32, 7, v1
	s_mov_b32 s31, s13
	s_mov_b32 s34, s33
	v_lshl_add_u64 v[16:17], s[2:3], 0, v[14:15]
	v_add_u32_e32 v31, 0x100, v1
	s_mov_b64 s[12:13], 0
	v_lshlrev_b32_e32 v14, 1, v2
	s_mov_b32 s24, 0xffff
	s_movk_i32 s25, 0x1000
	v_lshlrev_b32_e32 v18, 1, v4
	v_mov_b32_e32 v12, v15
	v_mov_b32_e32 v13, v15
	;; [unrolled: 1-line block ×8, first 2 shown]
	s_branch .LBB95_53
.LBB95_50:                              ;   in Loop: Header=BB95_53 Depth=1
	s_or_b64 exec, exec, s[18:19]
	v_lshlrev_b32_e32 v20, 16, v20
	v_lshlrev_b32_e32 v1, 16, v1
	v_and_or_b32 v2, v2, s24, v20
	v_and_or_b32 v1, v3, s24, v1
	v_lshlrev_b32_e32 v3, 16, v19
	v_and_or_b32 v3, v4, s24, v3
	;;#ASMSTART
	v_pk_mul_f16 v2, v38, v2;

	;;#ASMEND
	;;#ASMSTART
	v_pk_mul_f16 v1, v39, v1;

	;;#ASMEND
	;;#ASMSTART
	v_pk_mul_f16 v3, v40, v3;

	;;#ASMEND
	;;#ASMSTART
	v_pk_mul_f16 v4, v37, v5;

	;;#ASMEND
	s_nop 0
	;;#ASMSTART
	v_pk_add_f16 v1, v2, v1;

	;;#ASMEND
	s_nop 0
	;;#ASMSTART
	v_pk_add_f16 v1, v1, v3;

	;;#ASMEND
	;; [unrolled: 5-line block ×3, first 2 shown]
	s_nop 0
	v_lshrrev_b32_e32 v2, 16, v1
	v_and_b32_e32 v1, 0xffff, v1
	;;#ASMSTART
	v_cvt_f32_f16 v1, v1;
	;;#ASMEND
	;;#ASMSTART
	v_cvt_f32_f16 v2, v2;
	;;#ASMEND
	s_nop 0
	v_add_f32_e32 v1, v1, v2
	v_add_f32_e32 v7, v7, v1
.LBB95_51:                              ;   in Loop: Header=BB95_53 Depth=1
	s_or_b64 exec, exec, s[16:17]
	v_add_f32_e32 v1, v24, v49
	v_add_f32_e32 v9, v9, v1
	;; [unrolled: 1-line block ×14, first 2 shown]
.LBB95_52:                              ;   in Loop: Header=BB95_53 Depth=1
	s_or_b64 exec, exec, s[14:15]
	v_add_u32_e32 v32, 2, v32
	v_cmp_le_i32_e32 vcc, s43, v32
	v_lshl_add_u64 v[16:17], v[16:17], 0, 8
	v_add_u32_e32 v33, 64, v33
	s_or_b64 s[12:13], vcc, s[12:13]
	v_add_u32_e32 v31, 0x100, v31
	s_andn2_b64 exec, exec, s[12:13]
	s_cbranch_execz .LBB95_71
.LBB95_53:                              ; =>This Inner Loop Header: Depth=1
	v_mul_hi_u32 v1, v33, s40
	v_mul_lo_u32 v2, v1, s21
	v_sub_u32_e32 v2, v33, v2
	v_add_u32_e32 v3, 1, v1
	v_cmp_le_u32_e32 vcc, s21, v2
	s_nop 1
	v_cndmask_b32_e32 v1, v1, v3, vcc
	v_subrev_u32_e32 v3, s21, v2
	v_cndmask_b32_e32 v2, v2, v3, vcc
	v_add_u32_e32 v3, 1, v1
	v_cmp_le_u32_e32 vcc, s21, v2
	s_nop 1
	v_cndmask_b32_e32 v1, v1, v3, vcc
	v_xor_b32_e32 v1, s42, v1
	v_subrev_u32_e32 v1, s42, v1
	v_add_u32_e32 v2, s41, v1
	v_sub_u32_e32 v4, 0, v2
	v_ashrrev_i32_e32 v3, 31, v2
	v_max_i32_e32 v2, v2, v4
	v_mul_hi_u32 v4, v2, v30
	v_mul_lo_u32 v4, v4, s28
	v_sub_u32_e32 v2, v2, v4
	v_subrev_u32_e32 v4, s28, v2
	v_cmp_le_u32_e32 vcc, s28, v2
	v_cmp_lt_i32_e64 s[2:3], s30, v1
	s_nop 0
	v_cndmask_b32_e32 v2, v2, v4, vcc
	v_subrev_u32_e32 v4, s28, v2
	v_cmp_le_u32_e32 vcc, s28, v2
	s_nop 1
	v_cndmask_b32_e32 v2, v2, v4, vcc
	v_xor_b32_e32 v2, v2, v3
	v_sub_u32_e32 v2, v2, v3
	v_cmp_eq_u32_e32 vcc, 0, v2
	s_or_b64 s[2:3], vcc, s[2:3]
	s_and_saveexec_b64 s[14:15], s[2:3]
	s_cbranch_execz .LBB95_52
; %bb.54:                               ;   in Loop: Header=BB95_53 Depth=1
	global_load_dword v1, v[16:17], off
	ds_read2_b64 v[2:5], v31 offset1:1
	ds_read2_b64 v[20:23], v31 offset0:2 offset1:3
	v_add_u32_e32 v34, v29, v33
	s_waitcnt lgkmcnt(1)
	;;#ASMSTART
	v_cvt_f16_f32 v19, v2;

	;;#ASMEND
	;;#ASMSTART
	v_cvt_f16_f32 v35, v3;

	;;#ASMEND
	;;#ASMSTART
	v_cvt_f16_f32 v36, v4;

	;;#ASMEND
	;;#ASMSTART
	v_cvt_f16_f32 v37, v5;

	;;#ASMEND
	s_waitcnt lgkmcnt(0)
	;;#ASMSTART
	v_cvt_f16_f32 v40, v20;

	;;#ASMEND
	;;#ASMSTART
	v_cvt_f16_f32 v41, v21;

	;;#ASMEND
	;; [unrolled: 4-line block ×4, first 2 shown]
	s_waitcnt vmcnt(0)
	v_mad_i64_i32 v[2:3], s[2:3], v1, s31, 0
	v_lshl_add_u64 v[20:21], v[2:3], 1, s[8:9]
	v_lshl_add_u64 v[22:23], v[20:21], 0, v[14:15]
	global_load_dwordx4 v[2:5], v[22:23], off
	v_cmp_eq_u32_e64 s[2:3], s29, v32
	s_waitcnt vmcnt(0)
	v_lshrrev_b32_e32 v1, 16, v3
	v_lshrrev_b32_e32 v24, 16, v2
	;; [unrolled: 1-line block ×3, first 2 shown]
	s_and_saveexec_b64 s[16:17], s[2:3]
	s_cbranch_execz .LBB95_56
; %bb.55:                               ;   in Loop: Header=BB95_53 Depth=1
	v_cmp_gt_i32_e32 vcc, s33, v34
	v_add_u32_e32 v45, 2, v34
	v_or_b32_e32 v38, 3, v34
	v_cndmask_b32_e32 v2, 0, v2, vcc
	v_cmp_gt_i32_e32 vcc, s33, v45
	v_or_b32_e32 v39, 1, v34
	s_nop 0
	v_cndmask_b32_e32 v3, 0, v3, vcc
	v_cmp_gt_i32_e32 vcc, s34, v38
	v_add_u32_e32 v38, 4, v34
	s_nop 0
	v_cndmask_b32_e32 v1, 0, v1, vcc
	v_cmp_gt_i32_e32 vcc, s33, v39
	v_add_u32_e32 v39, 7, v34
	;; [unrolled: 4-line block ×4, first 2 shown]
	s_nop 0
	v_cndmask_b32_e32 v44, 0, v44, vcc
	v_cmp_gt_i32_e32 vcc, s33, v38
	s_nop 1
	v_cndmask_b32_sdwa v38, v15, v5, vcc dst_sel:DWORD dst_unused:UNUSED_PAD src0_sel:DWORD src1_sel:WORD_0
	v_and_b32_e32 v5, 0xffff0000, v5
	v_cmp_gt_i32_e32 vcc, s33, v39
	s_nop 1
	v_cndmask_b32_e32 v5, 0, v5, vcc
	v_or_b32_e32 v5, v38, v5
.LBB95_56:                              ;   in Loop: Header=BB95_53 Depth=1
	s_or_b64 exec, exec, s[16:17]
	v_and_b32_e32 v19, 0xffff, v19
	v_lshl_or_b32 v38, v35, 16, v19
	v_and_b32_e32 v19, 0xffff, v36
	v_lshl_or_b32 v39, v37, 16, v19
	;; [unrolled: 2-line block ×4, first 2 shown]
	v_lshlrev_b32_e32 v19, 16, v24
	v_lshlrev_b32_e32 v1, 16, v1
	v_and_or_b32 v2, v2, s24, v19
	v_and_or_b32 v1, v3, s24, v1
	v_lshlrev_b32_e32 v3, 16, v44
	v_and_or_b32 v3, v4, s24, v3
	;;#ASMSTART
	v_pk_mul_f16 v2, v38, v2;

	;;#ASMEND
	;;#ASMSTART
	v_pk_mul_f16 v1, v39, v1;

	;;#ASMEND
	;;#ASMSTART
	v_pk_mul_f16 v3, v40, v3;

	;;#ASMEND
	;;#ASMSTART
	v_pk_mul_f16 v4, v37, v5;

	;;#ASMEND
	s_nop 0
	;;#ASMSTART
	v_pk_add_f16 v1, v2, v1;

	;;#ASMEND
	s_nop 0
	;;#ASMSTART
	v_pk_add_f16 v1, v1, v3;

	;;#ASMEND
	;; [unrolled: 5-line block ×3, first 2 shown]
	s_nop 0
	v_lshrrev_b32_e32 v2, 16, v1
	v_and_b32_e32 v1, 0xffff, v1
	;;#ASMSTART
	v_cvt_f32_f16 v35, v1;
	;;#ASMEND
	;;#ASMSTART
	v_cvt_f32_f16 v36, v2;
	;;#ASMEND
	global_load_dwordx4 v[2:5], v[22:23], off offset:1024
	s_waitcnt vmcnt(0)
	v_lshrrev_b32_e32 v1, 16, v3
	v_lshrrev_b32_e32 v24, 16, v2
	;; [unrolled: 1-line block ×3, first 2 shown]
	s_and_saveexec_b64 s[16:17], s[2:3]
	s_cbranch_execz .LBB95_58
; %bb.57:                               ;   in Loop: Header=BB95_53 Depth=1
	v_cmp_gt_i32_e32 vcc, s33, v34
	v_add_u32_e32 v43, 2, v34
	v_or_b32_e32 v41, 3, v34
	v_cndmask_b32_e32 v2, 0, v2, vcc
	v_cmp_gt_i32_e32 vcc, s33, v43
	v_or_b32_e32 v42, 1, v34
	s_nop 0
	v_cndmask_b32_e32 v3, 0, v3, vcc
	v_cmp_gt_i32_e32 vcc, s34, v41
	v_add_u32_e32 v41, 4, v34
	s_nop 0
	v_cndmask_b32_e32 v1, 0, v1, vcc
	v_cmp_gt_i32_e32 vcc, s33, v42
	v_add_u32_e32 v42, 7, v34
	;; [unrolled: 4-line block ×4, first 2 shown]
	s_nop 0
	v_cndmask_b32_e32 v19, 0, v19, vcc
	v_cmp_gt_i32_e32 vcc, s33, v41
	s_nop 1
	v_cndmask_b32_sdwa v41, v15, v5, vcc dst_sel:DWORD dst_unused:UNUSED_PAD src0_sel:DWORD src1_sel:WORD_0
	v_and_b32_e32 v5, 0xffff0000, v5
	v_cmp_gt_i32_e32 vcc, s33, v42
	s_nop 1
	v_cndmask_b32_e32 v5, 0, v5, vcc
	v_or_b32_e32 v5, v41, v5
.LBB95_58:                              ;   in Loop: Header=BB95_53 Depth=1
	s_or_b64 exec, exec, s[16:17]
	v_lshlrev_b32_e32 v24, 16, v24
	v_lshlrev_b32_e32 v1, 16, v1
	v_and_or_b32 v2, v2, s24, v24
	v_and_or_b32 v1, v3, s24, v1
	v_lshlrev_b32_e32 v3, 16, v19
	v_and_or_b32 v3, v4, s24, v3
	;;#ASMSTART
	v_pk_mul_f16 v2, v38, v2;

	;;#ASMEND
	;;#ASMSTART
	v_pk_mul_f16 v1, v39, v1;

	;;#ASMEND
	;; [unrolled: 4-line block ×4, first 2 shown]
	s_nop 0
	;;#ASMSTART
	v_pk_add_f16 v1, v2, v1;

	;;#ASMEND
	s_nop 0
	;;#ASMSTART
	v_pk_add_f16 v1, v1, v3;

	;;#ASMEND
	;; [unrolled: 5-line block ×3, first 2 shown]
	s_nop 0
	v_lshrrev_b32_e32 v2, 16, v1
	v_and_b32_e32 v1, 0xffff, v1
	;;#ASMSTART
	v_cvt_f32_f16 v41, v1;
	;;#ASMEND
	;;#ASMSTART
	v_cvt_f32_f16 v42, v2;
	;;#ASMEND
	global_load_dwordx4 v[2:5], v[22:23], off offset:2048
	s_waitcnt vmcnt(0)
	v_lshrrev_b32_e32 v1, 16, v3
	v_lshrrev_b32_e32 v24, 16, v2
	;; [unrolled: 1-line block ×3, first 2 shown]
	s_and_saveexec_b64 s[16:17], s[2:3]
	s_cbranch_execz .LBB95_60
; %bb.59:                               ;   in Loop: Header=BB95_53 Depth=1
	v_cmp_gt_i32_e32 vcc, s33, v34
	v_add_u32_e32 v45, 2, v34
	v_or_b32_e32 v43, 3, v34
	v_cndmask_b32_e32 v2, 0, v2, vcc
	v_cmp_gt_i32_e32 vcc, s33, v45
	v_or_b32_e32 v44, 1, v34
	s_nop 0
	v_cndmask_b32_e32 v3, 0, v3, vcc
	v_cmp_gt_i32_e32 vcc, s34, v43
	v_add_u32_e32 v43, 4, v34
	s_nop 0
	v_cndmask_b32_e32 v1, 0, v1, vcc
	v_cmp_gt_i32_e32 vcc, s33, v44
	v_add_u32_e32 v44, 7, v34
	;; [unrolled: 4-line block ×4, first 2 shown]
	s_nop 0
	v_cndmask_b32_e32 v19, 0, v19, vcc
	v_cmp_gt_i32_e32 vcc, s33, v43
	s_nop 1
	v_cndmask_b32_sdwa v43, v15, v5, vcc dst_sel:DWORD dst_unused:UNUSED_PAD src0_sel:DWORD src1_sel:WORD_0
	v_and_b32_e32 v5, 0xffff0000, v5
	v_cmp_gt_i32_e32 vcc, s33, v44
	s_nop 1
	v_cndmask_b32_e32 v5, 0, v5, vcc
	v_or_b32_e32 v5, v43, v5
.LBB95_60:                              ;   in Loop: Header=BB95_53 Depth=1
	s_or_b64 exec, exec, s[16:17]
	v_lshlrev_b32_e32 v24, 16, v24
	v_lshlrev_b32_e32 v1, 16, v1
	v_and_or_b32 v2, v2, s24, v24
	v_and_or_b32 v1, v3, s24, v1
	v_lshlrev_b32_e32 v3, 16, v19
	v_and_or_b32 v3, v4, s24, v3
	;;#ASMSTART
	v_pk_mul_f16 v2, v38, v2;

	;;#ASMEND
	;;#ASMSTART
	v_pk_mul_f16 v1, v39, v1;

	;;#ASMEND
	;; [unrolled: 4-line block ×4, first 2 shown]
	s_nop 0
	;;#ASMSTART
	v_pk_add_f16 v1, v2, v1;

	;;#ASMEND
	s_nop 0
	;;#ASMSTART
	v_pk_add_f16 v1, v1, v3;

	;;#ASMEND
	;; [unrolled: 5-line block ×3, first 2 shown]
	s_nop 0
	v_lshrrev_b32_e32 v2, 16, v1
	v_and_b32_e32 v1, 0xffff, v1
	;;#ASMSTART
	v_cvt_f32_f16 v43, v1;
	;;#ASMEND
	;;#ASMSTART
	v_cvt_f32_f16 v44, v2;
	;;#ASMEND
	global_load_dwordx4 v[2:5], v[22:23], off offset:3072
	s_waitcnt vmcnt(0)
	v_lshrrev_b32_e32 v1, 16, v3
	v_lshrrev_b32_e32 v24, 16, v2
	v_lshrrev_b32_e32 v19, 16, v4
	s_and_saveexec_b64 s[16:17], s[2:3]
	s_cbranch_execz .LBB95_62
; %bb.61:                               ;   in Loop: Header=BB95_53 Depth=1
	v_cmp_gt_i32_e32 vcc, s33, v34
	v_add_u32_e32 v47, 2, v34
	v_or_b32_e32 v45, 3, v34
	v_cndmask_b32_e32 v2, 0, v2, vcc
	v_cmp_gt_i32_e32 vcc, s33, v47
	v_or_b32_e32 v46, 1, v34
	s_nop 0
	v_cndmask_b32_e32 v3, 0, v3, vcc
	v_cmp_gt_i32_e32 vcc, s34, v45
	v_add_u32_e32 v45, 4, v34
	s_nop 0
	v_cndmask_b32_e32 v1, 0, v1, vcc
	v_cmp_gt_i32_e32 vcc, s33, v46
	v_add_u32_e32 v46, 7, v34
	;; [unrolled: 4-line block ×4, first 2 shown]
	s_nop 0
	v_cndmask_b32_e32 v19, 0, v19, vcc
	v_cmp_gt_i32_e32 vcc, s33, v45
	s_nop 1
	v_cndmask_b32_sdwa v45, v15, v5, vcc dst_sel:DWORD dst_unused:UNUSED_PAD src0_sel:DWORD src1_sel:WORD_0
	v_and_b32_e32 v5, 0xffff0000, v5
	v_cmp_gt_i32_e32 vcc, s33, v46
	s_nop 1
	v_cndmask_b32_e32 v5, 0, v5, vcc
	v_or_b32_e32 v5, v45, v5
.LBB95_62:                              ;   in Loop: Header=BB95_53 Depth=1
	s_or_b64 exec, exec, s[16:17]
	v_lshlrev_b32_e32 v24, 16, v24
	v_lshlrev_b32_e32 v1, 16, v1
	v_and_or_b32 v2, v2, s24, v24
	v_and_or_b32 v1, v3, s24, v1
	v_lshlrev_b32_e32 v3, 16, v19
	v_and_or_b32 v3, v4, s24, v3
	;;#ASMSTART
	v_pk_mul_f16 v2, v38, v2;

	;;#ASMEND
	;;#ASMSTART
	v_pk_mul_f16 v1, v39, v1;

	;;#ASMEND
	;; [unrolled: 4-line block ×4, first 2 shown]
	v_add_co_u32_e32 v22, vcc, s25, v22
	;;#ASMSTART
	v_pk_add_f16 v1, v2, v1;

	;;#ASMEND
	s_nop 0
	;;#ASMSTART
	v_pk_add_f16 v1, v1, v3;

	;;#ASMEND
	s_nop 0
	v_addc_co_u32_e32 v23, vcc, 0, v23, vcc
	;;#ASMSTART
	v_pk_add_f16 v1, v1, v4;

	;;#ASMEND
	s_nop 0
	v_lshrrev_b32_e32 v2, 16, v1
	v_and_b32_e32 v1, 0xffff, v1
	;;#ASMSTART
	v_cvt_f32_f16 v45, v1;
	;;#ASMEND
	;;#ASMSTART
	v_cvt_f32_f16 v46, v2;
	;;#ASMEND
	global_load_dwordx4 v[2:5], v[22:23], off
	s_waitcnt vmcnt(0)
	v_lshrrev_b32_e32 v1, 16, v3
	v_lshrrev_b32_e32 v24, 16, v2
	;; [unrolled: 1-line block ×3, first 2 shown]
	s_and_saveexec_b64 s[16:17], s[2:3]
	s_cbranch_execz .LBB95_64
; %bb.63:                               ;   in Loop: Header=BB95_53 Depth=1
	v_cmp_gt_i32_e32 vcc, s33, v34
	v_add_u32_e32 v49, 2, v34
	v_or_b32_e32 v47, 3, v34
	v_cndmask_b32_e32 v2, 0, v2, vcc
	v_cmp_gt_i32_e32 vcc, s33, v49
	v_or_b32_e32 v48, 1, v34
	s_nop 0
	v_cndmask_b32_e32 v3, 0, v3, vcc
	v_cmp_gt_i32_e32 vcc, s34, v47
	v_add_u32_e32 v47, 4, v34
	s_nop 0
	v_cndmask_b32_e32 v1, 0, v1, vcc
	v_cmp_gt_i32_e32 vcc, s33, v48
	v_add_u32_e32 v48, 7, v34
	;; [unrolled: 4-line block ×4, first 2 shown]
	s_nop 0
	v_cndmask_b32_e32 v19, 0, v19, vcc
	v_cmp_gt_i32_e32 vcc, s33, v47
	s_nop 1
	v_cndmask_b32_sdwa v47, v15, v5, vcc dst_sel:DWORD dst_unused:UNUSED_PAD src0_sel:DWORD src1_sel:WORD_0
	v_and_b32_e32 v5, 0xffff0000, v5
	v_cmp_gt_i32_e32 vcc, s33, v48
	s_nop 1
	v_cndmask_b32_e32 v5, 0, v5, vcc
	v_or_b32_e32 v5, v47, v5
.LBB95_64:                              ;   in Loop: Header=BB95_53 Depth=1
	s_or_b64 exec, exec, s[16:17]
	v_lshlrev_b32_e32 v24, 16, v24
	v_lshlrev_b32_e32 v1, 16, v1
	v_and_or_b32 v2, v2, s24, v24
	v_and_or_b32 v1, v3, s24, v1
	v_lshlrev_b32_e32 v3, 16, v19
	v_and_or_b32 v3, v4, s24, v3
	;;#ASMSTART
	v_pk_mul_f16 v2, v38, v2;

	;;#ASMEND
	;;#ASMSTART
	v_pk_mul_f16 v1, v39, v1;

	;;#ASMEND
	;; [unrolled: 4-line block ×4, first 2 shown]
	s_nop 0
	;;#ASMSTART
	v_pk_add_f16 v1, v2, v1;

	;;#ASMEND
	s_nop 0
	;;#ASMSTART
	v_pk_add_f16 v1, v1, v3;

	;;#ASMEND
	;; [unrolled: 5-line block ×3, first 2 shown]
	s_nop 0
	v_lshrrev_b32_e32 v2, 16, v1
	v_and_b32_e32 v1, 0xffff, v1
	;;#ASMSTART
	v_cvt_f32_f16 v47, v1;
	;;#ASMEND
	;;#ASMSTART
	v_cvt_f32_f16 v48, v2;
	;;#ASMEND
	global_load_dwordx4 v[2:5], v[22:23], off offset:1024
	s_waitcnt vmcnt(0)
	v_lshrrev_b32_e32 v1, 16, v3
	v_lshrrev_b32_e32 v24, 16, v2
	v_lshrrev_b32_e32 v19, 16, v4
	s_and_saveexec_b64 s[16:17], s[2:3]
	s_cbranch_execz .LBB95_66
; %bb.65:                               ;   in Loop: Header=BB95_53 Depth=1
	v_cmp_gt_i32_e32 vcc, s33, v34
	v_add_u32_e32 v51, 2, v34
	v_or_b32_e32 v49, 3, v34
	v_cndmask_b32_e32 v2, 0, v2, vcc
	v_cmp_gt_i32_e32 vcc, s33, v51
	v_or_b32_e32 v50, 1, v34
	s_nop 0
	v_cndmask_b32_e32 v3, 0, v3, vcc
	v_cmp_gt_i32_e32 vcc, s34, v49
	v_add_u32_e32 v49, 4, v34
	s_nop 0
	v_cndmask_b32_e32 v1, 0, v1, vcc
	v_cmp_gt_i32_e32 vcc, s33, v50
	v_add_u32_e32 v50, 7, v34
	;; [unrolled: 4-line block ×4, first 2 shown]
	s_nop 0
	v_cndmask_b32_e32 v19, 0, v19, vcc
	v_cmp_gt_i32_e32 vcc, s33, v49
	s_nop 1
	v_cndmask_b32_sdwa v49, v15, v5, vcc dst_sel:DWORD dst_unused:UNUSED_PAD src0_sel:DWORD src1_sel:WORD_0
	v_and_b32_e32 v5, 0xffff0000, v5
	v_cmp_gt_i32_e32 vcc, s33, v50
	s_nop 1
	v_cndmask_b32_e32 v5, 0, v5, vcc
	v_or_b32_e32 v5, v49, v5
.LBB95_66:                              ;   in Loop: Header=BB95_53 Depth=1
	s_or_b64 exec, exec, s[16:17]
	v_lshlrev_b32_e32 v24, 16, v24
	v_lshlrev_b32_e32 v1, 16, v1
	v_and_or_b32 v2, v2, s24, v24
	v_and_or_b32 v1, v3, s24, v1
	v_lshlrev_b32_e32 v3, 16, v19
	v_and_or_b32 v3, v4, s24, v3
	;;#ASMSTART
	v_pk_mul_f16 v2, v38, v2;

	;;#ASMEND
	;;#ASMSTART
	v_pk_mul_f16 v1, v39, v1;

	;;#ASMEND
	;; [unrolled: 4-line block ×4, first 2 shown]
	s_nop 0
	;;#ASMSTART
	v_pk_add_f16 v1, v2, v1;

	;;#ASMEND
	s_nop 0
	;;#ASMSTART
	v_pk_add_f16 v1, v1, v3;

	;;#ASMEND
	;; [unrolled: 5-line block ×3, first 2 shown]
	s_nop 0
	v_lshrrev_b32_e32 v2, 16, v1
	v_and_b32_e32 v1, 0xffff, v1
	;;#ASMSTART
	v_cvt_f32_f16 v24, v1;
	;;#ASMEND
	;;#ASMSTART
	v_cvt_f32_f16 v49, v2;
	;;#ASMEND
	global_load_dwordx4 v[2:5], v[22:23], off offset:2048
	s_waitcnt vmcnt(0)
	v_lshrrev_b32_e32 v1, 16, v3
	v_lshrrev_b32_e32 v22, 16, v2
	;; [unrolled: 1-line block ×3, first 2 shown]
	s_and_saveexec_b64 s[16:17], s[2:3]
	s_cbranch_execz .LBB95_68
; %bb.67:                               ;   in Loop: Header=BB95_53 Depth=1
	v_cmp_gt_i32_e32 vcc, s33, v34
	v_add_u32_e32 v51, 2, v34
	v_or_b32_e32 v23, 3, v34
	v_cndmask_b32_e32 v2, 0, v2, vcc
	v_cmp_gt_i32_e32 vcc, s33, v51
	v_or_b32_e32 v50, 1, v34
	s_nop 0
	v_cndmask_b32_e32 v3, 0, v3, vcc
	v_cmp_gt_i32_e32 vcc, s34, v23
	v_add_u32_e32 v23, 4, v34
	s_nop 0
	v_cndmask_b32_e32 v1, 0, v1, vcc
	v_cmp_gt_i32_e32 vcc, s33, v50
	v_add_u32_e32 v50, 7, v34
	;; [unrolled: 4-line block ×4, first 2 shown]
	s_nop 0
	v_cndmask_b32_e32 v19, 0, v19, vcc
	v_cmp_gt_i32_e32 vcc, s33, v23
	s_nop 1
	v_cndmask_b32_sdwa v23, v15, v5, vcc dst_sel:DWORD dst_unused:UNUSED_PAD src0_sel:DWORD src1_sel:WORD_0
	v_and_b32_e32 v5, 0xffff0000, v5
	v_cmp_gt_i32_e32 vcc, s33, v50
	s_nop 1
	v_cndmask_b32_e32 v5, 0, v5, vcc
	v_or_b32_e32 v5, v23, v5
.LBB95_68:                              ;   in Loop: Header=BB95_53 Depth=1
	s_or_b64 exec, exec, s[16:17]
	v_lshlrev_b32_e32 v22, 16, v22
	v_lshlrev_b32_e32 v1, 16, v1
	v_and_or_b32 v2, v2, s24, v22
	v_and_or_b32 v1, v3, s24, v1
	v_lshlrev_b32_e32 v3, 16, v19
	v_and_or_b32 v3, v4, s24, v3
	;;#ASMSTART
	v_pk_mul_f16 v2, v38, v2;

	;;#ASMEND
	;;#ASMSTART
	v_pk_mul_f16 v1, v39, v1;

	;;#ASMEND
	;; [unrolled: 4-line block ×4, first 2 shown]
	s_nop 0
	;;#ASMSTART
	v_pk_add_f16 v1, v2, v1;

	;;#ASMEND
	s_nop 0
	;;#ASMSTART
	v_pk_add_f16 v1, v1, v3;

	;;#ASMEND
	;; [unrolled: 5-line block ×3, first 2 shown]
	s_nop 0
	v_lshrrev_b32_e32 v2, 16, v1
	v_and_b32_e32 v1, 0xffff, v1
	;;#ASMSTART
	v_cvt_f32_f16 v22, v1;
	;;#ASMEND
	;;#ASMSTART
	v_cvt_f32_f16 v23, v2;
	;;#ASMEND
	s_and_saveexec_b64 s[16:17], s[0:1]
	s_cbranch_execz .LBB95_51
; %bb.69:                               ;   in Loop: Header=BB95_53 Depth=1
	v_mov_b32_e32 v19, v15
	v_lshl_add_u64 v[2:3], v[20:21], 0, v[18:19]
	global_load_dwordx4 v[2:5], v[2:3], off
	s_waitcnt vmcnt(0)
	v_lshrrev_b32_e32 v1, 16, v3
	v_lshrrev_b32_e32 v20, 16, v2
	;; [unrolled: 1-line block ×3, first 2 shown]
	s_and_saveexec_b64 s[18:19], s[2:3]
	s_cbranch_execz .LBB95_50
; %bb.70:                               ;   in Loop: Header=BB95_53 Depth=1
	v_cmp_gt_i32_e32 vcc, s33, v34
	v_add_u32_e32 v51, 2, v34
	v_or_b32_e32 v21, 3, v34
	v_cndmask_b32_e32 v2, 0, v2, vcc
	v_cmp_gt_i32_e32 vcc, s33, v51
	v_or_b32_e32 v50, 1, v34
	s_nop 0
	v_cndmask_b32_e32 v3, 0, v3, vcc
	v_cmp_gt_i32_e32 vcc, s34, v21
	v_add_u32_e32 v21, 4, v34
	s_nop 0
	v_cndmask_b32_e32 v1, 0, v1, vcc
	v_cmp_gt_i32_e32 vcc, s33, v50
	s_nop 1
	v_cndmask_b32_e32 v20, 0, v20, vcc
	v_cmp_gt_i32_e32 vcc, s33, v21
	v_add_u32_e32 v21, 5, v34
	s_nop 0
	v_cndmask_b32_e32 v4, 0, v4, vcc
	v_cmp_gt_i32_e32 vcc, s33, v21
	v_add_u32_e32 v21, 6, v34
	v_add_u32_e32 v34, 7, v34
	v_cndmask_b32_e32 v19, 0, v19, vcc
	v_cmp_gt_i32_e32 vcc, s33, v21
	s_nop 1
	v_cndmask_b32_sdwa v21, v15, v5, vcc dst_sel:DWORD dst_unused:UNUSED_PAD src0_sel:DWORD src1_sel:WORD_0
	v_and_b32_e32 v5, 0xffff0000, v5
	v_cmp_gt_i32_e32 vcc, s33, v34
	s_nop 1
	v_cndmask_b32_e32 v5, 0, v5, vcc
	v_or_b32_e32 v5, v21, v5
	s_branch .LBB95_50
.LBB95_71:
	s_or_b64 exec, exec, s[12:13]
.LBB95_72:
	s_or_b64 exec, exec, s[6:7]
	ds_bpermute_b32 v4, v25, v10
	ds_bpermute_b32 v5, v25, v11
	;; [unrolled: 1-line block ×6, first 2 shown]
	s_waitcnt lgkmcnt(4)
	v_pk_add_f32 v[4:5], v[10:11], v[4:5]
	ds_bpermute_b32 v10, v25, v8
	ds_bpermute_b32 v11, v25, v9
	s_waitcnt lgkmcnt(4)
	v_pk_add_f32 v[2:3], v[12:13], v[2:3]
	s_waitcnt lgkmcnt(2)
	v_pk_add_f32 v[16:17], v[6:7], v[16:17]
	ds_bpermute_b32 v12, v26, v2
	ds_bpermute_b32 v13, v26, v3
	s_waitcnt lgkmcnt(2)
	v_pk_add_f32 v[10:11], v[8:9], v[10:11]
	ds_bpermute_b32 v14, v26, v4
	ds_bpermute_b32 v15, v26, v5
	;; [unrolled: 1-line block ×6, first 2 shown]
	v_and_b32_e32 v1, 0x3c0, v0
	s_waitcnt lgkmcnt(6)
	v_pk_add_f32 v[8:9], v[2:3], v[12:13]
	s_waitcnt lgkmcnt(4)
	v_pk_add_f32 v[6:7], v[4:5], v[14:15]
	;; [unrolled: 2-line block ×4, first 2 shown]
	v_cmp_eq_u32_e64 s[0:1], 64, v1
	v_cmp_eq_u32_e32 vcc, 0, v28
	s_barrier
	s_and_saveexec_b64 s[2:3], s[0:1]
	s_cbranch_execz .LBB95_77
; %bb.73:
	s_and_saveexec_b64 s[0:1], vcc
	s_cbranch_execz .LBB95_75
; %bb.74:
	v_mov_b32_e32 v1, 0x100
	v_lshl_add_u32 v1, v27, 2, v1
	ds_write2_b32 v1, v8, v9 offset1:16
	ds_write2_b32 v1, v6, v7 offset0:32 offset1:48
	ds_write2_b32 v1, v4, v5 offset0:64 offset1:80
	ds_write_b32 v1, v2 offset:384
.LBB95_75:
	s_or_b64 exec, exec, s[0:1]
	v_or_b32_e32 v1, 0x70, v27
	s_movk_i32 s0, 0x78
	v_cmp_gt_u32_e64 s[0:1], s0, v1
	s_and_b64 s[0:1], vcc, s[0:1]
	s_and_b64 exec, exec, s[0:1]
; %bb.76:
	v_mov_b32_e32 v1, 0x100
	v_lshl_add_u32 v1, v27, 2, v1
	ds_write_b32 v1, v3 offset:448
.LBB95_77:
	s_or_b64 exec, exec, s[2:3]
	v_cmp_gt_u32_e64 s[0:1], 64, v0
	v_lshrrev_b32_e32 v0, 2, v0
	s_waitcnt lgkmcnt(0)
	s_barrier
	s_and_saveexec_b64 s[6:7], s[0:1]
	s_cbranch_execz .LBB95_95
; %bb.78:
	s_and_saveexec_b64 s[2:3], vcc
	s_cbranch_execz .LBB95_80
; %bb.79:
	v_mov_b32_e32 v1, 0x100
	v_lshl_add_u32 v1, v0, 2, v1
	ds_read_b32 v1, v1
	s_waitcnt lgkmcnt(0)
	v_add_f32_e32 v8, v8, v1
.LBB95_80:
	s_or_b64 exec, exec, s[2:3]
	v_or_b32_e32 v1, 16, v0
	s_movk_i32 s8, 0x78
	v_cmp_gt_u32_e64 s[2:3], s8, v1
	s_and_b64 s[12:13], vcc, s[2:3]
	s_and_saveexec_b64 s[2:3], s[12:13]
	s_cbranch_execz .LBB95_82
; %bb.81:
	v_mov_b32_e32 v1, 0x100
	v_lshl_add_u32 v1, v0, 2, v1
	ds_read_b32 v1, v1 offset:64
	s_waitcnt lgkmcnt(0)
	v_add_f32_e32 v9, v9, v1
.LBB95_82:
	s_or_b64 exec, exec, s[2:3]
	v_or_b32_e32 v1, 32, v0
	v_cmp_gt_u32_e64 s[2:3], s8, v1
	s_and_b64 s[8:9], vcc, s[2:3]
	s_and_saveexec_b64 s[2:3], s[8:9]
	s_cbranch_execz .LBB95_84
; %bb.83:
	v_mov_b32_e32 v1, 0x100
	v_lshl_add_u32 v1, v0, 2, v1
	ds_read_b32 v1, v1 offset:128
	s_waitcnt lgkmcnt(0)
	v_add_f32_e32 v6, v6, v1
.LBB95_84:
	s_or_b64 exec, exec, s[2:3]
	v_or_b32_e32 v1, 48, v0
	s_movk_i32 s8, 0x78
	v_cmp_gt_u32_e64 s[2:3], s8, v1
	s_and_b64 s[12:13], vcc, s[2:3]
	s_and_saveexec_b64 s[2:3], s[12:13]
	s_cbranch_execz .LBB95_86
; %bb.85:
	v_mov_b32_e32 v1, 0x100
	v_lshl_add_u32 v1, v0, 2, v1
	ds_read_b32 v1, v1 offset:192
	s_waitcnt lgkmcnt(0)
	v_add_f32_e32 v7, v7, v1
.LBB95_86:
	s_or_b64 exec, exec, s[2:3]
	v_or_b32_e32 v1, 64, v0
	v_cmp_gt_u32_e64 s[2:3], s8, v1
	s_and_b64 s[8:9], vcc, s[2:3]
	s_and_saveexec_b64 s[2:3], s[8:9]
	s_cbranch_execz .LBB95_88
; %bb.87:
	v_mov_b32_e32 v1, 0x100
	v_lshl_add_u32 v1, v0, 2, v1
	ds_read_b32 v1, v1 offset:256
	s_waitcnt lgkmcnt(0)
	v_add_f32_e32 v4, v4, v1
.LBB95_88:
	;; [unrolled: 27-line block ×3, first 2 shown]
	s_or_b64 exec, exec, s[2:3]
	v_or_b32_e32 v1, 0x70, v0
	s_movk_i32 s2, 0x78
	v_cmp_gt_u32_e64 s[2:3], s2, v1
	s_and_b64 s[8:9], vcc, s[2:3]
	s_and_saveexec_b64 s[2:3], s[8:9]
	s_cbranch_execz .LBB95_94
; %bb.93:
	v_mov_b32_e32 v1, 0x100
	v_lshl_add_u32 v1, v0, 2, v1
	ds_read_b32 v1, v1 offset:448
	s_waitcnt lgkmcnt(0)
	v_add_f32_e32 v3, v3, v1
.LBB95_94:
	s_or_b64 exec, exec, s[2:3]
.LBB95_95:
	s_or_b64 exec, exec, s[6:7]
	s_barrier
	s_and_saveexec_b64 s[2:3], s[0:1]
	s_cbranch_execz .LBB95_112
; %bb.96:
	s_mul_i32 s0, s10, s11
	s_mul_i32 s0, s0, s5
	s_mulk_i32 s0, 0x78
	s_ashr_i32 s1, s0, 31
	s_lshl_b64 s[0:1], s[0:1], 1
	s_add_u32 s2, s22, s0
	s_mul_i32 s0, s11, s20
	s_addc_u32 s3, s23, s1
	s_ashr_i32 s1, s0, 31
	s_lshl_b64 s[0:1], s[0:1], 1
	s_add_u32 s2, s2, s0
	s_mul_i32 s0, s4, 0x78
	s_addc_u32 s3, s3, s1
	s_ashr_i32 s1, s0, 31
	s_lshl_b64 s[0:1], s[0:1], 1
	s_add_u32 s2, s2, s0
	s_movk_i32 s5, 0x78
	s_addc_u32 s3, s3, s1
	v_lshlrev_b32_e32 v1, 1, v0
	s_and_saveexec_b64 s[0:1], vcc
	s_cbranch_execz .LBB95_98
; %bb.97:
	;;#ASMSTART
	v_cvt_f16_f32 v8, v8;

	;;#ASMEND
	global_store_short v1, v8, s[2:3]
.LBB95_98:
	s_or_b64 exec, exec, s[0:1]
	v_or_b32_e32 v8, 16, v0
	v_cmp_gt_u32_e64 s[0:1], s5, v8
	s_and_b64 s[4:5], vcc, s[0:1]
	s_and_saveexec_b64 s[0:1], s[4:5]
	s_cbranch_execz .LBB95_100
; %bb.99:
	;;#ASMSTART
	v_cvt_f16_f32 v8, v9;

	;;#ASMEND
	global_store_short v1, v8, s[2:3] offset:32
.LBB95_100:
	s_or_b64 exec, exec, s[0:1]
	v_or_b32_e32 v8, 32, v0
	s_movk_i32 s4, 0x78
	v_cmp_gt_u32_e64 s[0:1], s4, v8
	s_and_b64 s[6:7], vcc, s[0:1]
	s_and_saveexec_b64 s[0:1], s[6:7]
	s_cbranch_execz .LBB95_102
; %bb.101:
	;;#ASMSTART
	v_cvt_f16_f32 v6, v6;

	;;#ASMEND
	global_store_short v1, v6, s[2:3] offset:64
.LBB95_102:
	s_or_b64 exec, exec, s[0:1]
	v_or_b32_e32 v6, 48, v0
	v_cmp_gt_u32_e64 s[0:1], s4, v6
	s_and_b64 s[4:5], vcc, s[0:1]
	s_and_saveexec_b64 s[0:1], s[4:5]
	s_cbranch_execz .LBB95_104
; %bb.103:
	;;#ASMSTART
	v_cvt_f16_f32 v6, v7;

	;;#ASMEND
	global_store_short v1, v6, s[2:3] offset:96
.LBB95_104:
	s_or_b64 exec, exec, s[0:1]
	v_or_b32_e32 v6, 64, v0
	s_movk_i32 s4, 0x78
	v_cmp_gt_u32_e64 s[0:1], s4, v6
	s_and_b64 s[6:7], vcc, s[0:1]
	s_and_saveexec_b64 s[0:1], s[6:7]
	s_cbranch_execz .LBB95_106
; %bb.105:
	;;#ASMSTART
	v_cvt_f16_f32 v4, v4;

	;;#ASMEND
	global_store_short v1, v4, s[2:3] offset:128
.LBB95_106:
	;; [unrolled: 27-line block ×3, first 2 shown]
	s_or_b64 exec, exec, s[0:1]
	v_or_b32_e32 v0, 0x70, v0
	v_cmp_gt_u32_e64 s[0:1], s4, v0
	s_and_b64 s[0:1], vcc, s[0:1]
	s_and_b64 exec, exec, s[0:1]
	s_cbranch_execz .LBB95_112
; %bb.111:
	;;#ASMSTART
	v_cvt_f16_f32 v0, v3;

	;;#ASMEND
	global_store_short v1, v0, s[2:3] offset:224
.LBB95_112:
	s_endpgm
	.section	.rodata,"a",@progbits
	.p2align	6, 0x0
	.amdhsa_kernel _ZN4vllm25paged_attention_v1_kernelIttLi120ELi32ELi128ELNS_18Fp8KVCacheDataTypeE0ELb1EEEvPT_PKS2_PKT0_S8_ifPKiSA_iPKfiiiSC_SC_iiiii
		.amdhsa_group_segment_fixed_size 256
		.amdhsa_private_segment_fixed_size 0
		.amdhsa_kernarg_size 384
		.amdhsa_user_sgpr_count 2
		.amdhsa_user_sgpr_dispatch_ptr 0
		.amdhsa_user_sgpr_queue_ptr 0
		.amdhsa_user_sgpr_kernarg_segment_ptr 1
		.amdhsa_user_sgpr_dispatch_id 0
		.amdhsa_user_sgpr_kernarg_preload_length 0
		.amdhsa_user_sgpr_kernarg_preload_offset 0
		.amdhsa_user_sgpr_private_segment_size 0
		.amdhsa_uses_dynamic_stack 0
		.amdhsa_enable_private_segment 0
		.amdhsa_system_sgpr_workgroup_id_x 1
		.amdhsa_system_sgpr_workgroup_id_y 1
		.amdhsa_system_sgpr_workgroup_id_z 1
		.amdhsa_system_sgpr_workgroup_info 0
		.amdhsa_system_vgpr_workitem_id 0
		.amdhsa_next_free_vgpr 85
		.amdhsa_next_free_sgpr 45
		.amdhsa_accum_offset 88
		.amdhsa_reserve_vcc 1
		.amdhsa_float_round_mode_32 0
		.amdhsa_float_round_mode_16_64 0
		.amdhsa_float_denorm_mode_32 3
		.amdhsa_float_denorm_mode_16_64 3
		.amdhsa_dx10_clamp 1
		.amdhsa_ieee_mode 1
		.amdhsa_fp16_overflow 0
		.amdhsa_tg_split 0
		.amdhsa_exception_fp_ieee_invalid_op 0
		.amdhsa_exception_fp_denorm_src 0
		.amdhsa_exception_fp_ieee_div_zero 0
		.amdhsa_exception_fp_ieee_overflow 0
		.amdhsa_exception_fp_ieee_underflow 0
		.amdhsa_exception_fp_ieee_inexact 0
		.amdhsa_exception_int_div_zero 0
	.end_amdhsa_kernel
	.section	.text._ZN4vllm25paged_attention_v1_kernelIttLi120ELi32ELi128ELNS_18Fp8KVCacheDataTypeE0ELb1EEEvPT_PKS2_PKT0_S8_ifPKiSA_iPKfiiiSC_SC_iiiii,"axG",@progbits,_ZN4vllm25paged_attention_v1_kernelIttLi120ELi32ELi128ELNS_18Fp8KVCacheDataTypeE0ELb1EEEvPT_PKS2_PKT0_S8_ifPKiSA_iPKfiiiSC_SC_iiiii,comdat
.Lfunc_end95:
	.size	_ZN4vllm25paged_attention_v1_kernelIttLi120ELi32ELi128ELNS_18Fp8KVCacheDataTypeE0ELb1EEEvPT_PKS2_PKT0_S8_ifPKiSA_iPKfiiiSC_SC_iiiii, .Lfunc_end95-_ZN4vllm25paged_attention_v1_kernelIttLi120ELi32ELi128ELNS_18Fp8KVCacheDataTypeE0ELb1EEEvPT_PKS2_PKT0_S8_ifPKiSA_iPKfiiiSC_SC_iiiii
                                        ; -- End function
	.set _ZN4vllm25paged_attention_v1_kernelIttLi120ELi32ELi128ELNS_18Fp8KVCacheDataTypeE0ELb1EEEvPT_PKS2_PKT0_S8_ifPKiSA_iPKfiiiSC_SC_iiiii.num_vgpr, 85
	.set _ZN4vllm25paged_attention_v1_kernelIttLi120ELi32ELi128ELNS_18Fp8KVCacheDataTypeE0ELb1EEEvPT_PKS2_PKT0_S8_ifPKiSA_iPKfiiiSC_SC_iiiii.num_agpr, 0
	.set _ZN4vllm25paged_attention_v1_kernelIttLi120ELi32ELi128ELNS_18Fp8KVCacheDataTypeE0ELb1EEEvPT_PKS2_PKT0_S8_ifPKiSA_iPKfiiiSC_SC_iiiii.numbered_sgpr, 45
	.set _ZN4vllm25paged_attention_v1_kernelIttLi120ELi32ELi128ELNS_18Fp8KVCacheDataTypeE0ELb1EEEvPT_PKS2_PKT0_S8_ifPKiSA_iPKfiiiSC_SC_iiiii.num_named_barrier, 0
	.set _ZN4vllm25paged_attention_v1_kernelIttLi120ELi32ELi128ELNS_18Fp8KVCacheDataTypeE0ELb1EEEvPT_PKS2_PKT0_S8_ifPKiSA_iPKfiiiSC_SC_iiiii.private_seg_size, 0
	.set _ZN4vllm25paged_attention_v1_kernelIttLi120ELi32ELi128ELNS_18Fp8KVCacheDataTypeE0ELb1EEEvPT_PKS2_PKT0_S8_ifPKiSA_iPKfiiiSC_SC_iiiii.uses_vcc, 1
	.set _ZN4vllm25paged_attention_v1_kernelIttLi120ELi32ELi128ELNS_18Fp8KVCacheDataTypeE0ELb1EEEvPT_PKS2_PKT0_S8_ifPKiSA_iPKfiiiSC_SC_iiiii.uses_flat_scratch, 0
	.set _ZN4vllm25paged_attention_v1_kernelIttLi120ELi32ELi128ELNS_18Fp8KVCacheDataTypeE0ELb1EEEvPT_PKS2_PKT0_S8_ifPKiSA_iPKfiiiSC_SC_iiiii.has_dyn_sized_stack, 0
	.set _ZN4vllm25paged_attention_v1_kernelIttLi120ELi32ELi128ELNS_18Fp8KVCacheDataTypeE0ELb1EEEvPT_PKS2_PKT0_S8_ifPKiSA_iPKfiiiSC_SC_iiiii.has_recursion, 0
	.set _ZN4vllm25paged_attention_v1_kernelIttLi120ELi32ELi128ELNS_18Fp8KVCacheDataTypeE0ELb1EEEvPT_PKS2_PKT0_S8_ifPKiSA_iPKfiiiSC_SC_iiiii.has_indirect_call, 0
	.section	.AMDGPU.csdata,"",@progbits
; Kernel info:
; codeLenInByte = 11368
; TotalNumSgprs: 51
; NumVgprs: 85
; NumAgprs: 0
; TotalNumVgprs: 85
; ScratchSize: 0
; MemoryBound: 0
; FloatMode: 240
; IeeeMode: 1
; LDSByteSize: 256 bytes/workgroup (compile time only)
; SGPRBlocks: 6
; VGPRBlocks: 10
; NumSGPRsForWavesPerEU: 51
; NumVGPRsForWavesPerEU: 85
; AccumOffset: 88
; Occupancy: 5
; WaveLimiterHint : 1
; COMPUTE_PGM_RSRC2:SCRATCH_EN: 0
; COMPUTE_PGM_RSRC2:USER_SGPR: 2
; COMPUTE_PGM_RSRC2:TRAP_HANDLER: 0
; COMPUTE_PGM_RSRC2:TGID_X_EN: 1
; COMPUTE_PGM_RSRC2:TGID_Y_EN: 1
; COMPUTE_PGM_RSRC2:TGID_Z_EN: 1
; COMPUTE_PGM_RSRC2:TIDIG_COMP_CNT: 0
; COMPUTE_PGM_RSRC3_GFX90A:ACCUM_OFFSET: 21
; COMPUTE_PGM_RSRC3_GFX90A:TG_SPLIT: 0
	.section	.text._ZN4vllm25paged_attention_v1_kernelIttLi128ELi32ELi128ELNS_18Fp8KVCacheDataTypeE0ELb1EEEvPT_PKS2_PKT0_S8_ifPKiSA_iPKfiiiSC_SC_iiiii,"axG",@progbits,_ZN4vllm25paged_attention_v1_kernelIttLi128ELi32ELi128ELNS_18Fp8KVCacheDataTypeE0ELb1EEEvPT_PKS2_PKT0_S8_ifPKiSA_iPKfiiiSC_SC_iiiii,comdat
	.protected	_ZN4vllm25paged_attention_v1_kernelIttLi128ELi32ELi128ELNS_18Fp8KVCacheDataTypeE0ELb1EEEvPT_PKS2_PKT0_S8_ifPKiSA_iPKfiiiSC_SC_iiiii ; -- Begin function _ZN4vllm25paged_attention_v1_kernelIttLi128ELi32ELi128ELNS_18Fp8KVCacheDataTypeE0ELb1EEEvPT_PKS2_PKT0_S8_ifPKiSA_iPKfiiiSC_SC_iiiii
	.globl	_ZN4vllm25paged_attention_v1_kernelIttLi128ELi32ELi128ELNS_18Fp8KVCacheDataTypeE0ELb1EEEvPT_PKS2_PKT0_S8_ifPKiSA_iPKfiiiSC_SC_iiiii
	.p2align	8
	.type	_ZN4vllm25paged_attention_v1_kernelIttLi128ELi32ELi128ELNS_18Fp8KVCacheDataTypeE0ELb1EEEvPT_PKS2_PKT0_S8_ifPKiSA_iPKfiiiSC_SC_iiiii,@function
_ZN4vllm25paged_attention_v1_kernelIttLi128ELi32ELi128ELNS_18Fp8KVCacheDataTypeE0ELb1EEEvPT_PKS2_PKT0_S8_ifPKiSA_iPKfiiiSC_SC_iiiii: ; @_ZN4vllm25paged_attention_v1_kernelIttLi128ELi32ELi128ELNS_18Fp8KVCacheDataTypeE0ELb1EEEvPT_PKS2_PKT0_S8_ifPKiSA_iPKfiiiSC_SC_iiiii
; %bb.0:
	s_load_dword s5, s[0:1], 0x80
	s_load_dwordx2 s[6:7], s[0:1], 0x30
	s_load_dwordx2 s[30:31], s[0:1], 0x20
	s_mov_b32 s10, s3
	s_ashr_i32 s11, s3, 31
	s_lshl_b64 s[8:9], s[10:11], 2
	s_waitcnt lgkmcnt(0)
	s_add_u32 s6, s6, s8
	s_addc_u32 s7, s7, s9
	s_abs_i32 s3, s30
	v_cvt_f32_u32_e32 v1, s3
	s_sub_i32 s11, 0, s3
	s_abs_i32 s9, s5
	s_xor_b32 s8, s5, s30
	v_rcp_iflag_f32_e32 v1, v1
	s_ashr_i32 s8, s8, 31
	s_mov_b32 s42, 0
	v_mul_f32_e32 v1, 0x4f7ffffe, v1
	v_cvt_u32_f32_e32 v1, v1
	s_nop 0
	v_readfirstlane_b32 s12, v1
	s_mul_i32 s11, s11, s12
	s_mul_hi_u32 s11, s12, s11
	s_add_i32 s12, s12, s11
	s_mul_hi_u32 s11, s9, s12
	s_mul_i32 s12, s11, s3
	s_sub_i32 s9, s9, s12
	s_add_i32 s12, s11, 1
	s_sub_i32 s13, s9, s3
	s_cmp_ge_u32 s9, s3
	s_cselect_b32 s11, s12, s11
	s_cselect_b32 s9, s13, s9
	s_add_i32 s12, s11, 1
	s_cmp_ge_u32 s9, s3
	s_cselect_b32 s3, s12, s11
	s_xor_b32 s3, s3, s8
	s_sub_i32 s12, s3, s8
	s_abs_i32 s11, s12
	v_cvt_f32_u32_e32 v1, s11
	s_load_dwordx2 s[8:9], s[0:1], 0x40
	s_sub_i32 s3, 0, s11
	s_abs_i32 s22, s2
	v_rcp_iflag_f32_e32 v1, v1
	s_nop 0
	v_mul_f32_e32 v1, 0x4f7ffffe, v1
	v_cvt_u32_f32_e32 v1, v1
	s_nop 0
	v_readfirstlane_b32 s13, v1
	s_mul_i32 s3, s3, s13
	s_mul_hi_u32 s3, s13, s3
	s_add_i32 s13, s13, s3
	s_waitcnt lgkmcnt(0)
	s_cmp_eq_u64 s[8:9], 0
	s_mul_hi_u32 s23, s22, s13
	s_cbranch_scc1 .LBB96_2
; %bb.1:
	s_ashr_i32 s3, s2, 31
	s_lshl_b64 s[14:15], s[2:3], 2
	s_add_u32 s8, s8, s14
	s_addc_u32 s9, s9, s15
	s_load_dword s42, s[8:9], 0x0
.LBB96_2:
	s_load_dword s33, s[6:7], 0x0
	s_ashr_i32 s9, s12, 31
	s_load_dwordx4 s[12:15], s[0:1], 0x48
	s_ashr_i32 s3, s2, 31
	v_and_b32_e32 v4, 1, v0
	s_lshl_b32 s20, s2, 7
	v_cmp_gt_u32_e32 vcc, 32, v0
	v_lshlrev_b32_e32 v1, 3, v0
	s_and_saveexec_b64 s[6:7], vcc
	s_cbranch_execz .LBB96_4
; %bb.3:
	s_load_dwordx2 s[16:17], s[0:1], 0x8
	s_waitcnt lgkmcnt(0)
	s_mul_i32 s18, s12, s10
	s_ashr_i32 s19, s18, 31
	s_lshl_b64 s[18:19], s[18:19], 1
	v_lshlrev_b32_e32 v5, 2, v0
	s_add_u32 s8, s16, s18
	s_addc_u32 s12, s17, s19
	s_ashr_i32 s21, s20, 31
	s_lshl_b64 s[16:17], s[20:21], 1
	s_add_u32 s16, s8, s16
	s_addc_u32 s17, s12, s17
	global_load_dwordx2 v[2:3], v1, s[16:17]
	v_and_b32_e32 v5, 0xff8, v5
	v_lshl_add_u32 v5, v4, 7, v5
	s_waitcnt vmcnt(0)
	ds_write_b64 v5, v[2:3]
.LBB96_4:
	s_or_b64 exec, exec, s[6:7]
	s_mul_i32 s6, s23, s11
	s_sub_i32 s6, s22, s6
	s_xor_b32 s3, s3, s9
	s_add_i32 s7, s23, 1
	s_sub_i32 s9, s6, s11
	s_load_dwordx4 s[16:19], s[0:1], 0x68
	s_load_dword s8, s[0:1], 0x78
	s_cmp_ge_u32 s6, s11
	s_cselect_b32 s7, s7, s23
	s_cselect_b32 s6, s9, s6
	s_add_i32 s9, s7, 1
	s_cmp_ge_u32 s6, s11
	s_cselect_b32 s6, s9, s7
	s_waitcnt lgkmcnt(0)
	s_abs_i32 s21, s19
	v_cvt_f32_u32_e32 v2, s21
	s_xor_b32 s6, s6, s3
	s_sub_i32 s3, s6, s3
	s_sub_i32 s6, 0, s21
	v_rcp_iflag_f32_e32 v2, v2
	s_add_i32 s11, s33, -1
	s_abs_i32 s9, s11
	v_mul_f32_e32 v2, 0x4f7ffffe, v2
	v_cvt_u32_f32_e32 v2, v2
	s_barrier
	v_readfirstlane_b32 s40, v2
	s_mul_i32 s6, s6, s40
	s_mul_hi_u32 s6, s40, s6
	s_add_i32 s40, s40, s6
	s_cmp_lt_i32 s8, 0
	s_mul_hi_u32 s12, s9, s40
	s_cbranch_scc0 .LBB96_6
; %bb.5:
	s_mul_i32 s6, s16, s30
	s_add_i32 s6, s3, s6
	s_mul_i32 s6, s6, s8
	s_sub_i32 s41, 1, s6
	s_mov_b64 s[6:7], 0
	s_branch .LBB96_7
.LBB96_6:
	s_mov_b64 s[6:7], -1
                                        ; implicit-def: $sgpr41
.LBB96_7:
	s_load_dwordx2 s[24:25], s[0:1], 0x28
	s_ashr_i32 s15, s11, 31
	s_andn2_b64 vcc, exec, s[6:7]
	s_ashr_i32 s19, s19, 31
	s_cbranch_vccnz .LBB96_9
; %bb.8:
	s_mul_i32 s6, s5, s16
	s_add_i32 s2, s6, s2
	s_mul_i32 s2, s2, s8
	s_add_i32 s41, s2, 1
.LBB96_9:
	s_load_dword s2, s[0:1], 0x38
	s_load_dwordx2 s[22:23], s[0:1], 0x0
	s_load_dwordx2 s[28:29], s[0:1], 0x18
	s_load_dword s11, s[0:1], 0x88
	s_xor_b32 s6, s15, s19
	s_waitcnt lgkmcnt(0)
	s_mul_i32 s26, s2, s10
	s_mul_i32 s2, s12, s21
	s_sub_i32 s2, s9, s2
	s_ashr_i32 s27, s26, 31
	s_add_i32 s7, s12, 1
	s_sub_i32 s8, s2, s21
	s_cmp_ge_u32 s2, s21
	s_cselect_b32 s7, s7, s12
	s_cselect_b32 s2, s8, s2
	s_add_i32 s8, s7, 1
	s_cmp_ge_u32 s2, s21
	s_cselect_b32 s2, s8, s7
	s_xor_b32 s2, s2, s6
	s_sub_i32 s12, s2, s6
	s_add_i32 s2, s33, 31
	s_ashr_i32 s6, s2, 31
	s_lshr_b32 s6, s6, 27
	s_add_i32 s2, s2, s6
	s_ashr_i32 s16, s2, 5
	v_lshrrev_b32_e32 v32, 6, v0
	v_cmp_gt_i32_e64 s[6:7], s16, v32
	v_mov_b32_e32 v38, 0xff7fffff
	s_mul_i32 s14, s3, s14
	v_lshrrev_b32_e32 v34, 4, v0
	v_lshlrev_b32_e32 v33, 5, v32
	v_mbcnt_lo_u32_b32 v35, -1, 0
	s_and_saveexec_b64 s[34:35], s[6:7]
	s_cbranch_execz .LBB96_21
; %bb.10:
	s_load_dwordx2 s[0:1], s[0:1], 0x10
	s_ashr_i32 s15, s14, 31
	s_sub_i32 s30, s12, s17
	s_lshl_b64 s[8:9], s[14:15], 1
	v_bfe_u32 v36, v0, 1, 5
	s_waitcnt lgkmcnt(0)
	s_add_u32 s0, s0, s8
	s_addc_u32 s1, s1, s9
	s_abs_i32 s15, s18
	v_cvt_f32_u32_e32 v2, s15
	s_sub_i32 s8, 0, s15
	v_cmp_eq_u32_e64 s[2:3], 0, v4
	v_lshlrev_b32_e32 v6, 4, v36
	v_rcp_iflag_f32_e32 v5, v2
	v_mov_b32_e32 v7, 0
	v_lshlrev_b32_e32 v37, 7, v4
	v_lshl_add_u64 v[2:3], s[0:1], 0, v[6:7]
	v_mul_f32_e32 v5, 0x4f7ffffe, v5
	v_cvt_u32_f32_e32 v5, v5
	v_and_b32_e32 v6, 8, v1
	v_lshl_add_u64 v[2:3], v[2:3], 0, v[6:7]
	v_and_b32_e32 v6, 60, v34
	v_mul_lo_u32 v4, s8, v5
	s_lshl_b64 s[8:9], s[26:27], 2
	s_add_u32 s8, s24, s8
	v_mul_hi_u32 v4, v5, v4
	s_addc_u32 s9, s25, s9
	v_add_u32_e32 v39, v5, v4
	v_lshl_add_u64 v[4:5], s[8:9], 0, v[6:7]
	v_subrev_u32_e32 v6, s33, v36
	v_add_u32_e32 v41, 1, v6
	v_lshlrev_b32_e32 v6, 2, v36
	v_lshl_or_b32 v6, v32, 7, v6
	v_mbcnt_hi_u32_b32 v44, -1, v35
	v_add_u32_e32 v42, 0x110, v6
	v_and_b32_e32 v6, 64, v44
	s_mov_b32 s43, s13
	v_cmp_neq_f32_e64 s[0:1], s42, 0
	v_lshlrev_b32_e32 v40, 5, v32
	v_mov_b32_e32 v43, 0xff7fffff
	s_mov_b64 s[36:37], 0
	s_movk_i32 s44, 0x1000
	v_xor_b32_e32 v45, 1, v44
	v_add_u32_e32 v46, 64, v6
	v_mov_b32_e32 v38, 0xff7fffff
	v_mov_b32_e32 v47, v32
	s_branch .LBB96_13
.LBB96_11:                              ;   in Loop: Header=BB96_13 Depth=1
	s_or_b64 exec, exec, s[38:39]
.LBB96_12:                              ;   in Loop: Header=BB96_13 Depth=1
	s_or_b64 exec, exec, s[8:9]
	v_add_u32_e32 v47, 2, v47
	v_cmp_le_i32_e32 vcc, s16, v47
	v_lshl_add_u64 v[4:5], v[4:5], 0, 8
	v_add_u32_e32 v40, 64, v40
	s_or_b64 s[36:37], vcc, s[36:37]
	v_add_u32_e32 v42, 0x100, v42
	s_andn2_b64 exec, exec, s[36:37]
	s_cbranch_execz .LBB96_20
.LBB96_13:                              ; =>This Inner Loop Header: Depth=1
	v_mul_hi_u32 v6, v40, s40
	s_waitcnt lgkmcnt(0)
	v_mul_lo_u32 v7, v6, s21
	v_sub_u32_e32 v7, v40, v7
	v_add_u32_e32 v8, 1, v6
	v_cmp_le_u32_e32 vcc, s21, v7
	s_nop 1
	v_cndmask_b32_e32 v6, v6, v8, vcc
	v_subrev_u32_e32 v8, s21, v7
	v_cndmask_b32_e32 v7, v7, v8, vcc
	v_add_u32_e32 v8, 1, v6
	v_cmp_le_u32_e32 vcc, s21, v7
	s_nop 1
	v_cndmask_b32_e32 v6, v6, v8, vcc
	v_xor_b32_e32 v6, s19, v6
	v_subrev_u32_e32 v6, s19, v6
	v_add_u32_e32 v7, s41, v6
	v_sub_u32_e32 v9, 0, v7
	v_ashrrev_i32_e32 v8, 31, v7
	v_max_i32_e32 v7, v7, v9
	v_mul_hi_u32 v9, v7, v39
	v_mul_lo_u32 v9, v9, s15
	v_sub_u32_e32 v7, v7, v9
	v_subrev_u32_e32 v9, s15, v7
	v_cmp_le_u32_e32 vcc, s15, v7
	v_cmp_ge_i32_e64 s[8:9], s30, v6
	s_nop 0
	v_cndmask_b32_e32 v7, v7, v9, vcc
	v_subrev_u32_e32 v9, s15, v7
	v_cmp_le_u32_e32 vcc, s15, v7
	s_nop 1
	v_cndmask_b32_e32 v7, v7, v9, vcc
	v_xor_b32_e32 v7, v7, v8
	v_sub_u32_e32 v7, v7, v8
	v_cmp_ne_u32_e32 vcc, 0, v7
	s_and_b64 s[8:9], vcc, s[8:9]
	s_and_saveexec_b64 s[38:39], s[8:9]
	s_xor_b64 s[8:9], exec, s[38:39]
	s_cbranch_execz .LBB96_17
; %bb.14:                               ;   in Loop: Header=BB96_13 Depth=1
	s_and_saveexec_b64 s[38:39], s[2:3]
; %bb.15:                               ;   in Loop: Header=BB96_13 Depth=1
	ds_write_b32 v42, v43
; %bb.16:                               ;   in Loop: Header=BB96_13 Depth=1
	s_or_b64 exec, exec, s[38:39]
.LBB96_17:                              ;   in Loop: Header=BB96_13 Depth=1
	s_andn2_saveexec_b64 s[8:9], s[8:9]
	s_cbranch_execz .LBB96_12
; %bb.18:                               ;   in Loop: Header=BB96_13 Depth=1
	global_load_dword v6, v[4:5], off
	s_waitcnt vmcnt(0)
	v_mad_i64_i32 v[6:7], s[38:39], v6, s43, 0
	v_lshl_add_u64 v[6:7], v[6:7], 1, v[2:3]
	global_load_dwordx2 v[50:51], v[6:7], off
	global_load_dwordx2 v[52:53], v[6:7], off offset:512
	global_load_dwordx2 v[58:59], v[6:7], off offset:1024
	;; [unrolled: 1-line block ×7, first 2 shown]
	v_add_co_u32_e32 v48, vcc, s44, v6
	s_waitcnt vmcnt(7)
	v_lshrrev_b32_e32 v60, 16, v50
	v_addc_co_u32_e32 v49, vcc, 0, v7, vcc
	global_load_dwordx2 v[20:21], v[48:49], off
	ds_read_b64 v[6:7], v37
	v_and_b32_e32 v62, 0xffff, v50
	v_lshrrev_b32_e32 v63, 16, v51
	v_and_b32_e32 v64, 0xffff, v51
	s_waitcnt vmcnt(5)
	v_lshrrev_b32_e32 v65, 16, v31
	s_waitcnt lgkmcnt(0)
	v_lshrrev_b32_e32 v55, 16, v6
	v_and_b32_e32 v57, 0xffff, v6
	v_lshrrev_b32_e32 v54, 16, v7
	v_and_b32_e32 v56, 0xffff, v7
	global_load_dwordx2 v[18:19], v[48:49], off offset:512
	global_load_dwordx2 v[16:17], v[48:49], off offset:1024
	;; [unrolled: 1-line block ×7, first 2 shown]
	;;#ASMSTART
	v_cvt_f32_f16 v48, v57;
	;;#ASMEND
	;;#ASMSTART
	v_cvt_f32_f16 v49, v55;
	;;#ASMEND
	v_and_b32_e32 v66, 0xffff, v31
	s_waitcnt vmcnt(11)
	v_lshrrev_b32_e32 v67, 16, v28
	v_and_b32_e32 v68, 0xffff, v28
	v_lshrrev_b32_e32 v69, 16, v29
	v_and_b32_e32 v70, 0xffff, v29
	s_waitcnt vmcnt(10)
	v_lshrrev_b32_e32 v71, 16, v26
	v_and_b32_e32 v72, 0xffff, v26
	v_lshrrev_b32_e32 v73, 16, v27
	;; [unrolled: 5-line block ×3, first 2 shown]
	v_and_b32_e32 v82, 0xffff, v23
	;;#ASMSTART
	v_cvt_f32_f16 v26, v62;
	;;#ASMEND
	;;#ASMSTART
	v_cvt_f32_f16 v27, v60;
	;;#ASMEND
	;; [unrolled: 3-line block ×6, first 2 shown]
	ds_read_b64 v[22:23], v37 offset:8
	v_lshrrev_b32_e32 v50, 16, v52
	v_and_b32_e32 v51, 0xffff, v52
	v_lshrrev_b32_e32 v52, 16, v53
	v_lshrrev_b32_e32 v75, 16, v24
	v_and_b32_e32 v76, 0xffff, v24
	v_lshrrev_b32_e32 v77, 16, v25
	v_and_b32_e32 v78, 0xffff, v25
	s_waitcnt lgkmcnt(0)
	v_lshrrev_b32_e32 v24, 16, v23
	v_and_b32_e32 v25, 0xffff, v23
	v_and_b32_e32 v57, 0xffff, v53
	v_lshrrev_b32_e32 v53, 16, v58
	v_and_b32_e32 v55, 0xffff, v58
	v_lshrrev_b32_e32 v58, 16, v59
	;; [unrolled: 2-line block ×3, first 2 shown]
	v_and_b32_e32 v30, 0xffff, v30
	v_cmp_lt_i32_e32 vcc, v45, v46
	s_waitcnt vmcnt(7)
	v_lshrrev_b32_e32 v60, 16, v20
	v_and_b32_e32 v62, 0xffff, v20
	v_lshrrev_b32_e32 v63, 16, v21
	v_and_b32_e32 v64, 0xffff, v21
	v_and_b32_e32 v20, 0xffff, v22
	v_lshrrev_b32_e32 v21, 16, v22
	;;#ASMSTART
	v_cvt_f32_f16 v20, v20;
	;;#ASMEND
	;;#ASMSTART
	v_cvt_f32_f16 v21, v21;
	;;#ASMEND
	;; [unrolled: 3-line block ×8, first 2 shown]
	ds_read_b64 v[24:25], v37 offset:16
	v_mul_f32_e32 v20, v20, v22
	v_mul_f32_e32 v21, v21, v23
	;; [unrolled: 1-line block ×4, first 2 shown]
	v_fmac_f32_e32 v20, v48, v26
	v_fmac_f32_e32 v21, v49, v27
	s_waitcnt lgkmcnt(0)
	v_lshrrev_b32_e32 v27, 16, v24
	v_and_b32_e32 v24, 0xffff, v24
	v_lshrrev_b32_e32 v48, 16, v25
	v_and_b32_e32 v25, 0xffff, v25
	v_fmac_f32_e32 v22, v28, v31
	v_fmac_f32_e32 v23, v29, v54
	;;#ASMSTART
	v_cvt_f32_f16 v26, v24;
	;;#ASMEND
	;;#ASMSTART
	v_cvt_f32_f16 v27, v27;
	;;#ASMEND
	;;#ASMSTART
	v_cvt_f32_f16 v28, v55;
	;;#ASMEND
	;;#ASMSTART
	v_cvt_f32_f16 v29, v53;
	;;#ASMEND
	;;#ASMSTART
	v_cvt_f32_f16 v31, v25;
	;;#ASMEND
	;;#ASMSTART
	v_cvt_f32_f16 v48, v48;
	;;#ASMEND
	;;#ASMSTART
	v_cvt_f32_f16 v49, v59;
	;;#ASMEND
	;;#ASMSTART
	v_cvt_f32_f16 v50, v58;
	;;#ASMEND
	ds_read_b64 v[24:25], v37 offset:24
	v_fmac_f32_e32 v21, v27, v29
	v_fmac_f32_e32 v22, v31, v49
	v_fmac_f32_e32 v20, v26, v28
	v_fmac_f32_e32 v23, v48, v50
	s_waitcnt lgkmcnt(0)
	v_lshrrev_b32_e32 v27, 16, v24
	v_and_b32_e32 v24, 0xffff, v24
	v_lshrrev_b32_e32 v31, 16, v25
	v_and_b32_e32 v25, 0xffff, v25
	;;#ASMSTART
	v_cvt_f32_f16 v26, v24;
	;;#ASMEND
	;;#ASMSTART
	v_cvt_f32_f16 v27, v27;
	;;#ASMEND
	;;#ASMSTART
	v_cvt_f32_f16 v28, v30;
	;;#ASMEND
	;;#ASMSTART
	v_cvt_f32_f16 v29, v61;
	;;#ASMEND
	;;#ASMSTART
	v_cvt_f32_f16 v30, v25;
	;;#ASMEND
	;;#ASMSTART
	v_cvt_f32_f16 v31, v31;
	;;#ASMEND
	;;#ASMSTART
	v_cvt_f32_f16 v48, v66;
	;;#ASMEND
	;;#ASMSTART
	v_cvt_f32_f16 v49, v65;
	;;#ASMEND
	ds_read_b64 v[24:25], v37 offset:32
	v_fmac_f32_e32 v21, v27, v29
	v_fmac_f32_e32 v23, v31, v49
	v_fmac_f32_e32 v20, v26, v28
	v_fmac_f32_e32 v22, v30, v48
	s_waitcnt lgkmcnt(0)
	v_lshrrev_b32_e32 v27, 16, v24
	v_and_b32_e32 v24, 0xffff, v24
	v_lshrrev_b32_e32 v31, 16, v25
	v_and_b32_e32 v25, 0xffff, v25
	;; [unrolled: 34-line block ×6, first 2 shown]
	;;#ASMSTART
	v_cvt_f32_f16 v26, v24;
	;;#ASMEND
	;;#ASMSTART
	v_cvt_f32_f16 v27, v27;
	;;#ASMEND
	;; [unrolled: 3-line block ×8, first 2 shown]
	ds_read_b64 v[24:25], v37 offset:72
	v_fmac_f32_e32 v20, v26, v28
	s_waitcnt vmcnt(6)
	v_lshrrev_b32_e32 v28, 16, v18
	v_and_b32_e32 v18, 0xffff, v18
	v_fmac_f32_e32 v21, v27, v29
	s_waitcnt lgkmcnt(0)
	v_lshrrev_b32_e32 v26, 16, v24
	v_and_b32_e32 v24, 0xffff, v24
	;;#ASMSTART
	v_cvt_f32_f16 v24, v24;
	;;#ASMEND
	;;#ASMSTART
	v_cvt_f32_f16 v26, v26;
	;;#ASMEND
	;; [unrolled: 3-line block ×3, first 2 shown]
	v_lshrrev_b32_e32 v18, 16, v25
	v_and_b32_e32 v25, 0xffff, v25
	;;#ASMSTART
	v_cvt_f32_f16 v28, v28;
	;;#ASMEND
	;;#ASMSTART
	v_cvt_f32_f16 v25, v25;
	;;#ASMEND
	;; [unrolled: 3-line block ×3, first 2 shown]
	v_lshrrev_b32_e32 v18, 16, v19
	v_and_b32_e32 v19, 0xffff, v19
	v_fmac_f32_e32 v22, v30, v48
	v_fmac_f32_e32 v23, v31, v49
	;;#ASMSTART
	v_cvt_f32_f16 v30, v19;
	;;#ASMEND
	;;#ASMSTART
	v_cvt_f32_f16 v31, v18;
	;;#ASMEND
	ds_read_b64 v[18:19], v37 offset:80
	v_fmac_f32_e32 v20, v24, v27
	v_fmac_f32_e32 v21, v26, v28
	s_waitcnt vmcnt(5)
	v_lshrrev_b32_e32 v26, 16, v16
	v_and_b32_e32 v16, 0xffff, v16
	s_waitcnt lgkmcnt(0)
	v_lshrrev_b32_e32 v24, 16, v18
	v_and_b32_e32 v18, 0xffff, v18
	v_fmac_f32_e32 v22, v25, v30
	;;#ASMSTART
	v_cvt_f32_f16 v18, v18;
	;;#ASMEND
	;;#ASMSTART
	v_cvt_f32_f16 v24, v24;
	;;#ASMEND
	;;#ASMSTART
	v_cvt_f32_f16 v25, v16;
	;;#ASMEND
	v_lshrrev_b32_e32 v16, 16, v19
	v_and_b32_e32 v19, 0xffff, v19
	;;#ASMSTART
	v_cvt_f32_f16 v26, v26;
	;;#ASMEND
	;;#ASMSTART
	v_cvt_f32_f16 v19, v19;
	;;#ASMEND
	;;#ASMSTART
	v_cvt_f32_f16 v27, v16;
	;;#ASMEND
	v_lshrrev_b32_e32 v16, 16, v17
	v_and_b32_e32 v17, 0xffff, v17
	v_fmac_f32_e32 v23, v29, v31
	;;#ASMSTART
	v_cvt_f32_f16 v28, v17;
	;;#ASMEND
	;;#ASMSTART
	v_cvt_f32_f16 v29, v16;
	;;#ASMEND
	ds_read_b64 v[16:17], v37 offset:88
	v_fmac_f32_e32 v20, v18, v25
	v_fmac_f32_e32 v21, v24, v26
	s_waitcnt vmcnt(4)
	v_lshrrev_b32_e32 v24, 16, v14
	v_and_b32_e32 v14, 0xffff, v14
	s_waitcnt lgkmcnt(0)
	v_lshrrev_b32_e32 v18, 16, v16
	v_and_b32_e32 v16, 0xffff, v16
	v_fmac_f32_e32 v22, v19, v28
	;;#ASMSTART
	v_cvt_f32_f16 v16, v16;
	;;#ASMEND
	;;#ASMSTART
	v_cvt_f32_f16 v18, v18;
	;;#ASMEND
	;;#ASMSTART
	v_cvt_f32_f16 v19, v14;
	;;#ASMEND
	v_lshrrev_b32_e32 v14, 16, v17
	v_and_b32_e32 v17, 0xffff, v17
	;;#ASMSTART
	v_cvt_f32_f16 v24, v24;
	;;#ASMEND
	;;#ASMSTART
	v_cvt_f32_f16 v17, v17;
	;;#ASMEND
	;;#ASMSTART
	v_cvt_f32_f16 v25, v14;
	;;#ASMEND
	v_lshrrev_b32_e32 v14, 16, v15
	v_and_b32_e32 v15, 0xffff, v15
	;; [unrolled: 39-line block ×5, first 2 shown]
	v_fmac_f32_e32 v23, v17, v19
	;;#ASMSTART
	v_cvt_f32_f16 v16, v9;
	;;#ASMEND
	;;#ASMSTART
	v_cvt_f32_f16 v17, v8;
	;;#ASMEND
	ds_read_b64 v[8:9], v37 offset:120
	v_fmac_f32_e32 v20, v10, v13
	v_fmac_f32_e32 v22, v11, v16
	s_waitcnt vmcnt(0)
	v_lshrrev_b32_e32 v11, 16, v6
	v_and_b32_e32 v6, 0xffff, v6
	s_waitcnt lgkmcnt(0)
	v_lshrrev_b32_e32 v10, 16, v8
	v_and_b32_e32 v8, 0xffff, v8
	;;#ASMSTART
	v_cvt_f32_f16 v8, v8;
	;;#ASMEND
	;;#ASMSTART
	v_cvt_f32_f16 v10, v10;
	;;#ASMEND
	;; [unrolled: 3-line block ×3, first 2 shown]
	v_fmac_f32_e32 v21, v12, v14
	v_fmac_f32_e32 v20, v8, v6
	v_and_b32_e32 v6, 0xffff, v9
	;;#ASMSTART
	v_cvt_f32_f16 v11, v11;
	;;#ASMEND
	v_lshrrev_b32_e32 v8, 16, v9
	v_fmac_f32_e32 v21, v10, v11
	;;#ASMSTART
	v_cvt_f32_f16 v6, v6;
	;;#ASMEND
	v_lshrrev_b32_e32 v9, 16, v7
	v_and_b32_e32 v7, 0xffff, v7
	v_fmac_f32_e32 v23, v15, v17
	;;#ASMSTART
	v_cvt_f32_f16 v8, v8;
	;;#ASMEND
	;;#ASMSTART
	v_cvt_f32_f16 v7, v7;
	;;#ASMEND
	;; [unrolled: 3-line block ×3, first 2 shown]
	s_nop 0
	v_fmac_f32_e32 v22, v6, v7
	v_add_f32_e32 v6, v20, v21
	v_fmac_f32_e32 v23, v8, v9
	v_add_f32_e32 v6, v6, v22
	v_cndmask_b32_e32 v7, v44, v45, vcc
	v_add_f32_e32 v6, v23, v6
	v_lshlrev_b32_e32 v7, 2, v7
	ds_bpermute_b32 v7, v7, v6
	s_and_saveexec_b64 s[38:39], s[2:3]
	s_cbranch_execz .LBB96_11
; %bb.19:                               ;   in Loop: Header=BB96_13 Depth=1
	v_add_u32_e32 v8, v41, v40
	v_cvt_f32_i32_e32 v8, v8
	s_waitcnt lgkmcnt(0)
	v_add_f32_e32 v6, v6, v7
	v_add_u32_e32 v9, v36, v40
	v_cmp_gt_i32_e32 vcc, s33, v9
	v_mul_f32_e32 v7, s42, v8
	v_cndmask_b32_e64 v7, 0, v7, s[0:1]
	v_fmac_f32_e32 v7, s31, v6
	v_cndmask_b32_e32 v6, 0, v7, vcc
	ds_write_b32 v42, v6
	v_max_f32_e32 v6, v38, v38
	v_max_f32_e32 v6, v6, v7
	v_cndmask_b32_e32 v38, v38, v6, vcc
	s_branch .LBB96_11
.LBB96_20:
	s_or_b64 exec, exec, s[36:37]
.LBB96_21:
	s_or_b64 exec, exec, s[34:35]
	v_mbcnt_hi_u32_b32 v2, -1, v35
	v_and_b32_e32 v9, 64, v2
	v_add_u32_e32 v10, 64, v9
	v_xor_b32_e32 v3, 32, v2
	v_cmp_lt_i32_e32 vcc, v3, v10
	v_xor_b32_e32 v6, 16, v2
	v_max_f32_e32 v5, v38, v38
	v_cndmask_b32_e32 v3, v2, v3, vcc
	v_lshlrev_b32_e32 v3, 2, v3
	ds_bpermute_b32 v4, v3, v38
	v_cmp_lt_i32_e32 vcc, v6, v10
	s_waitcnt lgkmcnt(1)
	v_xor_b32_e32 v7, 8, v2
	v_xor_b32_e32 v8, 4, v2
	;; [unrolled: 1-line block ×3, first 2 shown]
	s_waitcnt lgkmcnt(0)
	v_max_f32_e32 v4, v4, v4
	v_max_f32_e32 v5, v5, v4
	v_cndmask_b32_e32 v4, v2, v6, vcc
	v_lshlrev_b32_e32 v4, 2, v4
	ds_bpermute_b32 v6, v4, v5
	v_cmp_lt_i32_e32 vcc, v7, v10
	v_and_b32_e32 v22, 63, v0
	s_waitcnt lgkmcnt(0)
	v_max_f32_e32 v6, v6, v6
	v_max_f32_e32 v6, v5, v6
	v_cndmask_b32_e32 v5, v2, v7, vcc
	v_lshlrev_b32_e32 v5, 2, v5
	ds_bpermute_b32 v7, v5, v6
	v_cmp_lt_i32_e32 vcc, v8, v10
	s_waitcnt lgkmcnt(0)
	v_max_f32_e32 v7, v7, v7
	v_max_f32_e32 v7, v6, v7
	v_cndmask_b32_e32 v6, v2, v8, vcc
	v_lshlrev_b32_e32 v6, 2, v6
	ds_bpermute_b32 v8, v6, v7
	v_cmp_lt_i32_e32 vcc, v11, v10
	s_waitcnt lgkmcnt(0)
	v_max_f32_e32 v8, v8, v8
	v_max_f32_e32 v8, v7, v8
	v_cndmask_b32_e32 v7, v2, v11, vcc
	v_lshlrev_b32_e32 v23, 2, v7
	ds_bpermute_b32 v11, v23, v8
	v_cmp_eq_u32_e32 vcc, 0, v22
	v_lshlrev_b32_e32 v7, 2, v32
	s_and_saveexec_b64 s[0:1], vcc
	s_cbranch_execz .LBB96_23
; %bb.22:
	s_waitcnt lgkmcnt(0)
	v_max_f32_e32 v11, v11, v11
	v_max_f32_e32 v8, v8, v8
	;; [unrolled: 1-line block ×3, first 2 shown]
	ds_write_b32 v7, v8 offset:256
.LBB96_23:
	s_or_b64 exec, exec, s[0:1]
	v_cmp_gt_u32_e64 s[0:1], 2, v22
	s_waitcnt lgkmcnt(0)
	v_mov_b32_e32 v11, 0xff7fffff
	v_lshlrev_b32_e32 v8, 2, v22
	s_barrier
	s_and_saveexec_b64 s[2:3], s[0:1]
; %bb.24:
	ds_read_b32 v11, v8 offset:256
; %bb.25:
	s_or_b64 exec, exec, s[2:3]
	v_xor_b32_e32 v12, 1, v2
	v_cmp_lt_i32_e64 s[2:3], v12, v10
	v_lshlrev_b32_e32 v9, 2, v9
	s_nop 0
	v_cndmask_b32_e64 v10, v2, v12, s[2:3]
	v_lshlrev_b32_e32 v24, 2, v10
	s_waitcnt lgkmcnt(0)
	ds_bpermute_b32 v10, v24, v11
	v_max_f32_e32 v11, v11, v11
	s_lshl_b32 s2, s16, 5
	s_min_i32 s15, s2, s33
	v_cmp_gt_i32_e64 s[2:3], s15, v0
	s_waitcnt lgkmcnt(0)
	v_max_f32_e32 v10, v10, v10
	v_max_f32_e32 v10, v11, v10
	ds_bpermute_b32 v10, v9, v10
	v_mov_b32_e32 v9, 0
	s_and_saveexec_b64 s[30:31], s[2:3]
	s_cbranch_execz .LBB96_29
; %bb.26:
	v_mov_b32_e32 v9, 0x110
	v_lshl_add_u32 v11, v0, 2, v9
	v_mov_b32_e32 v9, 0
	s_mov_b64 s[34:35], 0
	v_mov_b32_e32 v12, v0
.LBB96_27:                              ; =>This Inner Loop Header: Depth=1
	ds_read_b32 v13, v11
	v_add_u32_e32 v12, 0x80, v12
	v_cmp_le_i32_e64 s[8:9], s15, v12
	s_or_b64 s[34:35], s[8:9], s[34:35]
	s_waitcnt lgkmcnt(0)
	v_sub_f32_e32 v13, v13, v10
	v_mul_f32_e32 v13, 0x3fb8aa3b, v13
	v_exp_f32_e32 v13, v13
	ds_write_b32 v11, v13
	v_add_f32_e32 v9, v9, v13
	v_add_u32_e32 v11, 0x200, v11
	s_andn2_b64 exec, exec, s[34:35]
	s_cbranch_execnz .LBB96_27
; %bb.28:
	s_or_b64 exec, exec, s[34:35]
.LBB96_29:
	s_or_b64 exec, exec, s[30:31]
	ds_bpermute_b32 v3, v3, v9
	s_waitcnt lgkmcnt(0)
	v_add_f32_e32 v3, v9, v3
	ds_bpermute_b32 v4, v4, v3
	s_waitcnt lgkmcnt(0)
	v_add_f32_e32 v3, v3, v4
	;; [unrolled: 3-line block ×6, first 2 shown]
	s_and_saveexec_b64 s[8:9], vcc
; %bb.30:
	ds_write_b32 v7, v3 offset:264
; %bb.31:
	s_or_b64 exec, exec, s[8:9]
	s_waitcnt lgkmcnt(0)
	s_barrier
	s_and_saveexec_b64 s[8:9], s[0:1]
; %bb.32:
	ds_read_b32 v3, v8 offset:264
; %bb.33:
	s_or_b64 exec, exec, s[8:9]
	s_waitcnt lgkmcnt(0)
	ds_bpermute_b32 v4, v24, v3
	v_lshlrev_b32_e32 v2, 2, v2
	v_and_b32_e32 v2, 0x100, v2
	s_waitcnt lgkmcnt(0)
	v_add_f32_e32 v3, v3, v4
	ds_bpermute_b32 v2, v2, v3
	s_and_saveexec_b64 s[0:1], s[2:3]
	s_cbranch_execz .LBB96_46
; %bb.34:
	s_waitcnt lgkmcnt(0)
	v_add_f32_e32 v2, 0x358637bd, v2
	v_div_scale_f32 v3, s[2:3], v2, v2, 1.0
	v_rcp_f32_e32 v4, v3
	v_div_scale_f32 v5, vcc, 1.0, v2, 1.0
	s_movk_i32 s2, 0x7f
	v_fma_f32 v6, -v3, v4, 1.0
	v_fmac_f32_e32 v4, v6, v4
	v_mul_f32_e32 v6, v5, v4
	v_fma_f32 v7, -v3, v6, v5
	v_fmac_f32_e32 v6, v7, v4
	v_fma_f32 v3, -v3, v6, v5
	v_div_fmas_f32 v3, v3, v4, v6
	v_xad_u32 v4, v0, -1, s15
	v_div_fixup_f32 v2, v3, v2, 1.0
	v_cmp_lt_u32_e32 vcc, s2, v4
	s_mov_b64 s[8:9], -1
	v_mov_b32_e32 v3, v0
	s_and_saveexec_b64 s[2:3], vcc
	s_cbranch_execz .LBB96_43
; %bb.35:
	v_lshrrev_b32_e32 v4, 7, v4
	v_add_u32_e32 v6, -1, v4
	v_lshrrev_b32_e32 v5, 1, v6
	v_mov_b32_e32 v3, v2
	v_add_u32_e32 v5, 1, v5
	v_cmp_lt_u32_e32 vcc, 13, v6
	v_mov_b32_e32 v8, 0
	s_and_saveexec_b64 s[8:9], vcc
	s_cbranch_execz .LBB96_39
; %bb.36:
	v_mov_b32_e32 v7, 0x110
	v_and_b32_e32 v6, -8, v5
	v_lshl_add_u32 v7, v0, 2, v7
	s_mov_b32 s34, 0
	s_mov_b64 s[30:31], 0
.LBB96_37:                              ; =>This Inner Loop Header: Depth=1
	ds_read2st64_b32 v[8:9], v7 offset1:2
	ds_read2st64_b32 v[10:11], v7 offset0:4 offset1:6
	ds_read2st64_b32 v[12:13], v7 offset0:8 offset1:10
	;; [unrolled: 1-line block ×3, first 2 shown]
	v_add_u32_e32 v6, -8, v6
	s_waitcnt lgkmcnt(3)
	v_pk_mul_f32 v[8:9], v[2:3], v[8:9]
	s_waitcnt lgkmcnt(2)
	v_pk_mul_f32 v[10:11], v[2:3], v[10:11]
	ds_write2st64_b32 v7, v8, v9 offset1:2
	ds_write2st64_b32 v7, v10, v11 offset0:4 offset1:6
	ds_read2st64_b32 v[10:11], v7 offset0:16 offset1:18
	s_waitcnt lgkmcnt(4)
	v_pk_mul_f32 v[8:9], v[2:3], v[12:13]
	ds_write2st64_b32 v7, v8, v9 offset0:8 offset1:10
	s_waitcnt lgkmcnt(4)
	v_pk_mul_f32 v[8:9], v[2:3], v[14:15]
	ds_write2st64_b32 v7, v8, v9 offset0:12 offset1:14
	ds_read2st64_b32 v[8:9], v7 offset0:20 offset1:22
	s_waitcnt lgkmcnt(3)
	v_pk_mul_f32 v[10:11], v[2:3], v[10:11]
	ds_read2st64_b32 v[12:13], v7 offset0:24 offset1:26
	ds_write2st64_b32 v7, v10, v11 offset0:16 offset1:18
	ds_read2st64_b32 v[10:11], v7 offset0:28 offset1:30
	s_waitcnt lgkmcnt(3)
	v_pk_mul_f32 v[8:9], v[2:3], v[8:9]
	ds_write2st64_b32 v7, v8, v9 offset0:20 offset1:22
	s_waitcnt lgkmcnt(3)
	v_pk_mul_f32 v[8:9], v[2:3], v[12:13]
	ds_write2st64_b32 v7, v8, v9 offset0:24 offset1:26
	s_waitcnt lgkmcnt(2)
	v_pk_mul_f32 v[8:9], v[2:3], v[10:11]
	s_add_i32 s34, s34, 16
	v_cmp_eq_u32_e32 vcc, 0, v6
	ds_write2st64_b32 v7, v8, v9 offset0:28 offset1:30
	v_add_u32_e32 v7, 0x2000, v7
	s_or_b64 s[30:31], vcc, s[30:31]
	v_mov_b32_e32 v8, s34
	s_andn2_b64 exec, exec, s[30:31]
	s_cbranch_execnz .LBB96_37
; %bb.38:
	s_or_b64 exec, exec, s[30:31]
.LBB96_39:
	s_or_b64 exec, exec, s[8:9]
	v_and_b32_e32 v5, 7, v5
	v_cmp_ne_u32_e32 vcc, 0, v5
	s_and_saveexec_b64 s[8:9], vcc
	s_cbranch_execz .LBB96_42
; %bb.40:
	v_lshlrev_b32_e32 v6, 9, v8
	v_lshlrev_b32_e32 v7, 2, v0
	s_movk_i32 s30, 0x110
	v_add3_u32 v6, v6, v7, s30
	s_mov_b64 s[30:31], 0
.LBB96_41:                              ; =>This Inner Loop Header: Depth=1
	ds_read2st64_b32 v[8:9], v6 offset1:2
	v_add_u32_e32 v5, -1, v5
	v_cmp_eq_u32_e32 vcc, 0, v5
	s_or_b64 s[30:31], vcc, s[30:31]
	s_waitcnt lgkmcnt(0)
	v_pk_mul_f32 v[8:9], v[2:3], v[8:9]
	ds_write2st64_b32 v6, v8, v9 offset1:2
	v_add_u32_e32 v6, 0x400, v6
	s_andn2_b64 exec, exec, s[30:31]
	s_cbranch_execnz .LBB96_41
.LBB96_42:
	s_or_b64 exec, exec, s[8:9]
	v_add_u32_e32 v4, 1, v4
	v_and_b32_e32 v5, 0x3fffffe, v4
	v_cmp_ne_u32_e32 vcc, v4, v5
	v_lshl_add_u32 v3, v5, 7, v0
	s_orn2_b64 s[8:9], vcc, exec
.LBB96_43:
	s_or_b64 exec, exec, s[2:3]
	s_and_b64 exec, exec, s[8:9]
	s_cbranch_execz .LBB96_46
; %bb.44:
	v_mov_b32_e32 v4, 0x110
	v_lshl_add_u32 v4, v3, 2, v4
	s_mov_b64 s[2:3], 0
.LBB96_45:                              ; =>This Inner Loop Header: Depth=1
	ds_read_b32 v5, v4
	v_add_u32_e32 v3, 0x80, v3
	v_cmp_le_i32_e32 vcc, s15, v3
	s_or_b64 s[2:3], vcc, s[2:3]
	s_waitcnt lgkmcnt(0)
	v_mul_f32_e32 v5, v2, v5
	ds_write_b32 v4, v5
	v_add_u32_e32 v4, 0x200, v4
	s_andn2_b64 exec, exec, s[2:3]
	s_cbranch_execnz .LBB96_45
.LBB96_46:
	s_or_b64 exec, exec, s[0:1]
	v_mov_b32_e32 v7, 0
	v_and_b32_e32 v25, 3, v0
	v_mov_b32_e32 v6, 0
	v_mov_b32_e32 v9, 0
	;; [unrolled: 1-line block ×7, first 2 shown]
	s_waitcnt lgkmcnt(0)
	s_barrier
	s_and_saveexec_b64 s[2:3], s[6:7]
	s_cbranch_execz .LBB96_68
; %bb.47:
	s_ashr_i32 s15, s14, 31
	s_sub_i32 s17, s12, s17
	s_lshl_b64 s[0:1], s[14:15], 1
	s_add_u32 s0, s28, s0
	s_addc_u32 s1, s29, s1
	s_abs_i32 s14, s18
	v_cvt_f32_u32_e32 v2, s14
	v_and_b32_e32 v26, 24, v1
	v_mov_b32_e32 v15, 0
	s_add_i32 s18, s16, -1
	v_rcp_iflag_f32_e32 v1, v2
	v_lshlrev_b32_e32 v2, 4, v0
	v_and_b32_e32 v14, 0x3f0, v2
	v_lshl_add_u64 v[16:17], s[0:1], 0, v[14:15]
	v_mul_f32_e32 v1, 0x4f7ffffe, v1
	v_cvt_u32_f32_e32 v1, v1
	s_sub_i32 s0, 0, s14
	v_and_b32_e32 v14, 60, v34
	s_mov_b32 s15, s13
	v_mul_lo_u32 v2, s0, v1
	v_mul_hi_u32 v2, v1, v2
	s_lshl_b64 s[0:1], s[26:27], 2
	v_add_u32_e32 v27, v1, v2
	s_add_u32 s0, s24, s0
	v_lshlrev_b32_e32 v1, 5, v25
	s_addc_u32 s1, s25, s1
	v_lshl_or_b32 v1, v32, 7, v1
	s_mov_b32 s28, s33
	v_lshl_add_u64 v[18:19], s[0:1], 0, v[14:15]
	v_add_u32_e32 v28, 0x110, v1
	s_mov_b64 s[6:7], 0
	s_mov_b32 s24, 0xffff
	s_movk_i32 s25, 0x1000
	v_mov_b32_e32 v12, 0
	v_mov_b32_e32 v13, 0
	;; [unrolled: 1-line block ×8, first 2 shown]
	s_branch .LBB96_50
.LBB96_48:                              ;   in Loop: Header=BB96_50 Depth=1
	s_or_b64 exec, exec, s[12:13]
	v_lshlrev_b32_e32 v14, 16, v14
	v_lshlrev_b32_e32 v1, 16, v1
	v_and_or_b32 v2, v2, s24, v14
	v_and_or_b32 v1, v3, s24, v1
	v_lshlrev_b32_e32 v3, 16, v20
	v_add_f32_e32 v21, v55, v56
	v_and_or_b32 v3, v4, s24, v3
	;;#ASMSTART
	v_pk_mul_f16 v2, v40, v2;

	;;#ASMEND
	;;#ASMSTART
	v_pk_mul_f16 v1, v41, v1;

	;;#ASMEND
	v_add_f32_e32 v6, v6, v21
	v_add_f32_e32 v21, v53, v54
	;;#ASMSTART
	v_pk_mul_f16 v3, v42, v3;

	;;#ASMEND
	;;#ASMSTART
	v_pk_mul_f16 v4, v38, v5;

	;;#ASMEND
	;;#ASMSTART
	v_pk_add_f16 v1, v2, v1;

	;;#ASMEND
	v_add_f32_e32 v9, v9, v21
	v_add_f32_e32 v21, v51, v52
	;;#ASMSTART
	v_pk_add_f16 v1, v1, v3;

	;;#ASMEND
	v_add_f32_e32 v8, v8, v21
	v_add_f32_e32 v21, v49, v50
	;; [unrolled: 6-line block ×3, first 2 shown]
	v_lshrrev_b32_e32 v2, 16, v1
	v_and_b32_e32 v1, 0xffff, v1
	v_add_f32_e32 v10, v10, v21
	v_add_f32_e32 v21, v45, v46
	;;#ASMSTART
	v_cvt_f32_f16 v1, v1;
	;;#ASMEND
	v_add_f32_e32 v13, v13, v21
	v_add_f32_e32 v21, v43, v44
	;;#ASMSTART
	v_cvt_f32_f16 v2, v2;
	;;#ASMEND
	v_add_f32_e32 v12, v12, v21
	v_add_f32_e32 v1, v1, v2
	;; [unrolled: 1-line block ×3, first 2 shown]
.LBB96_49:                              ;   in Loop: Header=BB96_50 Depth=1
	s_or_b64 exec, exec, s[8:9]
	v_add_u32_e32 v32, 2, v32
	v_cmp_le_i32_e32 vcc, s16, v32
	v_lshl_add_u64 v[18:19], v[18:19], 0, 8
	v_add_u32_e32 v33, 64, v33
	s_or_b64 s[6:7], vcc, s[6:7]
	v_add_u32_e32 v28, 0x100, v28
	s_andn2_b64 exec, exec, s[6:7]
	s_cbranch_execz .LBB96_67
.LBB96_50:                              ; =>This Inner Loop Header: Depth=1
	v_mul_hi_u32 v1, v33, s40
	v_mul_lo_u32 v2, v1, s21
	v_sub_u32_e32 v2, v33, v2
	v_add_u32_e32 v3, 1, v1
	v_cmp_le_u32_e32 vcc, s21, v2
	s_nop 1
	v_cndmask_b32_e32 v1, v1, v3, vcc
	v_subrev_u32_e32 v3, s21, v2
	v_cndmask_b32_e32 v2, v2, v3, vcc
	v_add_u32_e32 v3, 1, v1
	v_cmp_le_u32_e32 vcc, s21, v2
	s_nop 1
	v_cndmask_b32_e32 v1, v1, v3, vcc
	v_xor_b32_e32 v1, s19, v1
	v_subrev_u32_e32 v1, s19, v1
	v_add_u32_e32 v2, s41, v1
	v_sub_u32_e32 v4, 0, v2
	v_ashrrev_i32_e32 v3, 31, v2
	v_max_i32_e32 v2, v2, v4
	v_mul_hi_u32 v4, v2, v27
	v_mul_lo_u32 v4, v4, s14
	v_sub_u32_e32 v2, v2, v4
	v_subrev_u32_e32 v4, s14, v2
	v_cmp_le_u32_e32 vcc, s14, v2
	v_cmp_lt_i32_e64 s[0:1], s17, v1
	s_nop 0
	v_cndmask_b32_e32 v2, v2, v4, vcc
	v_subrev_u32_e32 v4, s14, v2
	v_cmp_le_u32_e32 vcc, s14, v2
	s_nop 1
	v_cndmask_b32_e32 v2, v2, v4, vcc
	v_xor_b32_e32 v2, v2, v3
	v_sub_u32_e32 v2, v2, v3
	v_cmp_eq_u32_e32 vcc, 0, v2
	s_or_b64 s[0:1], vcc, s[0:1]
	s_and_saveexec_b64 s[8:9], s[0:1]
	s_cbranch_execz .LBB96_49
; %bb.51:                               ;   in Loop: Header=BB96_50 Depth=1
	global_load_dword v1, v[18:19], off
	ds_read2_b64 v[2:5], v28 offset1:1
	ds_read2_b64 v[34:37], v28 offset0:2 offset1:3
	s_waitcnt lgkmcnt(1)
	;;#ASMSTART
	v_cvt_f16_f32 v38, v2;

	;;#ASMEND
	;;#ASMSTART
	v_cvt_f16_f32 v40, v3;

	;;#ASMEND
	;;#ASMSTART
	v_cvt_f16_f32 v41, v4;

	;;#ASMEND
	;;#ASMSTART
	v_cvt_f16_f32 v42, v5;

	;;#ASMEND
	s_waitcnt lgkmcnt(0)
	;;#ASMSTART
	v_cvt_f16_f32 v43, v34;

	;;#ASMEND
	;;#ASMSTART
	v_cvt_f16_f32 v44, v35;

	;;#ASMEND
	;; [unrolled: 4-line block ×4, first 2 shown]
	v_add_u32_e32 v34, v26, v33
	v_add_u32_e32 v36, 2, v34
	;; [unrolled: 1-line block ×6, first 2 shown]
	v_or_b32_e32 v37, 3, v34
	v_or_b32_e32 v39, 1, v34
	s_waitcnt vmcnt(0)
	v_mad_i64_i32 v[2:3], s[0:1], v1, s15, 0
	v_lshl_add_u64 v[20:21], v[2:3], 1, v[16:17]
	global_load_dwordx4 v[2:5], v[20:21], off
	v_cmp_eq_u32_e64 s[0:1], s18, v32
	s_waitcnt vmcnt(0)
	v_lshrrev_b32_e32 v1, 16, v3
	v_lshrrev_b32_e32 v14, 16, v2
	;; [unrolled: 1-line block ×3, first 2 shown]
	s_and_saveexec_b64 s[12:13], s[0:1]
	s_cbranch_execz .LBB96_53
; %bb.52:                               ;   in Loop: Header=BB96_50 Depth=1
	v_cmp_gt_i32_e32 vcc, s33, v34
	s_nop 1
	v_cndmask_b32_e32 v2, 0, v2, vcc
	v_cmp_gt_i32_e32 vcc, s33, v36
	s_nop 1
	v_cndmask_b32_e32 v3, 0, v3, vcc
	;; [unrolled: 3-line block ×6, first 2 shown]
	v_cmp_gt_i32_e32 vcc, s33, v30
	s_nop 1
	v_cndmask_b32_sdwa v48, v15, v5, vcc dst_sel:DWORD dst_unused:UNUSED_PAD src0_sel:DWORD src1_sel:WORD_0
	v_and_b32_e32 v5, 0xffff0000, v5
	v_cmp_gt_i32_e32 vcc, s33, v29
	s_nop 1
	v_cndmask_b32_e32 v5, 0, v5, vcc
	v_or_b32_e32 v5, v48, v5
.LBB96_53:                              ;   in Loop: Header=BB96_50 Depth=1
	s_or_b64 exec, exec, s[12:13]
	v_and_b32_e32 v38, 0xffff, v38
	v_lshl_or_b32 v40, v40, 16, v38
	v_and_b32_e32 v38, 0xffff, v41
	v_lshlrev_b32_e32 v14, 16, v14
	v_lshlrev_b32_e32 v1, 16, v1
	v_lshl_or_b32 v41, v42, 16, v38
	v_and_b32_e32 v38, 0xffff, v43
	v_and_or_b32 v2, v2, s24, v14
	v_and_or_b32 v1, v3, s24, v1
	v_lshlrev_b32_e32 v3, 16, v47
	v_lshl_or_b32 v42, v44, 16, v38
	v_and_b32_e32 v38, 0xffff, v45
	v_and_or_b32 v3, v4, s24, v3
	;;#ASMSTART
	v_pk_mul_f16 v2, v40, v2;

	;;#ASMEND
	;;#ASMSTART
	v_pk_mul_f16 v1, v41, v1;

	;;#ASMEND
	v_lshl_or_b32 v38, v46, 16, v38
	;;#ASMSTART
	v_pk_mul_f16 v3, v42, v3;

	;;#ASMEND
	;;#ASMSTART
	v_pk_mul_f16 v4, v38, v5;

	;;#ASMEND
	;;#ASMSTART
	v_pk_add_f16 v1, v2, v1;

	;;#ASMEND
	s_nop 0
	;;#ASMSTART
	v_pk_add_f16 v1, v1, v3;

	;;#ASMEND
	s_nop 0
	;; [unrolled: 5-line block ×3, first 2 shown]
	v_lshrrev_b32_e32 v2, 16, v1
	v_and_b32_e32 v1, 0xffff, v1
	;;#ASMSTART
	v_cvt_f32_f16 v43, v1;
	;;#ASMEND
	;;#ASMSTART
	v_cvt_f32_f16 v44, v2;
	;;#ASMEND
	global_load_dwordx4 v[2:5], v[20:21], off offset:1024
	s_waitcnt vmcnt(0)
	v_lshrrev_b32_e32 v1, 16, v3
	v_lshrrev_b32_e32 v14, 16, v2
	;; [unrolled: 1-line block ×3, first 2 shown]
	s_and_saveexec_b64 s[12:13], s[0:1]
	s_cbranch_execz .LBB96_55
; %bb.54:                               ;   in Loop: Header=BB96_50 Depth=1
	v_cmp_gt_i32_e32 vcc, s33, v34
	s_nop 1
	v_cndmask_b32_e32 v2, 0, v2, vcc
	v_cmp_gt_i32_e32 vcc, s33, v36
	s_nop 1
	v_cndmask_b32_e32 v3, 0, v3, vcc
	;; [unrolled: 3-line block ×6, first 2 shown]
	v_cmp_gt_i32_e32 vcc, s33, v30
	s_nop 1
	v_cndmask_b32_sdwa v46, v15, v5, vcc dst_sel:DWORD dst_unused:UNUSED_PAD src0_sel:DWORD src1_sel:WORD_0
	v_and_b32_e32 v5, 0xffff0000, v5
	v_cmp_gt_i32_e32 vcc, s33, v29
	s_nop 1
	v_cndmask_b32_e32 v5, 0, v5, vcc
	v_or_b32_e32 v5, v46, v5
.LBB96_55:                              ;   in Loop: Header=BB96_50 Depth=1
	s_or_b64 exec, exec, s[12:13]
	v_lshlrev_b32_e32 v14, 16, v14
	v_lshlrev_b32_e32 v1, 16, v1
	v_and_or_b32 v2, v2, s24, v14
	v_and_or_b32 v1, v3, s24, v1
	v_lshlrev_b32_e32 v3, 16, v45
	v_and_or_b32 v3, v4, s24, v3
	;;#ASMSTART
	v_pk_mul_f16 v2, v40, v2;

	;;#ASMEND
	;;#ASMSTART
	v_pk_mul_f16 v1, v41, v1;

	;;#ASMEND
	;; [unrolled: 4-line block ×4, first 2 shown]
	s_nop 0
	;;#ASMSTART
	v_pk_add_f16 v1, v2, v1;

	;;#ASMEND
	s_nop 0
	;;#ASMSTART
	v_pk_add_f16 v1, v1, v3;

	;;#ASMEND
	;; [unrolled: 5-line block ×3, first 2 shown]
	s_nop 0
	v_lshrrev_b32_e32 v2, 16, v1
	v_and_b32_e32 v1, 0xffff, v1
	;;#ASMSTART
	v_cvt_f32_f16 v45, v1;
	;;#ASMEND
	;;#ASMSTART
	v_cvt_f32_f16 v46, v2;
	;;#ASMEND
	global_load_dwordx4 v[2:5], v[20:21], off offset:2048
	s_waitcnt vmcnt(0)
	v_lshrrev_b32_e32 v1, 16, v3
	v_lshrrev_b32_e32 v14, 16, v2
	;; [unrolled: 1-line block ×3, first 2 shown]
	s_and_saveexec_b64 s[12:13], s[0:1]
	s_cbranch_execz .LBB96_57
; %bb.56:                               ;   in Loop: Header=BB96_50 Depth=1
	v_cmp_gt_i32_e32 vcc, s33, v34
	s_nop 1
	v_cndmask_b32_e32 v2, 0, v2, vcc
	v_cmp_gt_i32_e32 vcc, s33, v36
	s_nop 1
	v_cndmask_b32_e32 v3, 0, v3, vcc
	;; [unrolled: 3-line block ×6, first 2 shown]
	v_cmp_gt_i32_e32 vcc, s33, v30
	s_nop 1
	v_cndmask_b32_sdwa v48, v15, v5, vcc dst_sel:DWORD dst_unused:UNUSED_PAD src0_sel:DWORD src1_sel:WORD_0
	v_and_b32_e32 v5, 0xffff0000, v5
	v_cmp_gt_i32_e32 vcc, s33, v29
	s_nop 1
	v_cndmask_b32_e32 v5, 0, v5, vcc
	v_or_b32_e32 v5, v48, v5
.LBB96_57:                              ;   in Loop: Header=BB96_50 Depth=1
	s_or_b64 exec, exec, s[12:13]
	v_lshlrev_b32_e32 v14, 16, v14
	v_lshlrev_b32_e32 v1, 16, v1
	v_and_or_b32 v2, v2, s24, v14
	v_and_or_b32 v1, v3, s24, v1
	v_lshlrev_b32_e32 v3, 16, v47
	v_and_or_b32 v3, v4, s24, v3
	;;#ASMSTART
	v_pk_mul_f16 v2, v40, v2;

	;;#ASMEND
	;;#ASMSTART
	v_pk_mul_f16 v1, v41, v1;

	;;#ASMEND
	;; [unrolled: 4-line block ×4, first 2 shown]
	s_nop 0
	;;#ASMSTART
	v_pk_add_f16 v1, v2, v1;

	;;#ASMEND
	s_nop 0
	;;#ASMSTART
	v_pk_add_f16 v1, v1, v3;

	;;#ASMEND
	;; [unrolled: 5-line block ×3, first 2 shown]
	s_nop 0
	v_lshrrev_b32_e32 v2, 16, v1
	v_and_b32_e32 v1, 0xffff, v1
	;;#ASMSTART
	v_cvt_f32_f16 v47, v1;
	;;#ASMEND
	;;#ASMSTART
	v_cvt_f32_f16 v48, v2;
	;;#ASMEND
	global_load_dwordx4 v[2:5], v[20:21], off offset:3072
	s_waitcnt vmcnt(0)
	v_lshrrev_b32_e32 v1, 16, v3
	v_lshrrev_b32_e32 v14, 16, v2
	;; [unrolled: 1-line block ×3, first 2 shown]
	s_and_saveexec_b64 s[12:13], s[0:1]
	s_cbranch_execz .LBB96_59
; %bb.58:                               ;   in Loop: Header=BB96_50 Depth=1
	v_cmp_gt_i32_e32 vcc, s33, v34
	s_nop 1
	v_cndmask_b32_e32 v2, 0, v2, vcc
	v_cmp_gt_i32_e32 vcc, s33, v36
	s_nop 1
	v_cndmask_b32_e32 v3, 0, v3, vcc
	;; [unrolled: 3-line block ×6, first 2 shown]
	v_cmp_gt_i32_e32 vcc, s33, v30
	s_nop 1
	v_cndmask_b32_sdwa v50, v15, v5, vcc dst_sel:DWORD dst_unused:UNUSED_PAD src0_sel:DWORD src1_sel:WORD_0
	v_and_b32_e32 v5, 0xffff0000, v5
	v_cmp_gt_i32_e32 vcc, s33, v29
	s_nop 1
	v_cndmask_b32_e32 v5, 0, v5, vcc
	v_or_b32_e32 v5, v50, v5
.LBB96_59:                              ;   in Loop: Header=BB96_50 Depth=1
	s_or_b64 exec, exec, s[12:13]
	v_lshlrev_b32_e32 v14, 16, v14
	v_lshlrev_b32_e32 v1, 16, v1
	v_and_or_b32 v2, v2, s24, v14
	v_and_or_b32 v1, v3, s24, v1
	v_lshlrev_b32_e32 v3, 16, v49
	v_and_or_b32 v3, v4, s24, v3
	;;#ASMSTART
	v_pk_mul_f16 v2, v40, v2;

	;;#ASMEND
	;;#ASMSTART
	v_pk_mul_f16 v1, v41, v1;

	;;#ASMEND
	;; [unrolled: 4-line block ×4, first 2 shown]
	v_add_co_u32_e32 v20, vcc, s25, v20
	;;#ASMSTART
	v_pk_add_f16 v1, v2, v1;

	;;#ASMEND
	s_nop 0
	;;#ASMSTART
	v_pk_add_f16 v1, v1, v3;

	;;#ASMEND
	s_nop 0
	v_addc_co_u32_e32 v21, vcc, 0, v21, vcc
	;;#ASMSTART
	v_pk_add_f16 v1, v1, v4;

	;;#ASMEND
	s_nop 0
	v_lshrrev_b32_e32 v2, 16, v1
	v_and_b32_e32 v1, 0xffff, v1
	;;#ASMSTART
	v_cvt_f32_f16 v49, v1;
	;;#ASMEND
	;;#ASMSTART
	v_cvt_f32_f16 v50, v2;
	;;#ASMEND
	global_load_dwordx4 v[2:5], v[20:21], off
	s_waitcnt vmcnt(0)
	v_lshrrev_b32_e32 v1, 16, v3
	v_lshrrev_b32_e32 v14, 16, v2
	;; [unrolled: 1-line block ×3, first 2 shown]
	s_and_saveexec_b64 s[12:13], s[0:1]
	s_cbranch_execz .LBB96_61
; %bb.60:                               ;   in Loop: Header=BB96_50 Depth=1
	v_cmp_gt_i32_e32 vcc, s33, v34
	s_nop 1
	v_cndmask_b32_e32 v2, 0, v2, vcc
	v_cmp_gt_i32_e32 vcc, s33, v36
	s_nop 1
	v_cndmask_b32_e32 v3, 0, v3, vcc
	;; [unrolled: 3-line block ×6, first 2 shown]
	v_cmp_gt_i32_e32 vcc, s33, v30
	s_nop 1
	v_cndmask_b32_sdwa v52, v15, v5, vcc dst_sel:DWORD dst_unused:UNUSED_PAD src0_sel:DWORD src1_sel:WORD_0
	v_and_b32_e32 v5, 0xffff0000, v5
	v_cmp_gt_i32_e32 vcc, s33, v29
	s_nop 1
	v_cndmask_b32_e32 v5, 0, v5, vcc
	v_or_b32_e32 v5, v52, v5
.LBB96_61:                              ;   in Loop: Header=BB96_50 Depth=1
	s_or_b64 exec, exec, s[12:13]
	v_lshlrev_b32_e32 v14, 16, v14
	v_lshlrev_b32_e32 v1, 16, v1
	v_and_or_b32 v2, v2, s24, v14
	v_and_or_b32 v1, v3, s24, v1
	v_lshlrev_b32_e32 v3, 16, v51
	v_and_or_b32 v3, v4, s24, v3
	;;#ASMSTART
	v_pk_mul_f16 v2, v40, v2;

	;;#ASMEND
	;;#ASMSTART
	v_pk_mul_f16 v1, v41, v1;

	;;#ASMEND
	;; [unrolled: 4-line block ×4, first 2 shown]
	s_nop 0
	;;#ASMSTART
	v_pk_add_f16 v1, v2, v1;

	;;#ASMEND
	s_nop 0
	;;#ASMSTART
	v_pk_add_f16 v1, v1, v3;

	;;#ASMEND
	;; [unrolled: 5-line block ×3, first 2 shown]
	s_nop 0
	v_lshrrev_b32_e32 v2, 16, v1
	v_and_b32_e32 v1, 0xffff, v1
	;;#ASMSTART
	v_cvt_f32_f16 v51, v1;
	;;#ASMEND
	;;#ASMSTART
	v_cvt_f32_f16 v52, v2;
	;;#ASMEND
	global_load_dwordx4 v[2:5], v[20:21], off offset:1024
	s_waitcnt vmcnt(0)
	v_lshrrev_b32_e32 v1, 16, v3
	v_lshrrev_b32_e32 v14, 16, v2
	;; [unrolled: 1-line block ×3, first 2 shown]
	s_and_saveexec_b64 s[12:13], s[0:1]
	s_cbranch_execz .LBB96_63
; %bb.62:                               ;   in Loop: Header=BB96_50 Depth=1
	v_cmp_gt_i32_e32 vcc, s33, v34
	s_nop 1
	v_cndmask_b32_e32 v2, 0, v2, vcc
	v_cmp_gt_i32_e32 vcc, s33, v36
	s_nop 1
	v_cndmask_b32_e32 v3, 0, v3, vcc
	;; [unrolled: 3-line block ×6, first 2 shown]
	v_cmp_gt_i32_e32 vcc, s33, v30
	s_nop 1
	v_cndmask_b32_sdwa v54, v15, v5, vcc dst_sel:DWORD dst_unused:UNUSED_PAD src0_sel:DWORD src1_sel:WORD_0
	v_and_b32_e32 v5, 0xffff0000, v5
	v_cmp_gt_i32_e32 vcc, s33, v29
	s_nop 1
	v_cndmask_b32_e32 v5, 0, v5, vcc
	v_or_b32_e32 v5, v54, v5
.LBB96_63:                              ;   in Loop: Header=BB96_50 Depth=1
	s_or_b64 exec, exec, s[12:13]
	v_lshlrev_b32_e32 v14, 16, v14
	v_lshlrev_b32_e32 v1, 16, v1
	v_and_or_b32 v2, v2, s24, v14
	v_and_or_b32 v1, v3, s24, v1
	v_lshlrev_b32_e32 v3, 16, v53
	v_and_or_b32 v3, v4, s24, v3
	;;#ASMSTART
	v_pk_mul_f16 v2, v40, v2;

	;;#ASMEND
	;;#ASMSTART
	v_pk_mul_f16 v1, v41, v1;

	;;#ASMEND
	;; [unrolled: 4-line block ×4, first 2 shown]
	s_nop 0
	;;#ASMSTART
	v_pk_add_f16 v1, v2, v1;

	;;#ASMEND
	s_nop 0
	;;#ASMSTART
	v_pk_add_f16 v1, v1, v3;

	;;#ASMEND
	;; [unrolled: 5-line block ×3, first 2 shown]
	s_nop 0
	v_lshrrev_b32_e32 v2, 16, v1
	v_and_b32_e32 v1, 0xffff, v1
	;;#ASMSTART
	v_cvt_f32_f16 v53, v1;
	;;#ASMEND
	;;#ASMSTART
	v_cvt_f32_f16 v54, v2;
	;;#ASMEND
	global_load_dwordx4 v[2:5], v[20:21], off offset:2048
	s_waitcnt vmcnt(0)
	v_lshrrev_b32_e32 v1, 16, v3
	v_lshrrev_b32_e32 v14, 16, v2
	;; [unrolled: 1-line block ×3, first 2 shown]
	s_and_saveexec_b64 s[12:13], s[0:1]
	s_cbranch_execz .LBB96_65
; %bb.64:                               ;   in Loop: Header=BB96_50 Depth=1
	v_cmp_gt_i32_e32 vcc, s33, v34
	s_nop 1
	v_cndmask_b32_e32 v2, 0, v2, vcc
	v_cmp_gt_i32_e32 vcc, s33, v36
	s_nop 1
	v_cndmask_b32_e32 v3, 0, v3, vcc
	;; [unrolled: 3-line block ×6, first 2 shown]
	v_cmp_gt_i32_e32 vcc, s33, v30
	s_nop 1
	v_cndmask_b32_sdwa v56, v15, v5, vcc dst_sel:DWORD dst_unused:UNUSED_PAD src0_sel:DWORD src1_sel:WORD_0
	v_and_b32_e32 v5, 0xffff0000, v5
	v_cmp_gt_i32_e32 vcc, s33, v29
	s_nop 1
	v_cndmask_b32_e32 v5, 0, v5, vcc
	v_or_b32_e32 v5, v56, v5
.LBB96_65:                              ;   in Loop: Header=BB96_50 Depth=1
	s_or_b64 exec, exec, s[12:13]
	v_lshlrev_b32_e32 v14, 16, v14
	v_lshlrev_b32_e32 v1, 16, v1
	v_and_or_b32 v2, v2, s24, v14
	v_and_or_b32 v1, v3, s24, v1
	v_lshlrev_b32_e32 v3, 16, v55
	v_and_or_b32 v3, v4, s24, v3
	;;#ASMSTART
	v_pk_mul_f16 v2, v40, v2;

	;;#ASMEND
	;;#ASMSTART
	v_pk_mul_f16 v1, v41, v1;

	;;#ASMEND
	;; [unrolled: 4-line block ×4, first 2 shown]
	s_nop 0
	;;#ASMSTART
	v_pk_add_f16 v1, v2, v1;

	;;#ASMEND
	s_nop 0
	;;#ASMSTART
	v_pk_add_f16 v1, v1, v3;

	;;#ASMEND
	;; [unrolled: 5-line block ×3, first 2 shown]
	s_nop 0
	v_lshrrev_b32_e32 v2, 16, v1
	v_and_b32_e32 v1, 0xffff, v1
	;;#ASMSTART
	v_cvt_f32_f16 v55, v1;
	;;#ASMEND
	;;#ASMSTART
	v_cvt_f32_f16 v56, v2;
	;;#ASMEND
	global_load_dwordx4 v[2:5], v[20:21], off offset:3072
	s_waitcnt vmcnt(0)
	v_lshrrev_b32_e32 v1, 16, v3
	v_lshrrev_b32_e32 v14, 16, v2
	;; [unrolled: 1-line block ×3, first 2 shown]
	s_and_saveexec_b64 s[12:13], s[0:1]
	s_cbranch_execz .LBB96_48
; %bb.66:                               ;   in Loop: Header=BB96_50 Depth=1
	v_cmp_gt_i32_e32 vcc, s33, v34
	s_nop 1
	v_cndmask_b32_e32 v2, 0, v2, vcc
	v_cmp_gt_i32_e32 vcc, s33, v36
	s_nop 1
	v_cndmask_b32_e32 v3, 0, v3, vcc
	;; [unrolled: 3-line block ×6, first 2 shown]
	v_cmp_gt_i32_e32 vcc, s33, v30
	s_nop 1
	v_cndmask_b32_sdwa v21, v15, v5, vcc dst_sel:DWORD dst_unused:UNUSED_PAD src0_sel:DWORD src1_sel:WORD_0
	v_and_b32_e32 v5, 0xffff0000, v5
	v_cmp_gt_i32_e32 vcc, s33, v29
	s_nop 1
	v_cndmask_b32_e32 v5, 0, v5, vcc
	v_or_b32_e32 v5, v21, v5
	s_branch .LBB96_48
.LBB96_67:
	s_or_b64 exec, exec, s[6:7]
.LBB96_68:
	s_or_b64 exec, exec, s[2:3]
	ds_bpermute_b32 v4, v23, v10
	ds_bpermute_b32 v5, v23, v11
	;; [unrolled: 1-line block ×6, first 2 shown]
	s_waitcnt lgkmcnt(4)
	v_pk_add_f32 v[4:5], v[10:11], v[4:5]
	ds_bpermute_b32 v18, v23, v6
	ds_bpermute_b32 v19, v23, v7
	;; [unrolled: 1-line block ×4, first 2 shown]
	s_waitcnt lgkmcnt(6)
	v_pk_add_f32 v[2:3], v[12:13], v[2:3]
	s_waitcnt lgkmcnt(4)
	v_pk_add_f32 v[14:15], v[8:9], v[14:15]
	ds_bpermute_b32 v12, v24, v2
	ds_bpermute_b32 v13, v24, v3
	;; [unrolled: 1-line block ×4, first 2 shown]
	s_waitcnt lgkmcnt(6)
	v_pk_add_f32 v[6:7], v[6:7], v[18:19]
	s_waitcnt lgkmcnt(4)
	v_pk_add_f32 v[4:5], v[4:5], v[10:11]
	ds_bpermute_b32 v10, v24, v6
	ds_bpermute_b32 v11, v24, v7
	v_and_b32_e32 v1, 0x3c3, v0
	s_waitcnt lgkmcnt(4)
	v_pk_add_f32 v[8:9], v[2:3], v[12:13]
	s_waitcnt lgkmcnt(2)
	v_pk_add_f32 v[2:3], v[14:15], v[16:17]
	v_cmp_ne_u32_e32 vcc, 64, v1
	s_waitcnt lgkmcnt(0)
	s_barrier
	s_and_saveexec_b64 s[0:1], vcc
	s_xor_b64 s[0:1], exec, s[0:1]
; %bb.69:
                                        ; implicit-def: $vgpr22
; %bb.70:
	s_or_saveexec_b64 s[0:1], s[0:1]
	v_pk_add_f32 v[6:7], v[6:7], v[10:11]
	s_xor_b64 exec, exec, s[0:1]
	s_cbranch_execz .LBB96_72
; %bb.71:
	v_add_u32_e32 v10, 0x110, v22
	ds_write2_b32 v10, v8, v9 offset1:16
	ds_write2_b32 v10, v4, v5 offset0:32 offset1:48
	ds_write2_b32 v10, v2, v3 offset0:64 offset1:80
	;; [unrolled: 1-line block ×3, first 2 shown]
.LBB96_72:
	s_or_b64 exec, exec, s[0:1]
	v_cmp_gt_u32_e32 vcc, 64, v0
	v_lshrrev_b32_e32 v0, 2, v0
	s_waitcnt lgkmcnt(0)
	s_barrier
	s_and_saveexec_b64 s[0:1], vcc
	s_cbranch_execz .LBB96_83
; %bb.73:
	v_mov_b32_e32 v10, 0x110
	v_cmp_eq_u32_e32 vcc, 0, v25
	v_lshl_add_u32 v10, v0, 2, v10
	s_and_saveexec_b64 s[2:3], vcc
	s_cbranch_execnz .LBB96_86
; %bb.74:
	s_or_b64 exec, exec, s[2:3]
	s_and_saveexec_b64 s[2:3], vcc
	s_cbranch_execnz .LBB96_87
.LBB96_75:
	s_or_b64 exec, exec, s[2:3]
	s_and_saveexec_b64 s[2:3], vcc
	s_cbranch_execnz .LBB96_88
.LBB96_76:
	s_or_b64 exec, exec, s[2:3]
	s_and_saveexec_b64 s[2:3], vcc
	s_cbranch_execnz .LBB96_89
.LBB96_77:
	s_or_b64 exec, exec, s[2:3]
	s_and_saveexec_b64 s[2:3], vcc
	s_cbranch_execnz .LBB96_90
.LBB96_78:
	s_or_b64 exec, exec, s[2:3]
	s_and_saveexec_b64 s[2:3], vcc
	s_cbranch_execnz .LBB96_91
.LBB96_79:
	s_or_b64 exec, exec, s[2:3]
	s_and_saveexec_b64 s[2:3], vcc
	s_cbranch_execnz .LBB96_92
.LBB96_80:
	s_or_b64 exec, exec, s[2:3]
	s_and_saveexec_b64 s[2:3], vcc
	s_cbranch_execz .LBB96_82
.LBB96_81:
	ds_read_b32 v10, v10 offset:448
	s_waitcnt lgkmcnt(0)
	v_add_f32_e32 v7, v7, v10
.LBB96_82:
	s_or_b64 exec, exec, s[2:3]
.LBB96_83:
	s_or_b64 exec, exec, s[0:1]
	v_cmp_eq_u32_e32 vcc, 0, v1
	s_barrier
	s_and_saveexec_b64 s[0:1], vcc
	s_cbranch_execz .LBB96_85
; %bb.84:
	s_mul_i32 s0, s10, s11
	s_mul_i32 s0, s0, s5
	s_lshl_b32 s0, s0, 7
	s_ashr_i32 s1, s0, 31
	s_lshl_b64 s[0:1], s[0:1], 1
	s_add_u32 s2, s22, s0
	s_mul_i32 s0, s11, s20
	s_addc_u32 s3, s23, s1
	s_ashr_i32 s1, s0, 31
	s_lshl_b64 s[0:1], s[0:1], 1
	s_add_u32 s2, s2, s0
	s_addc_u32 s3, s3, s1
	s_lshl_b32 s0, s4, 7
	s_ashr_i32 s1, s0, 31
	s_lshl_b64 s[0:1], s[0:1], 1
	s_add_u32 s0, s2, s0
	s_addc_u32 s1, s3, s1
	v_lshlrev_b32_e32 v0, 1, v0
	;;#ASMSTART
	v_cvt_f16_f32 v1, v8;

	;;#ASMEND
	global_store_short v0, v1, s[0:1]
	;;#ASMSTART
	v_cvt_f16_f32 v1, v9;

	;;#ASMEND
	global_store_short v0, v1, s[0:1] offset:32
	;;#ASMSTART
	v_cvt_f16_f32 v1, v4;

	;;#ASMEND
	global_store_short v0, v1, s[0:1] offset:64
	;; [unrolled: 5-line block ×7, first 2 shown]
.LBB96_85:
	s_endpgm
.LBB96_86:
	ds_read_b32 v11, v10
	s_waitcnt lgkmcnt(0)
	v_add_f32_e32 v8, v8, v11
	s_or_b64 exec, exec, s[2:3]
	s_and_saveexec_b64 s[2:3], vcc
	s_cbranch_execz .LBB96_75
.LBB96_87:
	ds_read_b32 v11, v10 offset:64
	s_waitcnt lgkmcnt(0)
	v_add_f32_e32 v9, v9, v11
	s_or_b64 exec, exec, s[2:3]
	s_and_saveexec_b64 s[2:3], vcc
	s_cbranch_execz .LBB96_76
.LBB96_88:
	ds_read_b32 v11, v10 offset:128
	s_waitcnt lgkmcnt(0)
	v_add_f32_e32 v4, v4, v11
	s_or_b64 exec, exec, s[2:3]
	s_and_saveexec_b64 s[2:3], vcc
	s_cbranch_execz .LBB96_77
.LBB96_89:
	ds_read_b32 v11, v10 offset:192
	s_waitcnt lgkmcnt(0)
	v_add_f32_e32 v5, v5, v11
	s_or_b64 exec, exec, s[2:3]
	s_and_saveexec_b64 s[2:3], vcc
	s_cbranch_execz .LBB96_78
.LBB96_90:
	ds_read_b32 v11, v10 offset:256
	s_waitcnt lgkmcnt(0)
	v_add_f32_e32 v2, v2, v11
	s_or_b64 exec, exec, s[2:3]
	s_and_saveexec_b64 s[2:3], vcc
	s_cbranch_execz .LBB96_79
.LBB96_91:
	ds_read_b32 v11, v10 offset:320
	s_waitcnt lgkmcnt(0)
	v_add_f32_e32 v3, v3, v11
	s_or_b64 exec, exec, s[2:3]
	s_and_saveexec_b64 s[2:3], vcc
	s_cbranch_execz .LBB96_80
.LBB96_92:
	ds_read_b32 v11, v10 offset:384
	s_waitcnt lgkmcnt(0)
	v_add_f32_e32 v6, v6, v11
	s_or_b64 exec, exec, s[2:3]
	s_and_saveexec_b64 s[2:3], vcc
	s_cbranch_execnz .LBB96_81
	s_branch .LBB96_82
	.section	.rodata,"a",@progbits
	.p2align	6, 0x0
	.amdhsa_kernel _ZN4vllm25paged_attention_v1_kernelIttLi128ELi32ELi128ELNS_18Fp8KVCacheDataTypeE0ELb1EEEvPT_PKS2_PKT0_S8_ifPKiSA_iPKfiiiSC_SC_iiiii
		.amdhsa_group_segment_fixed_size 272
		.amdhsa_private_segment_fixed_size 0
		.amdhsa_kernarg_size 384
		.amdhsa_user_sgpr_count 2
		.amdhsa_user_sgpr_dispatch_ptr 0
		.amdhsa_user_sgpr_queue_ptr 0
		.amdhsa_user_sgpr_kernarg_segment_ptr 1
		.amdhsa_user_sgpr_dispatch_id 0
		.amdhsa_user_sgpr_kernarg_preload_length 0
		.amdhsa_user_sgpr_kernarg_preload_offset 0
		.amdhsa_user_sgpr_private_segment_size 0
		.amdhsa_uses_dynamic_stack 0
		.amdhsa_enable_private_segment 0
		.amdhsa_system_sgpr_workgroup_id_x 1
		.amdhsa_system_sgpr_workgroup_id_y 1
		.amdhsa_system_sgpr_workgroup_id_z 1
		.amdhsa_system_sgpr_workgroup_info 0
		.amdhsa_system_vgpr_workitem_id 0
		.amdhsa_next_free_vgpr 83
		.amdhsa_next_free_sgpr 45
		.amdhsa_accum_offset 84
		.amdhsa_reserve_vcc 1
		.amdhsa_float_round_mode_32 0
		.amdhsa_float_round_mode_16_64 0
		.amdhsa_float_denorm_mode_32 3
		.amdhsa_float_denorm_mode_16_64 3
		.amdhsa_dx10_clamp 1
		.amdhsa_ieee_mode 1
		.amdhsa_fp16_overflow 0
		.amdhsa_tg_split 0
		.amdhsa_exception_fp_ieee_invalid_op 0
		.amdhsa_exception_fp_denorm_src 0
		.amdhsa_exception_fp_ieee_div_zero 0
		.amdhsa_exception_fp_ieee_overflow 0
		.amdhsa_exception_fp_ieee_underflow 0
		.amdhsa_exception_fp_ieee_inexact 0
		.amdhsa_exception_int_div_zero 0
	.end_amdhsa_kernel
	.section	.text._ZN4vllm25paged_attention_v1_kernelIttLi128ELi32ELi128ELNS_18Fp8KVCacheDataTypeE0ELb1EEEvPT_PKS2_PKT0_S8_ifPKiSA_iPKfiiiSC_SC_iiiii,"axG",@progbits,_ZN4vllm25paged_attention_v1_kernelIttLi128ELi32ELi128ELNS_18Fp8KVCacheDataTypeE0ELb1EEEvPT_PKS2_PKT0_S8_ifPKiSA_iPKfiiiSC_SC_iiiii,comdat
.Lfunc_end96:
	.size	_ZN4vllm25paged_attention_v1_kernelIttLi128ELi32ELi128ELNS_18Fp8KVCacheDataTypeE0ELb1EEEvPT_PKS2_PKT0_S8_ifPKiSA_iPKfiiiSC_SC_iiiii, .Lfunc_end96-_ZN4vllm25paged_attention_v1_kernelIttLi128ELi32ELi128ELNS_18Fp8KVCacheDataTypeE0ELb1EEEvPT_PKS2_PKT0_S8_ifPKiSA_iPKfiiiSC_SC_iiiii
                                        ; -- End function
	.set _ZN4vllm25paged_attention_v1_kernelIttLi128ELi32ELi128ELNS_18Fp8KVCacheDataTypeE0ELb1EEEvPT_PKS2_PKT0_S8_ifPKiSA_iPKfiiiSC_SC_iiiii.num_vgpr, 83
	.set _ZN4vllm25paged_attention_v1_kernelIttLi128ELi32ELi128ELNS_18Fp8KVCacheDataTypeE0ELb1EEEvPT_PKS2_PKT0_S8_ifPKiSA_iPKfiiiSC_SC_iiiii.num_agpr, 0
	.set _ZN4vllm25paged_attention_v1_kernelIttLi128ELi32ELi128ELNS_18Fp8KVCacheDataTypeE0ELb1EEEvPT_PKS2_PKT0_S8_ifPKiSA_iPKfiiiSC_SC_iiiii.numbered_sgpr, 45
	.set _ZN4vllm25paged_attention_v1_kernelIttLi128ELi32ELi128ELNS_18Fp8KVCacheDataTypeE0ELb1EEEvPT_PKS2_PKT0_S8_ifPKiSA_iPKfiiiSC_SC_iiiii.num_named_barrier, 0
	.set _ZN4vllm25paged_attention_v1_kernelIttLi128ELi32ELi128ELNS_18Fp8KVCacheDataTypeE0ELb1EEEvPT_PKS2_PKT0_S8_ifPKiSA_iPKfiiiSC_SC_iiiii.private_seg_size, 0
	.set _ZN4vllm25paged_attention_v1_kernelIttLi128ELi32ELi128ELNS_18Fp8KVCacheDataTypeE0ELb1EEEvPT_PKS2_PKT0_S8_ifPKiSA_iPKfiiiSC_SC_iiiii.uses_vcc, 1
	.set _ZN4vllm25paged_attention_v1_kernelIttLi128ELi32ELi128ELNS_18Fp8KVCacheDataTypeE0ELb1EEEvPT_PKS2_PKT0_S8_ifPKiSA_iPKfiiiSC_SC_iiiii.uses_flat_scratch, 0
	.set _ZN4vllm25paged_attention_v1_kernelIttLi128ELi32ELi128ELNS_18Fp8KVCacheDataTypeE0ELb1EEEvPT_PKS2_PKT0_S8_ifPKiSA_iPKfiiiSC_SC_iiiii.has_dyn_sized_stack, 0
	.set _ZN4vllm25paged_attention_v1_kernelIttLi128ELi32ELi128ELNS_18Fp8KVCacheDataTypeE0ELb1EEEvPT_PKS2_PKT0_S8_ifPKiSA_iPKfiiiSC_SC_iiiii.has_recursion, 0
	.set _ZN4vllm25paged_attention_v1_kernelIttLi128ELi32ELi128ELNS_18Fp8KVCacheDataTypeE0ELb1EEEvPT_PKS2_PKT0_S8_ifPKiSA_iPKfiiiSC_SC_iiiii.has_indirect_call, 0
	.section	.AMDGPU.csdata,"",@progbits
; Kernel info:
; codeLenInByte = 10828
; TotalNumSgprs: 51
; NumVgprs: 83
; NumAgprs: 0
; TotalNumVgprs: 83
; ScratchSize: 0
; MemoryBound: 0
; FloatMode: 240
; IeeeMode: 1
; LDSByteSize: 272 bytes/workgroup (compile time only)
; SGPRBlocks: 6
; VGPRBlocks: 10
; NumSGPRsForWavesPerEU: 51
; NumVGPRsForWavesPerEU: 83
; AccumOffset: 84
; Occupancy: 5
; WaveLimiterHint : 1
; COMPUTE_PGM_RSRC2:SCRATCH_EN: 0
; COMPUTE_PGM_RSRC2:USER_SGPR: 2
; COMPUTE_PGM_RSRC2:TRAP_HANDLER: 0
; COMPUTE_PGM_RSRC2:TGID_X_EN: 1
; COMPUTE_PGM_RSRC2:TGID_Y_EN: 1
; COMPUTE_PGM_RSRC2:TGID_Z_EN: 1
; COMPUTE_PGM_RSRC2:TIDIG_COMP_CNT: 0
; COMPUTE_PGM_RSRC3_GFX90A:ACCUM_OFFSET: 20
; COMPUTE_PGM_RSRC3_GFX90A:TG_SPLIT: 0
	.section	.text._ZN4vllm25paged_attention_v1_kernelIttLi192ELi32ELi128ELNS_18Fp8KVCacheDataTypeE0ELb1EEEvPT_PKS2_PKT0_S8_ifPKiSA_iPKfiiiSC_SC_iiiii,"axG",@progbits,_ZN4vllm25paged_attention_v1_kernelIttLi192ELi32ELi128ELNS_18Fp8KVCacheDataTypeE0ELb1EEEvPT_PKS2_PKT0_S8_ifPKiSA_iPKfiiiSC_SC_iiiii,comdat
	.protected	_ZN4vllm25paged_attention_v1_kernelIttLi192ELi32ELi128ELNS_18Fp8KVCacheDataTypeE0ELb1EEEvPT_PKS2_PKT0_S8_ifPKiSA_iPKfiiiSC_SC_iiiii ; -- Begin function _ZN4vllm25paged_attention_v1_kernelIttLi192ELi32ELi128ELNS_18Fp8KVCacheDataTypeE0ELb1EEEvPT_PKS2_PKT0_S8_ifPKiSA_iPKfiiiSC_SC_iiiii
	.globl	_ZN4vllm25paged_attention_v1_kernelIttLi192ELi32ELi128ELNS_18Fp8KVCacheDataTypeE0ELb1EEEvPT_PKS2_PKT0_S8_ifPKiSA_iPKfiiiSC_SC_iiiii
	.p2align	8
	.type	_ZN4vllm25paged_attention_v1_kernelIttLi192ELi32ELi128ELNS_18Fp8KVCacheDataTypeE0ELb1EEEvPT_PKS2_PKT0_S8_ifPKiSA_iPKfiiiSC_SC_iiiii,@function
_ZN4vllm25paged_attention_v1_kernelIttLi192ELi32ELi128ELNS_18Fp8KVCacheDataTypeE0ELb1EEEvPT_PKS2_PKT0_S8_ifPKiSA_iPKfiiiSC_SC_iiiii: ; @_ZN4vllm25paged_attention_v1_kernelIttLi192ELi32ELi128ELNS_18Fp8KVCacheDataTypeE0ELb1EEEvPT_PKS2_PKT0_S8_ifPKiSA_iPKfiiiSC_SC_iiiii
; %bb.0:
	s_load_dword s5, s[0:1], 0x80
	s_load_dwordx2 s[6:7], s[0:1], 0x30
	s_load_dwordx2 s[30:31], s[0:1], 0x20
	s_mov_b32 s10, s3
	s_ashr_i32 s11, s3, 31
	s_lshl_b64 s[8:9], s[10:11], 2
	s_waitcnt lgkmcnt(0)
	s_add_u32 s6, s6, s8
	s_addc_u32 s7, s7, s9
	s_abs_i32 s3, s30
	v_cvt_f32_u32_e32 v1, s3
	s_sub_i32 s11, 0, s3
	s_abs_i32 s9, s5
	s_xor_b32 s8, s5, s30
	v_rcp_iflag_f32_e32 v1, v1
	s_ashr_i32 s8, s8, 31
	s_mov_b32 s42, 0
	v_mul_f32_e32 v1, 0x4f7ffffe, v1
	v_cvt_u32_f32_e32 v1, v1
	s_nop 0
	v_readfirstlane_b32 s12, v1
	s_mul_i32 s11, s11, s12
	s_mul_hi_u32 s11, s12, s11
	s_add_i32 s12, s12, s11
	s_mul_hi_u32 s11, s9, s12
	s_mul_i32 s12, s11, s3
	s_sub_i32 s9, s9, s12
	s_add_i32 s12, s11, 1
	s_sub_i32 s13, s9, s3
	s_cmp_ge_u32 s9, s3
	s_cselect_b32 s11, s12, s11
	s_cselect_b32 s9, s13, s9
	s_add_i32 s12, s11, 1
	s_cmp_ge_u32 s9, s3
	s_cselect_b32 s3, s12, s11
	s_xor_b32 s3, s3, s8
	s_sub_i32 s12, s3, s8
	s_abs_i32 s11, s12
	v_cvt_f32_u32_e32 v1, s11
	s_load_dwordx2 s[8:9], s[0:1], 0x40
	s_sub_i32 s3, 0, s11
	s_abs_i32 s22, s2
	v_rcp_iflag_f32_e32 v1, v1
	s_nop 0
	v_mul_f32_e32 v1, 0x4f7ffffe, v1
	v_cvt_u32_f32_e32 v1, v1
	s_nop 0
	v_readfirstlane_b32 s13, v1
	s_mul_i32 s3, s3, s13
	s_mul_hi_u32 s3, s13, s3
	s_add_i32 s13, s13, s3
	s_waitcnt lgkmcnt(0)
	s_cmp_eq_u64 s[8:9], 0
	s_mul_hi_u32 s23, s22, s13
	s_cbranch_scc1 .LBB97_2
; %bb.1:
	s_ashr_i32 s3, s2, 31
	s_lshl_b64 s[14:15], s[2:3], 2
	s_add_u32 s8, s8, s14
	s_addc_u32 s9, s9, s15
	s_load_dword s42, s[8:9], 0x0
.LBB97_2:
	s_load_dword s33, s[6:7], 0x0
	s_ashr_i32 s9, s12, 31
	s_load_dwordx4 s[12:15], s[0:1], 0x48
	s_ashr_i32 s3, s2, 31
	v_and_b32_e32 v4, 1, v0
	s_movk_i32 s8, 0xc0
	s_mul_i32 s20, s2, 0xc0
	v_cmp_gt_u32_e32 vcc, 48, v0
	v_lshlrev_b32_e32 v1, 3, v0
	s_and_saveexec_b64 s[6:7], vcc
	s_cbranch_execz .LBB97_4
; %bb.3:
	s_load_dwordx2 s[16:17], s[0:1], 0x8
	s_waitcnt lgkmcnt(0)
	s_mul_i32 s18, s12, s10
	s_ashr_i32 s19, s18, 31
	s_lshl_b64 s[18:19], s[18:19], 1
	v_lshlrev_b32_e32 v5, 2, v0
	s_add_u32 s12, s16, s18
	s_addc_u32 s15, s17, s19
	s_ashr_i32 s21, s20, 31
	s_lshl_b64 s[16:17], s[20:21], 1
	s_add_u32 s16, s12, s16
	s_addc_u32 s17, s15, s17
	global_load_dwordx2 v[2:3], v1, s[16:17]
	v_and_b32_e32 v5, 0xff8, v5
	v_mad_u32_u24 v5, v4, s8, v5
	s_waitcnt vmcnt(0)
	ds_write_b64 v5, v[2:3]
.LBB97_4:
	s_or_b64 exec, exec, s[6:7]
	s_mul_i32 s6, s23, s11
	s_sub_i32 s6, s22, s6
	s_xor_b32 s3, s3, s9
	s_add_i32 s7, s23, 1
	s_sub_i32 s9, s6, s11
	s_load_dwordx4 s[16:19], s[0:1], 0x68
	s_load_dword s8, s[0:1], 0x78
	s_cmp_ge_u32 s6, s11
	s_cselect_b32 s7, s7, s23
	s_cselect_b32 s6, s9, s6
	s_add_i32 s9, s7, 1
	s_cmp_ge_u32 s6, s11
	s_cselect_b32 s6, s9, s7
	s_waitcnt lgkmcnt(0)
	s_abs_i32 s21, s19
	v_cvt_f32_u32_e32 v2, s21
	s_xor_b32 s6, s6, s3
	s_sub_i32 s3, s6, s3
	s_sub_i32 s6, 0, s21
	v_rcp_iflag_f32_e32 v2, v2
	s_add_i32 s11, s33, -1
	s_abs_i32 s9, s11
	v_mul_f32_e32 v2, 0x4f7ffffe, v2
	v_cvt_u32_f32_e32 v2, v2
	s_barrier
	v_readfirstlane_b32 s40, v2
	s_mul_i32 s6, s6, s40
	s_mul_hi_u32 s6, s40, s6
	s_add_i32 s40, s40, s6
	s_cmp_lt_i32 s8, 0
	s_mul_hi_u32 s12, s9, s40
	s_cbranch_scc0 .LBB97_6
; %bb.5:
	s_mul_i32 s6, s16, s30
	s_add_i32 s6, s3, s6
	s_mul_i32 s6, s6, s8
	s_sub_i32 s41, 1, s6
	s_mov_b64 s[6:7], 0
	s_branch .LBB97_7
.LBB97_6:
	s_mov_b64 s[6:7], -1
                                        ; implicit-def: $sgpr41
.LBB97_7:
	s_load_dwordx2 s[24:25], s[0:1], 0x28
	s_ashr_i32 s15, s11, 31
	s_andn2_b64 vcc, exec, s[6:7]
	s_ashr_i32 s19, s19, 31
	s_cbranch_vccnz .LBB97_9
; %bb.8:
	s_mul_i32 s6, s5, s16
	s_add_i32 s2, s6, s2
	s_mul_i32 s2, s2, s8
	s_add_i32 s41, s2, 1
.LBB97_9:
	s_load_dword s2, s[0:1], 0x38
	s_load_dwordx2 s[22:23], s[0:1], 0x0
	s_load_dwordx2 s[28:29], s[0:1], 0x18
	s_load_dword s11, s[0:1], 0x88
	s_xor_b32 s6, s15, s19
	s_waitcnt lgkmcnt(0)
	s_mul_i32 s26, s2, s10
	s_mul_i32 s2, s12, s21
	s_sub_i32 s2, s9, s2
	s_ashr_i32 s27, s26, 31
	s_add_i32 s7, s12, 1
	s_sub_i32 s8, s2, s21
	s_cmp_ge_u32 s2, s21
	s_cselect_b32 s7, s7, s12
	s_cselect_b32 s2, s8, s2
	s_add_i32 s8, s7, 1
	s_cmp_ge_u32 s2, s21
	s_cselect_b32 s2, s8, s7
	s_xor_b32 s2, s2, s6
	s_sub_i32 s12, s2, s6
	s_add_i32 s2, s33, 31
	s_ashr_i32 s6, s2, 31
	s_lshr_b32 s6, s6, 27
	s_add_i32 s2, s2, s6
	s_ashr_i32 s16, s2, 5
	v_lshrrev_b32_e32 v52, 6, v0
	v_cmp_gt_i32_e64 s[6:7], s16, v52
	v_mov_b32_e32 v58, 0xff7fffff
	s_mul_i32 s14, s3, s14
	v_lshrrev_b32_e32 v54, 4, v0
	v_lshlrev_b32_e32 v53, 5, v52
	v_mbcnt_lo_u32_b32 v55, -1, 0
	s_and_saveexec_b64 s[34:35], s[6:7]
	s_cbranch_execz .LBB97_21
; %bb.10:
	s_load_dwordx2 s[0:1], s[0:1], 0x10
	s_ashr_i32 s15, s14, 31
	s_sub_i32 s30, s12, s17
	s_lshl_b64 s[8:9], s[14:15], 1
	v_bfe_u32 v56, v0, 1, 5
	s_waitcnt lgkmcnt(0)
	s_add_u32 s0, s0, s8
	s_addc_u32 s1, s1, s9
	s_abs_i32 s15, s18
	v_cvt_f32_u32_e32 v2, s15
	s_sub_i32 s8, 0, s15
	v_cmp_eq_u32_e64 s[2:3], 0, v4
	v_lshlrev_b32_e32 v6, 4, v56
	v_rcp_iflag_f32_e32 v5, v2
	v_mov_b32_e32 v7, 0
	v_mul_u32_u24_e32 v57, 0xc0, v4
	v_lshl_add_u64 v[2:3], s[0:1], 0, v[6:7]
	v_mul_f32_e32 v5, 0x4f7ffffe, v5
	v_cvt_u32_f32_e32 v5, v5
	v_and_b32_e32 v6, 8, v1
	v_lshl_add_u64 v[2:3], v[2:3], 0, v[6:7]
	v_and_b32_e32 v6, 60, v54
	v_mul_lo_u32 v4, s8, v5
	s_lshl_b64 s[8:9], s[26:27], 2
	s_add_u32 s8, s24, s8
	v_mul_hi_u32 v4, v5, v4
	s_addc_u32 s9, s25, s9
	v_add_u32_e32 v59, v5, v4
	v_lshl_add_u64 v[4:5], s[8:9], 0, v[6:7]
	v_subrev_u32_e32 v6, s33, v56
	v_add_u32_e32 v61, 1, v6
	v_lshlrev_b32_e32 v6, 2, v56
	v_lshl_or_b32 v6, v52, 7, v6
	v_mbcnt_hi_u32_b32 v64, -1, v55
	v_add_u32_e32 v62, 0x190, v6
	v_and_b32_e32 v6, 64, v64
	s_mov_b32 s43, s13
	v_cmp_neq_f32_e64 s[0:1], s42, 0
	v_lshlrev_b32_e32 v60, 5, v52
	v_mov_b32_e32 v63, 0xff7fffff
	s_mov_b64 s[36:37], 0
	s_movk_i32 s44, 0x1000
	s_movk_i32 s45, 0x2000
	v_xor_b32_e32 v65, 1, v64
	v_add_u32_e32 v66, 64, v6
	v_mov_b32_e32 v58, 0xff7fffff
	v_mov_b32_e32 v67, v52
	s_branch .LBB97_13
.LBB97_11:                              ;   in Loop: Header=BB97_13 Depth=1
	s_or_b64 exec, exec, s[8:9]
.LBB97_12:                              ;   in Loop: Header=BB97_13 Depth=1
	s_or_b64 exec, exec, s[38:39]
	v_add_u32_e32 v67, 2, v67
	v_cmp_le_i32_e32 vcc, s16, v67
	v_lshl_add_u64 v[4:5], v[4:5], 0, 8
	v_add_u32_e32 v60, 64, v60
	s_or_b64 s[36:37], vcc, s[36:37]
	v_add_u32_e32 v62, 0x100, v62
	s_andn2_b64 exec, exec, s[36:37]
	s_cbranch_execz .LBB97_20
.LBB97_13:                              ; =>This Inner Loop Header: Depth=1
	v_mul_hi_u32 v6, v60, s40
	s_waitcnt lgkmcnt(0)
	v_mul_lo_u32 v7, v6, s21
	v_sub_u32_e32 v7, v60, v7
	v_add_u32_e32 v8, 1, v6
	v_cmp_le_u32_e32 vcc, s21, v7
	s_nop 1
	v_cndmask_b32_e32 v6, v6, v8, vcc
	v_subrev_u32_e32 v8, s21, v7
	v_cndmask_b32_e32 v7, v7, v8, vcc
	v_add_u32_e32 v8, 1, v6
	v_cmp_le_u32_e32 vcc, s21, v7
	s_nop 1
	v_cndmask_b32_e32 v6, v6, v8, vcc
	v_xor_b32_e32 v6, s19, v6
	v_subrev_u32_e32 v6, s19, v6
	v_add_u32_e32 v7, s41, v6
	v_sub_u32_e32 v9, 0, v7
	v_ashrrev_i32_e32 v8, 31, v7
	v_max_i32_e32 v7, v7, v9
	v_mul_hi_u32 v9, v7, v59
	v_mul_lo_u32 v9, v9, s15
	v_sub_u32_e32 v7, v7, v9
	v_subrev_u32_e32 v9, s15, v7
	v_cmp_le_u32_e32 vcc, s15, v7
	v_cmp_ge_i32_e64 s[8:9], s30, v6
	s_nop 0
	v_cndmask_b32_e32 v7, v7, v9, vcc
	v_subrev_u32_e32 v9, s15, v7
	v_cmp_le_u32_e32 vcc, s15, v7
	s_nop 1
	v_cndmask_b32_e32 v7, v7, v9, vcc
	v_xor_b32_e32 v7, v7, v8
	v_sub_u32_e32 v7, v7, v8
	v_cmp_ne_u32_e32 vcc, 0, v7
	s_and_b64 s[8:9], vcc, s[8:9]
	s_and_saveexec_b64 s[38:39], s[8:9]
	s_xor_b64 s[8:9], exec, s[38:39]
	s_cbranch_execz .LBB97_17
; %bb.14:                               ;   in Loop: Header=BB97_13 Depth=1
	s_and_saveexec_b64 s[38:39], s[2:3]
; %bb.15:                               ;   in Loop: Header=BB97_13 Depth=1
	ds_write_b32 v62, v63
; %bb.16:                               ;   in Loop: Header=BB97_13 Depth=1
	s_or_b64 exec, exec, s[38:39]
.LBB97_17:                              ;   in Loop: Header=BB97_13 Depth=1
	s_andn2_saveexec_b64 s[38:39], s[8:9]
	s_cbranch_execz .LBB97_12
; %bb.18:                               ;   in Loop: Header=BB97_13 Depth=1
	global_load_dword v6, v[4:5], off
	s_waitcnt vmcnt(0)
	v_mad_i64_i32 v[6:7], s[8:9], v6, s43, 0
	v_lshl_add_u64 v[6:7], v[6:7], 1, v[2:3]
	global_load_dwordx2 v[70:71], v[6:7], off
	global_load_dwordx2 v[50:51], v[6:7], off offset:512
	global_load_dwordx2 v[48:49], v[6:7], off offset:1024
	;; [unrolled: 1-line block ×7, first 2 shown]
	v_add_co_u32_e32 v8, vcc, s44, v6
	s_mov_b64 s[8:9], vcc
	v_add_co_u32_e32 v68, vcc, s45, v6
	ds_read_b64 v[10:11], v57
	s_nop 0
	v_addc_co_u32_e32 v69, vcc, 0, v7, vcc
	global_load_dwordx2 v[36:37], v[68:69], off offset:-4096
	v_addc_co_u32_e64 v9, vcc, 0, v7, s[8:9]
	global_load_dwordx2 v[26:27], v[8:9], off offset:2560
	global_load_dwordx2 v[24:25], v[8:9], off offset:3072
	;; [unrolled: 1-line block ×3, first 2 shown]
	s_waitcnt lgkmcnt(0)
	v_lshrrev_b32_e32 v72, 16, v10
	v_and_b32_e32 v73, 0xffff, v10
	v_lshrrev_b32_e32 v74, 16, v11
	v_and_b32_e32 v75, 0xffff, v11
	global_load_dwordx2 v[34:35], v[8:9], off offset:512
	global_load_dwordx2 v[32:33], v[8:9], off offset:1024
	;; [unrolled: 1-line block ×4, first 2 shown]
	global_load_dwordx2 v[20:21], v[68:69], off
                                        ; kill: killed $vgpr8 killed $vgpr9
	global_load_dwordx2 v[18:19], v[68:69], off offset:512
	global_load_dwordx2 v[16:17], v[68:69], off offset:1024
	;; [unrolled: 1-line block ×7, first 2 shown]
	;;#ASMSTART
	v_cvt_f32_f16 v68, v73;
	;;#ASMEND
	;;#ASMSTART
	v_cvt_f32_f16 v69, v72;
	;;#ASMEND
	v_cmp_lt_i32_e32 vcc, v65, v66
	s_waitcnt vmcnt(23)
	v_lshrrev_b32_e32 v79, 16, v70
	v_lshrrev_b32_e32 v78, 16, v71
	v_and_b32_e32 v80, 0xffff, v71
	v_and_b32_e32 v81, 0xffff, v70
	s_waitcnt vmcnt(22)
	v_and_b32_e32 v70, 0xffff, v50
	s_waitcnt vmcnt(18)
	v_lshrrev_b32_e32 v85, 16, v43
	v_and_b32_e32 v87, 0xffff, v43
	s_waitcnt vmcnt(17)
	v_lshrrev_b32_e32 v88, 16, v40
	v_and_b32_e32 v89, 0xffff, v40
	v_lshrrev_b32_e32 v90, 16, v41
	v_and_b32_e32 v91, 0xffff, v41
	;;#ASMSTART
	v_cvt_f32_f16 v43, v81;
	;;#ASMEND
	;;#ASMSTART
	v_cvt_f32_f16 v79, v79;
	;;#ASMEND
	;; [unrolled: 3-line block ×6, first 2 shown]
	ds_read_b64 v[40:41], v57 offset:8
	v_lshrrev_b32_e32 v50, 16, v50
	v_lshrrev_b32_e32 v71, 16, v51
	v_and_b32_e32 v51, 0xffff, v51
	s_waitcnt vmcnt(16)
	v_lshrrev_b32_e32 v92, 16, v38
	v_and_b32_e32 v93, 0xffff, v38
	v_lshrrev_b32_e32 v94, 16, v39
	v_and_b32_e32 v95, 0xffff, v39
	s_waitcnt lgkmcnt(0)
	v_and_b32_e32 v38, 0xffff, v40
	v_lshrrev_b32_e32 v39, 16, v40
	v_lshrrev_b32_e32 v81, 16, v41
	v_and_b32_e32 v86, 0xffff, v41
	;;#ASMSTART
	v_cvt_f32_f16 v38, v38;
	;;#ASMEND
	;;#ASMSTART
	v_cvt_f32_f16 v39, v39;
	;;#ASMEND
	;; [unrolled: 3-line block ×8, first 2 shown]
	ds_read_b64 v[50:51], v57 offset:16
	v_mul_f32_e32 v38, v38, v40
	v_mul_f32_e32 v39, v39, v41
	v_and_b32_e32 v72, 0xffff, v48
	v_lshrrev_b32_e32 v48, 16, v48
	v_lshrrev_b32_e32 v73, 16, v49
	v_and_b32_e32 v49, 0xffff, v49
	v_mul_f32_e32 v40, v70, v86
	v_fmac_f32_e32 v38, v68, v43
	v_fmac_f32_e32 v39, v69, v79
	s_waitcnt lgkmcnt(0)
	v_lshrrev_b32_e32 v68, 16, v50
	v_and_b32_e32 v43, 0xffff, v50
	v_lshrrev_b32_e32 v70, 16, v51
	v_and_b32_e32 v69, 0xffff, v51
	v_mul_f32_e32 v41, v81, v71
	;;#ASMSTART
	v_cvt_f32_f16 v43, v43;
	;;#ASMEND
	;;#ASMSTART
	v_cvt_f32_f16 v50, v68;
	;;#ASMEND
	;; [unrolled: 3-line block ×8, first 2 shown]
	ds_read_b64 v[48:49], v57 offset:24
	v_lshrrev_b32_e32 v76, 16, v46
	v_and_b32_e32 v46, 0xffff, v46
	v_lshrrev_b32_e32 v77, 16, v47
	v_and_b32_e32 v47, 0xffff, v47
	v_fmac_f32_e32 v40, v75, v80
	v_fmac_f32_e32 v41, v74, v78
	;; [unrolled: 1-line block ×4, first 2 shown]
	s_waitcnt lgkmcnt(0)
	v_lshrrev_b32_e32 v50, 16, v48
	v_and_b32_e32 v43, 0xffff, v48
	v_lshrrev_b32_e32 v68, 16, v49
	v_and_b32_e32 v51, 0xffff, v49
	v_fmac_f32_e32 v40, v69, v71
	v_fmac_f32_e32 v41, v70, v72
	;;#ASMSTART
	v_cvt_f32_f16 v43, v43;
	;;#ASMEND
	;;#ASMSTART
	v_cvt_f32_f16 v48, v50;
	;;#ASMEND
	;; [unrolled: 3-line block ×8, first 2 shown]
	ds_read_b64 v[46:47], v57 offset:32
	v_lshrrev_b32_e32 v82, 16, v44
	v_and_b32_e32 v44, 0xffff, v44
	v_lshrrev_b32_e32 v83, 16, v45
	v_and_b32_e32 v45, 0xffff, v45
	v_fmac_f32_e32 v38, v43, v49
	v_fmac_f32_e32 v39, v48, v50
	s_waitcnt lgkmcnt(0)
	v_lshrrev_b32_e32 v48, 16, v46
	v_and_b32_e32 v43, 0xffff, v46
	v_lshrrev_b32_e32 v50, 16, v47
	v_and_b32_e32 v49, 0xffff, v47
	v_fmac_f32_e32 v40, v51, v69
	v_fmac_f32_e32 v41, v68, v70
	;;#ASMSTART
	v_cvt_f32_f16 v43, v43;
	;;#ASMEND
	;;#ASMSTART
	v_cvt_f32_f16 v46, v48;
	;;#ASMEND
	;; [unrolled: 3-line block ×8, first 2 shown]
	ds_read_b64 v[44:45], v57 offset:40
	v_lshrrev_b32_e32 v84, 16, v42
	v_and_b32_e32 v42, 0xffff, v42
	v_fmac_f32_e32 v38, v43, v47
	v_fmac_f32_e32 v39, v46, v48
	;; [unrolled: 1-line block ×3, first 2 shown]
	s_waitcnt lgkmcnt(0)
	v_lshrrev_b32_e32 v43, 16, v44
	v_and_b32_e32 v44, 0xffff, v44
	v_lshrrev_b32_e32 v49, 16, v45
	v_and_b32_e32 v48, 0xffff, v45
	v_fmac_f32_e32 v41, v50, v68
	;;#ASMSTART
	v_cvt_f32_f16 v44, v44;
	;;#ASMEND
	;;#ASMSTART
	v_cvt_f32_f16 v45, v43;
	;;#ASMEND
	;; [unrolled: 3-line block ×8, first 2 shown]
	ds_read_b64 v[42:43], v57 offset:48
	v_fmac_f32_e32 v39, v45, v47
	v_fmac_f32_e32 v41, v49, v51
	;; [unrolled: 1-line block ×4, first 2 shown]
	s_waitcnt lgkmcnt(0)
	v_lshrrev_b32_e32 v45, 16, v42
	v_and_b32_e32 v42, 0xffff, v42
	v_lshrrev_b32_e32 v49, 16, v43
	v_and_b32_e32 v43, 0xffff, v43
	;;#ASMSTART
	v_cvt_f32_f16 v44, v42;
	;;#ASMEND
	;;#ASMSTART
	v_cvt_f32_f16 v45, v45;
	;;#ASMEND
	;; [unrolled: 3-line block ×8, first 2 shown]
	ds_read_b64 v[42:43], v57 offset:56
	v_fmac_f32_e32 v39, v45, v47
	v_fmac_f32_e32 v41, v49, v51
	;; [unrolled: 1-line block ×4, first 2 shown]
	s_waitcnt lgkmcnt(0)
	v_lshrrev_b32_e32 v45, 16, v42
	v_and_b32_e32 v42, 0xffff, v42
	v_lshrrev_b32_e32 v49, 16, v43
	v_and_b32_e32 v43, 0xffff, v43
	;;#ASMSTART
	v_cvt_f32_f16 v44, v42;
	;;#ASMEND
	;;#ASMSTART
	v_cvt_f32_f16 v45, v45;
	;;#ASMEND
	;; [unrolled: 3-line block ×8, first 2 shown]
	ds_read_b64 v[42:43], v57 offset:64
	s_waitcnt vmcnt(15)
	v_lshrrev_b32_e32 v96, 16, v36
	v_fmac_f32_e32 v38, v44, v46
	v_and_b32_e32 v36, 0xffff, v36
	v_fmac_f32_e32 v39, v45, v47
	s_waitcnt lgkmcnt(0)
	v_lshrrev_b32_e32 v44, 16, v42
	v_and_b32_e32 v42, 0xffff, v42
	;;#ASMSTART
	v_cvt_f32_f16 v42, v42;
	;;#ASMEND
	;;#ASMSTART
	v_cvt_f32_f16 v44, v44;
	;;#ASMEND
	;; [unrolled: 3-line block ×3, first 2 shown]
	v_lshrrev_b32_e32 v36, 16, v43
	v_and_b32_e32 v43, 0xffff, v43
	;;#ASMSTART
	v_cvt_f32_f16 v46, v96;
	;;#ASMEND
	;;#ASMSTART
	v_cvt_f32_f16 v43, v43;
	;;#ASMEND
	;; [unrolled: 3-line block ×3, first 2 shown]
	v_lshrrev_b32_e32 v36, 16, v37
	v_and_b32_e32 v37, 0xffff, v37
	v_fmac_f32_e32 v40, v48, v50
	v_fmac_f32_e32 v41, v49, v51
	;;#ASMSTART
	v_cvt_f32_f16 v48, v37;
	;;#ASMEND
	;;#ASMSTART
	v_cvt_f32_f16 v49, v36;
	;;#ASMEND
	ds_read_b64 v[36:37], v57 offset:72
	v_fmac_f32_e32 v38, v42, v45
	v_fmac_f32_e32 v39, v44, v46
	s_waitcnt vmcnt(11)
	v_lshrrev_b32_e32 v44, 16, v34
	v_and_b32_e32 v34, 0xffff, v34
	s_waitcnt lgkmcnt(0)
	v_lshrrev_b32_e32 v42, 16, v36
	v_and_b32_e32 v36, 0xffff, v36
	v_fmac_f32_e32 v40, v43, v48
	;;#ASMSTART
	v_cvt_f32_f16 v36, v36;
	;;#ASMEND
	;;#ASMSTART
	v_cvt_f32_f16 v42, v42;
	;;#ASMEND
	;;#ASMSTART
	v_cvt_f32_f16 v43, v34;
	;;#ASMEND
	v_lshrrev_b32_e32 v34, 16, v37
	v_and_b32_e32 v37, 0xffff, v37
	;;#ASMSTART
	v_cvt_f32_f16 v44, v44;
	;;#ASMEND
	;;#ASMSTART
	v_cvt_f32_f16 v37, v37;
	;;#ASMEND
	;;#ASMSTART
	v_cvt_f32_f16 v45, v34;
	;;#ASMEND
	v_lshrrev_b32_e32 v34, 16, v35
	v_and_b32_e32 v35, 0xffff, v35
	v_fmac_f32_e32 v41, v47, v49
	;;#ASMSTART
	v_cvt_f32_f16 v46, v35;
	;;#ASMEND
	;;#ASMSTART
	v_cvt_f32_f16 v47, v34;
	;;#ASMEND
	ds_read_b64 v[34:35], v57 offset:80
	v_fmac_f32_e32 v38, v36, v43
	v_fmac_f32_e32 v39, v42, v44
	s_waitcnt vmcnt(10)
	v_lshrrev_b32_e32 v42, 16, v32
	v_and_b32_e32 v32, 0xffff, v32
	s_waitcnt lgkmcnt(0)
	v_lshrrev_b32_e32 v36, 16, v34
	v_and_b32_e32 v34, 0xffff, v34
	v_fmac_f32_e32 v40, v37, v46
	;;#ASMSTART
	v_cvt_f32_f16 v34, v34;
	;;#ASMEND
	;;#ASMSTART
	v_cvt_f32_f16 v36, v36;
	;;#ASMEND
	;;#ASMSTART
	v_cvt_f32_f16 v37, v32;
	;;#ASMEND
	v_lshrrev_b32_e32 v32, 16, v35
	v_and_b32_e32 v35, 0xffff, v35
	;;#ASMSTART
	v_cvt_f32_f16 v42, v42;
	;;#ASMEND
	;;#ASMSTART
	v_cvt_f32_f16 v35, v35;
	;;#ASMEND
	;;#ASMSTART
	v_cvt_f32_f16 v43, v32;
	;;#ASMEND
	v_lshrrev_b32_e32 v32, 16, v33
	v_and_b32_e32 v33, 0xffff, v33
	v_fmac_f32_e32 v41, v45, v47
	;;#ASMSTART
	v_cvt_f32_f16 v44, v33;
	;;#ASMEND
	;;#ASMSTART
	v_cvt_f32_f16 v45, v32;
	;;#ASMEND
	ds_read_b64 v[32:33], v57 offset:88
	v_fmac_f32_e32 v38, v34, v37
	v_fmac_f32_e32 v39, v36, v42
	s_waitcnt vmcnt(9)
	v_lshrrev_b32_e32 v36, 16, v30
	v_and_b32_e32 v30, 0xffff, v30
	s_waitcnt lgkmcnt(0)
	v_lshrrev_b32_e32 v34, 16, v32
	v_and_b32_e32 v32, 0xffff, v32
	v_fmac_f32_e32 v40, v35, v44
	;;#ASMSTART
	v_cvt_f32_f16 v32, v32;
	;;#ASMEND
	;;#ASMSTART
	v_cvt_f32_f16 v34, v34;
	;;#ASMEND
	;;#ASMSTART
	v_cvt_f32_f16 v35, v30;
	;;#ASMEND
	v_lshrrev_b32_e32 v30, 16, v33
	v_and_b32_e32 v33, 0xffff, v33
	;;#ASMSTART
	v_cvt_f32_f16 v36, v36;
	;;#ASMEND
	;;#ASMSTART
	v_cvt_f32_f16 v33, v33;
	;;#ASMEND
	;;#ASMSTART
	v_cvt_f32_f16 v37, v30;
	;;#ASMEND
	v_lshrrev_b32_e32 v30, 16, v31
	v_and_b32_e32 v31, 0xffff, v31
	v_fmac_f32_e32 v41, v43, v45
	;;#ASMSTART
	v_cvt_f32_f16 v42, v31;
	;;#ASMEND
	;;#ASMSTART
	v_cvt_f32_f16 v43, v30;
	;;#ASMEND
	ds_read_b64 v[30:31], v57 offset:96
	v_fmac_f32_e32 v38, v32, v35
	v_fmac_f32_e32 v39, v34, v36
	s_waitcnt vmcnt(8)
	v_lshrrev_b32_e32 v34, 16, v28
	v_and_b32_e32 v28, 0xffff, v28
	s_waitcnt lgkmcnt(0)
	v_lshrrev_b32_e32 v32, 16, v30
	v_and_b32_e32 v30, 0xffff, v30
	v_fmac_f32_e32 v40, v33, v42
	;;#ASMSTART
	v_cvt_f32_f16 v30, v30;
	;;#ASMEND
	;;#ASMSTART
	v_cvt_f32_f16 v32, v32;
	;;#ASMEND
	;;#ASMSTART
	v_cvt_f32_f16 v33, v28;
	;;#ASMEND
	v_lshrrev_b32_e32 v28, 16, v31
	v_and_b32_e32 v31, 0xffff, v31
	;;#ASMSTART
	v_cvt_f32_f16 v34, v34;
	;;#ASMEND
	;;#ASMSTART
	v_cvt_f32_f16 v31, v31;
	;;#ASMEND
	;;#ASMSTART
	v_cvt_f32_f16 v35, v28;
	;;#ASMEND
	v_lshrrev_b32_e32 v28, 16, v29
	v_and_b32_e32 v29, 0xffff, v29
	v_fmac_f32_e32 v41, v37, v43
	;;#ASMSTART
	v_cvt_f32_f16 v36, v29;
	;;#ASMEND
	;;#ASMSTART
	v_cvt_f32_f16 v37, v28;
	;;#ASMEND
	ds_read_b64 v[28:29], v57 offset:104
	v_fmac_f32_e32 v38, v30, v33
	v_fmac_f32_e32 v39, v32, v34
	v_lshrrev_b32_e32 v32, 16, v26
	v_and_b32_e32 v26, 0xffff, v26
	s_waitcnt lgkmcnt(0)
	v_lshrrev_b32_e32 v30, 16, v28
	v_and_b32_e32 v28, 0xffff, v28
	v_fmac_f32_e32 v40, v31, v36
	;;#ASMSTART
	v_cvt_f32_f16 v28, v28;
	;;#ASMEND
	;;#ASMSTART
	v_cvt_f32_f16 v30, v30;
	;;#ASMEND
	;;#ASMSTART
	v_cvt_f32_f16 v31, v26;
	;;#ASMEND
	v_lshrrev_b32_e32 v26, 16, v29
	v_and_b32_e32 v29, 0xffff, v29
	;;#ASMSTART
	v_cvt_f32_f16 v32, v32;
	;;#ASMEND
	;;#ASMSTART
	v_cvt_f32_f16 v29, v29;
	;;#ASMEND
	;;#ASMSTART
	v_cvt_f32_f16 v33, v26;
	;;#ASMEND
	v_lshrrev_b32_e32 v26, 16, v27
	v_and_b32_e32 v27, 0xffff, v27
	v_fmac_f32_e32 v41, v35, v37
	;;#ASMSTART
	v_cvt_f32_f16 v34, v27;
	;;#ASMEND
	;;#ASMSTART
	v_cvt_f32_f16 v35, v26;
	;;#ASMEND
	ds_read_b64 v[26:27], v57 offset:112
	v_fmac_f32_e32 v38, v28, v31
	v_fmac_f32_e32 v39, v30, v32
	v_lshrrev_b32_e32 v30, 16, v24
	v_and_b32_e32 v24, 0xffff, v24
	s_waitcnt lgkmcnt(0)
	v_lshrrev_b32_e32 v28, 16, v26
	v_and_b32_e32 v26, 0xffff, v26
	v_fmac_f32_e32 v40, v29, v34
	;;#ASMSTART
	v_cvt_f32_f16 v26, v26;
	;;#ASMEND
	;;#ASMSTART
	v_cvt_f32_f16 v28, v28;
	;;#ASMEND
	;;#ASMSTART
	v_cvt_f32_f16 v29, v24;
	;;#ASMEND
	v_lshrrev_b32_e32 v24, 16, v27
	v_and_b32_e32 v27, 0xffff, v27
	;;#ASMSTART
	v_cvt_f32_f16 v30, v30;
	;;#ASMEND
	;;#ASMSTART
	v_cvt_f32_f16 v27, v27;
	;;#ASMEND
	;;#ASMSTART
	v_cvt_f32_f16 v31, v24;
	;;#ASMEND
	v_lshrrev_b32_e32 v24, 16, v25
	v_and_b32_e32 v25, 0xffff, v25
	;; [unrolled: 38-line block ×3, first 2 shown]
	v_fmac_f32_e32 v41, v31, v33
	;;#ASMSTART
	v_cvt_f32_f16 v30, v23;
	;;#ASMEND
	;;#ASMSTART
	v_cvt_f32_f16 v31, v22;
	;;#ASMEND
	ds_read_b64 v[22:23], v57 offset:128
	v_fmac_f32_e32 v38, v24, v27
	v_fmac_f32_e32 v39, v26, v28
	s_waitcnt vmcnt(7)
	v_lshrrev_b32_e32 v26, 16, v20
	v_and_b32_e32 v20, 0xffff, v20
	s_waitcnt lgkmcnt(0)
	v_lshrrev_b32_e32 v24, 16, v22
	v_and_b32_e32 v22, 0xffff, v22
	v_fmac_f32_e32 v40, v25, v30
	;;#ASMSTART
	v_cvt_f32_f16 v22, v22;
	;;#ASMEND
	;;#ASMSTART
	v_cvt_f32_f16 v24, v24;
	;;#ASMEND
	;;#ASMSTART
	v_cvt_f32_f16 v25, v20;
	;;#ASMEND
	v_lshrrev_b32_e32 v20, 16, v23
	v_and_b32_e32 v23, 0xffff, v23
	;;#ASMSTART
	v_cvt_f32_f16 v26, v26;
	;;#ASMEND
	;;#ASMSTART
	v_cvt_f32_f16 v23, v23;
	;;#ASMEND
	;;#ASMSTART
	v_cvt_f32_f16 v27, v20;
	;;#ASMEND
	v_lshrrev_b32_e32 v20, 16, v21
	v_and_b32_e32 v21, 0xffff, v21
	v_fmac_f32_e32 v41, v29, v31
	;;#ASMSTART
	v_cvt_f32_f16 v28, v21;
	;;#ASMEND
	;;#ASMSTART
	v_cvt_f32_f16 v29, v20;
	;;#ASMEND
	ds_read_b64 v[20:21], v57 offset:136
	v_fmac_f32_e32 v38, v22, v25
	v_fmac_f32_e32 v39, v24, v26
	s_waitcnt vmcnt(6)
	v_lshrrev_b32_e32 v24, 16, v18
	v_and_b32_e32 v18, 0xffff, v18
	s_waitcnt lgkmcnt(0)
	v_lshrrev_b32_e32 v22, 16, v20
	v_and_b32_e32 v20, 0xffff, v20
	v_fmac_f32_e32 v40, v23, v28
	;;#ASMSTART
	v_cvt_f32_f16 v20, v20;
	;;#ASMEND
	;;#ASMSTART
	v_cvt_f32_f16 v22, v22;
	;;#ASMEND
	;;#ASMSTART
	v_cvt_f32_f16 v23, v18;
	;;#ASMEND
	v_lshrrev_b32_e32 v18, 16, v21
	v_and_b32_e32 v21, 0xffff, v21
	;;#ASMSTART
	v_cvt_f32_f16 v24, v24;
	;;#ASMEND
	;;#ASMSTART
	v_cvt_f32_f16 v21, v21;
	;;#ASMEND
	;;#ASMSTART
	v_cvt_f32_f16 v25, v18;
	;;#ASMEND
	v_lshrrev_b32_e32 v18, 16, v19
	v_and_b32_e32 v19, 0xffff, v19
	;; [unrolled: 39-line block ×7, first 2 shown]
	v_fmac_f32_e32 v41, v17, v19
	;;#ASMSTART
	v_cvt_f32_f16 v16, v9;
	;;#ASMEND
	;;#ASMSTART
	v_cvt_f32_f16 v17, v8;
	;;#ASMEND
	ds_read_b64 v[8:9], v57 offset:184
	v_fmac_f32_e32 v38, v10, v13
	v_fmac_f32_e32 v40, v11, v16
	s_waitcnt vmcnt(0)
	v_lshrrev_b32_e32 v11, 16, v6
	v_and_b32_e32 v6, 0xffff, v6
	s_waitcnt lgkmcnt(0)
	v_lshrrev_b32_e32 v10, 16, v8
	v_and_b32_e32 v8, 0xffff, v8
	;;#ASMSTART
	v_cvt_f32_f16 v8, v8;
	;;#ASMEND
	;;#ASMSTART
	v_cvt_f32_f16 v10, v10;
	;;#ASMEND
	;; [unrolled: 3-line block ×3, first 2 shown]
	v_fmac_f32_e32 v39, v12, v14
	v_fmac_f32_e32 v38, v8, v6
	v_and_b32_e32 v6, 0xffff, v9
	;;#ASMSTART
	v_cvt_f32_f16 v11, v11;
	;;#ASMEND
	v_lshrrev_b32_e32 v8, 16, v9
	v_fmac_f32_e32 v39, v10, v11
	;;#ASMSTART
	v_cvt_f32_f16 v6, v6;
	;;#ASMEND
	v_lshrrev_b32_e32 v9, 16, v7
	v_and_b32_e32 v7, 0xffff, v7
	v_fmac_f32_e32 v41, v15, v17
	;;#ASMSTART
	v_cvt_f32_f16 v8, v8;
	;;#ASMEND
	;;#ASMSTART
	v_cvt_f32_f16 v7, v7;
	;;#ASMEND
	;; [unrolled: 3-line block ×3, first 2 shown]
	s_nop 0
	v_fmac_f32_e32 v40, v6, v7
	v_add_f32_e32 v6, v38, v39
	v_fmac_f32_e32 v41, v8, v9
	v_add_f32_e32 v6, v6, v40
	v_cndmask_b32_e32 v7, v64, v65, vcc
	v_add_f32_e32 v6, v41, v6
	v_lshlrev_b32_e32 v7, 2, v7
	ds_bpermute_b32 v7, v7, v6
	s_and_saveexec_b64 s[8:9], s[2:3]
	s_cbranch_execz .LBB97_11
; %bb.19:                               ;   in Loop: Header=BB97_13 Depth=1
	v_add_u32_e32 v8, v61, v60
	v_cvt_f32_i32_e32 v8, v8
	s_waitcnt lgkmcnt(0)
	v_add_f32_e32 v6, v6, v7
	v_add_u32_e32 v9, v56, v60
	v_cmp_gt_i32_e32 vcc, s33, v9
	v_mul_f32_e32 v7, s42, v8
	v_cndmask_b32_e64 v7, 0, v7, s[0:1]
	v_fmac_f32_e32 v7, s31, v6
	v_cndmask_b32_e32 v6, 0, v7, vcc
	ds_write_b32 v62, v6
	v_max_f32_e32 v6, v58, v58
	v_max_f32_e32 v6, v6, v7
	v_cndmask_b32_e32 v58, v58, v6, vcc
	s_branch .LBB97_11
.LBB97_20:
	s_or_b64 exec, exec, s[36:37]
.LBB97_21:
	s_or_b64 exec, exec, s[34:35]
	v_mbcnt_hi_u32_b32 v2, -1, v55
	v_and_b32_e32 v9, 64, v2
	v_add_u32_e32 v10, 64, v9
	v_xor_b32_e32 v3, 32, v2
	v_cmp_lt_i32_e32 vcc, v3, v10
	v_xor_b32_e32 v6, 16, v2
	v_max_f32_e32 v5, v58, v58
	v_cndmask_b32_e32 v3, v2, v3, vcc
	v_lshlrev_b32_e32 v3, 2, v3
	ds_bpermute_b32 v4, v3, v58
	v_cmp_lt_i32_e32 vcc, v6, v10
	s_waitcnt lgkmcnt(1)
	v_xor_b32_e32 v7, 8, v2
	v_xor_b32_e32 v8, 4, v2
	;; [unrolled: 1-line block ×3, first 2 shown]
	s_waitcnt lgkmcnt(0)
	v_max_f32_e32 v4, v4, v4
	v_max_f32_e32 v5, v5, v4
	v_cndmask_b32_e32 v4, v2, v6, vcc
	v_lshlrev_b32_e32 v4, 2, v4
	ds_bpermute_b32 v6, v4, v5
	v_cmp_lt_i32_e32 vcc, v7, v10
	v_and_b32_e32 v28, 63, v0
	s_waitcnt lgkmcnt(0)
	v_max_f32_e32 v6, v6, v6
	v_max_f32_e32 v6, v5, v6
	v_cndmask_b32_e32 v5, v2, v7, vcc
	v_lshlrev_b32_e32 v5, 2, v5
	ds_bpermute_b32 v7, v5, v6
	v_cmp_lt_i32_e32 vcc, v8, v10
	s_waitcnt lgkmcnt(0)
	v_max_f32_e32 v7, v7, v7
	v_max_f32_e32 v7, v6, v7
	v_cndmask_b32_e32 v6, v2, v8, vcc
	v_lshlrev_b32_e32 v6, 2, v6
	ds_bpermute_b32 v8, v6, v7
	v_cmp_lt_i32_e32 vcc, v11, v10
	s_waitcnt lgkmcnt(0)
	v_max_f32_e32 v8, v8, v8
	v_max_f32_e32 v8, v7, v8
	v_cndmask_b32_e32 v7, v2, v11, vcc
	v_lshlrev_b32_e32 v29, 2, v7
	ds_bpermute_b32 v11, v29, v8
	v_cmp_eq_u32_e32 vcc, 0, v28
	v_lshlrev_b32_e32 v7, 2, v52
	s_and_saveexec_b64 s[0:1], vcc
	s_cbranch_execz .LBB97_23
; %bb.22:
	s_waitcnt lgkmcnt(0)
	v_max_f32_e32 v11, v11, v11
	v_max_f32_e32 v8, v8, v8
	;; [unrolled: 1-line block ×3, first 2 shown]
	ds_write_b32 v7, v8 offset:384
.LBB97_23:
	s_or_b64 exec, exec, s[0:1]
	v_cmp_gt_u32_e64 s[0:1], 2, v28
	s_waitcnt lgkmcnt(0)
	v_mov_b32_e32 v11, 0xff7fffff
	v_lshlrev_b32_e32 v8, 2, v28
	s_barrier
	s_and_saveexec_b64 s[2:3], s[0:1]
; %bb.24:
	ds_read_b32 v11, v8 offset:384
; %bb.25:
	s_or_b64 exec, exec, s[2:3]
	v_xor_b32_e32 v12, 1, v2
	v_cmp_lt_i32_e64 s[2:3], v12, v10
	v_lshlrev_b32_e32 v9, 2, v9
	s_nop 0
	v_cndmask_b32_e64 v10, v2, v12, s[2:3]
	v_lshlrev_b32_e32 v30, 2, v10
	s_waitcnt lgkmcnt(0)
	ds_bpermute_b32 v10, v30, v11
	v_max_f32_e32 v11, v11, v11
	s_lshl_b32 s2, s16, 5
	s_min_i32 s15, s2, s33
	v_cmp_gt_i32_e64 s[2:3], s15, v0
	s_waitcnt lgkmcnt(0)
	v_max_f32_e32 v10, v10, v10
	v_max_f32_e32 v10, v11, v10
	ds_bpermute_b32 v10, v9, v10
	v_mov_b32_e32 v9, 0
	s_and_saveexec_b64 s[30:31], s[2:3]
	s_cbranch_execz .LBB97_29
; %bb.26:
	v_mov_b32_e32 v9, 0x190
	v_lshl_add_u32 v11, v0, 2, v9
	v_mov_b32_e32 v9, 0
	s_mov_b64 s[34:35], 0
	v_mov_b32_e32 v12, v0
.LBB97_27:                              ; =>This Inner Loop Header: Depth=1
	ds_read_b32 v13, v11
	v_add_u32_e32 v12, 0x80, v12
	v_cmp_le_i32_e64 s[8:9], s15, v12
	s_or_b64 s[34:35], s[8:9], s[34:35]
	s_waitcnt lgkmcnt(0)
	v_sub_f32_e32 v13, v13, v10
	v_mul_f32_e32 v13, 0x3fb8aa3b, v13
	v_exp_f32_e32 v13, v13
	ds_write_b32 v11, v13
	v_add_f32_e32 v9, v9, v13
	v_add_u32_e32 v11, 0x200, v11
	s_andn2_b64 exec, exec, s[34:35]
	s_cbranch_execnz .LBB97_27
; %bb.28:
	s_or_b64 exec, exec, s[34:35]
.LBB97_29:
	s_or_b64 exec, exec, s[30:31]
	ds_bpermute_b32 v3, v3, v9
	s_waitcnt lgkmcnt(0)
	v_add_f32_e32 v3, v9, v3
	ds_bpermute_b32 v4, v4, v3
	s_waitcnt lgkmcnt(0)
	v_add_f32_e32 v3, v3, v4
	;; [unrolled: 3-line block ×6, first 2 shown]
	s_and_saveexec_b64 s[8:9], vcc
; %bb.30:
	ds_write_b32 v7, v3 offset:392
; %bb.31:
	s_or_b64 exec, exec, s[8:9]
	s_waitcnt lgkmcnt(0)
	s_barrier
	s_and_saveexec_b64 s[8:9], s[0:1]
; %bb.32:
	ds_read_b32 v3, v8 offset:392
; %bb.33:
	s_or_b64 exec, exec, s[8:9]
	s_waitcnt lgkmcnt(0)
	ds_bpermute_b32 v4, v30, v3
	v_lshlrev_b32_e32 v2, 2, v2
	v_and_b32_e32 v2, 0x100, v2
	s_waitcnt lgkmcnt(0)
	v_add_f32_e32 v3, v3, v4
	ds_bpermute_b32 v2, v2, v3
	s_and_saveexec_b64 s[0:1], s[2:3]
	s_cbranch_execz .LBB97_46
; %bb.34:
	s_waitcnt lgkmcnt(0)
	v_add_f32_e32 v2, 0x358637bd, v2
	v_div_scale_f32 v3, s[2:3], v2, v2, 1.0
	v_rcp_f32_e32 v4, v3
	v_div_scale_f32 v5, vcc, 1.0, v2, 1.0
	s_movk_i32 s2, 0x7f
	v_fma_f32 v6, -v3, v4, 1.0
	v_fmac_f32_e32 v4, v6, v4
	v_mul_f32_e32 v6, v5, v4
	v_fma_f32 v7, -v3, v6, v5
	v_fmac_f32_e32 v6, v7, v4
	v_fma_f32 v3, -v3, v6, v5
	v_div_fmas_f32 v3, v3, v4, v6
	v_xad_u32 v4, v0, -1, s15
	v_div_fixup_f32 v2, v3, v2, 1.0
	v_cmp_lt_u32_e32 vcc, s2, v4
	s_mov_b64 s[8:9], -1
	v_mov_b32_e32 v3, v0
	s_and_saveexec_b64 s[2:3], vcc
	s_cbranch_execz .LBB97_43
; %bb.35:
	v_lshrrev_b32_e32 v4, 7, v4
	v_add_u32_e32 v6, -1, v4
	v_lshrrev_b32_e32 v5, 1, v6
	v_mov_b32_e32 v3, v2
	v_add_u32_e32 v5, 1, v5
	v_cmp_lt_u32_e32 vcc, 13, v6
	v_mov_b32_e32 v8, 0
	s_and_saveexec_b64 s[8:9], vcc
	s_cbranch_execz .LBB97_39
; %bb.36:
	v_mov_b32_e32 v7, 0x190
	v_and_b32_e32 v6, -8, v5
	v_lshl_add_u32 v7, v0, 2, v7
	s_mov_b32 s34, 0
	s_mov_b64 s[30:31], 0
.LBB97_37:                              ; =>This Inner Loop Header: Depth=1
	ds_read2st64_b32 v[8:9], v7 offset1:2
	ds_read2st64_b32 v[10:11], v7 offset0:4 offset1:6
	ds_read2st64_b32 v[12:13], v7 offset0:8 offset1:10
	;; [unrolled: 1-line block ×3, first 2 shown]
	v_add_u32_e32 v6, -8, v6
	s_waitcnt lgkmcnt(3)
	v_pk_mul_f32 v[8:9], v[2:3], v[8:9]
	s_waitcnt lgkmcnt(2)
	v_pk_mul_f32 v[10:11], v[2:3], v[10:11]
	ds_write2st64_b32 v7, v8, v9 offset1:2
	ds_write2st64_b32 v7, v10, v11 offset0:4 offset1:6
	ds_read2st64_b32 v[10:11], v7 offset0:16 offset1:18
	s_waitcnt lgkmcnt(4)
	v_pk_mul_f32 v[8:9], v[2:3], v[12:13]
	ds_write2st64_b32 v7, v8, v9 offset0:8 offset1:10
	s_waitcnt lgkmcnt(4)
	v_pk_mul_f32 v[8:9], v[2:3], v[14:15]
	ds_write2st64_b32 v7, v8, v9 offset0:12 offset1:14
	ds_read2st64_b32 v[8:9], v7 offset0:20 offset1:22
	s_waitcnt lgkmcnt(3)
	v_pk_mul_f32 v[10:11], v[2:3], v[10:11]
	ds_read2st64_b32 v[12:13], v7 offset0:24 offset1:26
	ds_write2st64_b32 v7, v10, v11 offset0:16 offset1:18
	ds_read2st64_b32 v[10:11], v7 offset0:28 offset1:30
	s_waitcnt lgkmcnt(3)
	v_pk_mul_f32 v[8:9], v[2:3], v[8:9]
	ds_write2st64_b32 v7, v8, v9 offset0:20 offset1:22
	s_waitcnt lgkmcnt(3)
	v_pk_mul_f32 v[8:9], v[2:3], v[12:13]
	ds_write2st64_b32 v7, v8, v9 offset0:24 offset1:26
	s_waitcnt lgkmcnt(2)
	v_pk_mul_f32 v[8:9], v[2:3], v[10:11]
	s_add_i32 s34, s34, 16
	v_cmp_eq_u32_e32 vcc, 0, v6
	ds_write2st64_b32 v7, v8, v9 offset0:28 offset1:30
	v_add_u32_e32 v7, 0x2000, v7
	s_or_b64 s[30:31], vcc, s[30:31]
	v_mov_b32_e32 v8, s34
	s_andn2_b64 exec, exec, s[30:31]
	s_cbranch_execnz .LBB97_37
; %bb.38:
	s_or_b64 exec, exec, s[30:31]
.LBB97_39:
	s_or_b64 exec, exec, s[8:9]
	v_and_b32_e32 v5, 7, v5
	v_cmp_ne_u32_e32 vcc, 0, v5
	s_and_saveexec_b64 s[8:9], vcc
	s_cbranch_execz .LBB97_42
; %bb.40:
	v_lshlrev_b32_e32 v6, 9, v8
	v_lshlrev_b32_e32 v7, 2, v0
	s_movk_i32 s30, 0x190
	v_add3_u32 v6, v6, v7, s30
	s_mov_b64 s[30:31], 0
.LBB97_41:                              ; =>This Inner Loop Header: Depth=1
	ds_read2st64_b32 v[8:9], v6 offset1:2
	v_add_u32_e32 v5, -1, v5
	v_cmp_eq_u32_e32 vcc, 0, v5
	s_or_b64 s[30:31], vcc, s[30:31]
	s_waitcnt lgkmcnt(0)
	v_pk_mul_f32 v[8:9], v[2:3], v[8:9]
	ds_write2st64_b32 v6, v8, v9 offset1:2
	v_add_u32_e32 v6, 0x400, v6
	s_andn2_b64 exec, exec, s[30:31]
	s_cbranch_execnz .LBB97_41
.LBB97_42:
	s_or_b64 exec, exec, s[8:9]
	v_add_u32_e32 v4, 1, v4
	v_and_b32_e32 v5, 0x3fffffe, v4
	v_cmp_ne_u32_e32 vcc, v4, v5
	v_lshl_add_u32 v3, v5, 7, v0
	s_orn2_b64 s[8:9], vcc, exec
.LBB97_43:
	s_or_b64 exec, exec, s[2:3]
	s_and_b64 exec, exec, s[8:9]
	s_cbranch_execz .LBB97_46
; %bb.44:
	v_mov_b32_e32 v4, 0x190
	v_lshl_add_u32 v4, v3, 2, v4
	s_mov_b64 s[2:3], 0
.LBB97_45:                              ; =>This Inner Loop Header: Depth=1
	ds_read_b32 v5, v4
	v_add_u32_e32 v3, 0x80, v3
	v_cmp_le_i32_e32 vcc, s15, v3
	s_or_b64 s[2:3], vcc, s[2:3]
	s_waitcnt lgkmcnt(0)
	v_mul_f32_e32 v5, v2, v5
	ds_write_b32 v4, v5
	v_add_u32_e32 v4, 0x200, v4
	s_andn2_b64 exec, exec, s[2:3]
	s_cbranch_execnz .LBB97_45
.LBB97_46:
	s_or_b64 exec, exec, s[0:1]
	v_mov_b32_e32 v7, 0
	v_and_b32_e32 v31, 3, v0
	v_mov_b32_e32 v6, 0
	v_mov_b32_e32 v9, 0
	;; [unrolled: 1-line block ×11, first 2 shown]
	s_waitcnt lgkmcnt(0)
	s_barrier
	s_and_saveexec_b64 s[2:3], s[6:7]
	s_cbranch_execz .LBB97_76
; %bb.47:
	s_ashr_i32 s15, s14, 31
	s_sub_i32 s17, s12, s17
	s_lshl_b64 s[0:1], s[14:15], 1
	s_add_u32 s0, s28, s0
	s_addc_u32 s1, s29, s1
	s_abs_i32 s14, s18
	v_cvt_f32_u32_e32 v2, s14
	v_and_b32_e32 v32, 24, v1
	v_mov_b32_e32 v19, 0
	s_add_i32 s18, s16, -1
	v_rcp_iflag_f32_e32 v1, v2
	v_lshlrev_b32_e32 v2, 4, v0
	v_and_b32_e32 v18, 0x3f0, v2
	v_lshl_add_u64 v[20:21], s[0:1], 0, v[18:19]
	v_mul_f32_e32 v1, 0x4f7ffffe, v1
	v_cvt_u32_f32_e32 v1, v1
	s_sub_i32 s0, 0, s14
	v_and_b32_e32 v18, 60, v54
	s_mov_b32 s15, s13
	v_mul_lo_u32 v2, s0, v1
	v_mul_hi_u32 v2, v1, v2
	s_lshl_b64 s[0:1], s[26:27], 2
	v_add_u32_e32 v33, v1, v2
	s_add_u32 s0, s24, s0
	v_lshlrev_b32_e32 v1, 5, v31
	s_addc_u32 s1, s25, s1
	v_lshl_or_b32 v1, v52, 7, v1
	s_mov_b32 s28, s33
	v_lshl_add_u64 v[22:23], s[0:1], 0, v[18:19]
	v_add_u32_e32 v34, 0x190, v1
	s_mov_b64 s[6:7], 0
	s_mov_b32 s24, 0xffff
	s_movk_i32 s25, 0x1000
	s_movk_i32 s26, 0x2000
	v_mov_b32_e32 v16, 0
	v_mov_b32_e32 v17, 0
	;; [unrolled: 1-line block ×12, first 2 shown]
	s_branch .LBB97_50
.LBB97_48:                              ;   in Loop: Header=BB97_50 Depth=1
	s_or_b64 exec, exec, s[12:13]
	v_add_f32_e32 v25, v67, v68
	v_add_f32_e32 v6, v6, v25
	;; [unrolled: 1-line block ×5, first 2 shown]
	v_lshlrev_b32_e32 v18, 16, v18
	v_lshlrev_b32_e32 v1, 16, v1
	v_add_f32_e32 v8, v8, v25
	v_add_f32_e32 v25, v26, v27
	v_and_or_b32 v2, v2, s24, v18
	v_and_or_b32 v1, v3, s24, v1
	v_lshlrev_b32_e32 v3, 16, v24
	v_add_f32_e32 v11, v11, v25
	v_add_f32_e32 v25, v61, v62
	v_and_or_b32 v3, v4, s24, v3
	;;#ASMSTART
	v_pk_mul_f16 v2, v41, v2;

	;;#ASMEND
	;;#ASMSTART
	v_pk_mul_f16 v1, v42, v1;

	;;#ASMEND
	v_add_f32_e32 v10, v10, v25
	v_add_f32_e32 v25, v59, v60
	;;#ASMSTART
	v_pk_mul_f16 v3, v43, v3;

	;;#ASMEND
	;;#ASMSTART
	v_pk_mul_f16 v4, v40, v5;

	;;#ASMEND
	;;#ASMSTART
	v_pk_add_f16 v1, v2, v1;

	;;#ASMEND
	v_add_f32_e32 v13, v13, v25
	v_add_f32_e32 v25, v57, v58
	;;#ASMSTART
	v_pk_add_f16 v1, v1, v3;

	;;#ASMEND
	v_add_f32_e32 v12, v12, v25
	v_add_f32_e32 v25, v55, v56
	;; [unrolled: 6-line block ×3, first 2 shown]
	v_lshrrev_b32_e32 v2, 16, v1
	v_and_b32_e32 v1, 0xffff, v1
	v_add_f32_e32 v14, v14, v25
	v_add_f32_e32 v25, v49, v50
	;;#ASMSTART
	v_cvt_f32_f16 v1, v1;
	;;#ASMEND
	v_add_f32_e32 v17, v17, v25
	v_add_f32_e32 v25, v47, v48
	;;#ASMSTART
	v_cvt_f32_f16 v2, v2;
	;;#ASMEND
	v_add_f32_e32 v16, v16, v25
	v_add_f32_e32 v1, v1, v2
	;; [unrolled: 1-line block ×3, first 2 shown]
.LBB97_49:                              ;   in Loop: Header=BB97_50 Depth=1
	s_or_b64 exec, exec, s[8:9]
	v_add_u32_e32 v52, 2, v52
	v_cmp_le_i32_e32 vcc, s16, v52
	v_lshl_add_u64 v[22:23], v[22:23], 0, 8
	v_add_u32_e32 v53, 64, v53
	s_or_b64 s[6:7], vcc, s[6:7]
	v_add_u32_e32 v34, 0x100, v34
	s_andn2_b64 exec, exec, s[6:7]
	s_cbranch_execz .LBB97_75
.LBB97_50:                              ; =>This Inner Loop Header: Depth=1
	v_mul_hi_u32 v1, v53, s40
	v_mul_lo_u32 v2, v1, s21
	v_sub_u32_e32 v2, v53, v2
	v_add_u32_e32 v3, 1, v1
	v_cmp_le_u32_e32 vcc, s21, v2
	s_nop 1
	v_cndmask_b32_e32 v1, v1, v3, vcc
	v_subrev_u32_e32 v3, s21, v2
	v_cndmask_b32_e32 v2, v2, v3, vcc
	v_add_u32_e32 v3, 1, v1
	v_cmp_le_u32_e32 vcc, s21, v2
	s_nop 1
	v_cndmask_b32_e32 v1, v1, v3, vcc
	v_xor_b32_e32 v1, s19, v1
	v_subrev_u32_e32 v1, s19, v1
	v_add_u32_e32 v2, s41, v1
	v_sub_u32_e32 v4, 0, v2
	v_ashrrev_i32_e32 v3, 31, v2
	v_max_i32_e32 v2, v2, v4
	v_mul_hi_u32 v4, v2, v33
	v_mul_lo_u32 v4, v4, s14
	v_sub_u32_e32 v2, v2, v4
	v_subrev_u32_e32 v4, s14, v2
	v_cmp_le_u32_e32 vcc, s14, v2
	v_cmp_lt_i32_e64 s[0:1], s17, v1
	s_nop 0
	v_cndmask_b32_e32 v2, v2, v4, vcc
	v_subrev_u32_e32 v4, s14, v2
	v_cmp_le_u32_e32 vcc, s14, v2
	s_nop 1
	v_cndmask_b32_e32 v2, v2, v4, vcc
	v_xor_b32_e32 v2, v2, v3
	v_sub_u32_e32 v2, v2, v3
	v_cmp_eq_u32_e32 vcc, 0, v2
	s_or_b64 s[0:1], vcc, s[0:1]
	s_and_saveexec_b64 s[8:9], s[0:1]
	s_cbranch_execz .LBB97_49
; %bb.51:                               ;   in Loop: Header=BB97_50 Depth=1
	global_load_dword v1, v[22:23], off
	ds_read2_b64 v[2:5], v34 offset1:1
	ds_read2_b64 v[36:39], v34 offset0:2 offset1:3
	s_waitcnt lgkmcnt(1)
	;;#ASMSTART
	v_cvt_f16_f32 v26, v2;

	;;#ASMEND
	;;#ASMSTART
	v_cvt_f16_f32 v27, v3;

	;;#ASMEND
	;; [unrolled: 4-line block ×4, first 2 shown]
	s_waitcnt lgkmcnt(0)
	;;#ASMSTART
	v_cvt_f16_f32 v43, v36;

	;;#ASMEND
	;;#ASMSTART
	v_cvt_f16_f32 v47, v37;

	;;#ASMEND
	;; [unrolled: 4-line block ×4, first 2 shown]
	v_add_u32_e32 v38, v32, v53
	v_add_u32_e32 v44, 2, v38
	v_add_u32_e32 v39, 4, v38
	v_add_u32_e32 v37, 5, v38
	v_add_u32_e32 v36, 6, v38
	v_add_u32_e32 v35, 7, v38
	v_or_b32_e32 v45, 3, v38
	v_or_b32_e32 v46, 1, v38
	s_waitcnt vmcnt(0)
	v_mad_i64_i32 v[2:3], s[0:1], v1, s15, 0
	v_lshl_add_u64 v[24:25], v[2:3], 1, v[20:21]
	global_load_dwordx4 v[2:5], v[24:25], off
	v_cmp_eq_u32_e64 s[0:1], s18, v52
	s_waitcnt vmcnt(0)
	v_lshrrev_b32_e32 v1, 16, v3
	v_lshrrev_b32_e32 v18, 16, v2
	;; [unrolled: 1-line block ×3, first 2 shown]
	s_and_saveexec_b64 s[12:13], s[0:1]
	s_cbranch_execz .LBB97_53
; %bb.52:                               ;   in Loop: Header=BB97_50 Depth=1
	v_cmp_gt_i32_e32 vcc, s33, v38
	s_nop 1
	v_cndmask_b32_e32 v2, 0, v2, vcc
	v_cmp_gt_i32_e32 vcc, s33, v44
	s_nop 1
	v_cndmask_b32_e32 v3, 0, v3, vcc
	v_cmp_gt_i32_e32 vcc, s28, v45
	s_nop 1
	v_cndmask_b32_e32 v1, 0, v1, vcc
	v_cmp_gt_i32_e32 vcc, s33, v46
	s_nop 1
	v_cndmask_b32_e32 v18, 0, v18, vcc
	v_cmp_gt_i32_e32 vcc, s33, v39
	s_nop 1
	v_cndmask_b32_e32 v4, 0, v4, vcc
	v_cmp_gt_i32_e32 vcc, s33, v37
	s_nop 1
	v_cndmask_b32_e32 v50, 0, v50, vcc
	v_cmp_gt_i32_e32 vcc, s33, v36
	s_nop 1
	v_cndmask_b32_sdwa v41, v19, v5, vcc dst_sel:DWORD dst_unused:UNUSED_PAD src0_sel:DWORD src1_sel:WORD_0
	v_and_b32_e32 v5, 0xffff0000, v5
	v_cmp_gt_i32_e32 vcc, s33, v35
	s_nop 1
	v_cndmask_b32_e32 v5, 0, v5, vcc
	v_or_b32_e32 v5, v41, v5
.LBB97_53:                              ;   in Loop: Header=BB97_50 Depth=1
	s_or_b64 exec, exec, s[12:13]
	v_and_b32_e32 v26, 0xffff, v26
	v_lshl_or_b32 v41, v27, 16, v26
	v_and_b32_e32 v26, 0xffff, v40
	v_lshlrev_b32_e32 v18, 16, v18
	v_lshlrev_b32_e32 v1, 16, v1
	v_lshl_or_b32 v42, v42, 16, v26
	v_and_b32_e32 v26, 0xffff, v43
	v_and_or_b32 v2, v2, s24, v18
	v_and_or_b32 v1, v3, s24, v1
	v_lshlrev_b32_e32 v3, 16, v50
	v_lshl_or_b32 v43, v47, 16, v26
	v_and_b32_e32 v26, 0xffff, v48
	v_and_or_b32 v3, v4, s24, v3
	;;#ASMSTART
	v_pk_mul_f16 v2, v41, v2;

	;;#ASMEND
	;;#ASMSTART
	v_pk_mul_f16 v1, v42, v1;

	;;#ASMEND
	v_lshl_or_b32 v40, v49, 16, v26
	;;#ASMSTART
	v_pk_mul_f16 v3, v43, v3;

	;;#ASMEND
	;;#ASMSTART
	v_pk_mul_f16 v4, v40, v5;

	;;#ASMEND
	;;#ASMSTART
	v_pk_add_f16 v1, v2, v1;

	;;#ASMEND
	s_nop 0
	;;#ASMSTART
	v_pk_add_f16 v1, v1, v3;

	;;#ASMEND
	s_nop 0
	;; [unrolled: 5-line block ×3, first 2 shown]
	v_lshrrev_b32_e32 v2, 16, v1
	v_and_b32_e32 v1, 0xffff, v1
	;;#ASMSTART
	v_cvt_f32_f16 v47, v1;
	;;#ASMEND
	;;#ASMSTART
	v_cvt_f32_f16 v48, v2;
	;;#ASMEND
	global_load_dwordx4 v[2:5], v[24:25], off offset:1024
	s_waitcnt vmcnt(0)
	v_lshrrev_b32_e32 v1, 16, v3
	v_lshrrev_b32_e32 v18, 16, v2
	;; [unrolled: 1-line block ×3, first 2 shown]
	s_and_saveexec_b64 s[12:13], s[0:1]
	s_cbranch_execz .LBB97_55
; %bb.54:                               ;   in Loop: Header=BB97_50 Depth=1
	v_cmp_gt_i32_e32 vcc, s33, v38
	s_nop 1
	v_cndmask_b32_e32 v2, 0, v2, vcc
	v_cmp_gt_i32_e32 vcc, s33, v44
	s_nop 1
	v_cndmask_b32_e32 v3, 0, v3, vcc
	v_cmp_gt_i32_e32 vcc, s28, v45
	s_nop 1
	v_cndmask_b32_e32 v1, 0, v1, vcc
	v_cmp_gt_i32_e32 vcc, s33, v46
	s_nop 1
	v_cndmask_b32_e32 v18, 0, v18, vcc
	v_cmp_gt_i32_e32 vcc, s33, v39
	s_nop 1
	v_cndmask_b32_e32 v4, 0, v4, vcc
	v_cmp_gt_i32_e32 vcc, s33, v37
	s_nop 1
	v_cndmask_b32_e32 v26, 0, v26, vcc
	v_cmp_gt_i32_e32 vcc, s33, v36
	s_nop 1
	v_cndmask_b32_sdwa v27, v19, v5, vcc dst_sel:DWORD dst_unused:UNUSED_PAD src0_sel:DWORD src1_sel:WORD_0
	v_and_b32_e32 v5, 0xffff0000, v5
	v_cmp_gt_i32_e32 vcc, s33, v35
	s_nop 1
	v_cndmask_b32_e32 v5, 0, v5, vcc
	v_or_b32_e32 v5, v27, v5
.LBB97_55:                              ;   in Loop: Header=BB97_50 Depth=1
	s_or_b64 exec, exec, s[12:13]
	v_lshlrev_b32_e32 v18, 16, v18
	v_lshlrev_b32_e32 v1, 16, v1
	v_and_or_b32 v2, v2, s24, v18
	v_and_or_b32 v1, v3, s24, v1
	v_lshlrev_b32_e32 v3, 16, v26
	v_and_or_b32 v3, v4, s24, v3
	;;#ASMSTART
	v_pk_mul_f16 v2, v41, v2;

	;;#ASMEND
	;;#ASMSTART
	v_pk_mul_f16 v1, v42, v1;

	;;#ASMEND
	;; [unrolled: 4-line block ×4, first 2 shown]
	s_nop 0
	;;#ASMSTART
	v_pk_add_f16 v1, v2, v1;

	;;#ASMEND
	s_nop 0
	;;#ASMSTART
	v_pk_add_f16 v1, v1, v3;

	;;#ASMEND
	;; [unrolled: 5-line block ×3, first 2 shown]
	s_nop 0
	v_lshrrev_b32_e32 v2, 16, v1
	v_and_b32_e32 v1, 0xffff, v1
	;;#ASMSTART
	v_cvt_f32_f16 v49, v1;
	;;#ASMEND
	;;#ASMSTART
	v_cvt_f32_f16 v50, v2;
	;;#ASMEND
	global_load_dwordx4 v[2:5], v[24:25], off offset:2048
	s_waitcnt vmcnt(0)
	v_lshrrev_b32_e32 v1, 16, v3
	v_lshrrev_b32_e32 v18, 16, v2
	;; [unrolled: 1-line block ×3, first 2 shown]
	s_and_saveexec_b64 s[12:13], s[0:1]
	s_cbranch_execz .LBB97_57
; %bb.56:                               ;   in Loop: Header=BB97_50 Depth=1
	v_cmp_gt_i32_e32 vcc, s33, v38
	s_nop 1
	v_cndmask_b32_e32 v2, 0, v2, vcc
	v_cmp_gt_i32_e32 vcc, s33, v44
	s_nop 1
	v_cndmask_b32_e32 v3, 0, v3, vcc
	;; [unrolled: 3-line block ×6, first 2 shown]
	v_cmp_gt_i32_e32 vcc, s33, v36
	s_nop 1
	v_cndmask_b32_sdwa v27, v19, v5, vcc dst_sel:DWORD dst_unused:UNUSED_PAD src0_sel:DWORD src1_sel:WORD_0
	v_and_b32_e32 v5, 0xffff0000, v5
	v_cmp_gt_i32_e32 vcc, s33, v35
	s_nop 1
	v_cndmask_b32_e32 v5, 0, v5, vcc
	v_or_b32_e32 v5, v27, v5
.LBB97_57:                              ;   in Loop: Header=BB97_50 Depth=1
	s_or_b64 exec, exec, s[12:13]
	v_lshlrev_b32_e32 v18, 16, v18
	v_lshlrev_b32_e32 v1, 16, v1
	v_and_or_b32 v2, v2, s24, v18
	v_and_or_b32 v1, v3, s24, v1
	v_lshlrev_b32_e32 v3, 16, v26
	v_and_or_b32 v3, v4, s24, v3
	;;#ASMSTART
	v_pk_mul_f16 v2, v41, v2;

	;;#ASMEND
	;;#ASMSTART
	v_pk_mul_f16 v1, v42, v1;

	;;#ASMEND
	;;#ASMSTART
	v_pk_mul_f16 v3, v43, v3;

	;;#ASMEND
	;;#ASMSTART
	v_pk_mul_f16 v4, v40, v5;

	;;#ASMEND
	s_nop 0
	;;#ASMSTART
	v_pk_add_f16 v1, v2, v1;

	;;#ASMEND
	s_nop 0
	;;#ASMSTART
	v_pk_add_f16 v1, v1, v3;

	;;#ASMEND
	;; [unrolled: 5-line block ×3, first 2 shown]
	s_nop 0
	v_lshrrev_b32_e32 v2, 16, v1
	v_and_b32_e32 v1, 0xffff, v1
	;;#ASMSTART
	v_cvt_f32_f16 v51, v1;
	;;#ASMEND
	;;#ASMSTART
	v_cvt_f32_f16 v54, v2;
	;;#ASMEND
	global_load_dwordx4 v[2:5], v[24:25], off offset:3072
	s_waitcnt vmcnt(0)
	v_lshrrev_b32_e32 v1, 16, v3
	v_lshrrev_b32_e32 v18, 16, v2
	;; [unrolled: 1-line block ×3, first 2 shown]
	s_and_saveexec_b64 s[12:13], s[0:1]
	s_cbranch_execz .LBB97_59
; %bb.58:                               ;   in Loop: Header=BB97_50 Depth=1
	v_cmp_gt_i32_e32 vcc, s33, v38
	s_nop 1
	v_cndmask_b32_e32 v2, 0, v2, vcc
	v_cmp_gt_i32_e32 vcc, s33, v44
	s_nop 1
	v_cndmask_b32_e32 v3, 0, v3, vcc
	;; [unrolled: 3-line block ×6, first 2 shown]
	v_cmp_gt_i32_e32 vcc, s33, v36
	s_nop 1
	v_cndmask_b32_sdwa v27, v19, v5, vcc dst_sel:DWORD dst_unused:UNUSED_PAD src0_sel:DWORD src1_sel:WORD_0
	v_and_b32_e32 v5, 0xffff0000, v5
	v_cmp_gt_i32_e32 vcc, s33, v35
	s_nop 1
	v_cndmask_b32_e32 v5, 0, v5, vcc
	v_or_b32_e32 v5, v27, v5
.LBB97_59:                              ;   in Loop: Header=BB97_50 Depth=1
	s_or_b64 exec, exec, s[12:13]
	v_lshlrev_b32_e32 v18, 16, v18
	v_lshlrev_b32_e32 v1, 16, v1
	v_and_or_b32 v2, v2, s24, v18
	v_and_or_b32 v1, v3, s24, v1
	v_lshlrev_b32_e32 v3, 16, v26
	v_and_or_b32 v3, v4, s24, v3
	;;#ASMSTART
	v_pk_mul_f16 v2, v41, v2;

	;;#ASMEND
	;;#ASMSTART
	v_pk_mul_f16 v1, v42, v1;

	;;#ASMEND
	;; [unrolled: 4-line block ×4, first 2 shown]
	v_add_co_u32_e32 v26, vcc, s25, v24
	;;#ASMSTART
	v_pk_add_f16 v1, v2, v1;

	;;#ASMEND
	s_nop 0
	;;#ASMSTART
	v_pk_add_f16 v1, v1, v3;

	;;#ASMEND
	s_nop 0
	v_addc_co_u32_e32 v27, vcc, 0, v25, vcc
	;;#ASMSTART
	v_pk_add_f16 v1, v1, v4;

	;;#ASMEND
	s_nop 0
	v_lshrrev_b32_e32 v2, 16, v1
	v_and_b32_e32 v1, 0xffff, v1
	;;#ASMSTART
	v_cvt_f32_f16 v55, v1;
	;;#ASMEND
	;;#ASMSTART
	v_cvt_f32_f16 v56, v2;
	;;#ASMEND
	global_load_dwordx4 v[2:5], v[26:27], off
	s_waitcnt vmcnt(0)
	v_lshrrev_b32_e32 v1, 16, v3
	v_lshrrev_b32_e32 v18, 16, v2
	;; [unrolled: 1-line block ×3, first 2 shown]
	s_and_saveexec_b64 s[12:13], s[0:1]
	s_cbranch_execz .LBB97_61
; %bb.60:                               ;   in Loop: Header=BB97_50 Depth=1
	v_cmp_gt_i32_e32 vcc, s33, v38
	s_nop 1
	v_cndmask_b32_e32 v2, 0, v2, vcc
	v_cmp_gt_i32_e32 vcc, s33, v44
	s_nop 1
	v_cndmask_b32_e32 v3, 0, v3, vcc
	;; [unrolled: 3-line block ×6, first 2 shown]
	v_cmp_gt_i32_e32 vcc, s33, v36
	s_nop 1
	v_cndmask_b32_sdwa v58, v19, v5, vcc dst_sel:DWORD dst_unused:UNUSED_PAD src0_sel:DWORD src1_sel:WORD_0
	v_and_b32_e32 v5, 0xffff0000, v5
	v_cmp_gt_i32_e32 vcc, s33, v35
	s_nop 1
	v_cndmask_b32_e32 v5, 0, v5, vcc
	v_or_b32_e32 v5, v58, v5
.LBB97_61:                              ;   in Loop: Header=BB97_50 Depth=1
	s_or_b64 exec, exec, s[12:13]
	v_lshlrev_b32_e32 v18, 16, v18
	v_lshlrev_b32_e32 v1, 16, v1
	v_and_or_b32 v2, v2, s24, v18
	v_and_or_b32 v1, v3, s24, v1
	v_lshlrev_b32_e32 v3, 16, v57
	v_and_or_b32 v3, v4, s24, v3
	;;#ASMSTART
	v_pk_mul_f16 v2, v41, v2;

	;;#ASMEND
	;;#ASMSTART
	v_pk_mul_f16 v1, v42, v1;

	;;#ASMEND
	;; [unrolled: 4-line block ×4, first 2 shown]
	s_nop 0
	;;#ASMSTART
	v_pk_add_f16 v1, v2, v1;

	;;#ASMEND
	s_nop 0
	;;#ASMSTART
	v_pk_add_f16 v1, v1, v3;

	;;#ASMEND
	;; [unrolled: 5-line block ×3, first 2 shown]
	s_nop 0
	v_lshrrev_b32_e32 v2, 16, v1
	v_and_b32_e32 v1, 0xffff, v1
	;;#ASMSTART
	v_cvt_f32_f16 v57, v1;
	;;#ASMEND
	;;#ASMSTART
	v_cvt_f32_f16 v58, v2;
	;;#ASMEND
	global_load_dwordx4 v[2:5], v[26:27], off offset:1024
	s_waitcnt vmcnt(0)
	v_lshrrev_b32_e32 v1, 16, v3
	v_lshrrev_b32_e32 v18, 16, v2
	;; [unrolled: 1-line block ×3, first 2 shown]
	s_and_saveexec_b64 s[12:13], s[0:1]
	s_cbranch_execz .LBB97_63
; %bb.62:                               ;   in Loop: Header=BB97_50 Depth=1
	v_cmp_gt_i32_e32 vcc, s33, v38
	s_nop 1
	v_cndmask_b32_e32 v2, 0, v2, vcc
	v_cmp_gt_i32_e32 vcc, s33, v44
	s_nop 1
	v_cndmask_b32_e32 v3, 0, v3, vcc
	;; [unrolled: 3-line block ×6, first 2 shown]
	v_cmp_gt_i32_e32 vcc, s33, v36
	s_nop 1
	v_cndmask_b32_sdwa v60, v19, v5, vcc dst_sel:DWORD dst_unused:UNUSED_PAD src0_sel:DWORD src1_sel:WORD_0
	v_and_b32_e32 v5, 0xffff0000, v5
	v_cmp_gt_i32_e32 vcc, s33, v35
	s_nop 1
	v_cndmask_b32_e32 v5, 0, v5, vcc
	v_or_b32_e32 v5, v60, v5
.LBB97_63:                              ;   in Loop: Header=BB97_50 Depth=1
	s_or_b64 exec, exec, s[12:13]
	v_lshlrev_b32_e32 v18, 16, v18
	v_lshlrev_b32_e32 v1, 16, v1
	v_and_or_b32 v2, v2, s24, v18
	v_and_or_b32 v1, v3, s24, v1
	v_lshlrev_b32_e32 v3, 16, v59
	v_and_or_b32 v3, v4, s24, v3
	;;#ASMSTART
	v_pk_mul_f16 v2, v41, v2;

	;;#ASMEND
	;;#ASMSTART
	v_pk_mul_f16 v1, v42, v1;

	;;#ASMEND
	;; [unrolled: 4-line block ×4, first 2 shown]
	s_nop 0
	;;#ASMSTART
	v_pk_add_f16 v1, v2, v1;

	;;#ASMEND
	s_nop 0
	;;#ASMSTART
	v_pk_add_f16 v1, v1, v3;

	;;#ASMEND
	;; [unrolled: 5-line block ×3, first 2 shown]
	s_nop 0
	v_lshrrev_b32_e32 v2, 16, v1
	v_and_b32_e32 v1, 0xffff, v1
	;;#ASMSTART
	v_cvt_f32_f16 v59, v1;
	;;#ASMEND
	;;#ASMSTART
	v_cvt_f32_f16 v60, v2;
	;;#ASMEND
	global_load_dwordx4 v[2:5], v[26:27], off offset:2048
	s_waitcnt vmcnt(0)
	v_lshrrev_b32_e32 v1, 16, v3
	v_lshrrev_b32_e32 v18, 16, v2
	;; [unrolled: 1-line block ×3, first 2 shown]
	s_and_saveexec_b64 s[12:13], s[0:1]
	s_cbranch_execz .LBB97_65
; %bb.64:                               ;   in Loop: Header=BB97_50 Depth=1
	v_cmp_gt_i32_e32 vcc, s33, v38
	s_nop 1
	v_cndmask_b32_e32 v2, 0, v2, vcc
	v_cmp_gt_i32_e32 vcc, s33, v44
	s_nop 1
	v_cndmask_b32_e32 v3, 0, v3, vcc
	;; [unrolled: 3-line block ×6, first 2 shown]
	v_cmp_gt_i32_e32 vcc, s33, v36
	s_nop 1
	v_cndmask_b32_sdwa v62, v19, v5, vcc dst_sel:DWORD dst_unused:UNUSED_PAD src0_sel:DWORD src1_sel:WORD_0
	v_and_b32_e32 v5, 0xffff0000, v5
	v_cmp_gt_i32_e32 vcc, s33, v35
	s_nop 1
	v_cndmask_b32_e32 v5, 0, v5, vcc
	v_or_b32_e32 v5, v62, v5
.LBB97_65:                              ;   in Loop: Header=BB97_50 Depth=1
	s_or_b64 exec, exec, s[12:13]
	v_lshlrev_b32_e32 v18, 16, v18
	v_lshlrev_b32_e32 v1, 16, v1
	v_and_or_b32 v2, v2, s24, v18
	v_and_or_b32 v1, v3, s24, v1
	v_lshlrev_b32_e32 v3, 16, v61
	v_and_or_b32 v3, v4, s24, v3
	;;#ASMSTART
	v_pk_mul_f16 v2, v41, v2;

	;;#ASMEND
	;;#ASMSTART
	v_pk_mul_f16 v1, v42, v1;

	;;#ASMEND
	;; [unrolled: 4-line block ×4, first 2 shown]
	s_nop 0
	;;#ASMSTART
	v_pk_add_f16 v1, v2, v1;

	;;#ASMEND
	s_nop 0
	;;#ASMSTART
	v_pk_add_f16 v1, v1, v3;

	;;#ASMEND
	s_nop 0
	;;#ASMSTART
	v_pk_add_f16 v1, v1, v4;

	;;#ASMEND
	s_nop 0
	v_lshrrev_b32_e32 v2, 16, v1
	v_and_b32_e32 v1, 0xffff, v1
	;;#ASMSTART
	v_cvt_f32_f16 v61, v1;
	;;#ASMEND
	;;#ASMSTART
	v_cvt_f32_f16 v62, v2;
	;;#ASMEND
	global_load_dwordx4 v[2:5], v[26:27], off offset:3072
	s_waitcnt vmcnt(0)
	v_lshrrev_b32_e32 v1, 16, v3
	v_lshrrev_b32_e32 v18, 16, v2
	;; [unrolled: 1-line block ×3, first 2 shown]
	s_and_saveexec_b64 s[12:13], s[0:1]
	s_cbranch_execz .LBB97_67
; %bb.66:                               ;   in Loop: Header=BB97_50 Depth=1
	v_cmp_gt_i32_e32 vcc, s33, v38
	s_nop 1
	v_cndmask_b32_e32 v2, 0, v2, vcc
	v_cmp_gt_i32_e32 vcc, s33, v44
	s_nop 1
	v_cndmask_b32_e32 v3, 0, v3, vcc
	;; [unrolled: 3-line block ×6, first 2 shown]
	v_cmp_gt_i32_e32 vcc, s33, v36
	s_nop 1
	v_cndmask_b32_sdwa v27, v19, v5, vcc dst_sel:DWORD dst_unused:UNUSED_PAD src0_sel:DWORD src1_sel:WORD_0
	v_and_b32_e32 v5, 0xffff0000, v5
	v_cmp_gt_i32_e32 vcc, s33, v35
	s_nop 1
	v_cndmask_b32_e32 v5, 0, v5, vcc
	v_or_b32_e32 v5, v27, v5
.LBB97_67:                              ;   in Loop: Header=BB97_50 Depth=1
	s_or_b64 exec, exec, s[12:13]
	v_lshlrev_b32_e32 v18, 16, v18
	v_lshlrev_b32_e32 v1, 16, v1
	v_and_or_b32 v2, v2, s24, v18
	v_and_or_b32 v1, v3, s24, v1
	v_lshlrev_b32_e32 v3, 16, v26
	v_and_or_b32 v3, v4, s24, v3
	;;#ASMSTART
	v_pk_mul_f16 v2, v41, v2;

	;;#ASMEND
	;;#ASMSTART
	v_pk_mul_f16 v1, v42, v1;

	;;#ASMEND
	;; [unrolled: 4-line block ×4, first 2 shown]
	v_add_co_u32_e32 v24, vcc, s26, v24
	;;#ASMSTART
	v_pk_add_f16 v1, v2, v1;

	;;#ASMEND
	s_nop 0
	;;#ASMSTART
	v_pk_add_f16 v1, v1, v3;

	;;#ASMEND
	s_nop 0
	v_addc_co_u32_e32 v25, vcc, 0, v25, vcc
	;;#ASMSTART
	v_pk_add_f16 v1, v1, v4;

	;;#ASMEND
	s_nop 0
	v_lshrrev_b32_e32 v2, 16, v1
	v_and_b32_e32 v1, 0xffff, v1
	;;#ASMSTART
	v_cvt_f32_f16 v26, v1;
	;;#ASMEND
	;;#ASMSTART
	v_cvt_f32_f16 v27, v2;
	;;#ASMEND
	global_load_dwordx4 v[2:5], v[24:25], off
	s_waitcnt vmcnt(0)
	v_lshrrev_b32_e32 v1, 16, v3
	v_lshrrev_b32_e32 v18, 16, v2
	;; [unrolled: 1-line block ×3, first 2 shown]
	s_and_saveexec_b64 s[12:13], s[0:1]
	s_cbranch_execz .LBB97_69
; %bb.68:                               ;   in Loop: Header=BB97_50 Depth=1
	v_cmp_gt_i32_e32 vcc, s33, v38
	s_nop 1
	v_cndmask_b32_e32 v2, 0, v2, vcc
	v_cmp_gt_i32_e32 vcc, s33, v44
	s_nop 1
	v_cndmask_b32_e32 v3, 0, v3, vcc
	;; [unrolled: 3-line block ×6, first 2 shown]
	v_cmp_gt_i32_e32 vcc, s33, v36
	s_nop 1
	v_cndmask_b32_sdwa v64, v19, v5, vcc dst_sel:DWORD dst_unused:UNUSED_PAD src0_sel:DWORD src1_sel:WORD_0
	v_and_b32_e32 v5, 0xffff0000, v5
	v_cmp_gt_i32_e32 vcc, s33, v35
	s_nop 1
	v_cndmask_b32_e32 v5, 0, v5, vcc
	v_or_b32_e32 v5, v64, v5
.LBB97_69:                              ;   in Loop: Header=BB97_50 Depth=1
	s_or_b64 exec, exec, s[12:13]
	v_lshlrev_b32_e32 v18, 16, v18
	v_lshlrev_b32_e32 v1, 16, v1
	v_and_or_b32 v2, v2, s24, v18
	v_and_or_b32 v1, v3, s24, v1
	v_lshlrev_b32_e32 v3, 16, v63
	v_and_or_b32 v3, v4, s24, v3
	;;#ASMSTART
	v_pk_mul_f16 v2, v41, v2;

	;;#ASMEND
	;;#ASMSTART
	v_pk_mul_f16 v1, v42, v1;

	;;#ASMEND
	;; [unrolled: 4-line block ×4, first 2 shown]
	s_nop 0
	;;#ASMSTART
	v_pk_add_f16 v1, v2, v1;

	;;#ASMEND
	s_nop 0
	;;#ASMSTART
	v_pk_add_f16 v1, v1, v3;

	;;#ASMEND
	;; [unrolled: 5-line block ×3, first 2 shown]
	s_nop 0
	v_lshrrev_b32_e32 v2, 16, v1
	v_and_b32_e32 v1, 0xffff, v1
	;;#ASMSTART
	v_cvt_f32_f16 v63, v1;
	;;#ASMEND
	;;#ASMSTART
	v_cvt_f32_f16 v64, v2;
	;;#ASMEND
	global_load_dwordx4 v[2:5], v[24:25], off offset:1024
	s_waitcnt vmcnt(0)
	v_lshrrev_b32_e32 v1, 16, v3
	v_lshrrev_b32_e32 v18, 16, v2
	;; [unrolled: 1-line block ×3, first 2 shown]
	s_and_saveexec_b64 s[12:13], s[0:1]
	s_cbranch_execz .LBB97_71
; %bb.70:                               ;   in Loop: Header=BB97_50 Depth=1
	v_cmp_gt_i32_e32 vcc, s33, v38
	s_nop 1
	v_cndmask_b32_e32 v2, 0, v2, vcc
	v_cmp_gt_i32_e32 vcc, s33, v44
	s_nop 1
	v_cndmask_b32_e32 v3, 0, v3, vcc
	;; [unrolled: 3-line block ×6, first 2 shown]
	v_cmp_gt_i32_e32 vcc, s33, v36
	s_nop 1
	v_cndmask_b32_sdwa v66, v19, v5, vcc dst_sel:DWORD dst_unused:UNUSED_PAD src0_sel:DWORD src1_sel:WORD_0
	v_and_b32_e32 v5, 0xffff0000, v5
	v_cmp_gt_i32_e32 vcc, s33, v35
	s_nop 1
	v_cndmask_b32_e32 v5, 0, v5, vcc
	v_or_b32_e32 v5, v66, v5
.LBB97_71:                              ;   in Loop: Header=BB97_50 Depth=1
	s_or_b64 exec, exec, s[12:13]
	v_lshlrev_b32_e32 v18, 16, v18
	v_lshlrev_b32_e32 v1, 16, v1
	v_and_or_b32 v2, v2, s24, v18
	v_and_or_b32 v1, v3, s24, v1
	v_lshlrev_b32_e32 v3, 16, v65
	v_and_or_b32 v3, v4, s24, v3
	;;#ASMSTART
	v_pk_mul_f16 v2, v41, v2;

	;;#ASMEND
	;;#ASMSTART
	v_pk_mul_f16 v1, v42, v1;

	;;#ASMEND
	;; [unrolled: 4-line block ×4, first 2 shown]
	s_nop 0
	;;#ASMSTART
	v_pk_add_f16 v1, v2, v1;

	;;#ASMEND
	s_nop 0
	;;#ASMSTART
	v_pk_add_f16 v1, v1, v3;

	;;#ASMEND
	;; [unrolled: 5-line block ×3, first 2 shown]
	s_nop 0
	v_lshrrev_b32_e32 v2, 16, v1
	v_and_b32_e32 v1, 0xffff, v1
	;;#ASMSTART
	v_cvt_f32_f16 v65, v1;
	;;#ASMEND
	;;#ASMSTART
	v_cvt_f32_f16 v66, v2;
	;;#ASMEND
	global_load_dwordx4 v[2:5], v[24:25], off offset:2048
	s_waitcnt vmcnt(0)
	v_lshrrev_b32_e32 v1, 16, v3
	v_lshrrev_b32_e32 v18, 16, v2
	;; [unrolled: 1-line block ×3, first 2 shown]
	s_and_saveexec_b64 s[12:13], s[0:1]
	s_cbranch_execz .LBB97_73
; %bb.72:                               ;   in Loop: Header=BB97_50 Depth=1
	v_cmp_gt_i32_e32 vcc, s33, v38
	s_nop 1
	v_cndmask_b32_e32 v2, 0, v2, vcc
	v_cmp_gt_i32_e32 vcc, s33, v44
	s_nop 1
	v_cndmask_b32_e32 v3, 0, v3, vcc
	;; [unrolled: 3-line block ×6, first 2 shown]
	v_cmp_gt_i32_e32 vcc, s33, v36
	s_nop 1
	v_cndmask_b32_sdwa v68, v19, v5, vcc dst_sel:DWORD dst_unused:UNUSED_PAD src0_sel:DWORD src1_sel:WORD_0
	v_and_b32_e32 v5, 0xffff0000, v5
	v_cmp_gt_i32_e32 vcc, s33, v35
	s_nop 1
	v_cndmask_b32_e32 v5, 0, v5, vcc
	v_or_b32_e32 v5, v68, v5
.LBB97_73:                              ;   in Loop: Header=BB97_50 Depth=1
	s_or_b64 exec, exec, s[12:13]
	v_lshlrev_b32_e32 v18, 16, v18
	v_lshlrev_b32_e32 v1, 16, v1
	v_and_or_b32 v2, v2, s24, v18
	v_and_or_b32 v1, v3, s24, v1
	v_lshlrev_b32_e32 v3, 16, v67
	v_and_or_b32 v3, v4, s24, v3
	;;#ASMSTART
	v_pk_mul_f16 v2, v41, v2;

	;;#ASMEND
	;;#ASMSTART
	v_pk_mul_f16 v1, v42, v1;

	;;#ASMEND
	;; [unrolled: 4-line block ×4, first 2 shown]
	s_nop 0
	;;#ASMSTART
	v_pk_add_f16 v1, v2, v1;

	;;#ASMEND
	s_nop 0
	;;#ASMSTART
	v_pk_add_f16 v1, v1, v3;

	;;#ASMEND
	;; [unrolled: 5-line block ×3, first 2 shown]
	s_nop 0
	v_lshrrev_b32_e32 v2, 16, v1
	v_and_b32_e32 v1, 0xffff, v1
	;;#ASMSTART
	v_cvt_f32_f16 v67, v1;
	;;#ASMEND
	;;#ASMSTART
	v_cvt_f32_f16 v68, v2;
	;;#ASMEND
	global_load_dwordx4 v[2:5], v[24:25], off offset:3072
	s_waitcnt vmcnt(0)
	v_lshrrev_b32_e32 v1, 16, v3
	v_lshrrev_b32_e32 v18, 16, v2
	;; [unrolled: 1-line block ×3, first 2 shown]
	s_and_saveexec_b64 s[12:13], s[0:1]
	s_cbranch_execz .LBB97_48
; %bb.74:                               ;   in Loop: Header=BB97_50 Depth=1
	v_cmp_gt_i32_e32 vcc, s33, v38
	s_nop 1
	v_cndmask_b32_e32 v2, 0, v2, vcc
	v_cmp_gt_i32_e32 vcc, s33, v44
	s_nop 1
	v_cndmask_b32_e32 v3, 0, v3, vcc
	;; [unrolled: 3-line block ×6, first 2 shown]
	v_cmp_gt_i32_e32 vcc, s33, v36
	s_nop 1
	v_cndmask_b32_sdwa v25, v19, v5, vcc dst_sel:DWORD dst_unused:UNUSED_PAD src0_sel:DWORD src1_sel:WORD_0
	v_and_b32_e32 v5, 0xffff0000, v5
	v_cmp_gt_i32_e32 vcc, s33, v35
	s_nop 1
	v_cndmask_b32_e32 v5, 0, v5, vcc
	v_or_b32_e32 v5, v25, v5
	s_branch .LBB97_48
.LBB97_75:
	s_or_b64 exec, exec, s[6:7]
.LBB97_76:
	s_or_b64 exec, exec, s[2:3]
	ds_bpermute_b32 v2, v29, v16
	ds_bpermute_b32 v3, v29, v17
	;; [unrolled: 1-line block ×6, first 2 shown]
	s_waitcnt lgkmcnt(4)
	v_pk_add_f32 v[2:3], v[16:17], v[2:3]
	ds_bpermute_b32 v16, v30, v2
	ds_bpermute_b32 v17, v30, v3
	;; [unrolled: 1-line block ×4, first 2 shown]
	s_waitcnt lgkmcnt(4)
	v_pk_add_f32 v[4:5], v[14:15], v[4:5]
	ds_bpermute_b32 v32, v29, v6
	s_waitcnt lgkmcnt(3)
	v_pk_add_f32 v[2:3], v[2:3], v[16:17]
	v_pk_add_f32 v[16:17], v[12:13], v[18:19]
	ds_bpermute_b32 v12, v29, v10
	ds_bpermute_b32 v13, v29, v11
	;; [unrolled: 1-line block ×5, first 2 shown]
	s_waitcnt lgkmcnt(6)
	v_pk_add_f32 v[20:21], v[8:9], v[20:21]
	s_waitcnt lgkmcnt(3)
	v_pk_add_f32 v[22:23], v[10:11], v[12:13]
	ds_bpermute_b32 v18, v30, v16
	ds_bpermute_b32 v19, v30, v17
	ds_bpermute_b32 v24, v30, v22
	ds_bpermute_b32 v25, v30, v23
	ds_bpermute_b32 v26, v30, v20
	ds_bpermute_b32 v27, v30, v21
	s_waitcnt lgkmcnt(8)
	v_pk_add_f32 v[6:7], v[6:7], v[32:33]
	s_waitcnt lgkmcnt(6)
	v_pk_add_f32 v[12:13], v[4:5], v[14:15]
	ds_bpermute_b32 v14, v30, v6
	ds_bpermute_b32 v15, v30, v7
	v_and_b32_e32 v1, 0x3c3, v0
	s_waitcnt lgkmcnt(6)
	v_pk_add_f32 v[10:11], v[16:17], v[18:19]
	s_waitcnt lgkmcnt(4)
	v_pk_add_f32 v[8:9], v[22:23], v[24:25]
	;; [unrolled: 2-line block ×3, first 2 shown]
	v_cmp_ne_u32_e32 vcc, 64, v1
	s_waitcnt lgkmcnt(0)
	s_barrier
	s_and_saveexec_b64 s[0:1], vcc
	s_xor_b64 s[0:1], exec, s[0:1]
; %bb.77:
                                        ; implicit-def: $vgpr28
; %bb.78:
	s_or_saveexec_b64 s[0:1], s[0:1]
	v_pk_add_f32 v[6:7], v[6:7], v[14:15]
	s_xor_b64 exec, exec, s[0:1]
	s_cbranch_execz .LBB97_80
; %bb.79:
	v_add_u32_e32 v14, 0x190, v28
	ds_write2_b32 v14, v2, v3 offset1:16
	ds_write2_b32 v14, v12, v13 offset0:32 offset1:48
	ds_write2_b32 v14, v10, v11 offset0:64 offset1:80
	;; [unrolled: 1-line block ×5, first 2 shown]
.LBB97_80:
	s_or_b64 exec, exec, s[0:1]
	v_cmp_gt_u32_e32 vcc, 64, v0
	v_lshrrev_b32_e32 v0, 2, v0
	s_waitcnt lgkmcnt(0)
	s_barrier
	s_and_saveexec_b64 s[0:1], vcc
	s_cbranch_execz .LBB97_95
; %bb.81:
	v_mov_b32_e32 v14, 0x190
	v_cmp_eq_u32_e32 vcc, 0, v31
	v_lshl_add_u32 v14, v0, 2, v14
	s_and_saveexec_b64 s[2:3], vcc
	s_cbranch_execnz .LBB97_98
; %bb.82:
	s_or_b64 exec, exec, s[2:3]
	s_and_saveexec_b64 s[2:3], vcc
	s_cbranch_execnz .LBB97_99
.LBB97_83:
	s_or_b64 exec, exec, s[2:3]
	s_and_saveexec_b64 s[2:3], vcc
	s_cbranch_execnz .LBB97_100
.LBB97_84:
	s_or_b64 exec, exec, s[2:3]
	s_and_saveexec_b64 s[2:3], vcc
	s_cbranch_execnz .LBB97_101
.LBB97_85:
	s_or_b64 exec, exec, s[2:3]
	s_and_saveexec_b64 s[2:3], vcc
	s_cbranch_execnz .LBB97_102
.LBB97_86:
	s_or_b64 exec, exec, s[2:3]
	s_and_saveexec_b64 s[2:3], vcc
	s_cbranch_execnz .LBB97_103
.LBB97_87:
	s_or_b64 exec, exec, s[2:3]
	s_and_saveexec_b64 s[2:3], vcc
	s_cbranch_execnz .LBB97_104
.LBB97_88:
	s_or_b64 exec, exec, s[2:3]
	s_and_saveexec_b64 s[2:3], vcc
	s_cbranch_execnz .LBB97_105
.LBB97_89:
	s_or_b64 exec, exec, s[2:3]
	s_and_saveexec_b64 s[2:3], vcc
	s_cbranch_execnz .LBB97_106
.LBB97_90:
	s_or_b64 exec, exec, s[2:3]
	s_and_saveexec_b64 s[2:3], vcc
	s_cbranch_execnz .LBB97_107
.LBB97_91:
	s_or_b64 exec, exec, s[2:3]
	s_and_saveexec_b64 s[2:3], vcc
	s_cbranch_execnz .LBB97_108
.LBB97_92:
	s_or_b64 exec, exec, s[2:3]
	s_and_saveexec_b64 s[2:3], vcc
	s_cbranch_execz .LBB97_94
.LBB97_93:
	ds_read_b32 v14, v14 offset:704
	s_waitcnt lgkmcnt(0)
	v_add_f32_e32 v7, v7, v14
.LBB97_94:
	s_or_b64 exec, exec, s[2:3]
.LBB97_95:
	s_or_b64 exec, exec, s[0:1]
	v_cmp_eq_u32_e32 vcc, 0, v1
	s_barrier
	s_and_saveexec_b64 s[0:1], vcc
	s_cbranch_execz .LBB97_97
; %bb.96:
	s_mul_i32 s0, s10, s11
	s_mul_i32 s0, s0, s5
	s_mulk_i32 s0, 0xc0
	s_ashr_i32 s1, s0, 31
	s_lshl_b64 s[0:1], s[0:1], 1
	s_add_u32 s2, s22, s0
	s_mul_i32 s0, s11, s20
	s_addc_u32 s3, s23, s1
	s_ashr_i32 s1, s0, 31
	s_lshl_b64 s[0:1], s[0:1], 1
	s_add_u32 s2, s2, s0
	s_mul_i32 s0, s4, 0xc0
	s_addc_u32 s3, s3, s1
	s_ashr_i32 s1, s0, 31
	s_lshl_b64 s[0:1], s[0:1], 1
	s_add_u32 s0, s2, s0
	s_addc_u32 s1, s3, s1
	v_lshlrev_b32_e32 v0, 1, v0
	;;#ASMSTART
	v_cvt_f16_f32 v1, v2;

	;;#ASMEND
	global_store_short v0, v1, s[0:1]
	;;#ASMSTART
	v_cvt_f16_f32 v1, v3;

	;;#ASMEND
	global_store_short v0, v1, s[0:1] offset:32
	;;#ASMSTART
	v_cvt_f16_f32 v1, v12;

	;;#ASMEND
	global_store_short v0, v1, s[0:1] offset:64
	;; [unrolled: 5-line block ×11, first 2 shown]
.LBB97_97:
	s_endpgm
.LBB97_98:
	ds_read_b32 v15, v14
	s_waitcnt lgkmcnt(0)
	v_add_f32_e32 v2, v2, v15
	s_or_b64 exec, exec, s[2:3]
	s_and_saveexec_b64 s[2:3], vcc
	s_cbranch_execz .LBB97_83
.LBB97_99:
	ds_read_b32 v15, v14 offset:64
	s_waitcnt lgkmcnt(0)
	v_add_f32_e32 v3, v3, v15
	s_or_b64 exec, exec, s[2:3]
	s_and_saveexec_b64 s[2:3], vcc
	s_cbranch_execz .LBB97_84
.LBB97_100:
	ds_read_b32 v15, v14 offset:128
	s_waitcnt lgkmcnt(0)
	v_add_f32_e32 v12, v12, v15
	s_or_b64 exec, exec, s[2:3]
	s_and_saveexec_b64 s[2:3], vcc
	s_cbranch_execz .LBB97_85
.LBB97_101:
	ds_read_b32 v15, v14 offset:192
	s_waitcnt lgkmcnt(0)
	v_add_f32_e32 v13, v13, v15
	s_or_b64 exec, exec, s[2:3]
	s_and_saveexec_b64 s[2:3], vcc
	s_cbranch_execz .LBB97_86
.LBB97_102:
	ds_read_b32 v15, v14 offset:256
	s_waitcnt lgkmcnt(0)
	v_add_f32_e32 v10, v10, v15
	s_or_b64 exec, exec, s[2:3]
	s_and_saveexec_b64 s[2:3], vcc
	s_cbranch_execz .LBB97_87
.LBB97_103:
	ds_read_b32 v15, v14 offset:320
	s_waitcnt lgkmcnt(0)
	v_add_f32_e32 v11, v11, v15
	s_or_b64 exec, exec, s[2:3]
	s_and_saveexec_b64 s[2:3], vcc
	s_cbranch_execz .LBB97_88
.LBB97_104:
	ds_read_b32 v15, v14 offset:384
	s_waitcnt lgkmcnt(0)
	v_add_f32_e32 v8, v8, v15
	s_or_b64 exec, exec, s[2:3]
	s_and_saveexec_b64 s[2:3], vcc
	s_cbranch_execz .LBB97_89
.LBB97_105:
	ds_read_b32 v15, v14 offset:448
	s_waitcnt lgkmcnt(0)
	v_add_f32_e32 v9, v9, v15
	s_or_b64 exec, exec, s[2:3]
	s_and_saveexec_b64 s[2:3], vcc
	s_cbranch_execz .LBB97_90
.LBB97_106:
	ds_read_b32 v15, v14 offset:512
	s_waitcnt lgkmcnt(0)
	v_add_f32_e32 v4, v4, v15
	s_or_b64 exec, exec, s[2:3]
	s_and_saveexec_b64 s[2:3], vcc
	s_cbranch_execz .LBB97_91
.LBB97_107:
	ds_read_b32 v15, v14 offset:576
	s_waitcnt lgkmcnt(0)
	v_add_f32_e32 v5, v5, v15
	s_or_b64 exec, exec, s[2:3]
	s_and_saveexec_b64 s[2:3], vcc
	s_cbranch_execz .LBB97_92
.LBB97_108:
	ds_read_b32 v15, v14 offset:640
	s_waitcnt lgkmcnt(0)
	v_add_f32_e32 v6, v6, v15
	s_or_b64 exec, exec, s[2:3]
	s_and_saveexec_b64 s[2:3], vcc
	s_cbranch_execnz .LBB97_93
	s_branch .LBB97_94
	.section	.rodata,"a",@progbits
	.p2align	6, 0x0
	.amdhsa_kernel _ZN4vllm25paged_attention_v1_kernelIttLi192ELi32ELi128ELNS_18Fp8KVCacheDataTypeE0ELb1EEEvPT_PKS2_PKT0_S8_ifPKiSA_iPKfiiiSC_SC_iiiii
		.amdhsa_group_segment_fixed_size 400
		.amdhsa_private_segment_fixed_size 0
		.amdhsa_kernarg_size 384
		.amdhsa_user_sgpr_count 2
		.amdhsa_user_sgpr_dispatch_ptr 0
		.amdhsa_user_sgpr_queue_ptr 0
		.amdhsa_user_sgpr_kernarg_segment_ptr 1
		.amdhsa_user_sgpr_dispatch_id 0
		.amdhsa_user_sgpr_kernarg_preload_length 0
		.amdhsa_user_sgpr_kernarg_preload_offset 0
		.amdhsa_user_sgpr_private_segment_size 0
		.amdhsa_uses_dynamic_stack 0
		.amdhsa_enable_private_segment 0
		.amdhsa_system_sgpr_workgroup_id_x 1
		.amdhsa_system_sgpr_workgroup_id_y 1
		.amdhsa_system_sgpr_workgroup_id_z 1
		.amdhsa_system_sgpr_workgroup_info 0
		.amdhsa_system_vgpr_workitem_id 0
		.amdhsa_next_free_vgpr 97
		.amdhsa_next_free_sgpr 46
		.amdhsa_accum_offset 100
		.amdhsa_reserve_vcc 1
		.amdhsa_float_round_mode_32 0
		.amdhsa_float_round_mode_16_64 0
		.amdhsa_float_denorm_mode_32 3
		.amdhsa_float_denorm_mode_16_64 3
		.amdhsa_dx10_clamp 1
		.amdhsa_ieee_mode 1
		.amdhsa_fp16_overflow 0
		.amdhsa_tg_split 0
		.amdhsa_exception_fp_ieee_invalid_op 0
		.amdhsa_exception_fp_denorm_src 0
		.amdhsa_exception_fp_ieee_div_zero 0
		.amdhsa_exception_fp_ieee_overflow 0
		.amdhsa_exception_fp_ieee_underflow 0
		.amdhsa_exception_fp_ieee_inexact 0
		.amdhsa_exception_int_div_zero 0
	.end_amdhsa_kernel
	.section	.text._ZN4vllm25paged_attention_v1_kernelIttLi192ELi32ELi128ELNS_18Fp8KVCacheDataTypeE0ELb1EEEvPT_PKS2_PKT0_S8_ifPKiSA_iPKfiiiSC_SC_iiiii,"axG",@progbits,_ZN4vllm25paged_attention_v1_kernelIttLi192ELi32ELi128ELNS_18Fp8KVCacheDataTypeE0ELb1EEEvPT_PKS2_PKT0_S8_ifPKiSA_iPKfiiiSC_SC_iiiii,comdat
.Lfunc_end97:
	.size	_ZN4vllm25paged_attention_v1_kernelIttLi192ELi32ELi128ELNS_18Fp8KVCacheDataTypeE0ELb1EEEvPT_PKS2_PKT0_S8_ifPKiSA_iPKfiiiSC_SC_iiiii, .Lfunc_end97-_ZN4vllm25paged_attention_v1_kernelIttLi192ELi32ELi128ELNS_18Fp8KVCacheDataTypeE0ELb1EEEvPT_PKS2_PKT0_S8_ifPKiSA_iPKfiiiSC_SC_iiiii
                                        ; -- End function
	.set _ZN4vllm25paged_attention_v1_kernelIttLi192ELi32ELi128ELNS_18Fp8KVCacheDataTypeE0ELb1EEEvPT_PKS2_PKT0_S8_ifPKiSA_iPKfiiiSC_SC_iiiii.num_vgpr, 97
	.set _ZN4vllm25paged_attention_v1_kernelIttLi192ELi32ELi128ELNS_18Fp8KVCacheDataTypeE0ELb1EEEvPT_PKS2_PKT0_S8_ifPKiSA_iPKfiiiSC_SC_iiiii.num_agpr, 0
	.set _ZN4vllm25paged_attention_v1_kernelIttLi192ELi32ELi128ELNS_18Fp8KVCacheDataTypeE0ELb1EEEvPT_PKS2_PKT0_S8_ifPKiSA_iPKfiiiSC_SC_iiiii.numbered_sgpr, 46
	.set _ZN4vllm25paged_attention_v1_kernelIttLi192ELi32ELi128ELNS_18Fp8KVCacheDataTypeE0ELb1EEEvPT_PKS2_PKT0_S8_ifPKiSA_iPKfiiiSC_SC_iiiii.num_named_barrier, 0
	.set _ZN4vllm25paged_attention_v1_kernelIttLi192ELi32ELi128ELNS_18Fp8KVCacheDataTypeE0ELb1EEEvPT_PKS2_PKT0_S8_ifPKiSA_iPKfiiiSC_SC_iiiii.private_seg_size, 0
	.set _ZN4vllm25paged_attention_v1_kernelIttLi192ELi32ELi128ELNS_18Fp8KVCacheDataTypeE0ELb1EEEvPT_PKS2_PKT0_S8_ifPKiSA_iPKfiiiSC_SC_iiiii.uses_vcc, 1
	.set _ZN4vllm25paged_attention_v1_kernelIttLi192ELi32ELi128ELNS_18Fp8KVCacheDataTypeE0ELb1EEEvPT_PKS2_PKT0_S8_ifPKiSA_iPKfiiiSC_SC_iiiii.uses_flat_scratch, 0
	.set _ZN4vllm25paged_attention_v1_kernelIttLi192ELi32ELi128ELNS_18Fp8KVCacheDataTypeE0ELb1EEEvPT_PKS2_PKT0_S8_ifPKiSA_iPKfiiiSC_SC_iiiii.has_dyn_sized_stack, 0
	.set _ZN4vllm25paged_attention_v1_kernelIttLi192ELi32ELi128ELNS_18Fp8KVCacheDataTypeE0ELb1EEEvPT_PKS2_PKT0_S8_ifPKiSA_iPKfiiiSC_SC_iiiii.has_recursion, 0
	.set _ZN4vllm25paged_attention_v1_kernelIttLi192ELi32ELi128ELNS_18Fp8KVCacheDataTypeE0ELb1EEEvPT_PKS2_PKT0_S8_ifPKiSA_iPKfiiiSC_SC_iiiii.has_indirect_call, 0
	.section	.AMDGPU.csdata,"",@progbits
; Kernel info:
; codeLenInByte = 14460
; TotalNumSgprs: 52
; NumVgprs: 97
; NumAgprs: 0
; TotalNumVgprs: 97
; ScratchSize: 0
; MemoryBound: 0
; FloatMode: 240
; IeeeMode: 1
; LDSByteSize: 400 bytes/workgroup (compile time only)
; SGPRBlocks: 6
; VGPRBlocks: 12
; NumSGPRsForWavesPerEU: 52
; NumVGPRsForWavesPerEU: 97
; AccumOffset: 100
; Occupancy: 4
; WaveLimiterHint : 1
; COMPUTE_PGM_RSRC2:SCRATCH_EN: 0
; COMPUTE_PGM_RSRC2:USER_SGPR: 2
; COMPUTE_PGM_RSRC2:TRAP_HANDLER: 0
; COMPUTE_PGM_RSRC2:TGID_X_EN: 1
; COMPUTE_PGM_RSRC2:TGID_Y_EN: 1
; COMPUTE_PGM_RSRC2:TGID_Z_EN: 1
; COMPUTE_PGM_RSRC2:TIDIG_COMP_CNT: 0
; COMPUTE_PGM_RSRC3_GFX90A:ACCUM_OFFSET: 24
; COMPUTE_PGM_RSRC3_GFX90A:TG_SPLIT: 0
	.section	.text._ZN4vllm25paged_attention_v1_kernelIttLi256ELi32ELi128ELNS_18Fp8KVCacheDataTypeE0ELb1EEEvPT_PKS2_PKT0_S8_ifPKiSA_iPKfiiiSC_SC_iiiii,"axG",@progbits,_ZN4vllm25paged_attention_v1_kernelIttLi256ELi32ELi128ELNS_18Fp8KVCacheDataTypeE0ELb1EEEvPT_PKS2_PKT0_S8_ifPKiSA_iPKfiiiSC_SC_iiiii,comdat
	.protected	_ZN4vllm25paged_attention_v1_kernelIttLi256ELi32ELi128ELNS_18Fp8KVCacheDataTypeE0ELb1EEEvPT_PKS2_PKT0_S8_ifPKiSA_iPKfiiiSC_SC_iiiii ; -- Begin function _ZN4vllm25paged_attention_v1_kernelIttLi256ELi32ELi128ELNS_18Fp8KVCacheDataTypeE0ELb1EEEvPT_PKS2_PKT0_S8_ifPKiSA_iPKfiiiSC_SC_iiiii
	.globl	_ZN4vllm25paged_attention_v1_kernelIttLi256ELi32ELi128ELNS_18Fp8KVCacheDataTypeE0ELb1EEEvPT_PKS2_PKT0_S8_ifPKiSA_iPKfiiiSC_SC_iiiii
	.p2align	8
	.type	_ZN4vllm25paged_attention_v1_kernelIttLi256ELi32ELi128ELNS_18Fp8KVCacheDataTypeE0ELb1EEEvPT_PKS2_PKT0_S8_ifPKiSA_iPKfiiiSC_SC_iiiii,@function
_ZN4vllm25paged_attention_v1_kernelIttLi256ELi32ELi128ELNS_18Fp8KVCacheDataTypeE0ELb1EEEvPT_PKS2_PKT0_S8_ifPKiSA_iPKfiiiSC_SC_iiiii: ; @_ZN4vllm25paged_attention_v1_kernelIttLi256ELi32ELi128ELNS_18Fp8KVCacheDataTypeE0ELb1EEEvPT_PKS2_PKT0_S8_ifPKiSA_iPKfiiiSC_SC_iiiii
; %bb.0:
	s_load_dword s5, s[0:1], 0x80
	s_load_dwordx2 s[6:7], s[0:1], 0x30
	s_load_dwordx2 s[34:35], s[0:1], 0x20
	s_mov_b32 s20, s3
	s_ashr_i32 s21, s3, 31
	s_lshl_b64 s[8:9], s[20:21], 2
	s_waitcnt lgkmcnt(0)
	s_add_u32 s6, s6, s8
	s_addc_u32 s7, s7, s9
	s_abs_i32 s3, s34
	v_cvt_f32_u32_e32 v1, s3
	s_sub_i32 s10, 0, s3
	s_abs_i32 s9, s5
	s_xor_b32 s8, s5, s34
	v_rcp_iflag_f32_e32 v1, v1
	s_ashr_i32 s8, s8, 31
	s_mov_b32 s44, 0
	v_mul_f32_e32 v1, 0x4f7ffffe, v1
	v_cvt_u32_f32_e32 v1, v1
	s_nop 0
	v_readfirstlane_b32 s11, v1
	s_mul_i32 s10, s10, s11
	s_mul_hi_u32 s10, s11, s10
	s_add_i32 s11, s11, s10
	s_mul_hi_u32 s10, s9, s11
	s_mul_i32 s11, s10, s3
	s_sub_i32 s9, s9, s11
	s_add_i32 s11, s10, 1
	s_sub_i32 s12, s9, s3
	s_cmp_ge_u32 s9, s3
	s_cselect_b32 s10, s11, s10
	s_cselect_b32 s9, s12, s9
	s_add_i32 s11, s10, 1
	s_cmp_ge_u32 s9, s3
	s_cselect_b32 s3, s11, s10
	s_xor_b32 s3, s3, s8
	s_sub_i32 s12, s3, s8
	s_abs_i32 s10, s12
	v_cvt_f32_u32_e32 v1, s10
	s_load_dwordx2 s[8:9], s[0:1], 0x40
	s_sub_i32 s3, 0, s10
	s_abs_i32 s11, s2
	v_rcp_iflag_f32_e32 v1, v1
	s_nop 0
	v_mul_f32_e32 v1, 0x4f7ffffe, v1
	v_cvt_u32_f32_e32 v1, v1
	s_nop 0
	v_readfirstlane_b32 s13, v1
	s_mul_i32 s3, s3, s13
	s_mul_hi_u32 s3, s13, s3
	s_add_i32 s13, s13, s3
	s_waitcnt lgkmcnt(0)
	s_cmp_eq_u64 s[8:9], 0
	s_mul_hi_u32 s24, s11, s13
	s_cbranch_scc1 .LBB98_2
; %bb.1:
	s_ashr_i32 s3, s2, 31
	s_lshl_b64 s[14:15], s[2:3], 2
	s_add_u32 s8, s8, s14
	s_addc_u32 s9, s9, s15
	s_load_dword s44, s[8:9], 0x0
.LBB98_2:
	s_load_dword s21, s[6:7], 0x0
	s_ashr_i32 s26, s12, 31
	s_load_dwordx4 s[12:15], s[0:1], 0x48
	s_ashr_i32 s25, s2, 31
	v_and_b32_e32 v4, 1, v0
	s_lshl_b32 s22, s2, 8
	v_cmp_gt_u32_e64 s[8:9], 64, v0
	v_lshlrev_b32_e32 v1, 3, v0
	s_and_saveexec_b64 s[6:7], s[8:9]
	s_cbranch_execz .LBB98_4
; %bb.3:
	s_load_dwordx2 s[16:17], s[0:1], 0x8
	s_waitcnt lgkmcnt(0)
	s_mul_i32 s18, s12, s20
	s_ashr_i32 s19, s18, 31
	s_lshl_b64 s[18:19], s[18:19], 1
	v_lshlrev_b32_e32 v5, 2, v0
	s_add_u32 s3, s16, s18
	s_addc_u32 s12, s17, s19
	s_ashr_i32 s23, s22, 31
	s_lshl_b64 s[16:17], s[22:23], 1
	s_add_u32 s16, s3, s16
	s_addc_u32 s17, s12, s17
	global_load_dwordx2 v[2:3], v1, s[16:17]
	v_and_b32_e32 v5, 0xff8, v5
	v_lshl_add_u32 v5, v4, 8, v5
	s_waitcnt vmcnt(0)
	ds_write_b64 v5, v[2:3]
.LBB98_4:
	s_or_b64 exec, exec, s[6:7]
	s_mul_i32 s7, s24, s10
	s_sub_i32 s7, s11, s7
	s_xor_b32 s6, s25, s26
	s_add_i32 s11, s24, 1
	s_waitcnt lgkmcnt(0)
	s_sub_i32 s12, s7, s10
	s_load_dwordx4 s[16:19], s[0:1], 0x68
	s_load_dword s3, s[0:1], 0x78
	s_cmp_ge_u32 s7, s10
	s_cselect_b32 s11, s11, s24
	s_cselect_b32 s7, s12, s7
	s_add_i32 s12, s11, 1
	s_cmp_ge_u32 s7, s10
	s_cselect_b32 s7, s12, s11
	s_waitcnt lgkmcnt(0)
	s_abs_i32 s23, s19
	v_cvt_f32_u32_e32 v2, s23
	s_xor_b32 s7, s7, s6
	s_sub_i32 s10, s7, s6
	s_sub_i32 s6, 0, s23
	v_rcp_iflag_f32_e32 v2, v2
	s_add_i32 s15, s21, -1
	s_abs_i32 s11, s15
	v_mul_f32_e32 v2, 0x4f7ffffe, v2
	v_cvt_u32_f32_e32 v2, v2
	s_barrier
	v_readfirstlane_b32 s33, v2
	s_mul_i32 s6, s6, s33
	s_mul_hi_u32 s6, s33, s6
	s_add_i32 s33, s33, s6
	s_cmp_lt_i32 s3, 0
	s_mul_hi_u32 s12, s11, s33
	s_cbranch_scc0 .LBB98_6
; %bb.5:
	s_mul_i32 s6, s16, s34
	s_add_i32 s6, s10, s6
	s_mul_i32 s6, s6, s3
	s_sub_i32 s42, 1, s6
	s_mov_b64 s[6:7], 0
	s_branch .LBB98_7
.LBB98_6:
	s_mov_b64 s[6:7], -1
                                        ; implicit-def: $sgpr42
.LBB98_7:
	s_load_dwordx2 s[26:27], s[0:1], 0x28
	s_ashr_i32 s15, s15, 31
	s_andn2_b64 vcc, exec, s[6:7]
	s_ashr_i32 s19, s19, 31
	s_cbranch_vccnz .LBB98_9
; %bb.8:
	s_mul_i32 s6, s5, s16
	s_add_i32 s2, s6, s2
	s_mul_i32 s2, s2, s3
	s_add_i32 s42, s2, 1
.LBB98_9:
	s_load_dword s2, s[0:1], 0x38
	s_load_dwordx2 s[24:25], s[0:1], 0x0
	s_load_dwordx2 s[30:31], s[0:1], 0x18
	s_load_dword s16, s[0:1], 0x88
	s_xor_b32 s3, s15, s19
	s_waitcnt lgkmcnt(0)
	s_mul_i32 s28, s2, s20
	s_mul_i32 s2, s12, s23
	s_sub_i32 s2, s11, s2
	s_ashr_i32 s29, s28, 31
	s_add_i32 s6, s12, 1
	s_sub_i32 s7, s2, s23
	s_cmp_ge_u32 s2, s23
	s_cselect_b32 s6, s6, s12
	s_cselect_b32 s2, s7, s2
	s_add_i32 s7, s6, 1
	s_cmp_ge_u32 s2, s23
	s_cselect_b32 s2, s7, s6
	s_xor_b32 s2, s2, s3
	s_sub_i32 s12, s2, s3
	s_add_i32 s2, s21, 31
	s_ashr_i32 s3, s2, 31
	s_lshr_b32 s3, s3, 27
	s_add_i32 s2, s2, s3
	s_ashr_i32 s43, s2, 5
	v_lshrrev_b32_e32 v70, 6, v0
	v_cmp_gt_i32_e64 s[2:3], s43, v70
	v_mov_b32_e32 v76, 0xff7fffff
	s_mul_i32 s14, s10, s14
	v_lshrrev_b32_e32 v72, 4, v0
	v_lshlrev_b32_e32 v71, 5, v70
	v_mbcnt_lo_u32_b32 v73, -1, 0
	s_and_saveexec_b64 s[36:37], s[2:3]
	s_cbranch_execz .LBB98_21
; %bb.10:
	s_load_dwordx2 s[6:7], s[0:1], 0x10
	s_ashr_i32 s15, s14, 31
	s_sub_i32 s34, s12, s17
	s_lshl_b64 s[10:11], s[14:15], 1
	v_bfe_u32 v74, v0, 1, 5
	s_waitcnt lgkmcnt(0)
	s_add_u32 s6, s6, s10
	s_addc_u32 s7, s7, s11
	s_abs_i32 s15, s18
	v_cvt_f32_u32_e32 v2, s15
	s_sub_i32 s10, 0, s15
	v_cmp_eq_u32_e64 s[0:1], 0, v4
	v_lshlrev_b32_e32 v6, 4, v74
	v_rcp_iflag_f32_e32 v5, v2
	v_mov_b32_e32 v7, 0
	v_lshlrev_b32_e32 v75, 8, v4
	v_lshl_add_u64 v[2:3], s[6:7], 0, v[6:7]
	v_mul_f32_e32 v5, 0x4f7ffffe, v5
	v_cvt_u32_f32_e32 v5, v5
	v_and_b32_e32 v6, 8, v1
	v_lshl_add_u64 v[2:3], v[2:3], 0, v[6:7]
	v_and_b32_e32 v6, 60, v72
	v_mul_lo_u32 v4, s10, v5
	s_lshl_b64 s[10:11], s[28:29], 2
	s_add_u32 s10, s26, s10
	v_mul_hi_u32 v4, v5, v4
	s_addc_u32 s11, s27, s11
	v_add_u32_e32 v77, v5, v4
	v_lshl_add_u64 v[4:5], s[10:11], 0, v[6:7]
	v_subrev_u32_e32 v6, s21, v74
	v_add_u32_e32 v79, 1, v6
	v_lshlrev_b32_e32 v6, 2, v74
	v_lshl_or_b32 v6, v70, 7, v6
	v_mbcnt_hi_u32_b32 v82, -1, v73
	v_add_u32_e32 v80, 0x210, v6
	v_and_b32_e32 v6, 64, v82
	s_mov_b32 s45, s13
	v_cmp_neq_f32_e64 s[6:7], s44, 0
	v_lshlrev_b32_e32 v78, 5, v70
	v_mov_b32_e32 v81, 0xff7fffff
	s_mov_b64 s[38:39], 0
	s_movk_i32 s46, 0x1000
	s_movk_i32 s47, 0x2000
	;; [unrolled: 1-line block ×3, first 2 shown]
	v_xor_b32_e32 v83, 1, v82
	v_add_u32_e32 v84, 64, v6
	v_mov_b32_e32 v76, 0xff7fffff
	v_mov_b32_e32 v85, v70
	s_branch .LBB98_13
.LBB98_11:                              ;   in Loop: Header=BB98_13 Depth=1
	s_or_b64 exec, exec, s[10:11]
.LBB98_12:                              ;   in Loop: Header=BB98_13 Depth=1
	s_or_b64 exec, exec, s[40:41]
	v_add_u32_e32 v85, 2, v85
	v_cmp_le_i32_e32 vcc, s43, v85
	v_lshl_add_u64 v[4:5], v[4:5], 0, 8
	v_add_u32_e32 v78, 64, v78
	s_or_b64 s[38:39], vcc, s[38:39]
	v_add_u32_e32 v80, 0x100, v80
	s_andn2_b64 exec, exec, s[38:39]
	s_cbranch_execz .LBB98_20
.LBB98_13:                              ; =>This Inner Loop Header: Depth=1
	v_mul_hi_u32 v6, v78, s33
	s_waitcnt lgkmcnt(0)
	v_mul_lo_u32 v7, v6, s23
	v_sub_u32_e32 v7, v78, v7
	v_add_u32_e32 v8, 1, v6
	v_cmp_le_u32_e32 vcc, s23, v7
	s_nop 1
	v_cndmask_b32_e32 v6, v6, v8, vcc
	v_subrev_u32_e32 v8, s23, v7
	v_cndmask_b32_e32 v7, v7, v8, vcc
	v_add_u32_e32 v8, 1, v6
	v_cmp_le_u32_e32 vcc, s23, v7
	s_nop 1
	v_cndmask_b32_e32 v6, v6, v8, vcc
	v_xor_b32_e32 v6, s19, v6
	v_subrev_u32_e32 v6, s19, v6
	v_add_u32_e32 v7, s42, v6
	v_sub_u32_e32 v9, 0, v7
	v_ashrrev_i32_e32 v8, 31, v7
	v_max_i32_e32 v7, v7, v9
	v_mul_hi_u32 v9, v7, v77
	v_mul_lo_u32 v9, v9, s15
	v_sub_u32_e32 v7, v7, v9
	v_subrev_u32_e32 v9, s15, v7
	v_cmp_le_u32_e32 vcc, s15, v7
	v_cmp_ge_i32_e64 s[10:11], s34, v6
	s_nop 0
	v_cndmask_b32_e32 v7, v7, v9, vcc
	v_subrev_u32_e32 v9, s15, v7
	v_cmp_le_u32_e32 vcc, s15, v7
	s_nop 1
	v_cndmask_b32_e32 v7, v7, v9, vcc
	v_xor_b32_e32 v7, v7, v8
	v_sub_u32_e32 v7, v7, v8
	v_cmp_ne_u32_e32 vcc, 0, v7
	s_and_b64 s[10:11], vcc, s[10:11]
	s_and_saveexec_b64 s[40:41], s[10:11]
	s_xor_b64 s[10:11], exec, s[40:41]
	s_cbranch_execz .LBB98_17
; %bb.14:                               ;   in Loop: Header=BB98_13 Depth=1
	s_and_saveexec_b64 s[40:41], s[0:1]
; %bb.15:                               ;   in Loop: Header=BB98_13 Depth=1
	ds_write_b32 v80, v81
; %bb.16:                               ;   in Loop: Header=BB98_13 Depth=1
	s_or_b64 exec, exec, s[40:41]
.LBB98_17:                              ;   in Loop: Header=BB98_13 Depth=1
	s_andn2_saveexec_b64 s[40:41], s[10:11]
	s_cbranch_execz .LBB98_12
; %bb.18:                               ;   in Loop: Header=BB98_13 Depth=1
	global_load_dword v6, v[4:5], off
	s_waitcnt vmcnt(0)
	v_mad_i64_i32 v[6:7], s[10:11], v6, s45, 0
	v_lshl_add_u64 v[6:7], v[6:7], 1, v[2:3]
	global_load_dwordx2 v[68:69], v[6:7], off
	global_load_dwordx2 v[64:65], v[6:7], off offset:512
	global_load_dwordx2 v[66:67], v[6:7], off offset:1024
	;; [unrolled: 1-line block ×7, first 2 shown]
	ds_read_b64 v[8:9], v75
	v_add_co_u32_e64 v22, s[10:11], s48, v6
	s_waitcnt lgkmcnt(0)
	v_lshrrev_b32_e32 v90, 16, v8
	v_and_b32_e32 v91, 0xffff, v8
	v_add_co_u32_e32 v8, vcc, s46, v6
	v_addc_co_u32_e64 v23, s[10:11], 0, v7, s[10:11]
	s_mov_b64 s[10:11], vcc
	v_lshrrev_b32_e32 v88, 16, v9
	v_and_b32_e32 v89, 0xffff, v9
	v_add_co_u32_e32 v86, vcc, s47, v6
	v_addc_co_u32_e64 v9, s[10:11], 0, v7, s[10:11]
	global_load_dwordx2 v[18:19], v[22:23], off offset:512
	global_load_dwordx2 v[16:17], v[22:23], off offset:1024
	;; [unrolled: 1-line block ×4, first 2 shown]
	v_addc_co_u32_e32 v87, vcc, 0, v7, vcc
	global_load_dwordx2 v[50:51], v[8:9], off offset:512
	global_load_dwordx2 v[48:49], v[8:9], off offset:1024
	;; [unrolled: 1-line block ×4, first 2 shown]
	global_load_dwordx2 v[20:21], v[22:23], off
	global_load_dwordx2 v[42:43], v[8:9], off offset:2560
	global_load_dwordx2 v[40:41], v[8:9], off offset:3072
	;; [unrolled: 1-line block ×4, first 2 shown]
	s_nop 0
	global_load_dwordx2 v[8:9], v[22:23], off offset:3072
	global_load_dwordx2 v[6:7], v[22:23], off offset:3584
	global_load_dwordx2 v[54:55], v[86:87], off offset:-4096
	global_load_dwordx2 v[36:37], v[86:87], off
	global_load_dwordx2 v[34:35], v[86:87], off offset:512
	global_load_dwordx2 v[32:33], v[86:87], off offset:1024
	;; [unrolled: 1-line block ×7, first 2 shown]
	;;#ASMSTART
	v_cvt_f32_f16 v86, v91;
	;;#ASMEND
	;;#ASMSTART
	v_cvt_f32_f16 v87, v90;
	;;#ASMEND
	v_cmp_lt_i32_e32 vcc, v83, v84
	s_waitcnt vmcnt(31)
	v_lshrrev_b32_e32 v93, 16, v68
	v_lshrrev_b32_e32 v92, 16, v69
	v_and_b32_e32 v95, 0xffff, v68
	v_and_b32_e32 v94, 0xffff, v69
	s_waitcnt vmcnt(28)
	v_and_b32_e32 v96, 0xffff, v62
	v_lshrrev_b32_e32 v97, 16, v62
	v_and_b32_e32 v98, 0xffff, v63
	v_lshrrev_b32_e32 v99, 16, v63
	s_waitcnt vmcnt(26)
	v_and_b32_e32 v104, 0xffff, v58
	v_lshrrev_b32_e32 v105, 16, v58
	v_and_b32_e32 v106, 0xffff, v59
	v_lshrrev_b32_e32 v107, 16, v59
	;;#ASMSTART
	v_cvt_f32_f16 v62, v95;
	;;#ASMEND
	;;#ASMSTART
	v_cvt_f32_f16 v63, v93;
	;;#ASMEND
	;; [unrolled: 3-line block ×6, first 2 shown]
	ds_read_b64 v[58:59], v75 offset:8
	v_and_b32_e32 v68, 0xffff, v64
	v_lshrrev_b32_e32 v64, 16, v64
	v_and_b32_e32 v69, 0xffff, v65
	v_lshrrev_b32_e32 v65, 16, v65
	;; [unrolled: 2-line block ×3, first 2 shown]
	s_waitcnt vmcnt(25)
	v_and_b32_e32 v108, 0xffff, v56
	v_lshrrev_b32_e32 v109, 16, v56
	s_waitcnt vmcnt(24)
	v_and_b32_e32 v110, 0xffff, v52
	v_lshrrev_b32_e32 v111, 16, v52
	s_waitcnt lgkmcnt(0)
	v_and_b32_e32 v52, 0xffff, v58
	v_lshrrev_b32_e32 v56, 16, v58
	v_lshrrev_b32_e32 v60, 16, v59
	v_and_b32_e32 v59, 0xffff, v59
	v_and_b32_e32 v102, 0xffff, v61
	v_lshrrev_b32_e32 v103, 16, v61
	v_and_b32_e32 v94, 0xffff, v57
	v_lshrrev_b32_e32 v95, 16, v57
	;;#ASMSTART
	v_cvt_f32_f16 v52, v52;
	;;#ASMEND
	;;#ASMSTART
	v_cvt_f32_f16 v56, v56;
	;;#ASMEND
	;; [unrolled: 3-line block ×8, first 2 shown]
	ds_read_b64 v[60:61], v75 offset:16
	v_and_b32_e32 v90, 0xffff, v66
	v_lshrrev_b32_e32 v66, 16, v66
	v_and_b32_e32 v91, 0xffff, v67
	v_lshrrev_b32_e32 v67, 16, v67
	v_mul_f32_e32 v52, v52, v57
	v_mul_f32_e32 v56, v56, v58
	;; [unrolled: 1-line block ×3, first 2 shown]
	s_waitcnt lgkmcnt(0)
	v_and_b32_e32 v59, 0xffff, v60
	v_lshrrev_b32_e32 v60, 16, v60
	v_lshrrev_b32_e32 v68, 16, v61
	v_and_b32_e32 v61, 0xffff, v61
	v_mul_f32_e32 v58, v64, v65
	v_fmac_f32_e32 v52, v86, v62
	v_fmac_f32_e32 v56, v87, v63
	;;#ASMSTART
	v_cvt_f32_f16 v59, v59;
	;;#ASMEND
	;;#ASMSTART
	v_cvt_f32_f16 v62, v60;
	;;#ASMEND
	;;#ASMSTART
	v_cvt_f32_f16 v63, v90;
	;;#ASMEND
	;;#ASMSTART
	v_cvt_f32_f16 v64, v66;
	;;#ASMEND
	;;#ASMSTART
	v_cvt_f32_f16 v65, v61;
	;;#ASMEND
	;;#ASMSTART
	v_cvt_f32_f16 v66, v68;
	;;#ASMEND
	;;#ASMSTART
	v_cvt_f32_f16 v68, v91;
	;;#ASMEND
	;;#ASMSTART
	v_cvt_f32_f16 v67, v67;
	;;#ASMEND
	ds_read_b64 v[60:61], v75 offset:24
	v_fmac_f32_e32 v58, v88, v92
	v_fmac_f32_e32 v57, v89, v93
	;; [unrolled: 1-line block ×4, first 2 shown]
	s_waitcnt lgkmcnt(0)
	v_and_b32_e32 v59, 0xffff, v60
	v_lshrrev_b32_e32 v60, 16, v60
	v_lshrrev_b32_e32 v66, 16, v61
	v_and_b32_e32 v61, 0xffff, v61
	v_fmac_f32_e32 v56, v62, v64
	v_fmac_f32_e32 v57, v65, v68
	;;#ASMSTART
	v_cvt_f32_f16 v59, v59;
	;;#ASMEND
	;;#ASMSTART
	v_cvt_f32_f16 v62, v60;
	;;#ASMEND
	;;#ASMSTART
	v_cvt_f32_f16 v63, v96;
	;;#ASMEND
	;;#ASMSTART
	v_cvt_f32_f16 v64, v97;
	;;#ASMEND
	;;#ASMSTART
	v_cvt_f32_f16 v65, v61;
	;;#ASMEND
	;;#ASMSTART
	v_cvt_f32_f16 v66, v66;
	;;#ASMEND
	;;#ASMSTART
	v_cvt_f32_f16 v67, v98;
	;;#ASMEND
	;;#ASMSTART
	v_cvt_f32_f16 v68, v99;
	;;#ASMEND
	ds_read_b64 v[60:61], v75 offset:32
	v_fmac_f32_e32 v52, v59, v63
	v_fmac_f32_e32 v58, v66, v68
	v_fmac_f32_e32 v56, v62, v64
	v_fmac_f32_e32 v57, v65, v67
	s_waitcnt lgkmcnt(0)
	v_and_b32_e32 v59, 0xffff, v60
	v_lshrrev_b32_e32 v60, 16, v60
	v_lshrrev_b32_e32 v66, 16, v61
	v_and_b32_e32 v61, 0xffff, v61
	;;#ASMSTART
	v_cvt_f32_f16 v59, v59;
	;;#ASMEND
	;;#ASMSTART
	v_cvt_f32_f16 v62, v60;
	;;#ASMEND
	;;#ASMSTART
	v_cvt_f32_f16 v63, v100;
	;;#ASMEND
	;;#ASMSTART
	v_cvt_f32_f16 v64, v101;
	;;#ASMEND
	;;#ASMSTART
	v_cvt_f32_f16 v65, v61;
	;;#ASMEND
	;;#ASMSTART
	v_cvt_f32_f16 v66, v66;
	;;#ASMEND
	;;#ASMSTART
	v_cvt_f32_f16 v67, v102;
	;;#ASMEND
	;;#ASMSTART
	v_cvt_f32_f16 v68, v103;
	;;#ASMEND
	ds_read_b64 v[60:61], v75 offset:40
	v_fmac_f32_e32 v52, v59, v63
	v_fmac_f32_e32 v58, v66, v68
	v_fmac_f32_e32 v56, v62, v64
	v_fmac_f32_e32 v57, v65, v67
	s_waitcnt lgkmcnt(0)
	v_and_b32_e32 v59, 0xffff, v60
	v_lshrrev_b32_e32 v60, 16, v60
	v_lshrrev_b32_e32 v66, 16, v61
	v_and_b32_e32 v61, 0xffff, v61
	;; [unrolled: 34-line block ×3, first 2 shown]
	;;#ASMSTART
	v_cvt_f32_f16 v59, v59;
	;;#ASMEND
	;;#ASMSTART
	v_cvt_f32_f16 v62, v60;
	;;#ASMEND
	;; [unrolled: 3-line block ×8, first 2 shown]
	ds_read_b64 v[60:61], v75 offset:56
	v_fmac_f32_e32 v52, v59, v63
	v_fmac_f32_e32 v56, v62, v64
	;; [unrolled: 1-line block ×4, first 2 shown]
	s_waitcnt lgkmcnt(0)
	v_and_b32_e32 v59, 0xffff, v60
	v_lshrrev_b32_e32 v60, 16, v60
	;;#ASMSTART
	v_cvt_f32_f16 v59, v59;
	;;#ASMEND
	;;#ASMSTART
	v_cvt_f32_f16 v62, v60;
	;;#ASMEND
	v_lshrrev_b32_e32 v60, 16, v61
	;;#ASMSTART
	v_cvt_f32_f16 v63, v110;
	;;#ASMEND
	;;#ASMSTART
	v_cvt_f32_f16 v64, v111;
	;;#ASMEND
	v_and_b32_e32 v61, 0xffff, v61
	;;#ASMSTART
	v_cvt_f32_f16 v65, v61;
	;;#ASMEND
	;;#ASMSTART
	v_cvt_f32_f16 v66, v60;
	;;#ASMEND
	v_and_b32_e32 v60, 0xffff, v53
	v_lshrrev_b32_e32 v53, 16, v53
	;;#ASMSTART
	v_cvt_f32_f16 v67, v60;
	;;#ASMEND
	;;#ASMSTART
	v_cvt_f32_f16 v53, v53;
	;;#ASMEND
	ds_read_b64 v[60:61], v75 offset:64
	v_fmac_f32_e32 v52, v59, v63
	v_fmac_f32_e32 v58, v66, v53
	;; [unrolled: 1-line block ×4, first 2 shown]
	s_waitcnt lgkmcnt(0)
	v_and_b32_e32 v53, 0xffff, v60
	v_lshrrev_b32_e32 v59, 16, v60
	s_waitcnt vmcnt(8)
	v_and_b32_e32 v60, 0xffff, v54
	v_lshrrev_b32_e32 v54, 16, v54
	;;#ASMSTART
	v_cvt_f32_f16 v53, v53;
	;;#ASMEND
	;;#ASMSTART
	v_cvt_f32_f16 v59, v59;
	;;#ASMEND
	;;#ASMSTART
	v_cvt_f32_f16 v60, v60;
	;;#ASMEND
	;;#ASMSTART
	v_cvt_f32_f16 v62, v54;
	;;#ASMEND
	v_lshrrev_b32_e32 v54, 16, v61
	v_and_b32_e32 v61, 0xffff, v61
	;;#ASMSTART
	v_cvt_f32_f16 v61, v61;
	;;#ASMEND
	;;#ASMSTART
	v_cvt_f32_f16 v63, v54;
	;;#ASMEND
	v_and_b32_e32 v54, 0xffff, v55
	;;#ASMSTART
	v_cvt_f32_f16 v64, v54;
	;;#ASMEND
	v_lshrrev_b32_e32 v54, 16, v55
	;;#ASMSTART
	v_cvt_f32_f16 v65, v54;
	;;#ASMEND
	ds_read_b64 v[54:55], v75 offset:72
	v_fmac_f32_e32 v52, v53, v60
	v_fmac_f32_e32 v56, v59, v62
	v_and_b32_e32 v59, 0xffff, v50
	v_lshrrev_b32_e32 v50, 16, v50
	s_waitcnt lgkmcnt(0)
	v_and_b32_e32 v53, 0xffff, v54
	v_lshrrev_b32_e32 v54, 16, v54
	v_fmac_f32_e32 v58, v63, v65
	;;#ASMSTART
	v_cvt_f32_f16 v53, v53;
	;;#ASMEND
	;;#ASMSTART
	v_cvt_f32_f16 v54, v54;
	;;#ASMEND
	;; [unrolled: 3-line block ×4, first 2 shown]
	v_lshrrev_b32_e32 v50, 16, v55
	v_and_b32_e32 v55, 0xffff, v55
	v_lshrrev_b32_e32 v63, 16, v51
	v_and_b32_e32 v51, 0xffff, v51
	v_fmac_f32_e32 v57, v61, v64
	;;#ASMSTART
	v_cvt_f32_f16 v55, v55;
	;;#ASMEND
	;;#ASMSTART
	v_cvt_f32_f16 v61, v50;
	;;#ASMEND
	;; [unrolled: 3-line block ×4, first 2 shown]
	ds_read_b64 v[50:51], v75 offset:80
	v_fmac_f32_e32 v52, v53, v59
	v_fmac_f32_e32 v56, v54, v60
	v_and_b32_e32 v54, 0xffff, v48
	v_lshrrev_b32_e32 v48, 16, v48
	s_waitcnt lgkmcnt(0)
	v_lshrrev_b32_e32 v53, 16, v50
	v_and_b32_e32 v50, 0xffff, v50
	v_fmac_f32_e32 v57, v55, v62
	;;#ASMSTART
	v_cvt_f32_f16 v50, v50;
	;;#ASMEND
	;;#ASMSTART
	v_cvt_f32_f16 v53, v53;
	;;#ASMEND
	;; [unrolled: 3-line block ×4, first 2 shown]
	v_lshrrev_b32_e32 v48, 16, v51
	v_and_b32_e32 v51, 0xffff, v51
	;;#ASMSTART
	v_cvt_f32_f16 v51, v51;
	;;#ASMEND
	;;#ASMSTART
	v_cvt_f32_f16 v59, v48;
	;;#ASMEND
	v_lshrrev_b32_e32 v48, 16, v49
	v_and_b32_e32 v49, 0xffff, v49
	v_fmac_f32_e32 v58, v61, v63
	;;#ASMSTART
	v_cvt_f32_f16 v60, v49;
	;;#ASMEND
	;;#ASMSTART
	v_cvt_f32_f16 v61, v48;
	;;#ASMEND
	ds_read_b64 v[48:49], v75 offset:88
	v_fmac_f32_e32 v52, v50, v54
	v_fmac_f32_e32 v56, v53, v55
	v_lshrrev_b32_e32 v53, 16, v46
	v_and_b32_e32 v46, 0xffff, v46
	s_waitcnt lgkmcnt(0)
	v_lshrrev_b32_e32 v50, 16, v48
	v_and_b32_e32 v48, 0xffff, v48
	v_fmac_f32_e32 v57, v51, v60
	;;#ASMSTART
	v_cvt_f32_f16 v48, v48;
	;;#ASMEND
	;;#ASMSTART
	v_cvt_f32_f16 v50, v50;
	;;#ASMEND
	;;#ASMSTART
	v_cvt_f32_f16 v51, v46;
	;;#ASMEND
	v_lshrrev_b32_e32 v46, 16, v49
	v_and_b32_e32 v49, 0xffff, v49
	;;#ASMSTART
	v_cvt_f32_f16 v53, v53;
	;;#ASMEND
	;;#ASMSTART
	v_cvt_f32_f16 v49, v49;
	;;#ASMEND
	;;#ASMSTART
	v_cvt_f32_f16 v54, v46;
	;;#ASMEND
	v_lshrrev_b32_e32 v46, 16, v47
	v_and_b32_e32 v47, 0xffff, v47
	v_fmac_f32_e32 v58, v59, v61
	;;#ASMSTART
	v_cvt_f32_f16 v55, v47;
	;;#ASMEND
	;;#ASMSTART
	v_cvt_f32_f16 v59, v46;
	;;#ASMEND
	ds_read_b64 v[46:47], v75 offset:96
	v_fmac_f32_e32 v52, v48, v51
	v_fmac_f32_e32 v56, v50, v53
	v_lshrrev_b32_e32 v50, 16, v44
	v_and_b32_e32 v44, 0xffff, v44
	s_waitcnt lgkmcnt(0)
	v_lshrrev_b32_e32 v48, 16, v46
	v_and_b32_e32 v46, 0xffff, v46
	v_fmac_f32_e32 v57, v49, v55
	;;#ASMSTART
	v_cvt_f32_f16 v46, v46;
	;;#ASMEND
	;;#ASMSTART
	v_cvt_f32_f16 v48, v48;
	;;#ASMEND
	;;#ASMSTART
	v_cvt_f32_f16 v49, v44;
	;;#ASMEND
	v_lshrrev_b32_e32 v44, 16, v47
	v_and_b32_e32 v47, 0xffff, v47
	;;#ASMSTART
	v_cvt_f32_f16 v50, v50;
	;;#ASMEND
	;; [unrolled: 38-line block ×5, first 2 shown]
	;;#ASMSTART
	v_cvt_f32_f16 v41, v41;
	;;#ASMEND
	;;#ASMSTART
	v_cvt_f32_f16 v45, v38;
	;;#ASMEND
	v_lshrrev_b32_e32 v38, 16, v39
	v_and_b32_e32 v39, 0xffff, v39
	v_fmac_f32_e32 v58, v47, v49
	;;#ASMSTART
	v_cvt_f32_f16 v46, v39;
	;;#ASMEND
	;;#ASMSTART
	v_cvt_f32_f16 v47, v38;
	;;#ASMEND
	ds_read_b64 v[38:39], v75 offset:128
	v_fmac_f32_e32 v52, v40, v43
	v_fmac_f32_e32 v56, v42, v44
	s_waitcnt vmcnt(7)
	v_lshrrev_b32_e32 v42, 16, v36
	v_and_b32_e32 v36, 0xffff, v36
	s_waitcnt lgkmcnt(0)
	v_lshrrev_b32_e32 v40, 16, v38
	v_and_b32_e32 v38, 0xffff, v38
	v_fmac_f32_e32 v57, v41, v46
	;;#ASMSTART
	v_cvt_f32_f16 v38, v38;
	;;#ASMEND
	;;#ASMSTART
	v_cvt_f32_f16 v40, v40;
	;;#ASMEND
	;;#ASMSTART
	v_cvt_f32_f16 v41, v36;
	;;#ASMEND
	v_lshrrev_b32_e32 v36, 16, v39
	v_and_b32_e32 v39, 0xffff, v39
	;;#ASMSTART
	v_cvt_f32_f16 v42, v42;
	;;#ASMEND
	;;#ASMSTART
	v_cvt_f32_f16 v39, v39;
	;;#ASMEND
	;;#ASMSTART
	v_cvt_f32_f16 v43, v36;
	;;#ASMEND
	v_lshrrev_b32_e32 v36, 16, v37
	v_and_b32_e32 v37, 0xffff, v37
	v_fmac_f32_e32 v58, v45, v47
	;;#ASMSTART
	v_cvt_f32_f16 v44, v37;
	;;#ASMEND
	;;#ASMSTART
	v_cvt_f32_f16 v45, v36;
	;;#ASMEND
	ds_read_b64 v[36:37], v75 offset:136
	v_fmac_f32_e32 v52, v38, v41
	v_fmac_f32_e32 v56, v40, v42
	s_waitcnt vmcnt(6)
	v_lshrrev_b32_e32 v40, 16, v34
	v_and_b32_e32 v34, 0xffff, v34
	s_waitcnt lgkmcnt(0)
	v_lshrrev_b32_e32 v38, 16, v36
	v_and_b32_e32 v36, 0xffff, v36
	v_fmac_f32_e32 v57, v39, v44
	;;#ASMSTART
	v_cvt_f32_f16 v36, v36;
	;;#ASMEND
	;;#ASMSTART
	v_cvt_f32_f16 v38, v38;
	;;#ASMEND
	;;#ASMSTART
	v_cvt_f32_f16 v39, v34;
	;;#ASMEND
	v_lshrrev_b32_e32 v34, 16, v37
	v_and_b32_e32 v37, 0xffff, v37
	;;#ASMSTART
	v_cvt_f32_f16 v40, v40;
	;;#ASMEND
	;; [unrolled: 39-line block ×8, first 2 shown]
	;;#ASMSTART
	v_cvt_f32_f16 v25, v25;
	;;#ASMEND
	;;#ASMSTART
	v_cvt_f32_f16 v29, v22;
	;;#ASMEND
	v_lshrrev_b32_e32 v22, 16, v23
	v_and_b32_e32 v23, 0xffff, v23
	v_fmac_f32_e32 v58, v31, v33
	;;#ASMSTART
	v_cvt_f32_f16 v30, v23;
	;;#ASMEND
	;;#ASMSTART
	v_cvt_f32_f16 v31, v22;
	;;#ASMEND
	ds_read_b64 v[22:23], v75 offset:192
	v_fmac_f32_e32 v52, v24, v27
	v_fmac_f32_e32 v56, v26, v28
	v_lshrrev_b32_e32 v26, 16, v20
	v_and_b32_e32 v20, 0xffff, v20
	s_waitcnt lgkmcnt(0)
	v_lshrrev_b32_e32 v24, 16, v22
	v_and_b32_e32 v22, 0xffff, v22
	v_fmac_f32_e32 v57, v25, v30
	;;#ASMSTART
	v_cvt_f32_f16 v22, v22;
	;;#ASMEND
	;;#ASMSTART
	v_cvt_f32_f16 v24, v24;
	;;#ASMEND
	;;#ASMSTART
	v_cvt_f32_f16 v25, v20;
	;;#ASMEND
	v_lshrrev_b32_e32 v20, 16, v23
	v_and_b32_e32 v23, 0xffff, v23
	;;#ASMSTART
	v_cvt_f32_f16 v26, v26;
	;;#ASMEND
	;;#ASMSTART
	v_cvt_f32_f16 v23, v23;
	;;#ASMEND
	;;#ASMSTART
	v_cvt_f32_f16 v27, v20;
	;;#ASMEND
	v_lshrrev_b32_e32 v20, 16, v21
	v_and_b32_e32 v21, 0xffff, v21
	v_fmac_f32_e32 v58, v29, v31
	;;#ASMSTART
	v_cvt_f32_f16 v28, v21;
	;;#ASMEND
	;;#ASMSTART
	v_cvt_f32_f16 v29, v20;
	;;#ASMEND
	ds_read_b64 v[20:21], v75 offset:200
	v_fmac_f32_e32 v52, v22, v25
	v_fmac_f32_e32 v56, v24, v26
	v_lshrrev_b32_e32 v24, 16, v18
	v_and_b32_e32 v18, 0xffff, v18
	s_waitcnt lgkmcnt(0)
	v_lshrrev_b32_e32 v22, 16, v20
	v_and_b32_e32 v20, 0xffff, v20
	v_fmac_f32_e32 v57, v23, v28
	;;#ASMSTART
	v_cvt_f32_f16 v20, v20;
	;;#ASMEND
	;;#ASMSTART
	v_cvt_f32_f16 v22, v22;
	;;#ASMEND
	;;#ASMSTART
	v_cvt_f32_f16 v23, v18;
	;;#ASMEND
	v_lshrrev_b32_e32 v18, 16, v21
	v_and_b32_e32 v21, 0xffff, v21
	;;#ASMSTART
	v_cvt_f32_f16 v24, v24;
	;;#ASMEND
	;; [unrolled: 38-line block ×7, first 2 shown]
	;;#ASMSTART
	v_cvt_f32_f16 v11, v11;
	;;#ASMEND
	;;#ASMSTART
	v_cvt_f32_f16 v15, v8;
	;;#ASMEND
	v_lshrrev_b32_e32 v8, 16, v9
	v_and_b32_e32 v9, 0xffff, v9
	v_fmac_f32_e32 v58, v17, v19
	;;#ASMSTART
	v_cvt_f32_f16 v16, v9;
	;;#ASMEND
	;;#ASMSTART
	v_cvt_f32_f16 v17, v8;
	;;#ASMEND
	ds_read_b64 v[8:9], v75 offset:248
	v_fmac_f32_e32 v52, v10, v13
	v_fmac_f32_e32 v57, v11, v16
	v_lshrrev_b32_e32 v11, 16, v6
	v_and_b32_e32 v6, 0xffff, v6
	s_waitcnt lgkmcnt(0)
	v_lshrrev_b32_e32 v10, 16, v8
	v_and_b32_e32 v8, 0xffff, v8
	;;#ASMSTART
	v_cvt_f32_f16 v8, v8;
	;;#ASMEND
	;;#ASMSTART
	v_cvt_f32_f16 v10, v10;
	;;#ASMEND
	;;#ASMSTART
	v_cvt_f32_f16 v6, v6;
	;;#ASMEND
	v_fmac_f32_e32 v56, v12, v14
	v_fmac_f32_e32 v52, v8, v6
	v_and_b32_e32 v6, 0xffff, v9
	;;#ASMSTART
	v_cvt_f32_f16 v11, v11;
	;;#ASMEND
	v_lshrrev_b32_e32 v8, 16, v9
	v_fmac_f32_e32 v56, v10, v11
	;;#ASMSTART
	v_cvt_f32_f16 v6, v6;
	;;#ASMEND
	v_lshrrev_b32_e32 v9, 16, v7
	v_and_b32_e32 v7, 0xffff, v7
	v_fmac_f32_e32 v58, v15, v17
	;;#ASMSTART
	v_cvt_f32_f16 v8, v8;
	;;#ASMEND
	;;#ASMSTART
	v_cvt_f32_f16 v7, v7;
	;;#ASMEND
	;; [unrolled: 3-line block ×3, first 2 shown]
	s_nop 0
	v_fmac_f32_e32 v57, v6, v7
	v_add_f32_e32 v6, v52, v56
	v_fmac_f32_e32 v58, v8, v9
	v_add_f32_e32 v6, v6, v57
	v_cndmask_b32_e32 v7, v82, v83, vcc
	v_add_f32_e32 v6, v58, v6
	v_lshlrev_b32_e32 v7, 2, v7
	ds_bpermute_b32 v7, v7, v6
	s_and_saveexec_b64 s[10:11], s[0:1]
	s_cbranch_execz .LBB98_11
; %bb.19:                               ;   in Loop: Header=BB98_13 Depth=1
	v_add_u32_e32 v8, v79, v78
	v_cvt_f32_i32_e32 v8, v8
	s_waitcnt lgkmcnt(0)
	v_add_f32_e32 v6, v6, v7
	v_add_u32_e32 v9, v74, v78
	v_cmp_gt_i32_e32 vcc, s21, v9
	v_mul_f32_e32 v7, s44, v8
	v_cndmask_b32_e64 v7, 0, v7, s[6:7]
	v_fmac_f32_e32 v7, s35, v6
	v_cndmask_b32_e32 v6, 0, v7, vcc
	ds_write_b32 v80, v6
	v_max_f32_e32 v6, v76, v76
	v_max_f32_e32 v6, v6, v7
	v_cndmask_b32_e32 v76, v76, v6, vcc
	s_branch .LBB98_11
.LBB98_20:
	s_or_b64 exec, exec, s[38:39]
.LBB98_21:
	s_or_b64 exec, exec, s[36:37]
	v_mbcnt_hi_u32_b32 v2, -1, v73
	v_and_b32_e32 v9, 64, v2
	v_add_u32_e32 v10, 64, v9
	v_xor_b32_e32 v3, 32, v2
	v_cmp_lt_i32_e32 vcc, v3, v10
	v_xor_b32_e32 v6, 16, v2
	v_max_f32_e32 v5, v76, v76
	v_cndmask_b32_e32 v3, v2, v3, vcc
	v_lshlrev_b32_e32 v3, 2, v3
	ds_bpermute_b32 v4, v3, v76
	v_cmp_lt_i32_e32 vcc, v6, v10
	s_waitcnt lgkmcnt(1)
	v_xor_b32_e32 v7, 8, v2
	v_xor_b32_e32 v8, 4, v2
	v_xor_b32_e32 v11, 2, v2
	s_waitcnt lgkmcnt(0)
	v_max_f32_e32 v4, v4, v4
	v_max_f32_e32 v5, v5, v4
	v_cndmask_b32_e32 v4, v2, v6, vcc
	v_lshlrev_b32_e32 v4, 2, v4
	ds_bpermute_b32 v6, v4, v5
	v_cmp_lt_i32_e32 vcc, v7, v10
	v_and_b32_e32 v35, 63, v0
	s_waitcnt lgkmcnt(0)
	v_max_f32_e32 v6, v6, v6
	v_max_f32_e32 v6, v5, v6
	v_cndmask_b32_e32 v5, v2, v7, vcc
	v_lshlrev_b32_e32 v5, 2, v5
	ds_bpermute_b32 v7, v5, v6
	v_cmp_lt_i32_e32 vcc, v8, v10
	s_waitcnt lgkmcnt(0)
	v_max_f32_e32 v7, v7, v7
	v_max_f32_e32 v7, v6, v7
	v_cndmask_b32_e32 v6, v2, v8, vcc
	v_lshlrev_b32_e32 v6, 2, v6
	ds_bpermute_b32 v8, v6, v7
	v_cmp_lt_i32_e32 vcc, v11, v10
	s_waitcnt lgkmcnt(0)
	v_max_f32_e32 v8, v8, v8
	v_max_f32_e32 v8, v7, v8
	v_cndmask_b32_e32 v7, v2, v11, vcc
	v_lshlrev_b32_e32 v36, 2, v7
	ds_bpermute_b32 v11, v36, v8
	v_cmp_eq_u32_e32 vcc, 0, v35
	v_lshlrev_b32_e32 v7, 2, v70
	s_and_saveexec_b64 s[0:1], vcc
	s_cbranch_execz .LBB98_23
; %bb.22:
	s_waitcnt lgkmcnt(0)
	v_max_f32_e32 v11, v11, v11
	v_max_f32_e32 v8, v8, v8
	;; [unrolled: 1-line block ×3, first 2 shown]
	ds_write_b32 v7, v8 offset:512
.LBB98_23:
	s_or_b64 exec, exec, s[0:1]
	v_cmp_gt_u32_e64 s[0:1], 2, v35
	s_waitcnt lgkmcnt(0)
	v_mov_b32_e32 v11, 0xff7fffff
	v_lshlrev_b32_e32 v8, 2, v35
	s_barrier
	s_and_saveexec_b64 s[6:7], s[0:1]
; %bb.24:
	ds_read_b32 v11, v8 offset:512
; %bb.25:
	s_or_b64 exec, exec, s[6:7]
	v_xor_b32_e32 v12, 1, v2
	v_cmp_lt_i32_e64 s[6:7], v12, v10
	v_lshlrev_b32_e32 v9, 2, v9
	s_nop 0
	v_cndmask_b32_e64 v10, v2, v12, s[6:7]
	v_lshlrev_b32_e32 v37, 2, v10
	s_waitcnt lgkmcnt(0)
	ds_bpermute_b32 v10, v37, v11
	v_max_f32_e32 v11, v11, v11
	s_lshl_b32 s6, s43, 5
	s_min_i32 s15, s6, s21
	v_cmp_gt_i32_e64 s[6:7], s15, v0
	s_waitcnt lgkmcnt(0)
	v_max_f32_e32 v10, v10, v10
	v_max_f32_e32 v10, v11, v10
	ds_bpermute_b32 v10, v9, v10
	v_mov_b32_e32 v9, 0
	s_and_saveexec_b64 s[34:35], s[6:7]
	s_cbranch_execz .LBB98_29
; %bb.26:
	v_mov_b32_e32 v9, 0x210
	v_lshl_add_u32 v11, v0, 2, v9
	v_mov_b32_e32 v9, 0
	s_mov_b64 s[36:37], 0
	v_mov_b32_e32 v12, v0
.LBB98_27:                              ; =>This Inner Loop Header: Depth=1
	ds_read_b32 v13, v11
	v_add_u32_e32 v12, 0x80, v12
	v_cmp_le_i32_e64 s[10:11], s15, v12
	s_or_b64 s[36:37], s[10:11], s[36:37]
	s_waitcnt lgkmcnt(0)
	v_sub_f32_e32 v13, v13, v10
	v_mul_f32_e32 v13, 0x3fb8aa3b, v13
	v_exp_f32_e32 v13, v13
	ds_write_b32 v11, v13
	v_add_f32_e32 v9, v9, v13
	v_add_u32_e32 v11, 0x200, v11
	s_andn2_b64 exec, exec, s[36:37]
	s_cbranch_execnz .LBB98_27
; %bb.28:
	s_or_b64 exec, exec, s[36:37]
.LBB98_29:
	s_or_b64 exec, exec, s[34:35]
	ds_bpermute_b32 v3, v3, v9
	s_waitcnt lgkmcnt(0)
	v_add_f32_e32 v3, v9, v3
	ds_bpermute_b32 v4, v4, v3
	s_waitcnt lgkmcnt(0)
	v_add_f32_e32 v3, v3, v4
	;; [unrolled: 3-line block ×6, first 2 shown]
	s_and_saveexec_b64 s[10:11], vcc
; %bb.30:
	ds_write_b32 v7, v3 offset:520
; %bb.31:
	s_or_b64 exec, exec, s[10:11]
	s_waitcnt lgkmcnt(0)
	s_barrier
	s_and_saveexec_b64 s[10:11], s[0:1]
; %bb.32:
	ds_read_b32 v3, v8 offset:520
; %bb.33:
	s_or_b64 exec, exec, s[10:11]
	s_waitcnt lgkmcnt(0)
	ds_bpermute_b32 v4, v37, v3
	v_lshlrev_b32_e32 v2, 2, v2
	v_and_b32_e32 v2, 0x100, v2
	s_waitcnt lgkmcnt(0)
	v_add_f32_e32 v3, v3, v4
	ds_bpermute_b32 v2, v2, v3
	s_and_saveexec_b64 s[0:1], s[6:7]
	s_cbranch_execz .LBB98_46
; %bb.34:
	s_waitcnt lgkmcnt(0)
	v_add_f32_e32 v2, 0x358637bd, v2
	v_div_scale_f32 v3, s[6:7], v2, v2, 1.0
	v_rcp_f32_e32 v4, v3
	v_div_scale_f32 v5, vcc, 1.0, v2, 1.0
	s_movk_i32 s6, 0x7f
	v_fma_f32 v6, -v3, v4, 1.0
	v_fmac_f32_e32 v4, v6, v4
	v_mul_f32_e32 v6, v5, v4
	v_fma_f32 v7, -v3, v6, v5
	v_fmac_f32_e32 v6, v7, v4
	v_fma_f32 v3, -v3, v6, v5
	v_div_fmas_f32 v3, v3, v4, v6
	v_xad_u32 v4, v0, -1, s15
	v_div_fixup_f32 v2, v3, v2, 1.0
	v_cmp_lt_u32_e32 vcc, s6, v4
	s_mov_b64 s[10:11], -1
	v_mov_b32_e32 v3, v0
	s_and_saveexec_b64 s[6:7], vcc
	s_cbranch_execz .LBB98_43
; %bb.35:
	v_lshrrev_b32_e32 v4, 7, v4
	v_add_u32_e32 v6, -1, v4
	v_lshrrev_b32_e32 v5, 1, v6
	v_mov_b32_e32 v3, v2
	v_add_u32_e32 v5, 1, v5
	v_cmp_lt_u32_e32 vcc, 13, v6
	v_mov_b32_e32 v8, 0
	s_and_saveexec_b64 s[10:11], vcc
	s_cbranch_execz .LBB98_39
; %bb.36:
	v_mov_b32_e32 v7, 0x210
	v_and_b32_e32 v6, -8, v5
	v_lshl_add_u32 v7, v0, 2, v7
	s_mov_b32 s36, 0
	s_mov_b64 s[34:35], 0
.LBB98_37:                              ; =>This Inner Loop Header: Depth=1
	ds_read2st64_b32 v[8:9], v7 offset1:2
	ds_read2st64_b32 v[10:11], v7 offset0:4 offset1:6
	ds_read2st64_b32 v[12:13], v7 offset0:8 offset1:10
	;; [unrolled: 1-line block ×3, first 2 shown]
	v_add_u32_e32 v6, -8, v6
	s_waitcnt lgkmcnt(3)
	v_pk_mul_f32 v[8:9], v[2:3], v[8:9]
	s_waitcnt lgkmcnt(2)
	v_pk_mul_f32 v[10:11], v[2:3], v[10:11]
	ds_write2st64_b32 v7, v8, v9 offset1:2
	ds_write2st64_b32 v7, v10, v11 offset0:4 offset1:6
	ds_read2st64_b32 v[10:11], v7 offset0:16 offset1:18
	s_waitcnt lgkmcnt(4)
	v_pk_mul_f32 v[8:9], v[2:3], v[12:13]
	ds_write2st64_b32 v7, v8, v9 offset0:8 offset1:10
	s_waitcnt lgkmcnt(4)
	v_pk_mul_f32 v[8:9], v[2:3], v[14:15]
	ds_write2st64_b32 v7, v8, v9 offset0:12 offset1:14
	ds_read2st64_b32 v[8:9], v7 offset0:20 offset1:22
	s_waitcnt lgkmcnt(3)
	v_pk_mul_f32 v[10:11], v[2:3], v[10:11]
	ds_read2st64_b32 v[12:13], v7 offset0:24 offset1:26
	ds_write2st64_b32 v7, v10, v11 offset0:16 offset1:18
	ds_read2st64_b32 v[10:11], v7 offset0:28 offset1:30
	s_waitcnt lgkmcnt(3)
	v_pk_mul_f32 v[8:9], v[2:3], v[8:9]
	ds_write2st64_b32 v7, v8, v9 offset0:20 offset1:22
	s_waitcnt lgkmcnt(3)
	v_pk_mul_f32 v[8:9], v[2:3], v[12:13]
	ds_write2st64_b32 v7, v8, v9 offset0:24 offset1:26
	s_waitcnt lgkmcnt(2)
	v_pk_mul_f32 v[8:9], v[2:3], v[10:11]
	s_add_i32 s36, s36, 16
	v_cmp_eq_u32_e32 vcc, 0, v6
	ds_write2st64_b32 v7, v8, v9 offset0:28 offset1:30
	v_add_u32_e32 v7, 0x2000, v7
	s_or_b64 s[34:35], vcc, s[34:35]
	v_mov_b32_e32 v8, s36
	s_andn2_b64 exec, exec, s[34:35]
	s_cbranch_execnz .LBB98_37
; %bb.38:
	s_or_b64 exec, exec, s[34:35]
.LBB98_39:
	s_or_b64 exec, exec, s[10:11]
	v_and_b32_e32 v5, 7, v5
	v_cmp_ne_u32_e32 vcc, 0, v5
	s_and_saveexec_b64 s[10:11], vcc
	s_cbranch_execz .LBB98_42
; %bb.40:
	v_lshlrev_b32_e32 v6, 9, v8
	v_lshlrev_b32_e32 v7, 2, v0
	s_movk_i32 s34, 0x210
	v_add3_u32 v6, v6, v7, s34
	s_mov_b64 s[34:35], 0
.LBB98_41:                              ; =>This Inner Loop Header: Depth=1
	ds_read2st64_b32 v[8:9], v6 offset1:2
	v_add_u32_e32 v5, -1, v5
	v_cmp_eq_u32_e32 vcc, 0, v5
	s_or_b64 s[34:35], vcc, s[34:35]
	s_waitcnt lgkmcnt(0)
	v_pk_mul_f32 v[8:9], v[2:3], v[8:9]
	ds_write2st64_b32 v6, v8, v9 offset1:2
	v_add_u32_e32 v6, 0x400, v6
	s_andn2_b64 exec, exec, s[34:35]
	s_cbranch_execnz .LBB98_41
.LBB98_42:
	s_or_b64 exec, exec, s[10:11]
	v_add_u32_e32 v4, 1, v4
	v_and_b32_e32 v5, 0x3fffffe, v4
	v_cmp_ne_u32_e32 vcc, v4, v5
	v_lshl_add_u32 v3, v5, 7, v0
	s_orn2_b64 s[10:11], vcc, exec
.LBB98_43:
	s_or_b64 exec, exec, s[6:7]
	s_and_b64 exec, exec, s[10:11]
	s_cbranch_execz .LBB98_46
; %bb.44:
	v_mov_b32_e32 v4, 0x210
	v_lshl_add_u32 v4, v3, 2, v4
	s_mov_b64 s[6:7], 0
.LBB98_45:                              ; =>This Inner Loop Header: Depth=1
	ds_read_b32 v5, v4
	v_add_u32_e32 v3, 0x80, v3
	v_cmp_le_i32_e32 vcc, s15, v3
	s_or_b64 s[6:7], vcc, s[6:7]
	s_waitcnt lgkmcnt(0)
	v_mul_f32_e32 v5, v2, v5
	ds_write_b32 v4, v5
	v_add_u32_e32 v4, 0x200, v4
	s_andn2_b64 exec, exec, s[6:7]
	s_cbranch_execnz .LBB98_45
.LBB98_46:
	s_or_b64 exec, exec, s[0:1]
	v_mov_b32_e32 v7, 0
	v_and_b32_e32 v38, 3, v0
	v_mov_b32_e32 v6, 0
	v_mov_b32_e32 v9, 0
	;; [unrolled: 1-line block ×15, first 2 shown]
	s_waitcnt lgkmcnt(0)
	s_barrier
	s_and_saveexec_b64 s[6:7], s[2:3]
	s_cbranch_execz .LBB98_84
; %bb.47:
	s_ashr_i32 s15, s14, 31
	s_sub_i32 s17, s12, s17
	s_lshl_b64 s[0:1], s[14:15], 1
	s_add_u32 s10, s30, s0
	s_addc_u32 s11, s31, s1
	s_abs_i32 s18, s18
	v_cvt_f32_u32_e32 v2, s18
	s_sub_i32 s0, 0, s18
	v_and_b32_e32 v39, 24, v1
	v_or_b32_e32 v4, 0x1e00, v1
	v_rcp_iflag_f32_e32 v3, v2
	v_and_b32_e32 v2, 0x1f8, v1
	s_add_i32 s31, s43, -1
	v_mov_b32_e32 v23, 0
	v_mul_f32_e32 v3, 0x4f7ffffe, v3
	v_cvt_u32_f32_e32 v3, v3
	v_and_b32_e32 v22, 60, v72
	s_mov_b32 s30, s13
	s_mov_b32 s34, s21
	v_mul_lo_u32 v1, s0, v3
	v_mul_hi_u32 v1, v3, v1
	s_lshl_b64 s[0:1], s[28:29], 2
	v_add_u32_e32 v40, v3, v1
	s_add_u32 s0, s26, s0
	v_lshlrev_b32_e32 v1, 5, v38
	s_addc_u32 s1, s27, s1
	v_lshl_or_b32 v1, v70, 7, v1
	v_lshl_add_u64 v[24:25], s[0:1], 0, v[22:23]
	v_add_u32_e32 v41, 0x210, v1
	s_mov_b64 s[12:13], 0
	v_lshlrev_b32_e32 v26, 1, v2
	s_mov_b32 s26, 0xffff
	s_movk_i32 s27, 0x1000
	s_movk_i32 s28, 0x2000
	;; [unrolled: 1-line block ×3, first 2 shown]
	v_lshlrev_b32_e32 v22, 1, v4
	v_mov_b32_e32 v20, v23
	v_mov_b32_e32 v21, v23
	;; [unrolled: 1-line block ×16, first 2 shown]
	s_branch .LBB98_50
.LBB98_48:                              ;   in Loop: Header=BB98_50 Depth=1
	s_or_b64 exec, exec, s[14:15]
	v_add_f32_e32 v27, v30, v31
	v_add_f32_e32 v6, v6, v27
	;; [unrolled: 1-line block ×30, first 2 shown]
	v_lshlrev_b32_e32 v27, 16, v28
	v_lshlrev_b32_e32 v1, 16, v1
	v_and_or_b32 v2, v2, s26, v27
	v_and_or_b32 v1, v3, s26, v1
	v_lshlrev_b32_e32 v3, 16, v29
	v_and_or_b32 v3, v4, s26, v3
	;;#ASMSTART
	v_pk_mul_f16 v2, v43, v2;

	;;#ASMEND
	;;#ASMSTART
	v_pk_mul_f16 v1, v44, v1;

	;;#ASMEND
	;; [unrolled: 4-line block ×4, first 2 shown]
	s_nop 0
	;;#ASMSTART
	v_pk_add_f16 v1, v2, v1;

	;;#ASMEND
	s_nop 0
	;;#ASMSTART
	v_pk_add_f16 v1, v1, v3;

	;;#ASMEND
	;; [unrolled: 5-line block ×3, first 2 shown]
	s_nop 0
	v_lshrrev_b32_e32 v2, 16, v1
	v_and_b32_e32 v1, 0xffff, v1
	;;#ASMSTART
	v_cvt_f32_f16 v1, v1;
	;;#ASMEND
	;;#ASMSTART
	v_cvt_f32_f16 v2, v2;
	;;#ASMEND
	s_nop 0
	v_add_f32_e32 v1, v1, v2
	v_add_f32_e32 v7, v7, v1
.LBB98_49:                              ;   in Loop: Header=BB98_50 Depth=1
	s_or_b64 exec, exec, s[0:1]
	v_add_u32_e32 v70, 2, v70
	v_cmp_le_i32_e32 vcc, s43, v70
	v_lshl_add_u64 v[24:25], v[24:25], 0, 8
	v_add_u32_e32 v71, 64, v71
	s_or_b64 s[12:13], vcc, s[12:13]
	v_add_u32_e32 v41, 0x100, v41
	s_andn2_b64 exec, exec, s[12:13]
	s_cbranch_execz .LBB98_83
.LBB98_50:                              ; =>This Inner Loop Header: Depth=1
	v_mul_hi_u32 v1, v71, s33
	v_mul_lo_u32 v2, v1, s23
	v_sub_u32_e32 v2, v71, v2
	v_add_u32_e32 v3, 1, v1
	v_cmp_le_u32_e32 vcc, s23, v2
	s_nop 1
	v_cndmask_b32_e32 v1, v1, v3, vcc
	v_subrev_u32_e32 v3, s23, v2
	v_cndmask_b32_e32 v2, v2, v3, vcc
	v_add_u32_e32 v3, 1, v1
	v_cmp_le_u32_e32 vcc, s23, v2
	s_nop 1
	v_cndmask_b32_e32 v1, v1, v3, vcc
	v_xor_b32_e32 v1, s19, v1
	v_subrev_u32_e32 v1, s19, v1
	v_add_u32_e32 v2, s42, v1
	v_sub_u32_e32 v4, 0, v2
	v_ashrrev_i32_e32 v3, 31, v2
	v_max_i32_e32 v2, v2, v4
	v_mul_hi_u32 v4, v2, v40
	v_mul_lo_u32 v4, v4, s18
	v_sub_u32_e32 v2, v2, v4
	v_subrev_u32_e32 v4, s18, v2
	v_cmp_le_u32_e32 vcc, s18, v2
	v_cmp_lt_i32_e64 s[0:1], s17, v1
	s_nop 0
	v_cndmask_b32_e32 v2, v2, v4, vcc
	v_subrev_u32_e32 v4, s18, v2
	v_cmp_le_u32_e32 vcc, s18, v2
	s_nop 1
	v_cndmask_b32_e32 v2, v2, v4, vcc
	v_xor_b32_e32 v2, v2, v3
	v_sub_u32_e32 v2, v2, v3
	v_cmp_eq_u32_e32 vcc, 0, v2
	s_or_b64 s[2:3], vcc, s[0:1]
	s_and_saveexec_b64 s[0:1], s[2:3]
	s_cbranch_execz .LBB98_49
; %bb.51:                               ;   in Loop: Header=BB98_50 Depth=1
	global_load_dword v1, v[24:25], off
	ds_read2_b64 v[2:5], v41 offset1:1
	ds_read2_b64 v[28:31], v41 offset0:2 offset1:3
	v_mov_b32_e32 v27, v23
	v_add_u32_e32 v48, v39, v71
	s_waitcnt lgkmcnt(1)
	;;#ASMSTART
	v_cvt_f16_f32 v33, v2;

	;;#ASMEND
	;;#ASMSTART
	v_cvt_f16_f32 v34, v3;

	;;#ASMEND
	;; [unrolled: 4-line block ×4, first 2 shown]
	s_waitcnt lgkmcnt(0)
	;;#ASMSTART
	v_cvt_f16_f32 v45, v28;

	;;#ASMEND
	;;#ASMSTART
	v_cvt_f16_f32 v53, v29;

	;;#ASMEND
	;; [unrolled: 4-line block ×4, first 2 shown]
	v_add_u32_e32 v50, 2, v48
	v_add_u32_e32 v49, 4, v48
	;; [unrolled: 1-line block ×4, first 2 shown]
	v_or_b32_e32 v51, 3, v48
	v_or_b32_e32 v52, 1, v48
	s_waitcnt vmcnt(0)
	v_mad_i64_i32 v[2:3], s[2:3], v1, s30, 0
	v_lshl_add_u64 v[28:29], v[2:3], 1, s[10:11]
	v_lshl_add_u64 v[30:31], v[28:29], 0, v[26:27]
	global_load_dwordx4 v[2:5], v[30:31], off
	v_cmp_eq_u32_e64 s[2:3], s31, v70
	v_add_u32_e32 v27, 7, v48
	s_waitcnt vmcnt(0)
	v_lshrrev_b32_e32 v1, 16, v3
	v_lshrrev_b32_e32 v32, 16, v2
	v_lshrrev_b32_e32 v56, 16, v4
	s_and_saveexec_b64 s[14:15], s[2:3]
	s_cbranch_execz .LBB98_53
; %bb.52:                               ;   in Loop: Header=BB98_50 Depth=1
	v_cmp_gt_i32_e32 vcc, s21, v48
	s_nop 1
	v_cndmask_b32_e32 v2, 0, v2, vcc
	v_cmp_gt_i32_e32 vcc, s21, v50
	s_nop 1
	v_cndmask_b32_e32 v3, 0, v3, vcc
	;; [unrolled: 3-line block ×6, first 2 shown]
	v_cmp_gt_i32_e32 vcc, s21, v46
	s_nop 1
	v_cndmask_b32_sdwa v43, v23, v5, vcc dst_sel:DWORD dst_unused:UNUSED_PAD src0_sel:DWORD src1_sel:WORD_0
	v_and_b32_e32 v5, 0xffff0000, v5
	v_cmp_gt_i32_e32 vcc, s21, v27
	s_nop 1
	v_cndmask_b32_e32 v5, 0, v5, vcc
	v_or_b32_e32 v5, v43, v5
.LBB98_53:                              ;   in Loop: Header=BB98_50 Depth=1
	s_or_b64 exec, exec, s[14:15]
	v_and_b32_e32 v33, 0xffff, v33
	v_lshl_or_b32 v43, v34, 16, v33
	v_and_b32_e32 v33, 0xffff, v42
	v_lshlrev_b32_e32 v32, 16, v32
	v_lshlrev_b32_e32 v1, 16, v1
	v_lshl_or_b32 v44, v44, 16, v33
	v_and_b32_e32 v33, 0xffff, v45
	v_and_or_b32 v2, v2, s26, v32
	v_and_or_b32 v1, v3, s26, v1
	v_lshlrev_b32_e32 v3, 16, v56
	v_lshl_or_b32 v45, v53, 16, v33
	v_and_b32_e32 v33, 0xffff, v54
	v_and_or_b32 v3, v4, s26, v3
	;;#ASMSTART
	v_pk_mul_f16 v2, v43, v2;

	;;#ASMEND
	;;#ASMSTART
	v_pk_mul_f16 v1, v44, v1;

	;;#ASMEND
	v_lshl_or_b32 v42, v55, 16, v33
	;;#ASMSTART
	v_pk_mul_f16 v3, v45, v3;

	;;#ASMEND
	;;#ASMSTART
	v_pk_mul_f16 v4, v42, v5;

	;;#ASMEND
	;;#ASMSTART
	v_pk_add_f16 v1, v2, v1;

	;;#ASMEND
	s_nop 0
	;;#ASMSTART
	v_pk_add_f16 v1, v1, v3;

	;;#ASMEND
	s_nop 0
	;; [unrolled: 5-line block ×3, first 2 shown]
	v_lshrrev_b32_e32 v2, 16, v1
	v_and_b32_e32 v1, 0xffff, v1
	;;#ASMSTART
	v_cvt_f32_f16 v53, v1;
	;;#ASMEND
	;;#ASMSTART
	v_cvt_f32_f16 v54, v2;
	;;#ASMEND
	global_load_dwordx4 v[2:5], v[30:31], off offset:1024
	s_waitcnt vmcnt(0)
	v_lshrrev_b32_e32 v1, 16, v3
	v_lshrrev_b32_e32 v32, 16, v2
	;; [unrolled: 1-line block ×3, first 2 shown]
	s_and_saveexec_b64 s[14:15], s[2:3]
	s_cbranch_execz .LBB98_55
; %bb.54:                               ;   in Loop: Header=BB98_50 Depth=1
	v_cmp_gt_i32_e32 vcc, s21, v48
	s_nop 1
	v_cndmask_b32_e32 v2, 0, v2, vcc
	v_cmp_gt_i32_e32 vcc, s21, v50
	s_nop 1
	v_cndmask_b32_e32 v3, 0, v3, vcc
	;; [unrolled: 3-line block ×6, first 2 shown]
	v_cmp_gt_i32_e32 vcc, s21, v46
	s_nop 1
	v_cndmask_b32_sdwa v34, v23, v5, vcc dst_sel:DWORD dst_unused:UNUSED_PAD src0_sel:DWORD src1_sel:WORD_0
	v_and_b32_e32 v5, 0xffff0000, v5
	v_cmp_gt_i32_e32 vcc, s21, v27
	s_nop 1
	v_cndmask_b32_e32 v5, 0, v5, vcc
	v_or_b32_e32 v5, v34, v5
.LBB98_55:                              ;   in Loop: Header=BB98_50 Depth=1
	s_or_b64 exec, exec, s[14:15]
	v_lshlrev_b32_e32 v32, 16, v32
	v_lshlrev_b32_e32 v1, 16, v1
	v_and_or_b32 v2, v2, s26, v32
	v_and_or_b32 v1, v3, s26, v1
	v_lshlrev_b32_e32 v3, 16, v33
	v_and_or_b32 v3, v4, s26, v3
	;;#ASMSTART
	v_pk_mul_f16 v2, v43, v2;

	;;#ASMEND
	;;#ASMSTART
	v_pk_mul_f16 v1, v44, v1;

	;;#ASMEND
	;; [unrolled: 4-line block ×4, first 2 shown]
	s_nop 0
	;;#ASMSTART
	v_pk_add_f16 v1, v2, v1;

	;;#ASMEND
	s_nop 0
	;;#ASMSTART
	v_pk_add_f16 v1, v1, v3;

	;;#ASMEND
	;; [unrolled: 5-line block ×3, first 2 shown]
	s_nop 0
	v_lshrrev_b32_e32 v2, 16, v1
	v_and_b32_e32 v1, 0xffff, v1
	;;#ASMSTART
	v_cvt_f32_f16 v55, v1;
	;;#ASMEND
	;;#ASMSTART
	v_cvt_f32_f16 v56, v2;
	;;#ASMEND
	global_load_dwordx4 v[2:5], v[30:31], off offset:2048
	s_waitcnt vmcnt(0)
	v_lshrrev_b32_e32 v1, 16, v3
	v_lshrrev_b32_e32 v32, 16, v2
	v_lshrrev_b32_e32 v33, 16, v4
	s_and_saveexec_b64 s[14:15], s[2:3]
	s_cbranch_execz .LBB98_57
; %bb.56:                               ;   in Loop: Header=BB98_50 Depth=1
	v_cmp_gt_i32_e32 vcc, s21, v48
	s_nop 1
	v_cndmask_b32_e32 v2, 0, v2, vcc
	v_cmp_gt_i32_e32 vcc, s21, v50
	s_nop 1
	v_cndmask_b32_e32 v3, 0, v3, vcc
	;; [unrolled: 3-line block ×6, first 2 shown]
	v_cmp_gt_i32_e32 vcc, s21, v46
	s_nop 1
	v_cndmask_b32_sdwa v34, v23, v5, vcc dst_sel:DWORD dst_unused:UNUSED_PAD src0_sel:DWORD src1_sel:WORD_0
	v_and_b32_e32 v5, 0xffff0000, v5
	v_cmp_gt_i32_e32 vcc, s21, v27
	s_nop 1
	v_cndmask_b32_e32 v5, 0, v5, vcc
	v_or_b32_e32 v5, v34, v5
.LBB98_57:                              ;   in Loop: Header=BB98_50 Depth=1
	s_or_b64 exec, exec, s[14:15]
	v_lshlrev_b32_e32 v32, 16, v32
	v_lshlrev_b32_e32 v1, 16, v1
	v_and_or_b32 v2, v2, s26, v32
	v_and_or_b32 v1, v3, s26, v1
	v_lshlrev_b32_e32 v3, 16, v33
	v_and_or_b32 v3, v4, s26, v3
	;;#ASMSTART
	v_pk_mul_f16 v2, v43, v2;

	;;#ASMEND
	;;#ASMSTART
	v_pk_mul_f16 v1, v44, v1;

	;;#ASMEND
	;;#ASMSTART
	v_pk_mul_f16 v3, v45, v3;

	;;#ASMEND
	;;#ASMSTART
	v_pk_mul_f16 v4, v42, v5;

	;;#ASMEND
	s_nop 0
	;;#ASMSTART
	v_pk_add_f16 v1, v2, v1;

	;;#ASMEND
	s_nop 0
	;;#ASMSTART
	v_pk_add_f16 v1, v1, v3;

	;;#ASMEND
	s_nop 0
	;;#ASMSTART
	v_pk_add_f16 v1, v1, v4;

	;;#ASMEND
	s_nop 0
	v_lshrrev_b32_e32 v2, 16, v1
	v_and_b32_e32 v1, 0xffff, v1
	;;#ASMSTART
	v_cvt_f32_f16 v57, v1;
	;;#ASMEND
	;;#ASMSTART
	v_cvt_f32_f16 v58, v2;
	;;#ASMEND
	global_load_dwordx4 v[2:5], v[30:31], off offset:3072
	s_waitcnt vmcnt(0)
	v_lshrrev_b32_e32 v1, 16, v3
	v_lshrrev_b32_e32 v32, 16, v2
	;; [unrolled: 1-line block ×3, first 2 shown]
	s_and_saveexec_b64 s[14:15], s[2:3]
	s_cbranch_execz .LBB98_59
; %bb.58:                               ;   in Loop: Header=BB98_50 Depth=1
	v_cmp_gt_i32_e32 vcc, s21, v48
	s_nop 1
	v_cndmask_b32_e32 v2, 0, v2, vcc
	v_cmp_gt_i32_e32 vcc, s21, v50
	s_nop 1
	v_cndmask_b32_e32 v3, 0, v3, vcc
	v_cmp_gt_i32_e32 vcc, s34, v51
	s_nop 1
	v_cndmask_b32_e32 v1, 0, v1, vcc
	v_cmp_gt_i32_e32 vcc, s21, v52
	s_nop 1
	v_cndmask_b32_e32 v32, 0, v32, vcc
	v_cmp_gt_i32_e32 vcc, s21, v49
	s_nop 1
	v_cndmask_b32_e32 v4, 0, v4, vcc
	v_cmp_gt_i32_e32 vcc, s21, v47
	s_nop 1
	v_cndmask_b32_e32 v33, 0, v33, vcc
	v_cmp_gt_i32_e32 vcc, s21, v46
	s_nop 1
	v_cndmask_b32_sdwa v34, v23, v5, vcc dst_sel:DWORD dst_unused:UNUSED_PAD src0_sel:DWORD src1_sel:WORD_0
	v_and_b32_e32 v5, 0xffff0000, v5
	v_cmp_gt_i32_e32 vcc, s21, v27
	s_nop 1
	v_cndmask_b32_e32 v5, 0, v5, vcc
	v_or_b32_e32 v5, v34, v5
.LBB98_59:                              ;   in Loop: Header=BB98_50 Depth=1
	s_or_b64 exec, exec, s[14:15]
	v_lshlrev_b32_e32 v32, 16, v32
	v_lshlrev_b32_e32 v1, 16, v1
	v_and_or_b32 v2, v2, s26, v32
	v_and_or_b32 v1, v3, s26, v1
	v_lshlrev_b32_e32 v3, 16, v33
	v_and_or_b32 v3, v4, s26, v3
	;;#ASMSTART
	v_pk_mul_f16 v2, v43, v2;

	;;#ASMEND
	;;#ASMSTART
	v_pk_mul_f16 v1, v44, v1;

	;;#ASMEND
	;; [unrolled: 4-line block ×4, first 2 shown]
	v_add_co_u32_e32 v32, vcc, s27, v30
	;;#ASMSTART
	v_pk_add_f16 v1, v2, v1;

	;;#ASMEND
	s_nop 0
	;;#ASMSTART
	v_pk_add_f16 v1, v1, v3;

	;;#ASMEND
	s_nop 0
	v_addc_co_u32_e32 v33, vcc, 0, v31, vcc
	;;#ASMSTART
	v_pk_add_f16 v1, v1, v4;

	;;#ASMEND
	s_nop 0
	v_lshrrev_b32_e32 v2, 16, v1
	v_and_b32_e32 v1, 0xffff, v1
	;;#ASMSTART
	v_cvt_f32_f16 v59, v1;
	;;#ASMEND
	;;#ASMSTART
	v_cvt_f32_f16 v60, v2;
	;;#ASMEND
	global_load_dwordx4 v[2:5], v[32:33], off
	s_waitcnt vmcnt(0)
	v_lshrrev_b32_e32 v1, 16, v3
	v_lshrrev_b32_e32 v34, 16, v2
	;; [unrolled: 1-line block ×3, first 2 shown]
	s_and_saveexec_b64 s[14:15], s[2:3]
	s_cbranch_execz .LBB98_61
; %bb.60:                               ;   in Loop: Header=BB98_50 Depth=1
	v_cmp_gt_i32_e32 vcc, s21, v48
	s_nop 1
	v_cndmask_b32_e32 v2, 0, v2, vcc
	v_cmp_gt_i32_e32 vcc, s21, v50
	s_nop 1
	v_cndmask_b32_e32 v3, 0, v3, vcc
	;; [unrolled: 3-line block ×6, first 2 shown]
	v_cmp_gt_i32_e32 vcc, s21, v46
	s_nop 1
	v_cndmask_b32_sdwa v62, v23, v5, vcc dst_sel:DWORD dst_unused:UNUSED_PAD src0_sel:DWORD src1_sel:WORD_0
	v_and_b32_e32 v5, 0xffff0000, v5
	v_cmp_gt_i32_e32 vcc, s21, v27
	s_nop 1
	v_cndmask_b32_e32 v5, 0, v5, vcc
	v_or_b32_e32 v5, v62, v5
.LBB98_61:                              ;   in Loop: Header=BB98_50 Depth=1
	s_or_b64 exec, exec, s[14:15]
	v_lshlrev_b32_e32 v34, 16, v34
	v_lshlrev_b32_e32 v1, 16, v1
	v_and_or_b32 v2, v2, s26, v34
	v_and_or_b32 v1, v3, s26, v1
	v_lshlrev_b32_e32 v3, 16, v61
	v_and_or_b32 v3, v4, s26, v3
	;;#ASMSTART
	v_pk_mul_f16 v2, v43, v2;

	;;#ASMEND
	;;#ASMSTART
	v_pk_mul_f16 v1, v44, v1;

	;;#ASMEND
	;; [unrolled: 4-line block ×4, first 2 shown]
	s_nop 0
	;;#ASMSTART
	v_pk_add_f16 v1, v2, v1;

	;;#ASMEND
	s_nop 0
	;;#ASMSTART
	v_pk_add_f16 v1, v1, v3;

	;;#ASMEND
	;; [unrolled: 5-line block ×3, first 2 shown]
	s_nop 0
	v_lshrrev_b32_e32 v2, 16, v1
	v_and_b32_e32 v1, 0xffff, v1
	;;#ASMSTART
	v_cvt_f32_f16 v61, v1;
	;;#ASMEND
	;;#ASMSTART
	v_cvt_f32_f16 v62, v2;
	;;#ASMEND
	global_load_dwordx4 v[2:5], v[32:33], off offset:1024
	s_waitcnt vmcnt(0)
	v_lshrrev_b32_e32 v1, 16, v3
	v_lshrrev_b32_e32 v34, 16, v2
	;; [unrolled: 1-line block ×3, first 2 shown]
	s_and_saveexec_b64 s[14:15], s[2:3]
	s_cbranch_execz .LBB98_63
; %bb.62:                               ;   in Loop: Header=BB98_50 Depth=1
	v_cmp_gt_i32_e32 vcc, s21, v48
	s_nop 1
	v_cndmask_b32_e32 v2, 0, v2, vcc
	v_cmp_gt_i32_e32 vcc, s21, v50
	s_nop 1
	v_cndmask_b32_e32 v3, 0, v3, vcc
	;; [unrolled: 3-line block ×6, first 2 shown]
	v_cmp_gt_i32_e32 vcc, s21, v46
	s_nop 1
	v_cndmask_b32_sdwa v64, v23, v5, vcc dst_sel:DWORD dst_unused:UNUSED_PAD src0_sel:DWORD src1_sel:WORD_0
	v_and_b32_e32 v5, 0xffff0000, v5
	v_cmp_gt_i32_e32 vcc, s21, v27
	s_nop 1
	v_cndmask_b32_e32 v5, 0, v5, vcc
	v_or_b32_e32 v5, v64, v5
.LBB98_63:                              ;   in Loop: Header=BB98_50 Depth=1
	s_or_b64 exec, exec, s[14:15]
	v_lshlrev_b32_e32 v34, 16, v34
	v_lshlrev_b32_e32 v1, 16, v1
	v_and_or_b32 v2, v2, s26, v34
	v_and_or_b32 v1, v3, s26, v1
	v_lshlrev_b32_e32 v3, 16, v63
	v_and_or_b32 v3, v4, s26, v3
	;;#ASMSTART
	v_pk_mul_f16 v2, v43, v2;

	;;#ASMEND
	;;#ASMSTART
	v_pk_mul_f16 v1, v44, v1;

	;;#ASMEND
	;; [unrolled: 4-line block ×4, first 2 shown]
	s_nop 0
	;;#ASMSTART
	v_pk_add_f16 v1, v2, v1;

	;;#ASMEND
	s_nop 0
	;;#ASMSTART
	v_pk_add_f16 v1, v1, v3;

	;;#ASMEND
	;; [unrolled: 5-line block ×3, first 2 shown]
	s_nop 0
	v_lshrrev_b32_e32 v2, 16, v1
	v_and_b32_e32 v1, 0xffff, v1
	;;#ASMSTART
	v_cvt_f32_f16 v63, v1;
	;;#ASMEND
	;;#ASMSTART
	v_cvt_f32_f16 v64, v2;
	;;#ASMEND
	global_load_dwordx4 v[2:5], v[32:33], off offset:2048
	s_waitcnt vmcnt(0)
	v_lshrrev_b32_e32 v1, 16, v3
	v_lshrrev_b32_e32 v34, 16, v2
	;; [unrolled: 1-line block ×3, first 2 shown]
	s_and_saveexec_b64 s[14:15], s[2:3]
	s_cbranch_execz .LBB98_65
; %bb.64:                               ;   in Loop: Header=BB98_50 Depth=1
	v_cmp_gt_i32_e32 vcc, s21, v48
	s_nop 1
	v_cndmask_b32_e32 v2, 0, v2, vcc
	v_cmp_gt_i32_e32 vcc, s21, v50
	s_nop 1
	v_cndmask_b32_e32 v3, 0, v3, vcc
	;; [unrolled: 3-line block ×6, first 2 shown]
	v_cmp_gt_i32_e32 vcc, s21, v46
	s_nop 1
	v_cndmask_b32_sdwa v66, v23, v5, vcc dst_sel:DWORD dst_unused:UNUSED_PAD src0_sel:DWORD src1_sel:WORD_0
	v_and_b32_e32 v5, 0xffff0000, v5
	v_cmp_gt_i32_e32 vcc, s21, v27
	s_nop 1
	v_cndmask_b32_e32 v5, 0, v5, vcc
	v_or_b32_e32 v5, v66, v5
.LBB98_65:                              ;   in Loop: Header=BB98_50 Depth=1
	s_or_b64 exec, exec, s[14:15]
	v_lshlrev_b32_e32 v34, 16, v34
	v_lshlrev_b32_e32 v1, 16, v1
	v_and_or_b32 v2, v2, s26, v34
	v_and_or_b32 v1, v3, s26, v1
	v_lshlrev_b32_e32 v3, 16, v65
	v_and_or_b32 v3, v4, s26, v3
	;;#ASMSTART
	v_pk_mul_f16 v2, v43, v2;

	;;#ASMEND
	;;#ASMSTART
	v_pk_mul_f16 v1, v44, v1;

	;;#ASMEND
	;; [unrolled: 4-line block ×4, first 2 shown]
	s_nop 0
	;;#ASMSTART
	v_pk_add_f16 v1, v2, v1;

	;;#ASMEND
	s_nop 0
	;;#ASMSTART
	v_pk_add_f16 v1, v1, v3;

	;;#ASMEND
	s_nop 0
	;;#ASMSTART
	v_pk_add_f16 v1, v1, v4;

	;;#ASMEND
	s_nop 0
	v_lshrrev_b32_e32 v2, 16, v1
	v_and_b32_e32 v1, 0xffff, v1
	;;#ASMSTART
	v_cvt_f32_f16 v65, v1;
	;;#ASMEND
	;;#ASMSTART
	v_cvt_f32_f16 v66, v2;
	;;#ASMEND
	global_load_dwordx4 v[2:5], v[32:33], off offset:3072
	s_waitcnt vmcnt(0)
	v_lshrrev_b32_e32 v1, 16, v3
	v_lshrrev_b32_e32 v32, 16, v2
	;; [unrolled: 1-line block ×3, first 2 shown]
	s_and_saveexec_b64 s[14:15], s[2:3]
	s_cbranch_execz .LBB98_67
; %bb.66:                               ;   in Loop: Header=BB98_50 Depth=1
	v_cmp_gt_i32_e32 vcc, s21, v48
	s_nop 1
	v_cndmask_b32_e32 v2, 0, v2, vcc
	v_cmp_gt_i32_e32 vcc, s21, v50
	s_nop 1
	v_cndmask_b32_e32 v3, 0, v3, vcc
	;; [unrolled: 3-line block ×6, first 2 shown]
	v_cmp_gt_i32_e32 vcc, s21, v46
	s_nop 1
	v_cndmask_b32_sdwa v34, v23, v5, vcc dst_sel:DWORD dst_unused:UNUSED_PAD src0_sel:DWORD src1_sel:WORD_0
	v_and_b32_e32 v5, 0xffff0000, v5
	v_cmp_gt_i32_e32 vcc, s21, v27
	s_nop 1
	v_cndmask_b32_e32 v5, 0, v5, vcc
	v_or_b32_e32 v5, v34, v5
.LBB98_67:                              ;   in Loop: Header=BB98_50 Depth=1
	s_or_b64 exec, exec, s[14:15]
	v_lshlrev_b32_e32 v32, 16, v32
	v_lshlrev_b32_e32 v1, 16, v1
	v_and_or_b32 v2, v2, s26, v32
	v_and_or_b32 v1, v3, s26, v1
	v_lshlrev_b32_e32 v3, 16, v33
	v_and_or_b32 v3, v4, s26, v3
	;;#ASMSTART
	v_pk_mul_f16 v2, v43, v2;

	;;#ASMEND
	;;#ASMSTART
	v_pk_mul_f16 v1, v44, v1;

	;;#ASMEND
	;; [unrolled: 4-line block ×4, first 2 shown]
	v_add_co_u32_e32 v32, vcc, s28, v30
	;;#ASMSTART
	v_pk_add_f16 v1, v2, v1;

	;;#ASMEND
	s_nop 0
	;;#ASMSTART
	v_pk_add_f16 v1, v1, v3;

	;;#ASMEND
	s_nop 0
	v_addc_co_u32_e32 v33, vcc, 0, v31, vcc
	;;#ASMSTART
	v_pk_add_f16 v1, v1, v4;

	;;#ASMEND
	s_nop 0
	v_lshrrev_b32_e32 v2, 16, v1
	v_and_b32_e32 v1, 0xffff, v1
	;;#ASMSTART
	v_cvt_f32_f16 v67, v1;
	;;#ASMEND
	;;#ASMSTART
	v_cvt_f32_f16 v68, v2;
	;;#ASMEND
	global_load_dwordx4 v[2:5], v[32:33], off
	s_waitcnt vmcnt(0)
	v_lshrrev_b32_e32 v1, 16, v3
	v_lshrrev_b32_e32 v34, 16, v2
	;; [unrolled: 1-line block ×3, first 2 shown]
	s_and_saveexec_b64 s[14:15], s[2:3]
	s_cbranch_execz .LBB98_69
; %bb.68:                               ;   in Loop: Header=BB98_50 Depth=1
	v_cmp_gt_i32_e32 vcc, s21, v48
	s_nop 1
	v_cndmask_b32_e32 v2, 0, v2, vcc
	v_cmp_gt_i32_e32 vcc, s21, v50
	s_nop 1
	v_cndmask_b32_e32 v3, 0, v3, vcc
	;; [unrolled: 3-line block ×6, first 2 shown]
	v_cmp_gt_i32_e32 vcc, s21, v46
	s_nop 1
	v_cndmask_b32_sdwa v72, v23, v5, vcc dst_sel:DWORD dst_unused:UNUSED_PAD src0_sel:DWORD src1_sel:WORD_0
	v_and_b32_e32 v5, 0xffff0000, v5
	v_cmp_gt_i32_e32 vcc, s21, v27
	s_nop 1
	v_cndmask_b32_e32 v5, 0, v5, vcc
	v_or_b32_e32 v5, v72, v5
.LBB98_69:                              ;   in Loop: Header=BB98_50 Depth=1
	s_or_b64 exec, exec, s[14:15]
	v_lshlrev_b32_e32 v34, 16, v34
	v_lshlrev_b32_e32 v1, 16, v1
	v_and_or_b32 v2, v2, s26, v34
	v_and_or_b32 v1, v3, s26, v1
	v_lshlrev_b32_e32 v3, 16, v69
	v_and_or_b32 v3, v4, s26, v3
	;;#ASMSTART
	v_pk_mul_f16 v2, v43, v2;

	;;#ASMEND
	;;#ASMSTART
	v_pk_mul_f16 v1, v44, v1;

	;;#ASMEND
	;; [unrolled: 4-line block ×4, first 2 shown]
	s_nop 0
	;;#ASMSTART
	v_pk_add_f16 v1, v2, v1;

	;;#ASMEND
	s_nop 0
	;;#ASMSTART
	v_pk_add_f16 v1, v1, v3;

	;;#ASMEND
	s_nop 0
	;;#ASMSTART
	v_pk_add_f16 v1, v1, v4;

	;;#ASMEND
	s_nop 0
	v_lshrrev_b32_e32 v2, 16, v1
	v_and_b32_e32 v1, 0xffff, v1
	;;#ASMSTART
	v_cvt_f32_f16 v69, v1;
	;;#ASMEND
	;;#ASMSTART
	v_cvt_f32_f16 v72, v2;
	;;#ASMEND
	global_load_dwordx4 v[2:5], v[32:33], off offset:1024
	s_waitcnt vmcnt(0)
	v_lshrrev_b32_e32 v1, 16, v3
	v_lshrrev_b32_e32 v34, 16, v2
	;; [unrolled: 1-line block ×3, first 2 shown]
	s_and_saveexec_b64 s[14:15], s[2:3]
	s_cbranch_execz .LBB98_71
; %bb.70:                               ;   in Loop: Header=BB98_50 Depth=1
	v_cmp_gt_i32_e32 vcc, s21, v48
	s_nop 1
	v_cndmask_b32_e32 v2, 0, v2, vcc
	v_cmp_gt_i32_e32 vcc, s21, v50
	s_nop 1
	v_cndmask_b32_e32 v3, 0, v3, vcc
	;; [unrolled: 3-line block ×6, first 2 shown]
	v_cmp_gt_i32_e32 vcc, s21, v46
	s_nop 1
	v_cndmask_b32_sdwa v74, v23, v5, vcc dst_sel:DWORD dst_unused:UNUSED_PAD src0_sel:DWORD src1_sel:WORD_0
	v_and_b32_e32 v5, 0xffff0000, v5
	v_cmp_gt_i32_e32 vcc, s21, v27
	s_nop 1
	v_cndmask_b32_e32 v5, 0, v5, vcc
	v_or_b32_e32 v5, v74, v5
.LBB98_71:                              ;   in Loop: Header=BB98_50 Depth=1
	s_or_b64 exec, exec, s[14:15]
	v_lshlrev_b32_e32 v34, 16, v34
	v_lshlrev_b32_e32 v1, 16, v1
	v_and_or_b32 v2, v2, s26, v34
	v_and_or_b32 v1, v3, s26, v1
	v_lshlrev_b32_e32 v3, 16, v73
	v_and_or_b32 v3, v4, s26, v3
	;;#ASMSTART
	v_pk_mul_f16 v2, v43, v2;

	;;#ASMEND
	;;#ASMSTART
	v_pk_mul_f16 v1, v44, v1;

	;;#ASMEND
	;; [unrolled: 4-line block ×4, first 2 shown]
	s_nop 0
	;;#ASMSTART
	v_pk_add_f16 v1, v2, v1;

	;;#ASMEND
	s_nop 0
	;;#ASMSTART
	v_pk_add_f16 v1, v1, v3;

	;;#ASMEND
	;; [unrolled: 5-line block ×3, first 2 shown]
	s_nop 0
	v_lshrrev_b32_e32 v2, 16, v1
	v_and_b32_e32 v1, 0xffff, v1
	;;#ASMSTART
	v_cvt_f32_f16 v73, v1;
	;;#ASMEND
	;;#ASMSTART
	v_cvt_f32_f16 v74, v2;
	;;#ASMEND
	global_load_dwordx4 v[2:5], v[32:33], off offset:2048
	s_waitcnt vmcnt(0)
	v_lshrrev_b32_e32 v1, 16, v3
	v_lshrrev_b32_e32 v34, 16, v2
	;; [unrolled: 1-line block ×3, first 2 shown]
	s_and_saveexec_b64 s[14:15], s[2:3]
	s_cbranch_execz .LBB98_73
; %bb.72:                               ;   in Loop: Header=BB98_50 Depth=1
	v_cmp_gt_i32_e32 vcc, s21, v48
	s_nop 1
	v_cndmask_b32_e32 v2, 0, v2, vcc
	v_cmp_gt_i32_e32 vcc, s21, v50
	s_nop 1
	v_cndmask_b32_e32 v3, 0, v3, vcc
	;; [unrolled: 3-line block ×6, first 2 shown]
	v_cmp_gt_i32_e32 vcc, s21, v46
	s_nop 1
	v_cndmask_b32_sdwa v76, v23, v5, vcc dst_sel:DWORD dst_unused:UNUSED_PAD src0_sel:DWORD src1_sel:WORD_0
	v_and_b32_e32 v5, 0xffff0000, v5
	v_cmp_gt_i32_e32 vcc, s21, v27
	s_nop 1
	v_cndmask_b32_e32 v5, 0, v5, vcc
	v_or_b32_e32 v5, v76, v5
.LBB98_73:                              ;   in Loop: Header=BB98_50 Depth=1
	s_or_b64 exec, exec, s[14:15]
	v_lshlrev_b32_e32 v34, 16, v34
	v_lshlrev_b32_e32 v1, 16, v1
	v_and_or_b32 v2, v2, s26, v34
	v_and_or_b32 v1, v3, s26, v1
	v_lshlrev_b32_e32 v3, 16, v75
	v_and_or_b32 v3, v4, s26, v3
	;;#ASMSTART
	v_pk_mul_f16 v2, v43, v2;

	;;#ASMEND
	;;#ASMSTART
	v_pk_mul_f16 v1, v44, v1;

	;;#ASMEND
	;; [unrolled: 4-line block ×4, first 2 shown]
	s_nop 0
	;;#ASMSTART
	v_pk_add_f16 v1, v2, v1;

	;;#ASMEND
	s_nop 0
	;;#ASMSTART
	v_pk_add_f16 v1, v1, v3;

	;;#ASMEND
	;; [unrolled: 5-line block ×3, first 2 shown]
	s_nop 0
	v_lshrrev_b32_e32 v2, 16, v1
	v_and_b32_e32 v1, 0xffff, v1
	;;#ASMSTART
	v_cvt_f32_f16 v34, v1;
	;;#ASMEND
	;;#ASMSTART
	v_cvt_f32_f16 v75, v2;
	;;#ASMEND
	global_load_dwordx4 v[2:5], v[32:33], off offset:3072
	s_waitcnt vmcnt(0)
	v_lshrrev_b32_e32 v1, 16, v3
	v_lshrrev_b32_e32 v32, 16, v2
	;; [unrolled: 1-line block ×3, first 2 shown]
	s_and_saveexec_b64 s[14:15], s[2:3]
	s_cbranch_execz .LBB98_75
; %bb.74:                               ;   in Loop: Header=BB98_50 Depth=1
	v_cmp_gt_i32_e32 vcc, s21, v48
	s_nop 1
	v_cndmask_b32_e32 v2, 0, v2, vcc
	v_cmp_gt_i32_e32 vcc, s21, v50
	s_nop 1
	v_cndmask_b32_e32 v3, 0, v3, vcc
	;; [unrolled: 3-line block ×6, first 2 shown]
	v_cmp_gt_i32_e32 vcc, s21, v46
	s_nop 1
	v_cndmask_b32_sdwa v76, v23, v5, vcc dst_sel:DWORD dst_unused:UNUSED_PAD src0_sel:DWORD src1_sel:WORD_0
	v_and_b32_e32 v5, 0xffff0000, v5
	v_cmp_gt_i32_e32 vcc, s21, v27
	s_nop 1
	v_cndmask_b32_e32 v5, 0, v5, vcc
	v_or_b32_e32 v5, v76, v5
.LBB98_75:                              ;   in Loop: Header=BB98_50 Depth=1
	s_or_b64 exec, exec, s[14:15]
	v_lshlrev_b32_e32 v32, 16, v32
	v_lshlrev_b32_e32 v1, 16, v1
	v_and_or_b32 v2, v2, s26, v32
	v_and_or_b32 v1, v3, s26, v1
	v_lshlrev_b32_e32 v3, 16, v33
	v_and_or_b32 v3, v4, s26, v3
	;;#ASMSTART
	v_pk_mul_f16 v2, v43, v2;

	;;#ASMEND
	;;#ASMSTART
	v_pk_mul_f16 v1, v44, v1;

	;;#ASMEND
	;; [unrolled: 4-line block ×4, first 2 shown]
	v_add_co_u32_e32 v30, vcc, s29, v30
	;;#ASMSTART
	v_pk_add_f16 v1, v2, v1;

	;;#ASMEND
	s_nop 0
	;;#ASMSTART
	v_pk_add_f16 v1, v1, v3;

	;;#ASMEND
	s_nop 0
	v_addc_co_u32_e32 v31, vcc, 0, v31, vcc
	;;#ASMSTART
	v_pk_add_f16 v1, v1, v4;

	;;#ASMEND
	s_nop 0
	v_lshrrev_b32_e32 v2, 16, v1
	v_and_b32_e32 v1, 0xffff, v1
	;;#ASMSTART
	v_cvt_f32_f16 v33, v1;
	;;#ASMEND
	;;#ASMSTART
	v_cvt_f32_f16 v76, v2;
	;;#ASMEND
	global_load_dwordx4 v[2:5], v[30:31], off
	s_waitcnt vmcnt(0)
	v_lshrrev_b32_e32 v1, 16, v3
	v_lshrrev_b32_e32 v32, 16, v2
	;; [unrolled: 1-line block ×3, first 2 shown]
	s_and_saveexec_b64 s[14:15], s[2:3]
	s_cbranch_execz .LBB98_77
; %bb.76:                               ;   in Loop: Header=BB98_50 Depth=1
	v_cmp_gt_i32_e32 vcc, s21, v48
	s_nop 1
	v_cndmask_b32_e32 v2, 0, v2, vcc
	v_cmp_gt_i32_e32 vcc, s21, v50
	s_nop 1
	v_cndmask_b32_e32 v3, 0, v3, vcc
	;; [unrolled: 3-line block ×6, first 2 shown]
	v_cmp_gt_i32_e32 vcc, s21, v46
	s_nop 1
	v_cndmask_b32_sdwa v78, v23, v5, vcc dst_sel:DWORD dst_unused:UNUSED_PAD src0_sel:DWORD src1_sel:WORD_0
	v_and_b32_e32 v5, 0xffff0000, v5
	v_cmp_gt_i32_e32 vcc, s21, v27
	s_nop 1
	v_cndmask_b32_e32 v5, 0, v5, vcc
	v_or_b32_e32 v5, v78, v5
.LBB98_77:                              ;   in Loop: Header=BB98_50 Depth=1
	s_or_b64 exec, exec, s[14:15]
	v_lshlrev_b32_e32 v32, 16, v32
	v_lshlrev_b32_e32 v1, 16, v1
	v_and_or_b32 v2, v2, s26, v32
	v_and_or_b32 v1, v3, s26, v1
	v_lshlrev_b32_e32 v3, 16, v77
	v_and_or_b32 v3, v4, s26, v3
	;;#ASMSTART
	v_pk_mul_f16 v2, v43, v2;

	;;#ASMEND
	;;#ASMSTART
	v_pk_mul_f16 v1, v44, v1;

	;;#ASMEND
	;; [unrolled: 4-line block ×4, first 2 shown]
	s_nop 0
	;;#ASMSTART
	v_pk_add_f16 v1, v2, v1;

	;;#ASMEND
	s_nop 0
	;;#ASMSTART
	v_pk_add_f16 v1, v1, v3;

	;;#ASMEND
	;; [unrolled: 5-line block ×3, first 2 shown]
	s_nop 0
	v_lshrrev_b32_e32 v2, 16, v1
	v_and_b32_e32 v1, 0xffff, v1
	;;#ASMSTART
	v_cvt_f32_f16 v77, v1;
	;;#ASMEND
	;;#ASMSTART
	v_cvt_f32_f16 v78, v2;
	;;#ASMEND
	global_load_dwordx4 v[2:5], v[30:31], off offset:1024
	s_waitcnt vmcnt(0)
	v_lshrrev_b32_e32 v1, 16, v3
	v_lshrrev_b32_e32 v32, 16, v2
	;; [unrolled: 1-line block ×3, first 2 shown]
	s_and_saveexec_b64 s[14:15], s[2:3]
	s_cbranch_execz .LBB98_79
; %bb.78:                               ;   in Loop: Header=BB98_50 Depth=1
	v_cmp_gt_i32_e32 vcc, s21, v48
	s_nop 1
	v_cndmask_b32_e32 v2, 0, v2, vcc
	v_cmp_gt_i32_e32 vcc, s21, v50
	s_nop 1
	v_cndmask_b32_e32 v3, 0, v3, vcc
	;; [unrolled: 3-line block ×6, first 2 shown]
	v_cmp_gt_i32_e32 vcc, s21, v46
	s_nop 1
	v_cndmask_b32_sdwa v80, v23, v5, vcc dst_sel:DWORD dst_unused:UNUSED_PAD src0_sel:DWORD src1_sel:WORD_0
	v_and_b32_e32 v5, 0xffff0000, v5
	v_cmp_gt_i32_e32 vcc, s21, v27
	s_nop 1
	v_cndmask_b32_e32 v5, 0, v5, vcc
	v_or_b32_e32 v5, v80, v5
.LBB98_79:                              ;   in Loop: Header=BB98_50 Depth=1
	s_or_b64 exec, exec, s[14:15]
	v_lshlrev_b32_e32 v32, 16, v32
	v_lshlrev_b32_e32 v1, 16, v1
	v_and_or_b32 v2, v2, s26, v32
	v_and_or_b32 v1, v3, s26, v1
	v_lshlrev_b32_e32 v3, 16, v79
	v_and_or_b32 v3, v4, s26, v3
	;;#ASMSTART
	v_pk_mul_f16 v2, v43, v2;

	;;#ASMEND
	;;#ASMSTART
	v_pk_mul_f16 v1, v44, v1;

	;;#ASMEND
	;; [unrolled: 4-line block ×4, first 2 shown]
	s_nop 0
	;;#ASMSTART
	v_pk_add_f16 v1, v2, v1;

	;;#ASMEND
	s_nop 0
	;;#ASMSTART
	v_pk_add_f16 v1, v1, v3;

	;;#ASMEND
	;; [unrolled: 5-line block ×3, first 2 shown]
	s_nop 0
	v_lshrrev_b32_e32 v2, 16, v1
	v_and_b32_e32 v1, 0xffff, v1
	;;#ASMSTART
	v_cvt_f32_f16 v32, v1;
	;;#ASMEND
	;;#ASMSTART
	v_cvt_f32_f16 v79, v2;
	;;#ASMEND
	global_load_dwordx4 v[2:5], v[30:31], off offset:2048
	s_waitcnt vmcnt(0)
	v_lshrrev_b32_e32 v1, 16, v3
	v_lshrrev_b32_e32 v30, 16, v2
	;; [unrolled: 1-line block ×3, first 2 shown]
	s_and_saveexec_b64 s[14:15], s[2:3]
	s_cbranch_execz .LBB98_81
; %bb.80:                               ;   in Loop: Header=BB98_50 Depth=1
	v_cmp_gt_i32_e32 vcc, s21, v48
	s_nop 1
	v_cndmask_b32_e32 v2, 0, v2, vcc
	v_cmp_gt_i32_e32 vcc, s21, v50
	s_nop 1
	v_cndmask_b32_e32 v3, 0, v3, vcc
	v_cmp_gt_i32_e32 vcc, s34, v51
	s_nop 1
	v_cndmask_b32_e32 v1, 0, v1, vcc
	v_cmp_gt_i32_e32 vcc, s21, v52
	s_nop 1
	v_cndmask_b32_e32 v30, 0, v30, vcc
	v_cmp_gt_i32_e32 vcc, s21, v49
	s_nop 1
	v_cndmask_b32_e32 v4, 0, v4, vcc
	v_cmp_gt_i32_e32 vcc, s21, v47
	s_nop 1
	v_cndmask_b32_e32 v31, 0, v31, vcc
	v_cmp_gt_i32_e32 vcc, s21, v46
	s_nop 1
	v_cndmask_b32_sdwa v80, v23, v5, vcc dst_sel:DWORD dst_unused:UNUSED_PAD src0_sel:DWORD src1_sel:WORD_0
	v_and_b32_e32 v5, 0xffff0000, v5
	v_cmp_gt_i32_e32 vcc, s21, v27
	s_nop 1
	v_cndmask_b32_e32 v5, 0, v5, vcc
	v_or_b32_e32 v5, v80, v5
.LBB98_81:                              ;   in Loop: Header=BB98_50 Depth=1
	s_or_b64 exec, exec, s[14:15]
	v_lshlrev_b32_e32 v30, 16, v30
	v_lshlrev_b32_e32 v1, 16, v1
	v_and_or_b32 v2, v2, s26, v30
	v_and_or_b32 v1, v3, s26, v1
	v_lshlrev_b32_e32 v3, 16, v31
	v_and_or_b32 v3, v4, s26, v3
	;;#ASMSTART
	v_pk_mul_f16 v2, v43, v2;

	;;#ASMEND
	;;#ASMSTART
	v_pk_mul_f16 v1, v44, v1;

	;;#ASMEND
	;; [unrolled: 4-line block ×4, first 2 shown]
	s_nop 0
	;;#ASMSTART
	v_pk_add_f16 v1, v2, v1;

	;;#ASMEND
	s_nop 0
	;;#ASMSTART
	v_pk_add_f16 v1, v1, v3;

	;;#ASMEND
	;; [unrolled: 5-line block ×3, first 2 shown]
	s_nop 0
	v_lshrrev_b32_e32 v2, 16, v1
	v_and_b32_e32 v1, 0xffff, v1
	;;#ASMSTART
	v_cvt_f32_f16 v30, v1;
	;;#ASMEND
	;;#ASMSTART
	v_cvt_f32_f16 v31, v2;
	;;#ASMEND
	v_lshl_add_u64 v[2:3], v[28:29], 0, v[22:23]
	global_load_dwordx4 v[2:5], v[2:3], off
	s_waitcnt vmcnt(0)
	v_lshrrev_b32_e32 v1, 16, v3
	v_lshrrev_b32_e32 v28, 16, v2
	;; [unrolled: 1-line block ×3, first 2 shown]
	s_and_saveexec_b64 s[14:15], s[2:3]
	s_cbranch_execz .LBB98_48
; %bb.82:                               ;   in Loop: Header=BB98_50 Depth=1
	v_cmp_gt_i32_e32 vcc, s21, v48
	s_nop 1
	v_cndmask_b32_e32 v2, 0, v2, vcc
	v_cmp_gt_i32_e32 vcc, s21, v50
	s_nop 1
	v_cndmask_b32_e32 v3, 0, v3, vcc
	;; [unrolled: 3-line block ×6, first 2 shown]
	v_cmp_gt_i32_e32 vcc, s21, v46
	s_nop 1
	v_cndmask_b32_sdwa v46, v23, v5, vcc dst_sel:DWORD dst_unused:UNUSED_PAD src0_sel:DWORD src1_sel:WORD_0
	v_and_b32_e32 v5, 0xffff0000, v5
	v_cmp_gt_i32_e32 vcc, s21, v27
	s_nop 1
	v_cndmask_b32_e32 v5, 0, v5, vcc
	v_or_b32_e32 v5, v46, v5
	s_branch .LBB98_48
.LBB98_83:
	s_or_b64 exec, exec, s[12:13]
.LBB98_84:
	s_or_b64 exec, exec, s[6:7]
	ds_bpermute_b32 v4, v36, v18
	ds_bpermute_b32 v5, v36, v19
	;; [unrolled: 1-line block ×6, first 2 shown]
	s_waitcnt lgkmcnt(4)
	v_pk_add_f32 v[4:5], v[18:19], v[4:5]
	ds_bpermute_b32 v18, v37, v4
	ds_bpermute_b32 v19, v37, v5
	s_waitcnt lgkmcnt(4)
	v_pk_add_f32 v[2:3], v[20:21], v[2:3]
	ds_bpermute_b32 v20, v37, v2
	ds_bpermute_b32 v21, v37, v3
	s_waitcnt lgkmcnt(4)
	v_pk_add_f32 v[16:17], v[16:17], v[22:23]
	s_waitcnt lgkmcnt(2)
	v_pk_add_f32 v[4:5], v[4:5], v[18:19]
	ds_bpermute_b32 v18, v36, v12
	ds_bpermute_b32 v19, v36, v13
	;; [unrolled: 1-line block ×6, first 2 shown]
	s_waitcnt lgkmcnt(4)
	v_pk_add_f32 v[12:13], v[12:13], v[18:19]
	ds_bpermute_b32 v18, v36, v10
	ds_bpermute_b32 v19, v36, v11
	v_pk_add_f32 v[2:3], v[2:3], v[20:21]
	ds_bpermute_b32 v20, v37, v16
	ds_bpermute_b32 v21, v37, v17
	;; [unrolled: 1-line block ×3, first 2 shown]
	s_waitcnt lgkmcnt(3)
	v_pk_add_f32 v[10:11], v[10:11], v[18:19]
	ds_bpermute_b32 v27, v36, v7
	ds_bpermute_b32 v18, v37, v10
	;; [unrolled: 1-line block ×3, first 2 shown]
	v_pk_add_f32 v[14:15], v[14:15], v[22:23]
	v_pk_add_f32 v[8:9], v[8:9], v[24:25]
	s_waitcnt lgkmcnt(4)
	v_pk_add_f32 v[16:17], v[16:17], v[20:21]
	ds_bpermute_b32 v20, v37, v14
	ds_bpermute_b32 v21, v37, v15
	;; [unrolled: 1-line block ×6, first 2 shown]
	s_waitcnt lgkmcnt(8)
	v_pk_add_f32 v[6:7], v[6:7], v[26:27]
	s_waitcnt lgkmcnt(6)
	v_pk_add_f32 v[10:11], v[10:11], v[18:19]
	ds_bpermute_b32 v18, v37, v6
	ds_bpermute_b32 v19, v37, v7
	v_and_b32_e32 v1, 0x3c3, v0
	s_waitcnt lgkmcnt(6)
	v_pk_add_f32 v[14:15], v[14:15], v[20:21]
	s_waitcnt lgkmcnt(4)
	v_pk_add_f32 v[12:13], v[12:13], v[22:23]
	;; [unrolled: 2-line block ×3, first 2 shown]
	v_cmp_ne_u32_e32 vcc, 64, v1
	s_waitcnt lgkmcnt(0)
	s_barrier
	s_and_saveexec_b64 s[0:1], vcc
	s_xor_b64 s[0:1], exec, s[0:1]
; %bb.85:
                                        ; implicit-def: $vgpr35
; %bb.86:
	s_or_saveexec_b64 s[0:1], s[0:1]
	v_pk_add_f32 v[6:7], v[6:7], v[18:19]
	s_xor_b64 exec, exec, s[0:1]
	s_cbranch_execz .LBB98_88
; %bb.87:
	v_add_u32_e32 v18, 0x210, v35
	ds_write2_b32 v18, v2, v3 offset1:16
	ds_write2_b32 v18, v4, v5 offset0:32 offset1:48
	ds_write2_b32 v18, v16, v17 offset0:64 offset1:80
	;; [unrolled: 1-line block ×7, first 2 shown]
.LBB98_88:
	s_or_b64 exec, exec, s[0:1]
	v_lshrrev_b32_e32 v0, 2, v0
	s_waitcnt lgkmcnt(0)
	s_barrier
	s_and_saveexec_b64 s[0:1], s[8:9]
	s_cbranch_execz .LBB98_107
; %bb.89:
	v_mov_b32_e32 v18, 0x210
	v_cmp_eq_u32_e32 vcc, 0, v38
	v_lshl_add_u32 v18, v0, 2, v18
	s_and_saveexec_b64 s[2:3], vcc
	s_cbranch_execnz .LBB98_110
; %bb.90:
	s_or_b64 exec, exec, s[2:3]
	s_and_saveexec_b64 s[2:3], vcc
	s_cbranch_execnz .LBB98_111
.LBB98_91:
	s_or_b64 exec, exec, s[2:3]
	s_and_saveexec_b64 s[2:3], vcc
	s_cbranch_execnz .LBB98_112
.LBB98_92:
	s_or_b64 exec, exec, s[2:3]
	s_and_saveexec_b64 s[2:3], vcc
	s_cbranch_execnz .LBB98_113
.LBB98_93:
	s_or_b64 exec, exec, s[2:3]
	s_and_saveexec_b64 s[2:3], vcc
	s_cbranch_execnz .LBB98_114
.LBB98_94:
	s_or_b64 exec, exec, s[2:3]
	s_and_saveexec_b64 s[2:3], vcc
	s_cbranch_execnz .LBB98_115
.LBB98_95:
	s_or_b64 exec, exec, s[2:3]
	s_and_saveexec_b64 s[2:3], vcc
	s_cbranch_execnz .LBB98_116
.LBB98_96:
	s_or_b64 exec, exec, s[2:3]
	s_and_saveexec_b64 s[2:3], vcc
	s_cbranch_execnz .LBB98_117
.LBB98_97:
	s_or_b64 exec, exec, s[2:3]
	s_and_saveexec_b64 s[2:3], vcc
	s_cbranch_execnz .LBB98_118
.LBB98_98:
	s_or_b64 exec, exec, s[2:3]
	s_and_saveexec_b64 s[2:3], vcc
	s_cbranch_execnz .LBB98_119
.LBB98_99:
	s_or_b64 exec, exec, s[2:3]
	s_and_saveexec_b64 s[2:3], vcc
	s_cbranch_execnz .LBB98_120
.LBB98_100:
	s_or_b64 exec, exec, s[2:3]
	s_and_saveexec_b64 s[2:3], vcc
	s_cbranch_execnz .LBB98_121
.LBB98_101:
	s_or_b64 exec, exec, s[2:3]
	s_and_saveexec_b64 s[2:3], vcc
	s_cbranch_execnz .LBB98_122
.LBB98_102:
	s_or_b64 exec, exec, s[2:3]
	s_and_saveexec_b64 s[2:3], vcc
	s_cbranch_execnz .LBB98_123
.LBB98_103:
	s_or_b64 exec, exec, s[2:3]
	s_and_saveexec_b64 s[2:3], vcc
	s_cbranch_execnz .LBB98_124
.LBB98_104:
	s_or_b64 exec, exec, s[2:3]
	s_and_saveexec_b64 s[2:3], vcc
	s_cbranch_execz .LBB98_106
.LBB98_105:
	ds_read_b32 v18, v18 offset:960
	s_waitcnt lgkmcnt(0)
	v_add_f32_e32 v7, v7, v18
.LBB98_106:
	s_or_b64 exec, exec, s[2:3]
.LBB98_107:
	s_or_b64 exec, exec, s[0:1]
	v_cmp_eq_u32_e32 vcc, 0, v1
	s_barrier
	s_and_saveexec_b64 s[0:1], vcc
	s_cbranch_execz .LBB98_109
; %bb.108:
	s_mul_i32 s0, s20, s16
	s_mul_i32 s0, s0, s5
	s_lshl_b32 s0, s0, 8
	s_ashr_i32 s1, s0, 31
	s_lshl_b64 s[0:1], s[0:1], 1
	s_add_u32 s2, s24, s0
	s_mul_i32 s0, s16, s22
	s_addc_u32 s3, s25, s1
	s_ashr_i32 s1, s0, 31
	s_lshl_b64 s[0:1], s[0:1], 1
	s_add_u32 s2, s2, s0
	s_addc_u32 s3, s3, s1
	s_lshl_b32 s0, s4, 8
	s_ashr_i32 s1, s0, 31
	s_lshl_b64 s[0:1], s[0:1], 1
	s_add_u32 s0, s2, s0
	s_addc_u32 s1, s3, s1
	v_lshlrev_b32_e32 v0, 1, v0
	;;#ASMSTART
	v_cvt_f16_f32 v1, v2;

	;;#ASMEND
	global_store_short v0, v1, s[0:1]
	;;#ASMSTART
	v_cvt_f16_f32 v1, v3;

	;;#ASMEND
	global_store_short v0, v1, s[0:1] offset:32
	;;#ASMSTART
	v_cvt_f16_f32 v1, v4;

	;;#ASMEND
	global_store_short v0, v1, s[0:1] offset:64
	;; [unrolled: 5-line block ×15, first 2 shown]
.LBB98_109:
	s_endpgm
.LBB98_110:
	ds_read_b32 v19, v18
	s_waitcnt lgkmcnt(0)
	v_add_f32_e32 v2, v2, v19
	s_or_b64 exec, exec, s[2:3]
	s_and_saveexec_b64 s[2:3], vcc
	s_cbranch_execz .LBB98_91
.LBB98_111:
	ds_read_b32 v19, v18 offset:64
	s_waitcnt lgkmcnt(0)
	v_add_f32_e32 v3, v3, v19
	s_or_b64 exec, exec, s[2:3]
	s_and_saveexec_b64 s[2:3], vcc
	s_cbranch_execz .LBB98_92
.LBB98_112:
	ds_read_b32 v19, v18 offset:128
	s_waitcnt lgkmcnt(0)
	v_add_f32_e32 v4, v4, v19
	s_or_b64 exec, exec, s[2:3]
	s_and_saveexec_b64 s[2:3], vcc
	s_cbranch_execz .LBB98_93
.LBB98_113:
	ds_read_b32 v19, v18 offset:192
	s_waitcnt lgkmcnt(0)
	v_add_f32_e32 v5, v5, v19
	s_or_b64 exec, exec, s[2:3]
	s_and_saveexec_b64 s[2:3], vcc
	s_cbranch_execz .LBB98_94
.LBB98_114:
	ds_read_b32 v19, v18 offset:256
	s_waitcnt lgkmcnt(0)
	v_add_f32_e32 v16, v16, v19
	s_or_b64 exec, exec, s[2:3]
	s_and_saveexec_b64 s[2:3], vcc
	s_cbranch_execz .LBB98_95
.LBB98_115:
	ds_read_b32 v19, v18 offset:320
	s_waitcnt lgkmcnt(0)
	v_add_f32_e32 v17, v17, v19
	s_or_b64 exec, exec, s[2:3]
	s_and_saveexec_b64 s[2:3], vcc
	s_cbranch_execz .LBB98_96
.LBB98_116:
	ds_read_b32 v19, v18 offset:384
	s_waitcnt lgkmcnt(0)
	v_add_f32_e32 v14, v14, v19
	s_or_b64 exec, exec, s[2:3]
	s_and_saveexec_b64 s[2:3], vcc
	s_cbranch_execz .LBB98_97
.LBB98_117:
	ds_read_b32 v19, v18 offset:448
	s_waitcnt lgkmcnt(0)
	v_add_f32_e32 v15, v15, v19
	s_or_b64 exec, exec, s[2:3]
	s_and_saveexec_b64 s[2:3], vcc
	s_cbranch_execz .LBB98_98
.LBB98_118:
	ds_read_b32 v19, v18 offset:512
	s_waitcnt lgkmcnt(0)
	v_add_f32_e32 v12, v12, v19
	s_or_b64 exec, exec, s[2:3]
	s_and_saveexec_b64 s[2:3], vcc
	s_cbranch_execz .LBB98_99
.LBB98_119:
	ds_read_b32 v19, v18 offset:576
	s_waitcnt lgkmcnt(0)
	v_add_f32_e32 v13, v13, v19
	s_or_b64 exec, exec, s[2:3]
	s_and_saveexec_b64 s[2:3], vcc
	s_cbranch_execz .LBB98_100
.LBB98_120:
	ds_read_b32 v19, v18 offset:640
	s_waitcnt lgkmcnt(0)
	v_add_f32_e32 v10, v10, v19
	s_or_b64 exec, exec, s[2:3]
	s_and_saveexec_b64 s[2:3], vcc
	s_cbranch_execz .LBB98_101
.LBB98_121:
	ds_read_b32 v19, v18 offset:704
	s_waitcnt lgkmcnt(0)
	v_add_f32_e32 v11, v11, v19
	s_or_b64 exec, exec, s[2:3]
	s_and_saveexec_b64 s[2:3], vcc
	s_cbranch_execz .LBB98_102
.LBB98_122:
	ds_read_b32 v19, v18 offset:768
	s_waitcnt lgkmcnt(0)
	v_add_f32_e32 v8, v8, v19
	s_or_b64 exec, exec, s[2:3]
	s_and_saveexec_b64 s[2:3], vcc
	s_cbranch_execz .LBB98_103
.LBB98_123:
	ds_read_b32 v19, v18 offset:832
	s_waitcnt lgkmcnt(0)
	v_add_f32_e32 v9, v9, v19
	s_or_b64 exec, exec, s[2:3]
	s_and_saveexec_b64 s[2:3], vcc
	s_cbranch_execz .LBB98_104
.LBB98_124:
	ds_read_b32 v19, v18 offset:896
	s_waitcnt lgkmcnt(0)
	v_add_f32_e32 v6, v6, v19
	s_or_b64 exec, exec, s[2:3]
	s_and_saveexec_b64 s[2:3], vcc
	s_cbranch_execnz .LBB98_105
	s_branch .LBB98_106
	.section	.rodata,"a",@progbits
	.p2align	6, 0x0
	.amdhsa_kernel _ZN4vllm25paged_attention_v1_kernelIttLi256ELi32ELi128ELNS_18Fp8KVCacheDataTypeE0ELb1EEEvPT_PKS2_PKT0_S8_ifPKiSA_iPKfiiiSC_SC_iiiii
		.amdhsa_group_segment_fixed_size 528
		.amdhsa_private_segment_fixed_size 0
		.amdhsa_kernarg_size 384
		.amdhsa_user_sgpr_count 2
		.amdhsa_user_sgpr_dispatch_ptr 0
		.amdhsa_user_sgpr_queue_ptr 0
		.amdhsa_user_sgpr_kernarg_segment_ptr 1
		.amdhsa_user_sgpr_dispatch_id 0
		.amdhsa_user_sgpr_kernarg_preload_length 0
		.amdhsa_user_sgpr_kernarg_preload_offset 0
		.amdhsa_user_sgpr_private_segment_size 0
		.amdhsa_uses_dynamic_stack 0
		.amdhsa_enable_private_segment 0
		.amdhsa_system_sgpr_workgroup_id_x 1
		.amdhsa_system_sgpr_workgroup_id_y 1
		.amdhsa_system_sgpr_workgroup_id_z 1
		.amdhsa_system_sgpr_workgroup_info 0
		.amdhsa_system_vgpr_workitem_id 0
		.amdhsa_next_free_vgpr 112
		.amdhsa_next_free_sgpr 49
		.amdhsa_accum_offset 112
		.amdhsa_reserve_vcc 1
		.amdhsa_float_round_mode_32 0
		.amdhsa_float_round_mode_16_64 0
		.amdhsa_float_denorm_mode_32 3
		.amdhsa_float_denorm_mode_16_64 3
		.amdhsa_dx10_clamp 1
		.amdhsa_ieee_mode 1
		.amdhsa_fp16_overflow 0
		.amdhsa_tg_split 0
		.amdhsa_exception_fp_ieee_invalid_op 0
		.amdhsa_exception_fp_denorm_src 0
		.amdhsa_exception_fp_ieee_div_zero 0
		.amdhsa_exception_fp_ieee_overflow 0
		.amdhsa_exception_fp_ieee_underflow 0
		.amdhsa_exception_fp_ieee_inexact 0
		.amdhsa_exception_int_div_zero 0
	.end_amdhsa_kernel
	.section	.text._ZN4vllm25paged_attention_v1_kernelIttLi256ELi32ELi128ELNS_18Fp8KVCacheDataTypeE0ELb1EEEvPT_PKS2_PKT0_S8_ifPKiSA_iPKfiiiSC_SC_iiiii,"axG",@progbits,_ZN4vllm25paged_attention_v1_kernelIttLi256ELi32ELi128ELNS_18Fp8KVCacheDataTypeE0ELb1EEEvPT_PKS2_PKT0_S8_ifPKiSA_iPKfiiiSC_SC_iiiii,comdat
.Lfunc_end98:
	.size	_ZN4vllm25paged_attention_v1_kernelIttLi256ELi32ELi128ELNS_18Fp8KVCacheDataTypeE0ELb1EEEvPT_PKS2_PKT0_S8_ifPKiSA_iPKfiiiSC_SC_iiiii, .Lfunc_end98-_ZN4vllm25paged_attention_v1_kernelIttLi256ELi32ELi128ELNS_18Fp8KVCacheDataTypeE0ELb1EEEvPT_PKS2_PKT0_S8_ifPKiSA_iPKfiiiSC_SC_iiiii
                                        ; -- End function
	.set _ZN4vllm25paged_attention_v1_kernelIttLi256ELi32ELi128ELNS_18Fp8KVCacheDataTypeE0ELb1EEEvPT_PKS2_PKT0_S8_ifPKiSA_iPKfiiiSC_SC_iiiii.num_vgpr, 112
	.set _ZN4vllm25paged_attention_v1_kernelIttLi256ELi32ELi128ELNS_18Fp8KVCacheDataTypeE0ELb1EEEvPT_PKS2_PKT0_S8_ifPKiSA_iPKfiiiSC_SC_iiiii.num_agpr, 0
	.set _ZN4vllm25paged_attention_v1_kernelIttLi256ELi32ELi128ELNS_18Fp8KVCacheDataTypeE0ELb1EEEvPT_PKS2_PKT0_S8_ifPKiSA_iPKfiiiSC_SC_iiiii.numbered_sgpr, 49
	.set _ZN4vllm25paged_attention_v1_kernelIttLi256ELi32ELi128ELNS_18Fp8KVCacheDataTypeE0ELb1EEEvPT_PKS2_PKT0_S8_ifPKiSA_iPKfiiiSC_SC_iiiii.num_named_barrier, 0
	.set _ZN4vllm25paged_attention_v1_kernelIttLi256ELi32ELi128ELNS_18Fp8KVCacheDataTypeE0ELb1EEEvPT_PKS2_PKT0_S8_ifPKiSA_iPKfiiiSC_SC_iiiii.private_seg_size, 0
	.set _ZN4vllm25paged_attention_v1_kernelIttLi256ELi32ELi128ELNS_18Fp8KVCacheDataTypeE0ELb1EEEvPT_PKS2_PKT0_S8_ifPKiSA_iPKfiiiSC_SC_iiiii.uses_vcc, 1
	.set _ZN4vllm25paged_attention_v1_kernelIttLi256ELi32ELi128ELNS_18Fp8KVCacheDataTypeE0ELb1EEEvPT_PKS2_PKT0_S8_ifPKiSA_iPKfiiiSC_SC_iiiii.uses_flat_scratch, 0
	.set _ZN4vllm25paged_attention_v1_kernelIttLi256ELi32ELi128ELNS_18Fp8KVCacheDataTypeE0ELb1EEEvPT_PKS2_PKT0_S8_ifPKiSA_iPKfiiiSC_SC_iiiii.has_dyn_sized_stack, 0
	.set _ZN4vllm25paged_attention_v1_kernelIttLi256ELi32ELi128ELNS_18Fp8KVCacheDataTypeE0ELb1EEEvPT_PKS2_PKT0_S8_ifPKiSA_iPKfiiiSC_SC_iiiii.has_recursion, 0
	.set _ZN4vllm25paged_attention_v1_kernelIttLi256ELi32ELi128ELNS_18Fp8KVCacheDataTypeE0ELb1EEEvPT_PKS2_PKT0_S8_ifPKiSA_iPKfiiiSC_SC_iiiii.has_indirect_call, 0
	.section	.AMDGPU.csdata,"",@progbits
; Kernel info:
; codeLenInByte = 18064
; TotalNumSgprs: 55
; NumVgprs: 112
; NumAgprs: 0
; TotalNumVgprs: 112
; ScratchSize: 0
; MemoryBound: 0
; FloatMode: 240
; IeeeMode: 1
; LDSByteSize: 528 bytes/workgroup (compile time only)
; SGPRBlocks: 6
; VGPRBlocks: 13
; NumSGPRsForWavesPerEU: 55
; NumVGPRsForWavesPerEU: 112
; AccumOffset: 112
; Occupancy: 4
; WaveLimiterHint : 1
; COMPUTE_PGM_RSRC2:SCRATCH_EN: 0
; COMPUTE_PGM_RSRC2:USER_SGPR: 2
; COMPUTE_PGM_RSRC2:TRAP_HANDLER: 0
; COMPUTE_PGM_RSRC2:TGID_X_EN: 1
; COMPUTE_PGM_RSRC2:TGID_Y_EN: 1
; COMPUTE_PGM_RSRC2:TGID_Z_EN: 1
; COMPUTE_PGM_RSRC2:TIDIG_COMP_CNT: 0
; COMPUTE_PGM_RSRC3_GFX90A:ACCUM_OFFSET: 27
; COMPUTE_PGM_RSRC3_GFX90A:TG_SPLIT: 0
	.section	.text._ZN4vllm25paged_attention_v1_kernelIttLi32ELi32ELi128ELNS_18Fp8KVCacheDataTypeE0ELb0EEEvPT_PKS2_PKT0_S8_ifPKiSA_iPKfiiiSC_SC_iiiii,"axG",@progbits,_ZN4vllm25paged_attention_v1_kernelIttLi32ELi32ELi128ELNS_18Fp8KVCacheDataTypeE0ELb0EEEvPT_PKS2_PKT0_S8_ifPKiSA_iPKfiiiSC_SC_iiiii,comdat
	.protected	_ZN4vllm25paged_attention_v1_kernelIttLi32ELi32ELi128ELNS_18Fp8KVCacheDataTypeE0ELb0EEEvPT_PKS2_PKT0_S8_ifPKiSA_iPKfiiiSC_SC_iiiii ; -- Begin function _ZN4vllm25paged_attention_v1_kernelIttLi32ELi32ELi128ELNS_18Fp8KVCacheDataTypeE0ELb0EEEvPT_PKS2_PKT0_S8_ifPKiSA_iPKfiiiSC_SC_iiiii
	.globl	_ZN4vllm25paged_attention_v1_kernelIttLi32ELi32ELi128ELNS_18Fp8KVCacheDataTypeE0ELb0EEEvPT_PKS2_PKT0_S8_ifPKiSA_iPKfiiiSC_SC_iiiii
	.p2align	8
	.type	_ZN4vllm25paged_attention_v1_kernelIttLi32ELi32ELi128ELNS_18Fp8KVCacheDataTypeE0ELb0EEEvPT_PKS2_PKT0_S8_ifPKiSA_iPKfiiiSC_SC_iiiii,@function
_ZN4vllm25paged_attention_v1_kernelIttLi32ELi32ELi128ELNS_18Fp8KVCacheDataTypeE0ELb0EEEvPT_PKS2_PKT0_S8_ifPKiSA_iPKfiiiSC_SC_iiiii: ; @_ZN4vllm25paged_attention_v1_kernelIttLi32ELi32ELi128ELNS_18Fp8KVCacheDataTypeE0ELb0EEEvPT_PKS2_PKT0_S8_ifPKiSA_iPKfiiiSC_SC_iiiii
; %bb.0:
	s_load_dword s5, s[0:1], 0x80
	s_load_dwordx2 s[6:7], s[0:1], 0x30
	s_load_dwordx2 s[8:9], s[0:1], 0x20
	s_mov_b32 s10, s3
	s_ashr_i32 s11, s3, 31
	s_lshl_b64 s[12:13], s[10:11], 2
	s_waitcnt lgkmcnt(0)
	s_add_u32 s6, s6, s12
	s_addc_u32 s7, s7, s13
	s_abs_i32 s3, s8
	v_cvt_f32_u32_e32 v1, s3
	s_sub_i32 s12, 0, s3
	s_abs_i32 s11, s5
	s_xor_b32 s8, s5, s8
	v_rcp_iflag_f32_e32 v1, v1
	s_ashr_i32 s8, s8, 31
	v_mul_f32_e32 v1, 0x4f7ffffe, v1
	v_cvt_u32_f32_e32 v1, v1
	s_nop 0
	v_readfirstlane_b32 s13, v1
	s_mul_i32 s12, s12, s13
	s_mul_hi_u32 s12, s13, s12
	s_add_i32 s13, s13, s12
	s_mul_hi_u32 s12, s11, s13
	s_mul_i32 s13, s12, s3
	s_sub_i32 s11, s11, s13
	s_add_i32 s13, s12, 1
	s_sub_i32 s14, s11, s3
	s_cmp_ge_u32 s11, s3
	s_cselect_b32 s12, s13, s12
	s_cselect_b32 s11, s14, s11
	s_add_i32 s13, s12, 1
	s_cmp_ge_u32 s11, s3
	s_cselect_b32 s3, s13, s12
	s_xor_b32 s3, s3, s8
	s_sub_i32 s14, s3, s8
	s_abs_i32 s11, s14
	v_cvt_f32_u32_e32 v1, s11
	s_load_dwordx2 s[12:13], s[0:1], 0x40
	s_sub_i32 s3, 0, s11
	s_abs_i32 s18, s2
	v_rcp_iflag_f32_e32 v1, v1
	s_mov_b32 s8, 0
	v_mul_f32_e32 v1, 0x4f7ffffe, v1
	v_cvt_u32_f32_e32 v1, v1
	s_nop 0
	v_readfirstlane_b32 s15, v1
	s_mul_i32 s3, s3, s15
	s_mul_hi_u32 s3, s15, s3
	s_add_i32 s15, s15, s3
	s_waitcnt lgkmcnt(0)
	s_cmp_eq_u64 s[12:13], 0
	s_mul_hi_u32 s19, s18, s15
	s_cbranch_scc1 .LBB99_2
; %bb.1:
	s_ashr_i32 s3, s2, 31
	s_lshl_b64 s[16:17], s[2:3], 2
	s_add_u32 s12, s12, s16
	s_addc_u32 s13, s13, s17
	s_load_dword s8, s[12:13], 0x0
.LBB99_2:
	s_load_dword s33, s[6:7], 0x0
	s_ashr_i32 s7, s14, 31
	s_load_dwordx4 s[12:15], s[0:1], 0x48
	s_ashr_i32 s6, s2, 31
	v_and_b32_e32 v4, 1, v0
	s_lshl_b32 s16, s2, 5
	v_cmp_gt_u32_e32 vcc, 8, v0
	v_lshlrev_b32_e32 v1, 3, v0
	s_and_saveexec_b64 s[2:3], vcc
	s_cbranch_execz .LBB99_4
; %bb.3:
	s_load_dwordx2 s[20:21], s[0:1], 0x8
	s_waitcnt lgkmcnt(0)
	s_mul_i32 s22, s12, s10
	s_ashr_i32 s23, s22, 31
	s_lshl_b64 s[22:23], s[22:23], 1
	v_lshlrev_b32_e32 v5, 2, v0
	s_add_u32 s12, s20, s22
	s_addc_u32 s15, s21, s23
	s_ashr_i32 s17, s16, 31
	s_lshl_b64 s[20:21], s[16:17], 1
	s_add_u32 s20, s12, s20
	s_addc_u32 s21, s15, s21
	global_load_dwordx2 v[2:3], v1, s[20:21]
	v_and_b32_e32 v5, 0xff8, v5
	v_lshl_add_u32 v5, v4, 5, v5
	s_waitcnt vmcnt(0)
	ds_write_b64 v5, v[2:3]
.LBB99_4:
	s_or_b64 exec, exec, s[2:3]
	s_waitcnt lgkmcnt(0)
	s_add_i32 s3, s33, 31
	s_ashr_i32 s12, s3, 31
	s_lshr_b32 s12, s12, 27
	s_add_i32 s3, s3, s12
	s_ashr_i32 s12, s3, 5
	s_xor_b32 s3, s6, s7
	s_mul_i32 s6, s19, s11
	s_sub_i32 s6, s18, s6
	s_add_i32 s7, s19, 1
	s_sub_i32 s15, s6, s11
	s_load_dwordx2 s[20:21], s[0:1], 0x28
	s_load_dword s2, s[0:1], 0x38
	s_cmp_ge_u32 s6, s11
	s_cselect_b32 s7, s7, s19
	s_cselect_b32 s6, s15, s6
	s_add_i32 s15, s7, 1
	s_cmp_ge_u32 s6, s11
	s_cselect_b32 s6, s15, s7
	v_lshrrev_b32_e32 v16, 6, v0
	s_xor_b32 s6, s6, s3
	s_waitcnt lgkmcnt(0)
	s_mul_i32 s22, s2, s10
	s_sub_i32 s15, s6, s3
	s_ashr_i32 s23, s22, 31
	v_cmp_gt_i32_e64 s[6:7], s12, v16
	v_cmp_le_i32_e32 vcc, s12, v16
	v_mbcnt_lo_u32_b32 v6, -1, 0
	s_barrier
                                        ; implicit-def: $vgpr21
                                        ; implicit-def: $vgpr22
                                        ; implicit-def: $vgpr20
	s_and_saveexec_b64 s[2:3], vcc
	s_xor_b64 s[2:3], exec, s[2:3]
; %bb.5:
	v_mbcnt_hi_u32_b32 v21, -1, v6
	v_and_b32_e32 v22, 64, v21
	v_add_u32_e32 v20, 64, v22
                                        ; implicit-def: $vgpr4
                                        ; implicit-def: $vgpr6
; %bb.6:
	s_or_saveexec_b64 s[26:27], s[2:3]
	s_load_dwordx2 s[18:19], s[0:1], 0x0
	s_load_dwordx2 s[24:25], s[0:1], 0x18
	s_load_dword s11, s[0:1], 0x88
	v_mov_b32_e32 v18, 0xff7fffff
	s_mul_i32 s14, s15, s14
	v_lshrrev_b32_e32 v17, 4, v0
	s_xor_b64 exec, exec, s[26:27]
	s_cbranch_execz .LBB99_12
; %bb.7:
	s_load_dwordx2 s[0:1], s[0:1], 0x10
	s_ashr_i32 s15, s14, 31
	s_lshl_b64 s[2:3], s[14:15], 1
	v_bfe_u32 v5, v0, 1, 5
	v_lshlrev_b32_e32 v8, 4, v5
	s_waitcnt lgkmcnt(0)
	s_add_u32 s0, s0, s2
	s_addc_u32 s1, s1, s3
	v_mov_b32_e32 v9, 0
	v_lshl_add_u64 v[2:3], s[0:1], 0, v[8:9]
	s_sub_i32 s15, 1, s33
	s_lshl_b64 s[0:1], s[22:23], 2
	v_and_b32_e32 v8, 8, v1
	v_lshlrev_b32_e32 v19, 5, v4
	v_cmp_eq_u32_e32 vcc, 0, v4
	v_lshlrev_b32_e32 v4, 2, v5
	s_add_u32 s0, s20, s0
	v_mbcnt_hi_u32_b32 v21, -1, v6
	v_lshl_add_u64 v[2:3], v[2:3], 0, v[8:9]
	v_lshl_or_b32 v4, v16, 7, v4
	v_and_b32_e32 v8, 60, v17
	s_addc_u32 s1, s21, s1
	v_and_b32_e32 v22, 64, v21
	s_mov_b32 s17, s13
	v_cmp_neq_f32_e64 s[2:3], s8, 0
	v_lshl_or_b32 v23, v16, 5, v5
	v_add_u32_e32 v24, 0x50, v4
	v_lshl_add_u64 v[4:5], s[0:1], 0, v[8:9]
	v_mov_b32_e32 v18, 0xff7fffff
	s_mov_b64 s[28:29], 0
	v_xor_b32_e32 v25, 1, v21
	v_add_u32_e32 v20, 64, v22
	v_mov_b32_e32 v26, v16
	s_branch .LBB99_9
.LBB99_8:                               ;   in Loop: Header=BB99_9 Depth=1
	s_or_b64 exec, exec, s[30:31]
	v_add_u32_e32 v26, 2, v26
	v_cmp_le_i32_e64 s[0:1], s12, v26
	v_add_u32_e32 v23, 64, v23
	v_add_u32_e32 v24, 0x100, v24
	s_or_b64 s[28:29], s[0:1], s[28:29]
	v_lshl_add_u64 v[4:5], v[4:5], 0, 8
	s_andn2_b64 exec, exec, s[28:29]
	s_cbranch_execz .LBB99_11
.LBB99_9:                               ; =>This Inner Loop Header: Depth=1
	global_load_dword v6, v[4:5], off
	s_waitcnt vmcnt(0) lgkmcnt(0)
	v_mad_i64_i32 v[6:7], s[0:1], v6, s17, 0
	v_lshl_add_u64 v[14:15], v[6:7], 1, v[2:3]
	global_load_dwordx2 v[12:13], v[14:15], off
	global_load_dwordx2 v[10:11], v[14:15], off offset:512
	global_load_dwordx2 v[8:9], v[14:15], off offset:1024
	;; [unrolled: 1-line block ×3, first 2 shown]
	ds_read_b64 v[14:15], v19
	v_cmp_lt_i32_e64 s[0:1], v25, v20
	s_waitcnt lgkmcnt(0)
	v_lshrrev_b32_e32 v28, 16, v14
	v_and_b32_e32 v14, 0xffff, v14
	v_lshrrev_b32_e32 v29, 16, v15
	v_and_b32_e32 v30, 0xffff, v15
	;;#ASMSTART
	v_cvt_f32_f16 v14, v14;
	;;#ASMEND
	;;#ASMSTART
	v_cvt_f32_f16 v15, v28;
	;;#ASMEND
	v_cndmask_b32_e64 v27, v21, v25, s[0:1]
	s_waitcnt vmcnt(3)
	v_lshrrev_b32_e32 v28, 16, v12
	v_and_b32_e32 v12, 0xffff, v12
	v_lshrrev_b32_e32 v31, 16, v13
	v_and_b32_e32 v32, 0xffff, v13
	s_waitcnt vmcnt(2)
	v_lshrrev_b32_e32 v33, 16, v10
	v_and_b32_e32 v34, 0xffff, v10
	v_lshrrev_b32_e32 v35, 16, v11
	v_and_b32_e32 v36, 0xffff, v11
	;; [unrolled: 5-line block ×3, first 2 shown]
	;;#ASMSTART
	v_cvt_f32_f16 v10, v12;
	;;#ASMEND
	;;#ASMSTART
	v_cvt_f32_f16 v11, v28;
	;;#ASMEND
	;; [unrolled: 3-line block ×6, first 2 shown]
	ds_read_b64 v[8:9], v19 offset:8
	s_waitcnt vmcnt(0)
	v_lshrrev_b32_e32 v41, 16, v6
	v_and_b32_e32 v42, 0xffff, v6
	v_lshrrev_b32_e32 v43, 16, v7
	v_and_b32_e32 v44, 0xffff, v7
	s_waitcnt lgkmcnt(0)
	v_lshrrev_b32_e32 v6, 16, v8
	v_and_b32_e32 v7, 0xffff, v8
	v_and_b32_e32 v32, 0xffff, v9
	v_lshrrev_b32_e32 v45, 16, v9
	;;#ASMSTART
	v_cvt_f32_f16 v8, v7;
	;;#ASMEND
	;;#ASMSTART
	v_cvt_f32_f16 v9, v6;
	;;#ASMEND
	;; [unrolled: 3-line block ×8, first 2 shown]
	ds_read_b64 v[6:7], v19 offset:16
	v_mul_f32_e32 v9, v9, v31
	v_mul_f32_e32 v8, v8, v30
	;; [unrolled: 1-line block ×4, first 2 shown]
	v_fmac_f32_e32 v9, v15, v11
	s_waitcnt lgkmcnt(0)
	v_lshrrev_b32_e32 v11, 16, v6
	v_and_b32_e32 v6, 0xffff, v6
	v_lshrrev_b32_e32 v15, 16, v7
	v_and_b32_e32 v7, 0xffff, v7
	v_fmac_f32_e32 v8, v14, v10
	v_fmac_f32_e32 v30, v12, v28
	;; [unrolled: 1-line block ×3, first 2 shown]
	;;#ASMSTART
	v_cvt_f32_f16 v10, v6;
	;;#ASMEND
	;;#ASMSTART
	v_cvt_f32_f16 v11, v11;
	;;#ASMEND
	;; [unrolled: 3-line block ×8, first 2 shown]
	ds_read_b64 v[6:7], v19 offset:24
	v_fmac_f32_e32 v8, v10, v12
	v_fmac_f32_e32 v9, v11, v13
	;; [unrolled: 1-line block ×4, first 2 shown]
	s_waitcnt lgkmcnt(0)
	v_lshrrev_b32_e32 v10, 16, v6
	v_and_b32_e32 v6, 0xffff, v6
	v_lshrrev_b32_e32 v13, 16, v7
	v_and_b32_e32 v12, 0xffff, v7
	;;#ASMSTART
	v_cvt_f32_f16 v6, v6;
	;;#ASMEND
	;;#ASMSTART
	v_cvt_f32_f16 v7, v10;
	;;#ASMEND
	;; [unrolled: 3-line block ×8, first 2 shown]
	s_nop 0
	v_fmac_f32_e32 v8, v6, v10
	v_fmac_f32_e32 v9, v7, v11
	;; [unrolled: 1-line block ×3, first 2 shown]
	v_add_f32_e32 v6, v8, v9
	v_fmac_f32_e32 v31, v13, v15
	v_add_f32_e32 v6, v6, v30
	v_add_f32_e32 v6, v31, v6
	v_lshlrev_b32_e32 v7, 2, v27
	ds_bpermute_b32 v7, v7, v6
	s_and_saveexec_b64 s[30:31], vcc
	s_cbranch_execz .LBB99_8
; %bb.10:                               ;   in Loop: Header=BB99_9 Depth=1
	v_add_u32_e32 v8, s15, v23
	v_cvt_f32_i32_e32 v8, v8
	s_waitcnt lgkmcnt(0)
	v_add_f32_e32 v6, v6, v7
	v_cmp_gt_i32_e64 s[0:1], s33, v23
	v_max_f32_e32 v7, v18, v18
	v_mul_f32_e32 v8, s8, v8
	v_cndmask_b32_e64 v8, 0, v8, s[2:3]
	v_fmac_f32_e32 v8, s9, v6
	v_cndmask_b32_e64 v6, 0, v8, s[0:1]
	ds_write_b32 v24, v6
	v_max_f32_e32 v6, v7, v8
	v_cndmask_b32_e64 v18, v18, v6, s[0:1]
	s_branch .LBB99_8
.LBB99_11:
	s_or_b64 exec, exec, s[28:29]
.LBB99_12:
	s_or_b64 exec, exec, s[26:27]
	v_xor_b32_e32 v2, 32, v21
	v_cmp_lt_i32_e32 vcc, v2, v20
	v_xor_b32_e32 v5, 16, v21
	v_max_f32_e32 v4, v18, v18
	v_cndmask_b32_e32 v2, v21, v2, vcc
	v_lshlrev_b32_e32 v2, 2, v2
	ds_bpermute_b32 v3, v2, v18
	v_cmp_lt_i32_e32 vcc, v5, v20
	v_xor_b32_e32 v6, 8, v21
	s_waitcnt lgkmcnt(0)
	v_xor_b32_e32 v7, 4, v21
	v_xor_b32_e32 v8, 2, v21
	v_max_f32_e32 v3, v3, v3
	v_max_f32_e32 v4, v4, v3
	v_cndmask_b32_e32 v3, v21, v5, vcc
	v_lshlrev_b32_e32 v3, 2, v3
	ds_bpermute_b32 v5, v3, v4
	v_cmp_lt_i32_e32 vcc, v6, v20
	v_and_b32_e32 v18, 63, v0
	s_waitcnt lgkmcnt(0)
	v_max_f32_e32 v5, v5, v5
	v_max_f32_e32 v5, v4, v5
	v_cndmask_b32_e32 v4, v21, v6, vcc
	v_lshlrev_b32_e32 v4, 2, v4
	ds_bpermute_b32 v6, v4, v5
	v_cmp_lt_i32_e32 vcc, v7, v20
	s_waitcnt lgkmcnt(0)
	v_max_f32_e32 v6, v6, v6
	v_max_f32_e32 v6, v5, v6
	v_cndmask_b32_e32 v5, v21, v7, vcc
	v_lshlrev_b32_e32 v5, 2, v5
	ds_bpermute_b32 v7, v5, v6
	v_cmp_lt_i32_e32 vcc, v8, v20
	s_waitcnt lgkmcnt(0)
	v_max_f32_e32 v7, v7, v7
	v_max_f32_e32 v7, v6, v7
	v_cndmask_b32_e32 v6, v21, v8, vcc
	v_lshlrev_b32_e32 v19, 2, v6
	ds_bpermute_b32 v8, v19, v7
	v_cmp_eq_u32_e32 vcc, 0, v18
	v_lshlrev_b32_e32 v6, 2, v16
	s_and_saveexec_b64 s[0:1], vcc
	s_cbranch_execz .LBB99_14
; %bb.13:
	s_waitcnt lgkmcnt(0)
	v_max_f32_e32 v8, v8, v8
	v_max_f32_e32 v7, v7, v7
	;; [unrolled: 1-line block ×3, first 2 shown]
	ds_write_b32 v6, v7 offset:64
.LBB99_14:
	s_or_b64 exec, exec, s[0:1]
	v_cmp_gt_u32_e64 s[0:1], 2, v18
	s_waitcnt lgkmcnt(0)
	v_mov_b32_e32 v8, 0xff7fffff
	v_lshlrev_b32_e32 v7, 2, v18
	s_barrier
	s_and_saveexec_b64 s[2:3], s[0:1]
; %bb.15:
	ds_read_b32 v8, v7 offset:64
; %bb.16:
	s_or_b64 exec, exec, s[2:3]
	v_xor_b32_e32 v9, 1, v21
	v_cmp_lt_i32_e64 s[2:3], v9, v20
	s_nop 1
	v_cndmask_b32_e64 v9, v21, v9, s[2:3]
	v_lshlrev_b32_e32 v20, 2, v9
	s_waitcnt lgkmcnt(0)
	ds_bpermute_b32 v9, v20, v8
	v_max_f32_e32 v8, v8, v8
	s_lshl_b32 s2, s12, 5
	s_min_i32 s15, s2, s33
	v_cmp_gt_i32_e64 s[2:3], s15, v0
	s_waitcnt lgkmcnt(0)
	v_max_f32_e32 v9, v9, v9
	v_max_f32_e32 v8, v8, v9
	v_lshlrev_b32_e32 v9, 2, v22
	ds_bpermute_b32 v9, v9, v8
	v_mov_b32_e32 v8, 0
	s_and_saveexec_b64 s[26:27], s[2:3]
	s_cbranch_execz .LBB99_20
; %bb.17:
	v_mov_b32_e32 v8, 0x50
	v_lshl_add_u32 v10, v0, 2, v8
	v_mov_b32_e32 v8, 0
	s_mov_b64 s[28:29], 0
	v_mov_b32_e32 v11, v0
.LBB99_18:                              ; =>This Inner Loop Header: Depth=1
	ds_read_b32 v12, v10
	v_add_u32_e32 v11, 0x80, v11
	v_cmp_le_i32_e64 s[8:9], s15, v11
	s_or_b64 s[28:29], s[8:9], s[28:29]
	s_waitcnt lgkmcnt(0)
	v_sub_f32_e32 v12, v12, v9
	v_mul_f32_e32 v12, 0x3fb8aa3b, v12
	v_exp_f32_e32 v12, v12
	ds_write_b32 v10, v12
	v_add_f32_e32 v8, v8, v12
	v_add_u32_e32 v10, 0x200, v10
	s_andn2_b64 exec, exec, s[28:29]
	s_cbranch_execnz .LBB99_18
; %bb.19:
	s_or_b64 exec, exec, s[28:29]
.LBB99_20:
	s_or_b64 exec, exec, s[26:27]
	ds_bpermute_b32 v2, v2, v8
	s_waitcnt lgkmcnt(0)
	v_add_f32_e32 v2, v8, v2
	ds_bpermute_b32 v3, v3, v2
	s_waitcnt lgkmcnt(0)
	v_add_f32_e32 v2, v2, v3
	ds_bpermute_b32 v3, v4, v2
	s_waitcnt lgkmcnt(0)
	v_add_f32_e32 v2, v2, v3
	ds_bpermute_b32 v3, v5, v2
	s_waitcnt lgkmcnt(0)
	v_add_f32_e32 v2, v2, v3
	ds_bpermute_b32 v3, v19, v2
	s_waitcnt lgkmcnt(0)
	v_add_f32_e32 v2, v2, v3
	ds_bpermute_b32 v3, v20, v2
	s_waitcnt lgkmcnt(0)
	v_add_f32_e32 v2, v2, v3
	s_and_saveexec_b64 s[8:9], vcc
; %bb.21:
	ds_write_b32 v6, v2 offset:72
; %bb.22:
	s_or_b64 exec, exec, s[8:9]
	s_waitcnt lgkmcnt(0)
	s_barrier
	s_and_saveexec_b64 s[8:9], s[0:1]
; %bb.23:
	ds_read_b32 v2, v7 offset:72
; %bb.24:
	s_or_b64 exec, exec, s[8:9]
	s_waitcnt lgkmcnt(0)
	ds_bpermute_b32 v3, v20, v2
	v_lshlrev_b32_e32 v4, 2, v21
	s_waitcnt lgkmcnt(0)
	v_add_f32_e32 v2, v2, v3
	v_and_b32_e32 v3, 0xffffff00, v4
	ds_bpermute_b32 v2, v3, v2
	s_and_saveexec_b64 s[0:1], s[2:3]
	s_cbranch_execz .LBB99_37
; %bb.25:
	s_waitcnt lgkmcnt(0)
	v_add_f32_e32 v2, 0x358637bd, v2
	v_div_scale_f32 v3, s[2:3], v2, v2, 1.0
	v_rcp_f32_e32 v4, v3
	v_div_scale_f32 v5, vcc, 1.0, v2, 1.0
	s_movk_i32 s2, 0x7f
	v_fma_f32 v6, -v3, v4, 1.0
	v_fmac_f32_e32 v4, v6, v4
	v_mul_f32_e32 v6, v5, v4
	v_fma_f32 v7, -v3, v6, v5
	v_fmac_f32_e32 v6, v7, v4
	v_fma_f32 v3, -v3, v6, v5
	v_div_fmas_f32 v3, v3, v4, v6
	v_xad_u32 v4, v0, -1, s15
	v_div_fixup_f32 v2, v3, v2, 1.0
	v_cmp_lt_u32_e32 vcc, s2, v4
	s_mov_b64 s[8:9], -1
	v_mov_b32_e32 v3, v0
	s_and_saveexec_b64 s[2:3], vcc
	s_cbranch_execz .LBB99_34
; %bb.26:
	v_lshrrev_b32_e32 v4, 7, v4
	v_add_u32_e32 v6, -1, v4
	v_lshrrev_b32_e32 v5, 1, v6
	v_mov_b32_e32 v3, v2
	v_add_u32_e32 v5, 1, v5
	v_cmp_lt_u32_e32 vcc, 13, v6
	v_mov_b32_e32 v8, 0
	s_and_saveexec_b64 s[8:9], vcc
	s_cbranch_execz .LBB99_30
; %bb.27:
	v_mov_b32_e32 v7, 0x50
	v_and_b32_e32 v6, -8, v5
	v_lshl_add_u32 v7, v0, 2, v7
	s_mov_b32 s17, 0
	s_mov_b64 s[26:27], 0
.LBB99_28:                              ; =>This Inner Loop Header: Depth=1
	ds_read2st64_b32 v[8:9], v7 offset1:2
	ds_read2st64_b32 v[10:11], v7 offset0:4 offset1:6
	ds_read2st64_b32 v[12:13], v7 offset0:8 offset1:10
	;; [unrolled: 1-line block ×3, first 2 shown]
	v_add_u32_e32 v6, -8, v6
	s_waitcnt lgkmcnt(3)
	v_pk_mul_f32 v[8:9], v[2:3], v[8:9]
	s_waitcnt lgkmcnt(2)
	v_pk_mul_f32 v[10:11], v[2:3], v[10:11]
	ds_write2st64_b32 v7, v8, v9 offset1:2
	ds_write2st64_b32 v7, v10, v11 offset0:4 offset1:6
	ds_read2st64_b32 v[10:11], v7 offset0:16 offset1:18
	s_waitcnt lgkmcnt(4)
	v_pk_mul_f32 v[8:9], v[2:3], v[12:13]
	ds_write2st64_b32 v7, v8, v9 offset0:8 offset1:10
	s_waitcnt lgkmcnt(4)
	v_pk_mul_f32 v[8:9], v[2:3], v[14:15]
	ds_write2st64_b32 v7, v8, v9 offset0:12 offset1:14
	ds_read2st64_b32 v[8:9], v7 offset0:20 offset1:22
	s_waitcnt lgkmcnt(3)
	v_pk_mul_f32 v[10:11], v[2:3], v[10:11]
	ds_read2st64_b32 v[12:13], v7 offset0:24 offset1:26
	ds_write2st64_b32 v7, v10, v11 offset0:16 offset1:18
	ds_read2st64_b32 v[10:11], v7 offset0:28 offset1:30
	s_waitcnt lgkmcnt(3)
	v_pk_mul_f32 v[8:9], v[2:3], v[8:9]
	ds_write2st64_b32 v7, v8, v9 offset0:20 offset1:22
	s_waitcnt lgkmcnt(3)
	v_pk_mul_f32 v[8:9], v[2:3], v[12:13]
	ds_write2st64_b32 v7, v8, v9 offset0:24 offset1:26
	s_waitcnt lgkmcnt(2)
	v_pk_mul_f32 v[8:9], v[2:3], v[10:11]
	s_add_i32 s17, s17, 16
	v_cmp_eq_u32_e32 vcc, 0, v6
	ds_write2st64_b32 v7, v8, v9 offset0:28 offset1:30
	v_add_u32_e32 v7, 0x2000, v7
	s_or_b64 s[26:27], vcc, s[26:27]
	v_mov_b32_e32 v8, s17
	s_andn2_b64 exec, exec, s[26:27]
	s_cbranch_execnz .LBB99_28
; %bb.29:
	s_or_b64 exec, exec, s[26:27]
.LBB99_30:
	s_or_b64 exec, exec, s[8:9]
	v_and_b32_e32 v5, 7, v5
	v_cmp_ne_u32_e32 vcc, 0, v5
	s_and_saveexec_b64 s[8:9], vcc
	s_cbranch_execz .LBB99_33
; %bb.31:
	v_lshlrev_b32_e32 v6, 9, v8
	v_lshlrev_b32_e32 v7, 2, v0
	s_movk_i32 s17, 0x50
	v_add3_u32 v6, v6, v7, s17
	s_mov_b64 s[26:27], 0
.LBB99_32:                              ; =>This Inner Loop Header: Depth=1
	ds_read2st64_b32 v[8:9], v6 offset1:2
	v_add_u32_e32 v5, -1, v5
	v_cmp_eq_u32_e32 vcc, 0, v5
	s_or_b64 s[26:27], vcc, s[26:27]
	s_waitcnt lgkmcnt(0)
	v_pk_mul_f32 v[8:9], v[2:3], v[8:9]
	ds_write2st64_b32 v6, v8, v9 offset1:2
	v_add_u32_e32 v6, 0x400, v6
	s_andn2_b64 exec, exec, s[26:27]
	s_cbranch_execnz .LBB99_32
.LBB99_33:
	s_or_b64 exec, exec, s[8:9]
	v_add_u32_e32 v4, 1, v4
	v_and_b32_e32 v5, 0x3fffffe, v4
	v_cmp_ne_u32_e32 vcc, v4, v5
	v_lshl_add_u32 v3, v5, 7, v0
	s_orn2_b64 s[8:9], vcc, exec
.LBB99_34:
	s_or_b64 exec, exec, s[2:3]
	s_and_b64 exec, exec, s[8:9]
	s_cbranch_execz .LBB99_37
; %bb.35:
	v_mov_b32_e32 v4, 0x50
	v_lshl_add_u32 v4, v3, 2, v4
	s_mov_b64 s[2:3], 0
.LBB99_36:                              ; =>This Inner Loop Header: Depth=1
	ds_read_b32 v5, v4
	v_add_u32_e32 v3, 0x80, v3
	v_cmp_le_i32_e32 vcc, s15, v3
	s_or_b64 s[2:3], vcc, s[2:3]
	s_waitcnt lgkmcnt(0)
	v_mul_f32_e32 v5, v2, v5
	ds_write_b32 v4, v5
	v_add_u32_e32 v4, 0x200, v4
	s_andn2_b64 exec, exec, s[2:3]
	s_cbranch_execnz .LBB99_36
.LBB99_37:
	s_or_b64 exec, exec, s[0:1]
	v_mov_b32_e32 v9, 0
	v_and_b32_e32 v21, 3, v0
	v_mov_b32_e32 v8, 0
	s_waitcnt lgkmcnt(0)
	s_barrier
	s_and_saveexec_b64 s[2:3], s[6:7]
	s_cbranch_execz .LBB99_45
; %bb.38:
	s_ashr_i32 s15, s14, 31
	s_lshl_b64 s[0:1], s[14:15], 1
	s_add_u32 s0, s24, s0
	v_lshlrev_b32_e32 v2, 4, v0
	s_addc_u32 s1, s25, s1
	v_and_b32_e32 v6, 0x3f0, v2
	v_mov_b32_e32 v7, 0
	v_and_b32_e32 v1, 24, v1
	s_add_i32 s14, s12, -1
	v_lshl_add_u64 v[10:11], s[0:1], 0, v[6:7]
	s_lshl_b64 s[0:1], s[22:23], 2
	v_lshl_or_b32 v22, v16, 5, v1
	v_lshlrev_b32_e32 v1, 5, v21
	s_add_u32 s0, s20, s0
	v_lshl_or_b32 v1, v16, 7, v1
	v_and_b32_e32 v6, 60, v17
	s_addc_u32 s1, s21, s1
	s_mov_b32 s15, s33
	v_add_u32_e32 v23, 0x50, v1
	v_lshl_add_u64 v[12:13], s[0:1], 0, v[6:7]
	s_mov_b64 s[6:7], 0
	s_mov_b32 s17, 0xffff
	v_mov_b32_e32 v8, 0
	v_mov_b32_e32 v9, 0
	s_branch .LBB99_40
.LBB99_39:                              ;   in Loop: Header=BB99_40 Depth=1
	s_or_b64 exec, exec, s[8:9]
	v_lshlrev_b32_e32 v6, 16, v6
	v_lshlrev_b32_e32 v1, 16, v1
	v_and_or_b32 v2, v2, s17, v6
	v_and_or_b32 v1, v3, s17, v1
	v_lshlrev_b32_e32 v3, 16, v14
	v_and_or_b32 v3, v4, s17, v3
	;;#ASMSTART
	v_pk_mul_f16 v2, v30, v2;

	;;#ASMEND
	;;#ASMSTART
	v_pk_mul_f16 v1, v31, v1;

	;;#ASMEND
	;; [unrolled: 4-line block ×4, first 2 shown]
	v_add_u32_e32 v16, 2, v16
	;;#ASMSTART
	v_pk_add_f16 v1, v2, v1;

	;;#ASMEND
	v_add_f32_e32 v15, v34, v35
	;;#ASMSTART
	v_pk_add_f16 v1, v1, v3;

	;;#ASMEND
	v_cmp_le_i32_e32 vcc, s12, v16
	;;#ASMSTART
	v_pk_add_f16 v1, v1, v4;

	;;#ASMEND
	v_add_f32_e32 v8, v8, v15
	v_lshrrev_b32_e32 v2, 16, v1
	v_and_b32_e32 v1, 0xffff, v1
	;;#ASMSTART
	v_cvt_f32_f16 v1, v1;
	;;#ASMEND
	;;#ASMSTART
	v_cvt_f32_f16 v2, v2;
	;;#ASMEND
	v_add_u32_e32 v22, 64, v22
	v_add_f32_e32 v1, v1, v2
	v_add_f32_e32 v9, v9, v1
	v_add_u32_e32 v23, 0x100, v23
	s_or_b64 s[6:7], vcc, s[6:7]
	v_lshl_add_u64 v[12:13], v[12:13], 0, 8
	s_andn2_b64 exec, exec, s[6:7]
	s_cbranch_execz .LBB99_44
.LBB99_40:                              ; =>This Inner Loop Header: Depth=1
	global_load_dword v1, v[12:13], off
	ds_read2_b64 v[2:5], v23 offset1:1
	ds_read2_b64 v[24:27], v23 offset0:2 offset1:3
	v_add_u32_e32 v17, 7, v22
	v_or_b32_e32 v28, 3, v22
	s_waitcnt lgkmcnt(1)
	;;#ASMSTART
	v_cvt_f16_f32 v30, v2;

	;;#ASMEND
	;;#ASMSTART
	v_cvt_f16_f32 v31, v3;

	;;#ASMEND
	;; [unrolled: 4-line block ×4, first 2 shown]
	s_waitcnt lgkmcnt(0)
	;;#ASMSTART
	v_cvt_f16_f32 v34, v24;

	;;#ASMEND
	;;#ASMSTART
	v_cvt_f16_f32 v35, v25;

	;;#ASMEND
	;; [unrolled: 4-line block ×4, first 2 shown]
	v_add_u32_e32 v27, 2, v22
	v_add_u32_e32 v26, 4, v22
	;; [unrolled: 1-line block ×4, first 2 shown]
	v_or_b32_e32 v29, 1, v22
	s_waitcnt vmcnt(0)
	v_mad_i64_i32 v[2:3], s[0:1], v1, s13, 0
	v_lshl_add_u64 v[14:15], v[2:3], 1, v[10:11]
	global_load_dwordx4 v[2:5], v[14:15], off
	v_cmp_eq_u32_e64 s[0:1], s14, v16
	s_waitcnt vmcnt(0)
	v_lshrrev_b32_e32 v1, 16, v3
	v_lshrrev_b32_e32 v6, 16, v2
	;; [unrolled: 1-line block ×3, first 2 shown]
	s_and_saveexec_b64 s[8:9], s[0:1]
	s_cbranch_execz .LBB99_42
; %bb.41:                               ;   in Loop: Header=BB99_40 Depth=1
	v_cmp_gt_i32_e32 vcc, s33, v22
	s_nop 1
	v_cndmask_b32_e32 v2, 0, v2, vcc
	v_cmp_gt_i32_e32 vcc, s33, v27
	s_nop 1
	v_cndmask_b32_e32 v3, 0, v3, vcc
	;; [unrolled: 3-line block ×6, first 2 shown]
	v_cmp_gt_i32_e32 vcc, s33, v24
	s_nop 1
	v_cndmask_b32_sdwa v39, v7, v5, vcc dst_sel:DWORD dst_unused:UNUSED_PAD src0_sel:DWORD src1_sel:WORD_0
	v_and_b32_e32 v5, 0xffff0000, v5
	v_cmp_gt_i32_e32 vcc, s33, v17
	s_nop 1
	v_cndmask_b32_e32 v5, 0, v5, vcc
	v_or_b32_e32 v5, v39, v5
.LBB99_42:                              ;   in Loop: Header=BB99_40 Depth=1
	s_or_b64 exec, exec, s[8:9]
	v_and_b32_e32 v30, 0xffff, v30
	v_lshlrev_b32_e32 v6, 16, v6
	v_lshlrev_b32_e32 v1, 16, v1
	v_lshl_or_b32 v30, v31, 16, v30
	v_and_b32_e32 v31, 0xffff, v32
	v_and_or_b32 v2, v2, s17, v6
	v_and_or_b32 v1, v3, s17, v1
	v_lshlrev_b32_e32 v3, 16, v38
	v_lshl_or_b32 v31, v33, 16, v31
	v_and_b32_e32 v32, 0xffff, v34
	v_and_b32_e32 v33, 0xffff, v36
	v_and_or_b32 v3, v4, s17, v3
	;;#ASMSTART
	v_pk_mul_f16 v2, v30, v2;

	;;#ASMEND
	;;#ASMSTART
	v_pk_mul_f16 v1, v31, v1;

	;;#ASMEND
	v_lshl_or_b32 v32, v35, 16, v32
	v_lshl_or_b32 v33, v37, 16, v33
	;;#ASMSTART
	v_pk_mul_f16 v3, v32, v3;

	;;#ASMEND
	;;#ASMSTART
	v_pk_mul_f16 v4, v33, v5;

	;;#ASMEND
	;;#ASMSTART
	v_pk_add_f16 v1, v2, v1;

	;;#ASMEND
	s_nop 0
	;;#ASMSTART
	v_pk_add_f16 v1, v1, v3;

	;;#ASMEND
	s_nop 0
	;; [unrolled: 5-line block ×3, first 2 shown]
	v_lshrrev_b32_e32 v2, 16, v1
	v_and_b32_e32 v1, 0xffff, v1
	;;#ASMSTART
	v_cvt_f32_f16 v34, v1;
	;;#ASMEND
	;;#ASMSTART
	v_cvt_f32_f16 v35, v2;
	;;#ASMEND
	global_load_dwordx4 v[2:5], v[14:15], off offset:1024
	s_waitcnt vmcnt(0)
	v_lshrrev_b32_e32 v1, 16, v3
	v_lshrrev_b32_e32 v6, 16, v2
	;; [unrolled: 1-line block ×3, first 2 shown]
	s_and_saveexec_b64 s[8:9], s[0:1]
	s_cbranch_execz .LBB99_39
; %bb.43:                               ;   in Loop: Header=BB99_40 Depth=1
	v_cmp_gt_i32_e32 vcc, s33, v22
	s_nop 1
	v_cndmask_b32_e32 v2, 0, v2, vcc
	v_cmp_gt_i32_e32 vcc, s33, v27
	s_nop 1
	v_cndmask_b32_e32 v3, 0, v3, vcc
	;; [unrolled: 3-line block ×6, first 2 shown]
	v_cmp_gt_i32_e32 vcc, s33, v24
	s_nop 1
	v_cndmask_b32_sdwa v15, v7, v5, vcc dst_sel:DWORD dst_unused:UNUSED_PAD src0_sel:DWORD src1_sel:WORD_0
	v_and_b32_e32 v5, 0xffff0000, v5
	v_cmp_gt_i32_e32 vcc, s33, v17
	s_nop 1
	v_cndmask_b32_e32 v5, 0, v5, vcc
	v_or_b32_e32 v5, v15, v5
	s_branch .LBB99_39
.LBB99_44:
	s_or_b64 exec, exec, s[6:7]
.LBB99_45:
	s_or_b64 exec, exec, s[2:3]
	ds_bpermute_b32 v2, v19, v8
	ds_bpermute_b32 v3, v19, v9
	v_and_b32_e32 v1, 0x3c3, v0
	v_cmp_eq_u32_e32 vcc, 64, v1
	s_waitcnt lgkmcnt(0)
	s_barrier
	v_pk_add_f32 v[2:3], v[8:9], v[2:3]
	ds_bpermute_b32 v4, v20, v2
	ds_bpermute_b32 v5, v20, v3
	s_waitcnt lgkmcnt(0)
	v_pk_add_f32 v[2:3], v[2:3], v[4:5]
	s_and_saveexec_b64 s[0:1], vcc
; %bb.46:
	v_add_u32_e32 v4, 0x50, v18
	ds_write2_b32 v4, v2, v3 offset1:16
; %bb.47:
	s_or_b64 exec, exec, s[0:1]
	v_cmp_gt_u32_e32 vcc, 64, v0
	v_lshrrev_b32_e32 v0, 2, v0
	s_waitcnt lgkmcnt(0)
	s_barrier
	s_and_saveexec_b64 s[0:1], vcc
	s_cbranch_execz .LBB99_53
; %bb.48:
	v_mov_b32_e32 v4, 0x50
	v_cmp_eq_u32_e32 vcc, 0, v21
	v_lshl_add_u32 v4, v0, 2, v4
	s_and_saveexec_b64 s[2:3], vcc
	s_cbranch_execz .LBB99_50
; %bb.49:
	ds_read_b32 v5, v4
	s_waitcnt lgkmcnt(0)
	v_add_f32_e32 v2, v2, v5
.LBB99_50:
	s_or_b64 exec, exec, s[2:3]
	s_and_saveexec_b64 s[2:3], vcc
	s_cbranch_execz .LBB99_52
; %bb.51:
	ds_read_b32 v4, v4 offset:64
	s_waitcnt lgkmcnt(0)
	v_add_f32_e32 v3, v3, v4
.LBB99_52:
	s_or_b64 exec, exec, s[2:3]
.LBB99_53:
	s_or_b64 exec, exec, s[0:1]
	v_cmp_eq_u32_e32 vcc, 0, v1
	s_barrier
	s_and_saveexec_b64 s[0:1], vcc
	s_cbranch_execz .LBB99_55
; %bb.54:
	s_mul_i32 s0, s10, s11
	s_mul_i32 s0, s0, s5
	s_lshl_b32 s0, s0, 5
	s_ashr_i32 s1, s0, 31
	s_lshl_b64 s[0:1], s[0:1], 1
	s_add_u32 s2, s18, s0
	s_mul_i32 s0, s11, s16
	s_addc_u32 s3, s19, s1
	s_ashr_i32 s1, s0, 31
	s_lshl_b64 s[0:1], s[0:1], 1
	s_add_u32 s2, s2, s0
	s_addc_u32 s3, s3, s1
	s_lshl_b32 s0, s4, 5
	s_ashr_i32 s1, s0, 31
	s_lshl_b64 s[0:1], s[0:1], 1
	s_add_u32 s0, s2, s0
	s_addc_u32 s1, s3, s1
	v_lshlrev_b32_e32 v0, 1, v0
	;;#ASMSTART
	v_cvt_f16_f32 v1, v2;

	;;#ASMEND
	global_store_short v0, v1, s[0:1]
	;;#ASMSTART
	v_cvt_f16_f32 v1, v3;

	;;#ASMEND
	global_store_short v0, v1, s[0:1] offset:32
.LBB99_55:
	s_endpgm
	.section	.rodata,"a",@progbits
	.p2align	6, 0x0
	.amdhsa_kernel _ZN4vllm25paged_attention_v1_kernelIttLi32ELi32ELi128ELNS_18Fp8KVCacheDataTypeE0ELb0EEEvPT_PKS2_PKT0_S8_ifPKiSA_iPKfiiiSC_SC_iiiii
		.amdhsa_group_segment_fixed_size 80
		.amdhsa_private_segment_fixed_size 0
		.amdhsa_kernarg_size 384
		.amdhsa_user_sgpr_count 2
		.amdhsa_user_sgpr_dispatch_ptr 0
		.amdhsa_user_sgpr_queue_ptr 0
		.amdhsa_user_sgpr_kernarg_segment_ptr 1
		.amdhsa_user_sgpr_dispatch_id 0
		.amdhsa_user_sgpr_kernarg_preload_length 0
		.amdhsa_user_sgpr_kernarg_preload_offset 0
		.amdhsa_user_sgpr_private_segment_size 0
		.amdhsa_uses_dynamic_stack 0
		.amdhsa_enable_private_segment 0
		.amdhsa_system_sgpr_workgroup_id_x 1
		.amdhsa_system_sgpr_workgroup_id_y 1
		.amdhsa_system_sgpr_workgroup_id_z 1
		.amdhsa_system_sgpr_workgroup_info 0
		.amdhsa_system_vgpr_workitem_id 0
		.amdhsa_next_free_vgpr 46
		.amdhsa_next_free_sgpr 34
		.amdhsa_accum_offset 48
		.amdhsa_reserve_vcc 1
		.amdhsa_float_round_mode_32 0
		.amdhsa_float_round_mode_16_64 0
		.amdhsa_float_denorm_mode_32 3
		.amdhsa_float_denorm_mode_16_64 3
		.amdhsa_dx10_clamp 1
		.amdhsa_ieee_mode 1
		.amdhsa_fp16_overflow 0
		.amdhsa_tg_split 0
		.amdhsa_exception_fp_ieee_invalid_op 0
		.amdhsa_exception_fp_denorm_src 0
		.amdhsa_exception_fp_ieee_div_zero 0
		.amdhsa_exception_fp_ieee_overflow 0
		.amdhsa_exception_fp_ieee_underflow 0
		.amdhsa_exception_fp_ieee_inexact 0
		.amdhsa_exception_int_div_zero 0
	.end_amdhsa_kernel
	.section	.text._ZN4vllm25paged_attention_v1_kernelIttLi32ELi32ELi128ELNS_18Fp8KVCacheDataTypeE0ELb0EEEvPT_PKS2_PKT0_S8_ifPKiSA_iPKfiiiSC_SC_iiiii,"axG",@progbits,_ZN4vllm25paged_attention_v1_kernelIttLi32ELi32ELi128ELNS_18Fp8KVCacheDataTypeE0ELb0EEEvPT_PKS2_PKT0_S8_ifPKiSA_iPKfiiiSC_SC_iiiii,comdat
.Lfunc_end99:
	.size	_ZN4vllm25paged_attention_v1_kernelIttLi32ELi32ELi128ELNS_18Fp8KVCacheDataTypeE0ELb0EEEvPT_PKS2_PKT0_S8_ifPKiSA_iPKfiiiSC_SC_iiiii, .Lfunc_end99-_ZN4vllm25paged_attention_v1_kernelIttLi32ELi32ELi128ELNS_18Fp8KVCacheDataTypeE0ELb0EEEvPT_PKS2_PKT0_S8_ifPKiSA_iPKfiiiSC_SC_iiiii
                                        ; -- End function
	.set _ZN4vllm25paged_attention_v1_kernelIttLi32ELi32ELi128ELNS_18Fp8KVCacheDataTypeE0ELb0EEEvPT_PKS2_PKT0_S8_ifPKiSA_iPKfiiiSC_SC_iiiii.num_vgpr, 46
	.set _ZN4vllm25paged_attention_v1_kernelIttLi32ELi32ELi128ELNS_18Fp8KVCacheDataTypeE0ELb0EEEvPT_PKS2_PKT0_S8_ifPKiSA_iPKfiiiSC_SC_iiiii.num_agpr, 0
	.set _ZN4vllm25paged_attention_v1_kernelIttLi32ELi32ELi128ELNS_18Fp8KVCacheDataTypeE0ELb0EEEvPT_PKS2_PKT0_S8_ifPKiSA_iPKfiiiSC_SC_iiiii.numbered_sgpr, 34
	.set _ZN4vllm25paged_attention_v1_kernelIttLi32ELi32ELi128ELNS_18Fp8KVCacheDataTypeE0ELb0EEEvPT_PKS2_PKT0_S8_ifPKiSA_iPKfiiiSC_SC_iiiii.num_named_barrier, 0
	.set _ZN4vllm25paged_attention_v1_kernelIttLi32ELi32ELi128ELNS_18Fp8KVCacheDataTypeE0ELb0EEEvPT_PKS2_PKT0_S8_ifPKiSA_iPKfiiiSC_SC_iiiii.private_seg_size, 0
	.set _ZN4vllm25paged_attention_v1_kernelIttLi32ELi32ELi128ELNS_18Fp8KVCacheDataTypeE0ELb0EEEvPT_PKS2_PKT0_S8_ifPKiSA_iPKfiiiSC_SC_iiiii.uses_vcc, 1
	.set _ZN4vllm25paged_attention_v1_kernelIttLi32ELi32ELi128ELNS_18Fp8KVCacheDataTypeE0ELb0EEEvPT_PKS2_PKT0_S8_ifPKiSA_iPKfiiiSC_SC_iiiii.uses_flat_scratch, 0
	.set _ZN4vllm25paged_attention_v1_kernelIttLi32ELi32ELi128ELNS_18Fp8KVCacheDataTypeE0ELb0EEEvPT_PKS2_PKT0_S8_ifPKiSA_iPKfiiiSC_SC_iiiii.has_dyn_sized_stack, 0
	.set _ZN4vllm25paged_attention_v1_kernelIttLi32ELi32ELi128ELNS_18Fp8KVCacheDataTypeE0ELb0EEEvPT_PKS2_PKT0_S8_ifPKiSA_iPKfiiiSC_SC_iiiii.has_recursion, 0
	.set _ZN4vllm25paged_attention_v1_kernelIttLi32ELi32ELi128ELNS_18Fp8KVCacheDataTypeE0ELb0EEEvPT_PKS2_PKT0_S8_ifPKiSA_iPKfiiiSC_SC_iiiii.has_indirect_call, 0
	.section	.AMDGPU.csdata,"",@progbits
; Kernel info:
; codeLenInByte = 4728
; TotalNumSgprs: 40
; NumVgprs: 46
; NumAgprs: 0
; TotalNumVgprs: 46
; ScratchSize: 0
; MemoryBound: 0
; FloatMode: 240
; IeeeMode: 1
; LDSByteSize: 80 bytes/workgroup (compile time only)
; SGPRBlocks: 4
; VGPRBlocks: 5
; NumSGPRsForWavesPerEU: 40
; NumVGPRsForWavesPerEU: 46
; AccumOffset: 48
; Occupancy: 8
; WaveLimiterHint : 1
; COMPUTE_PGM_RSRC2:SCRATCH_EN: 0
; COMPUTE_PGM_RSRC2:USER_SGPR: 2
; COMPUTE_PGM_RSRC2:TRAP_HANDLER: 0
; COMPUTE_PGM_RSRC2:TGID_X_EN: 1
; COMPUTE_PGM_RSRC2:TGID_Y_EN: 1
; COMPUTE_PGM_RSRC2:TGID_Z_EN: 1
; COMPUTE_PGM_RSRC2:TIDIG_COMP_CNT: 0
; COMPUTE_PGM_RSRC3_GFX90A:ACCUM_OFFSET: 11
; COMPUTE_PGM_RSRC3_GFX90A:TG_SPLIT: 0
	.section	.text._ZN4vllm25paged_attention_v1_kernelIttLi64ELi32ELi128ELNS_18Fp8KVCacheDataTypeE0ELb0EEEvPT_PKS2_PKT0_S8_ifPKiSA_iPKfiiiSC_SC_iiiii,"axG",@progbits,_ZN4vllm25paged_attention_v1_kernelIttLi64ELi32ELi128ELNS_18Fp8KVCacheDataTypeE0ELb0EEEvPT_PKS2_PKT0_S8_ifPKiSA_iPKfiiiSC_SC_iiiii,comdat
	.protected	_ZN4vllm25paged_attention_v1_kernelIttLi64ELi32ELi128ELNS_18Fp8KVCacheDataTypeE0ELb0EEEvPT_PKS2_PKT0_S8_ifPKiSA_iPKfiiiSC_SC_iiiii ; -- Begin function _ZN4vllm25paged_attention_v1_kernelIttLi64ELi32ELi128ELNS_18Fp8KVCacheDataTypeE0ELb0EEEvPT_PKS2_PKT0_S8_ifPKiSA_iPKfiiiSC_SC_iiiii
	.globl	_ZN4vllm25paged_attention_v1_kernelIttLi64ELi32ELi128ELNS_18Fp8KVCacheDataTypeE0ELb0EEEvPT_PKS2_PKT0_S8_ifPKiSA_iPKfiiiSC_SC_iiiii
	.p2align	8
	.type	_ZN4vllm25paged_attention_v1_kernelIttLi64ELi32ELi128ELNS_18Fp8KVCacheDataTypeE0ELb0EEEvPT_PKS2_PKT0_S8_ifPKiSA_iPKfiiiSC_SC_iiiii,@function
_ZN4vllm25paged_attention_v1_kernelIttLi64ELi32ELi128ELNS_18Fp8KVCacheDataTypeE0ELb0EEEvPT_PKS2_PKT0_S8_ifPKiSA_iPKfiiiSC_SC_iiiii: ; @_ZN4vllm25paged_attention_v1_kernelIttLi64ELi32ELi128ELNS_18Fp8KVCacheDataTypeE0ELb0EEEvPT_PKS2_PKT0_S8_ifPKiSA_iPKfiiiSC_SC_iiiii
; %bb.0:
	s_load_dword s5, s[0:1], 0x80
	s_load_dwordx2 s[6:7], s[0:1], 0x30
	s_load_dwordx2 s[8:9], s[0:1], 0x20
	s_mov_b32 s10, s3
	s_ashr_i32 s11, s3, 31
	s_lshl_b64 s[12:13], s[10:11], 2
	s_waitcnt lgkmcnt(0)
	s_add_u32 s6, s6, s12
	s_addc_u32 s7, s7, s13
	s_abs_i32 s3, s8
	v_cvt_f32_u32_e32 v1, s3
	s_sub_i32 s12, 0, s3
	s_abs_i32 s11, s5
	s_xor_b32 s8, s5, s8
	v_rcp_iflag_f32_e32 v1, v1
	s_ashr_i32 s8, s8, 31
	v_mul_f32_e32 v1, 0x4f7ffffe, v1
	v_cvt_u32_f32_e32 v1, v1
	s_nop 0
	v_readfirstlane_b32 s13, v1
	s_mul_i32 s12, s12, s13
	s_mul_hi_u32 s12, s13, s12
	s_add_i32 s13, s13, s12
	s_mul_hi_u32 s12, s11, s13
	s_mul_i32 s13, s12, s3
	s_sub_i32 s11, s11, s13
	s_add_i32 s13, s12, 1
	s_sub_i32 s14, s11, s3
	s_cmp_ge_u32 s11, s3
	s_cselect_b32 s12, s13, s12
	s_cselect_b32 s11, s14, s11
	s_add_i32 s13, s12, 1
	s_cmp_ge_u32 s11, s3
	s_cselect_b32 s3, s13, s12
	s_xor_b32 s3, s3, s8
	s_sub_i32 s14, s3, s8
	s_abs_i32 s11, s14
	v_cvt_f32_u32_e32 v1, s11
	s_load_dwordx2 s[12:13], s[0:1], 0x40
	s_sub_i32 s3, 0, s11
	s_abs_i32 s18, s2
	v_rcp_iflag_f32_e32 v1, v1
	s_mov_b32 s8, 0
	v_mul_f32_e32 v1, 0x4f7ffffe, v1
	v_cvt_u32_f32_e32 v1, v1
	s_nop 0
	v_readfirstlane_b32 s15, v1
	s_mul_i32 s3, s3, s15
	s_mul_hi_u32 s3, s15, s3
	s_add_i32 s15, s15, s3
	s_waitcnt lgkmcnt(0)
	s_cmp_eq_u64 s[12:13], 0
	s_mul_hi_u32 s19, s18, s15
	s_cbranch_scc1 .LBB100_2
; %bb.1:
	s_ashr_i32 s3, s2, 31
	s_lshl_b64 s[16:17], s[2:3], 2
	s_add_u32 s12, s12, s16
	s_addc_u32 s13, s13, s17
	s_load_dword s8, s[12:13], 0x0
.LBB100_2:
	s_load_dword s33, s[6:7], 0x0
	s_ashr_i32 s7, s14, 31
	s_load_dwordx4 s[12:15], s[0:1], 0x48
	s_ashr_i32 s6, s2, 31
	v_and_b32_e32 v4, 1, v0
	s_lshl_b32 s16, s2, 6
	v_cmp_gt_u32_e32 vcc, 16, v0
	v_lshlrev_b32_e32 v1, 3, v0
	s_and_saveexec_b64 s[2:3], vcc
	s_cbranch_execz .LBB100_4
; %bb.3:
	s_load_dwordx2 s[20:21], s[0:1], 0x8
	s_waitcnt lgkmcnt(0)
	s_mul_i32 s22, s12, s10
	s_ashr_i32 s23, s22, 31
	s_lshl_b64 s[22:23], s[22:23], 1
	v_lshlrev_b32_e32 v5, 2, v0
	s_add_u32 s12, s20, s22
	s_addc_u32 s15, s21, s23
	s_ashr_i32 s17, s16, 31
	s_lshl_b64 s[20:21], s[16:17], 1
	s_add_u32 s20, s12, s20
	s_addc_u32 s21, s15, s21
	global_load_dwordx2 v[2:3], v1, s[20:21]
	v_and_b32_e32 v5, 0xff8, v5
	v_lshl_add_u32 v5, v4, 6, v5
	s_waitcnt vmcnt(0)
	ds_write_b64 v5, v[2:3]
.LBB100_4:
	s_or_b64 exec, exec, s[2:3]
	s_waitcnt lgkmcnt(0)
	s_add_i32 s3, s33, 31
	s_ashr_i32 s12, s3, 31
	s_lshr_b32 s12, s12, 27
	s_add_i32 s3, s3, s12
	s_ashr_i32 s12, s3, 5
	s_xor_b32 s3, s6, s7
	s_mul_i32 s6, s19, s11
	s_sub_i32 s6, s18, s6
	s_add_i32 s7, s19, 1
	s_sub_i32 s15, s6, s11
	s_load_dwordx2 s[20:21], s[0:1], 0x28
	s_load_dword s2, s[0:1], 0x38
	s_cmp_ge_u32 s6, s11
	s_cselect_b32 s7, s7, s19
	s_cselect_b32 s6, s15, s6
	s_add_i32 s15, s7, 1
	s_cmp_ge_u32 s6, s11
	s_cselect_b32 s6, s15, s7
	v_lshrrev_b32_e32 v24, 6, v0
	s_xor_b32 s6, s6, s3
	s_waitcnt lgkmcnt(0)
	s_mul_i32 s22, s2, s10
	s_sub_i32 s15, s6, s3
	s_ashr_i32 s23, s22, 31
	v_cmp_gt_i32_e64 s[6:7], s12, v24
	v_cmp_le_i32_e32 vcc, s12, v24
	v_mbcnt_lo_u32_b32 v6, -1, 0
	s_barrier
                                        ; implicit-def: $vgpr26
                                        ; implicit-def: $vgpr27
                                        ; implicit-def: $vgpr28
	s_and_saveexec_b64 s[2:3], vcc
	s_xor_b64 s[2:3], exec, s[2:3]
; %bb.5:
	v_mbcnt_hi_u32_b32 v26, -1, v6
	v_and_b32_e32 v27, 64, v26
	v_add_u32_e32 v28, 64, v27
                                        ; implicit-def: $vgpr4
                                        ; implicit-def: $vgpr6
; %bb.6:
	s_or_saveexec_b64 s[26:27], s[2:3]
	s_load_dwordx2 s[18:19], s[0:1], 0x0
	s_load_dwordx2 s[24:25], s[0:1], 0x18
	s_load_dword s11, s[0:1], 0x88
	v_mov_b32_e32 v29, 0xff7fffff
	s_mul_i32 s14, s15, s14
	v_lshrrev_b32_e32 v25, 4, v0
	s_xor_b64 exec, exec, s[26:27]
	s_cbranch_execz .LBB100_12
; %bb.7:
	s_load_dwordx2 s[0:1], s[0:1], 0x10
	s_ashr_i32 s15, s14, 31
	s_lshl_b64 s[2:3], s[14:15], 1
	v_bfe_u32 v5, v0, 1, 5
	v_lshlrev_b32_e32 v8, 4, v5
	s_waitcnt lgkmcnt(0)
	s_add_u32 s0, s0, s2
	s_addc_u32 s1, s1, s3
	v_mov_b32_e32 v9, 0
	v_lshl_add_u64 v[2:3], s[0:1], 0, v[8:9]
	s_sub_i32 s15, 1, s33
	s_lshl_b64 s[0:1], s[22:23], 2
	v_and_b32_e32 v8, 8, v1
	v_lshlrev_b32_e32 v30, 6, v4
	v_cmp_eq_u32_e32 vcc, 0, v4
	v_lshlrev_b32_e32 v4, 2, v5
	s_add_u32 s0, s20, s0
	v_mbcnt_hi_u32_b32 v26, -1, v6
	v_lshl_add_u64 v[2:3], v[2:3], 0, v[8:9]
	v_lshl_or_b32 v4, v24, 7, v4
	v_and_b32_e32 v8, 60, v25
	s_addc_u32 s1, s21, s1
	v_and_b32_e32 v27, 64, v26
	s_mov_b32 s17, s13
	v_cmp_neq_f32_e64 s[2:3], s8, 0
	v_lshl_or_b32 v31, v24, 5, v5
	v_add_u32_e32 v32, 0x90, v4
	v_lshl_add_u64 v[4:5], s[0:1], 0, v[8:9]
	v_mov_b32_e32 v29, 0xff7fffff
	s_mov_b64 s[28:29], 0
	v_xor_b32_e32 v33, 1, v26
	v_add_u32_e32 v28, 64, v27
	v_mov_b32_e32 v34, v24
	s_branch .LBB100_9
.LBB100_8:                              ;   in Loop: Header=BB100_9 Depth=1
	s_or_b64 exec, exec, s[30:31]
	v_add_u32_e32 v34, 2, v34
	v_cmp_le_i32_e64 s[0:1], s12, v34
	v_add_u32_e32 v31, 64, v31
	v_add_u32_e32 v32, 0x100, v32
	s_or_b64 s[28:29], s[0:1], s[28:29]
	v_lshl_add_u64 v[4:5], v[4:5], 0, 8
	s_andn2_b64 exec, exec, s[28:29]
	s_cbranch_execz .LBB100_11
.LBB100_9:                              ; =>This Inner Loop Header: Depth=1
	global_load_dword v6, v[4:5], off
	s_waitcnt vmcnt(0) lgkmcnt(0)
	v_mad_i64_i32 v[6:7], s[0:1], v6, s17, 0
	v_lshl_add_u64 v[22:23], v[6:7], 1, v[2:3]
	global_load_dwordx2 v[20:21], v[22:23], off
	global_load_dwordx2 v[18:19], v[22:23], off offset:512
	global_load_dwordx2 v[16:17], v[22:23], off offset:1024
	;; [unrolled: 1-line block ×7, first 2 shown]
	ds_read_b64 v[22:23], v30
	v_cmp_lt_i32_e64 s[0:1], v33, v28
	s_waitcnt lgkmcnt(0)
	v_lshrrev_b32_e32 v36, 16, v22
	v_and_b32_e32 v22, 0xffff, v22
	v_lshrrev_b32_e32 v37, 16, v23
	v_and_b32_e32 v38, 0xffff, v23
	;;#ASMSTART
	v_cvt_f32_f16 v22, v22;
	;;#ASMEND
	;;#ASMSTART
	v_cvt_f32_f16 v23, v36;
	;;#ASMEND
	v_cndmask_b32_e64 v35, v26, v33, s[0:1]
	s_waitcnt vmcnt(7)
	v_lshrrev_b32_e32 v36, 16, v20
	v_and_b32_e32 v20, 0xffff, v20
	v_lshrrev_b32_e32 v39, 16, v21
	v_and_b32_e32 v21, 0xffff, v21
	s_waitcnt vmcnt(4)
	v_lshrrev_b32_e32 v47, 16, v14
	v_and_b32_e32 v48, 0xffff, v14
	v_lshrrev_b32_e32 v49, 16, v15
	v_and_b32_e32 v50, 0xffff, v15
	;; [unrolled: 5-line block ×5, first 2 shown]
	;;#ASMSTART
	v_cvt_f32_f16 v10, v20;
	;;#ASMEND
	;;#ASMSTART
	v_cvt_f32_f16 v11, v36;
	;;#ASMEND
	;; [unrolled: 3-line block ×6, first 2 shown]
	ds_read_b64 v[8:9], v30 offset:8
	v_lshrrev_b32_e32 v40, 16, v18
	v_and_b32_e32 v18, 0xffff, v18
	v_lshrrev_b32_e32 v41, 16, v19
	v_and_b32_e32 v42, 0xffff, v19
	s_waitcnt vmcnt(0)
	v_lshrrev_b32_e32 v36, 16, v6
	v_and_b32_e32 v37, 0xffff, v6
	v_lshrrev_b32_e32 v38, 16, v7
	v_and_b32_e32 v39, 0xffff, v7
	s_waitcnt lgkmcnt(0)
	v_lshrrev_b32_e32 v6, 16, v8
	v_and_b32_e32 v7, 0xffff, v8
	v_lshrrev_b32_e32 v19, 16, v9
	v_and_b32_e32 v20, 0xffff, v9
	;; [unrolled: 2-line block ×4, first 2 shown]
	;;#ASMSTART
	v_cvt_f32_f16 v8, v7;
	;;#ASMEND
	;;#ASMSTART
	v_cvt_f32_f16 v9, v6;
	;;#ASMEND
	;; [unrolled: 3-line block ×8, first 2 shown]
	ds_read_b64 v[6:7], v30 offset:16
	v_mul_f32_e32 v9, v9, v17
	v_mul_f32_e32 v17, v19, v21
	;; [unrolled: 1-line block ×4, first 2 shown]
	v_fmac_f32_e32 v9, v23, v11
	v_fmac_f32_e32 v17, v13, v15
	s_waitcnt lgkmcnt(0)
	v_lshrrev_b32_e32 v11, 16, v6
	v_and_b32_e32 v6, 0xffff, v6
	v_lshrrev_b32_e32 v15, 16, v7
	v_and_b32_e32 v7, 0xffff, v7
	v_fmac_f32_e32 v8, v22, v10
	v_fmac_f32_e32 v16, v12, v14
	;;#ASMSTART
	v_cvt_f32_f16 v10, v6;
	;;#ASMEND
	;;#ASMSTART
	v_cvt_f32_f16 v11, v11;
	;;#ASMEND
	;;#ASMSTART
	v_cvt_f32_f16 v12, v44;
	;;#ASMEND
	;;#ASMSTART
	v_cvt_f32_f16 v13, v43;
	;;#ASMEND
	;;#ASMSTART
	v_cvt_f32_f16 v14, v7;
	;;#ASMEND
	;;#ASMSTART
	v_cvt_f32_f16 v15, v15;
	;;#ASMEND
	;;#ASMSTART
	v_cvt_f32_f16 v18, v46;
	;;#ASMEND
	;;#ASMSTART
	v_cvt_f32_f16 v19, v45;
	;;#ASMEND
	ds_read_b64 v[6:7], v30 offset:24
	v_fmac_f32_e32 v9, v11, v13
	v_fmac_f32_e32 v17, v15, v19
	v_fmac_f32_e32 v8, v10, v12
	v_fmac_f32_e32 v16, v14, v18
	s_waitcnt lgkmcnt(0)
	v_lshrrev_b32_e32 v11, 16, v6
	v_and_b32_e32 v6, 0xffff, v6
	v_lshrrev_b32_e32 v15, 16, v7
	v_and_b32_e32 v7, 0xffff, v7
	;;#ASMSTART
	v_cvt_f32_f16 v10, v6;
	;;#ASMEND
	;;#ASMSTART
	v_cvt_f32_f16 v11, v11;
	;;#ASMEND
	;;#ASMSTART
	v_cvt_f32_f16 v12, v48;
	;;#ASMEND
	;;#ASMSTART
	v_cvt_f32_f16 v13, v47;
	;;#ASMEND
	;;#ASMSTART
	v_cvt_f32_f16 v14, v7;
	;;#ASMEND
	;;#ASMSTART
	v_cvt_f32_f16 v15, v15;
	;;#ASMEND
	;;#ASMSTART
	v_cvt_f32_f16 v18, v50;
	;;#ASMEND
	;;#ASMSTART
	v_cvt_f32_f16 v19, v49;
	;;#ASMEND
	ds_read_b64 v[6:7], v30 offset:32
	v_fmac_f32_e32 v9, v11, v13
	v_fmac_f32_e32 v17, v15, v19
	v_fmac_f32_e32 v8, v10, v12
	v_fmac_f32_e32 v16, v14, v18
	s_waitcnt lgkmcnt(0)
	v_lshrrev_b32_e32 v11, 16, v6
	v_and_b32_e32 v6, 0xffff, v6
	v_lshrrev_b32_e32 v15, 16, v7
	v_and_b32_e32 v7, 0xffff, v7
	;; [unrolled: 34-line block ×5, first 2 shown]
	;;#ASMSTART
	v_cvt_f32_f16 v6, v6;
	;;#ASMEND
	;;#ASMSTART
	v_cvt_f32_f16 v7, v10;
	;;#ASMEND
	;; [unrolled: 3-line block ×8, first 2 shown]
	s_nop 0
	v_fmac_f32_e32 v8, v6, v10
	v_fmac_f32_e32 v9, v7, v11
	;; [unrolled: 1-line block ×3, first 2 shown]
	v_add_f32_e32 v6, v8, v9
	v_fmac_f32_e32 v17, v13, v15
	v_add_f32_e32 v6, v6, v16
	v_add_f32_e32 v6, v17, v6
	v_lshlrev_b32_e32 v7, 2, v35
	ds_bpermute_b32 v7, v7, v6
	s_and_saveexec_b64 s[30:31], vcc
	s_cbranch_execz .LBB100_8
; %bb.10:                               ;   in Loop: Header=BB100_9 Depth=1
	v_add_u32_e32 v8, s15, v31
	v_cvt_f32_i32_e32 v8, v8
	s_waitcnt lgkmcnt(0)
	v_add_f32_e32 v6, v6, v7
	v_cmp_gt_i32_e64 s[0:1], s33, v31
	v_max_f32_e32 v7, v29, v29
	v_mul_f32_e32 v8, s8, v8
	v_cndmask_b32_e64 v8, 0, v8, s[2:3]
	v_fmac_f32_e32 v8, s9, v6
	v_cndmask_b32_e64 v6, 0, v8, s[0:1]
	ds_write_b32 v32, v6
	v_max_f32_e32 v6, v7, v8
	v_cndmask_b32_e64 v29, v29, v6, s[0:1]
	s_branch .LBB100_8
.LBB100_11:
	s_or_b64 exec, exec, s[28:29]
.LBB100_12:
	s_or_b64 exec, exec, s[26:27]
	v_xor_b32_e32 v2, 32, v26
	v_cmp_lt_i32_e32 vcc, v2, v28
	v_xor_b32_e32 v5, 16, v26
	v_max_f32_e32 v4, v29, v29
	v_cndmask_b32_e32 v2, v26, v2, vcc
	v_lshlrev_b32_e32 v2, 2, v2
	ds_bpermute_b32 v3, v2, v29
	v_cmp_lt_i32_e32 vcc, v5, v28
	v_xor_b32_e32 v6, 8, v26
	s_waitcnt lgkmcnt(0)
	v_xor_b32_e32 v7, 4, v26
	v_xor_b32_e32 v8, 2, v26
	v_max_f32_e32 v3, v3, v3
	v_max_f32_e32 v4, v4, v3
	v_cndmask_b32_e32 v3, v26, v5, vcc
	v_lshlrev_b32_e32 v3, 2, v3
	ds_bpermute_b32 v5, v3, v4
	v_cmp_lt_i32_e32 vcc, v6, v28
	v_and_b32_e32 v18, 63, v0
	s_waitcnt lgkmcnt(0)
	v_max_f32_e32 v5, v5, v5
	v_max_f32_e32 v5, v4, v5
	v_cndmask_b32_e32 v4, v26, v6, vcc
	v_lshlrev_b32_e32 v4, 2, v4
	ds_bpermute_b32 v6, v4, v5
	v_cmp_lt_i32_e32 vcc, v7, v28
	s_waitcnt lgkmcnt(0)
	v_max_f32_e32 v6, v6, v6
	v_max_f32_e32 v6, v5, v6
	v_cndmask_b32_e32 v5, v26, v7, vcc
	v_lshlrev_b32_e32 v5, 2, v5
	ds_bpermute_b32 v7, v5, v6
	v_cmp_lt_i32_e32 vcc, v8, v28
	s_waitcnt lgkmcnt(0)
	v_max_f32_e32 v7, v7, v7
	v_max_f32_e32 v7, v6, v7
	v_cndmask_b32_e32 v6, v26, v8, vcc
	v_lshlrev_b32_e32 v19, 2, v6
	ds_bpermute_b32 v8, v19, v7
	v_cmp_eq_u32_e32 vcc, 0, v18
	v_lshlrev_b32_e32 v6, 2, v24
	s_and_saveexec_b64 s[0:1], vcc
	s_cbranch_execz .LBB100_14
; %bb.13:
	s_waitcnt lgkmcnt(0)
	v_max_f32_e32 v8, v8, v8
	v_max_f32_e32 v7, v7, v7
	;; [unrolled: 1-line block ×3, first 2 shown]
	ds_write_b32 v6, v7 offset:128
.LBB100_14:
	s_or_b64 exec, exec, s[0:1]
	v_cmp_gt_u32_e64 s[0:1], 2, v18
	s_waitcnt lgkmcnt(0)
	v_mov_b32_e32 v8, 0xff7fffff
	v_lshlrev_b32_e32 v7, 2, v18
	s_barrier
	s_and_saveexec_b64 s[2:3], s[0:1]
; %bb.15:
	ds_read_b32 v8, v7 offset:128
; %bb.16:
	s_or_b64 exec, exec, s[2:3]
	v_xor_b32_e32 v9, 1, v26
	v_cmp_lt_i32_e64 s[2:3], v9, v28
	s_nop 1
	v_cndmask_b32_e64 v9, v26, v9, s[2:3]
	v_lshlrev_b32_e32 v20, 2, v9
	s_waitcnt lgkmcnt(0)
	ds_bpermute_b32 v9, v20, v8
	v_max_f32_e32 v8, v8, v8
	s_lshl_b32 s2, s12, 5
	s_min_i32 s15, s2, s33
	v_cmp_gt_i32_e64 s[2:3], s15, v0
	s_waitcnt lgkmcnt(0)
	v_max_f32_e32 v9, v9, v9
	v_max_f32_e32 v8, v8, v9
	v_lshlrev_b32_e32 v9, 2, v27
	ds_bpermute_b32 v9, v9, v8
	v_mov_b32_e32 v8, 0
	s_and_saveexec_b64 s[26:27], s[2:3]
	s_cbranch_execz .LBB100_20
; %bb.17:
	v_mov_b32_e32 v8, 0x90
	v_lshl_add_u32 v10, v0, 2, v8
	v_mov_b32_e32 v8, 0
	s_mov_b64 s[28:29], 0
	v_mov_b32_e32 v11, v0
.LBB100_18:                             ; =>This Inner Loop Header: Depth=1
	ds_read_b32 v12, v10
	v_add_u32_e32 v11, 0x80, v11
	v_cmp_le_i32_e64 s[8:9], s15, v11
	s_or_b64 s[28:29], s[8:9], s[28:29]
	s_waitcnt lgkmcnt(0)
	v_sub_f32_e32 v12, v12, v9
	v_mul_f32_e32 v12, 0x3fb8aa3b, v12
	v_exp_f32_e32 v12, v12
	ds_write_b32 v10, v12
	v_add_f32_e32 v8, v8, v12
	v_add_u32_e32 v10, 0x200, v10
	s_andn2_b64 exec, exec, s[28:29]
	s_cbranch_execnz .LBB100_18
; %bb.19:
	s_or_b64 exec, exec, s[28:29]
.LBB100_20:
	s_or_b64 exec, exec, s[26:27]
	ds_bpermute_b32 v2, v2, v8
	s_waitcnt lgkmcnt(0)
	v_add_f32_e32 v2, v8, v2
	ds_bpermute_b32 v3, v3, v2
	s_waitcnt lgkmcnt(0)
	v_add_f32_e32 v2, v2, v3
	;; [unrolled: 3-line block ×6, first 2 shown]
	s_and_saveexec_b64 s[8:9], vcc
; %bb.21:
	ds_write_b32 v6, v2 offset:136
; %bb.22:
	s_or_b64 exec, exec, s[8:9]
	s_waitcnt lgkmcnt(0)
	s_barrier
	s_and_saveexec_b64 s[8:9], s[0:1]
; %bb.23:
	ds_read_b32 v2, v7 offset:136
; %bb.24:
	s_or_b64 exec, exec, s[8:9]
	s_waitcnt lgkmcnt(0)
	ds_bpermute_b32 v3, v20, v2
	v_lshlrev_b32_e32 v4, 2, v26
	s_waitcnt lgkmcnt(0)
	v_add_f32_e32 v2, v2, v3
	v_and_b32_e32 v3, 0xffffff00, v4
	ds_bpermute_b32 v2, v3, v2
	s_and_saveexec_b64 s[0:1], s[2:3]
	s_cbranch_execz .LBB100_37
; %bb.25:
	s_waitcnt lgkmcnt(0)
	v_add_f32_e32 v2, 0x358637bd, v2
	v_div_scale_f32 v3, s[2:3], v2, v2, 1.0
	v_rcp_f32_e32 v4, v3
	v_div_scale_f32 v5, vcc, 1.0, v2, 1.0
	s_movk_i32 s2, 0x7f
	v_fma_f32 v6, -v3, v4, 1.0
	v_fmac_f32_e32 v4, v6, v4
	v_mul_f32_e32 v6, v5, v4
	v_fma_f32 v7, -v3, v6, v5
	v_fmac_f32_e32 v6, v7, v4
	v_fma_f32 v3, -v3, v6, v5
	v_div_fmas_f32 v3, v3, v4, v6
	v_xad_u32 v4, v0, -1, s15
	v_div_fixup_f32 v2, v3, v2, 1.0
	v_cmp_lt_u32_e32 vcc, s2, v4
	s_mov_b64 s[8:9], -1
	v_mov_b32_e32 v3, v0
	s_and_saveexec_b64 s[2:3], vcc
	s_cbranch_execz .LBB100_34
; %bb.26:
	v_lshrrev_b32_e32 v4, 7, v4
	v_add_u32_e32 v6, -1, v4
	v_lshrrev_b32_e32 v5, 1, v6
	v_mov_b32_e32 v3, v2
	v_add_u32_e32 v5, 1, v5
	v_cmp_lt_u32_e32 vcc, 13, v6
	v_mov_b32_e32 v8, 0
	s_and_saveexec_b64 s[8:9], vcc
	s_cbranch_execz .LBB100_30
; %bb.27:
	v_mov_b32_e32 v7, 0x90
	v_and_b32_e32 v6, -8, v5
	v_lshl_add_u32 v7, v0, 2, v7
	s_mov_b32 s17, 0
	s_mov_b64 s[26:27], 0
.LBB100_28:                             ; =>This Inner Loop Header: Depth=1
	ds_read2st64_b32 v[8:9], v7 offset1:2
	ds_read2st64_b32 v[10:11], v7 offset0:4 offset1:6
	ds_read2st64_b32 v[12:13], v7 offset0:8 offset1:10
	;; [unrolled: 1-line block ×3, first 2 shown]
	v_add_u32_e32 v6, -8, v6
	s_waitcnt lgkmcnt(3)
	v_pk_mul_f32 v[8:9], v[2:3], v[8:9]
	s_waitcnt lgkmcnt(2)
	v_pk_mul_f32 v[10:11], v[2:3], v[10:11]
	ds_write2st64_b32 v7, v8, v9 offset1:2
	ds_write2st64_b32 v7, v10, v11 offset0:4 offset1:6
	ds_read2st64_b32 v[10:11], v7 offset0:16 offset1:18
	s_waitcnt lgkmcnt(4)
	v_pk_mul_f32 v[8:9], v[2:3], v[12:13]
	ds_write2st64_b32 v7, v8, v9 offset0:8 offset1:10
	s_waitcnt lgkmcnt(4)
	v_pk_mul_f32 v[8:9], v[2:3], v[14:15]
	ds_write2st64_b32 v7, v8, v9 offset0:12 offset1:14
	ds_read2st64_b32 v[8:9], v7 offset0:20 offset1:22
	s_waitcnt lgkmcnt(3)
	v_pk_mul_f32 v[10:11], v[2:3], v[10:11]
	ds_read2st64_b32 v[12:13], v7 offset0:24 offset1:26
	ds_write2st64_b32 v7, v10, v11 offset0:16 offset1:18
	ds_read2st64_b32 v[10:11], v7 offset0:28 offset1:30
	s_waitcnt lgkmcnt(3)
	v_pk_mul_f32 v[8:9], v[2:3], v[8:9]
	ds_write2st64_b32 v7, v8, v9 offset0:20 offset1:22
	s_waitcnt lgkmcnt(3)
	v_pk_mul_f32 v[8:9], v[2:3], v[12:13]
	ds_write2st64_b32 v7, v8, v9 offset0:24 offset1:26
	s_waitcnt lgkmcnt(2)
	v_pk_mul_f32 v[8:9], v[2:3], v[10:11]
	s_add_i32 s17, s17, 16
	v_cmp_eq_u32_e32 vcc, 0, v6
	ds_write2st64_b32 v7, v8, v9 offset0:28 offset1:30
	v_add_u32_e32 v7, 0x2000, v7
	s_or_b64 s[26:27], vcc, s[26:27]
	v_mov_b32_e32 v8, s17
	s_andn2_b64 exec, exec, s[26:27]
	s_cbranch_execnz .LBB100_28
; %bb.29:
	s_or_b64 exec, exec, s[26:27]
.LBB100_30:
	s_or_b64 exec, exec, s[8:9]
	v_and_b32_e32 v5, 7, v5
	v_cmp_ne_u32_e32 vcc, 0, v5
	s_and_saveexec_b64 s[8:9], vcc
	s_cbranch_execz .LBB100_33
; %bb.31:
	v_lshlrev_b32_e32 v6, 9, v8
	v_lshlrev_b32_e32 v7, 2, v0
	s_movk_i32 s17, 0x90
	v_add3_u32 v6, v6, v7, s17
	s_mov_b64 s[26:27], 0
.LBB100_32:                             ; =>This Inner Loop Header: Depth=1
	ds_read2st64_b32 v[8:9], v6 offset1:2
	v_add_u32_e32 v5, -1, v5
	v_cmp_eq_u32_e32 vcc, 0, v5
	s_or_b64 s[26:27], vcc, s[26:27]
	s_waitcnt lgkmcnt(0)
	v_pk_mul_f32 v[8:9], v[2:3], v[8:9]
	ds_write2st64_b32 v6, v8, v9 offset1:2
	v_add_u32_e32 v6, 0x400, v6
	s_andn2_b64 exec, exec, s[26:27]
	s_cbranch_execnz .LBB100_32
.LBB100_33:
	s_or_b64 exec, exec, s[8:9]
	v_add_u32_e32 v4, 1, v4
	v_and_b32_e32 v5, 0x3fffffe, v4
	v_cmp_ne_u32_e32 vcc, v4, v5
	v_lshl_add_u32 v3, v5, 7, v0
	s_orn2_b64 s[8:9], vcc, exec
.LBB100_34:
	s_or_b64 exec, exec, s[2:3]
	s_and_b64 exec, exec, s[8:9]
	s_cbranch_execz .LBB100_37
; %bb.35:
	v_mov_b32_e32 v4, 0x90
	v_lshl_add_u32 v4, v3, 2, v4
	s_mov_b64 s[2:3], 0
.LBB100_36:                             ; =>This Inner Loop Header: Depth=1
	ds_read_b32 v5, v4
	v_add_u32_e32 v3, 0x80, v3
	v_cmp_le_i32_e32 vcc, s15, v3
	s_or_b64 s[2:3], vcc, s[2:3]
	s_waitcnt lgkmcnt(0)
	v_mul_f32_e32 v5, v2, v5
	ds_write_b32 v4, v5
	v_add_u32_e32 v4, 0x200, v4
	s_andn2_b64 exec, exec, s[2:3]
	s_cbranch_execnz .LBB100_36
.LBB100_37:
	s_or_b64 exec, exec, s[0:1]
	v_mov_b32_e32 v7, 0
	v_and_b32_e32 v21, 3, v0
	v_mov_b32_e32 v6, 0
	v_mov_b32_e32 v9, 0
	;; [unrolled: 1-line block ×3, first 2 shown]
	s_waitcnt lgkmcnt(0)
	s_barrier
	s_and_saveexec_b64 s[2:3], s[6:7]
	s_cbranch_execz .LBB100_49
; %bb.38:
	s_ashr_i32 s15, s14, 31
	s_lshl_b64 s[0:1], s[14:15], 1
	s_add_u32 s0, s24, s0
	v_lshlrev_b32_e32 v2, 4, v0
	s_addc_u32 s1, s25, s1
	v_and_b32_e32 v10, 0x3f0, v2
	v_mov_b32_e32 v11, 0
	v_and_b32_e32 v1, 24, v1
	s_add_i32 s14, s12, -1
	v_lshl_add_u64 v[12:13], s[0:1], 0, v[10:11]
	s_lshl_b64 s[0:1], s[22:23], 2
	v_lshl_or_b32 v22, v24, 5, v1
	v_lshlrev_b32_e32 v1, 5, v21
	s_add_u32 s0, s20, s0
	v_lshl_or_b32 v1, v24, 7, v1
	v_and_b32_e32 v10, 60, v25
	s_addc_u32 s1, s21, s1
	s_mov_b32 s15, s33
	v_add_u32_e32 v23, 0x90, v1
	v_lshl_add_u64 v[14:15], s[0:1], 0, v[10:11]
	s_mov_b64 s[6:7], 0
	s_mov_b32 s17, 0xffff
	v_mov_b32_e32 v7, 0
	v_mov_b32_e32 v6, 0
	;; [unrolled: 1-line block ×4, first 2 shown]
	s_branch .LBB100_40
.LBB100_39:                             ;   in Loop: Header=BB100_40 Depth=1
	s_or_b64 exec, exec, s[8:9]
	v_lshlrev_b32_e32 v10, 16, v10
	v_lshlrev_b32_e32 v1, 16, v1
	v_and_or_b32 v2, v2, s17, v10
	v_and_or_b32 v1, v3, s17, v1
	v_lshlrev_b32_e32 v3, 16, v16
	v_and_or_b32 v3, v4, s17, v3
	;;#ASMSTART
	v_pk_mul_f16 v2, v32, v2;

	;;#ASMEND
	;;#ASMSTART
	v_pk_mul_f16 v1, v33, v1;

	;;#ASMEND
	;; [unrolled: 4-line block ×4, first 2 shown]
	v_add_f32_e32 v17, v40, v41
	;;#ASMSTART
	v_pk_add_f16 v1, v2, v1;

	;;#ASMEND
	v_add_f32_e32 v6, v6, v17
	;;#ASMSTART
	v_pk_add_f16 v1, v1, v3;

	;;#ASMEND
	;; [unrolled: 5-line block ×3, first 2 shown]
	v_add_u32_e32 v24, 2, v24
	v_lshrrev_b32_e32 v2, 16, v1
	v_and_b32_e32 v1, 0xffff, v1
	;;#ASMSTART
	v_cvt_f32_f16 v1, v1;
	;;#ASMEND
	v_add_f32_e32 v9, v9, v17
	v_add_f32_e32 v17, v36, v37
	;;#ASMSTART
	v_cvt_f32_f16 v2, v2;
	;;#ASMEND
	v_cmp_le_i32_e32 vcc, s12, v24
	v_add_f32_e32 v1, v1, v2
	v_add_f32_e32 v8, v8, v17
	;; [unrolled: 1-line block ×3, first 2 shown]
	v_add_u32_e32 v22, 64, v22
	v_add_u32_e32 v23, 0x100, v23
	s_or_b64 s[6:7], vcc, s[6:7]
	v_lshl_add_u64 v[14:15], v[14:15], 0, 8
	s_andn2_b64 exec, exec, s[6:7]
	s_cbranch_execz .LBB100_48
.LBB100_40:                             ; =>This Inner Loop Header: Depth=1
	global_load_dword v1, v[14:15], off
	ds_read2_b64 v[2:5], v23 offset1:1
	ds_read2_b64 v[26:29], v23 offset0:2 offset1:3
	v_add_u32_e32 v25, 7, v22
	v_or_b32_e32 v30, 3, v22
	s_waitcnt lgkmcnt(1)
	;;#ASMSTART
	v_cvt_f16_f32 v32, v2;

	;;#ASMEND
	;;#ASMSTART
	v_cvt_f16_f32 v33, v3;

	;;#ASMEND
	;; [unrolled: 4-line block ×4, first 2 shown]
	s_waitcnt lgkmcnt(0)
	;;#ASMSTART
	v_cvt_f16_f32 v36, v26;

	;;#ASMEND
	;;#ASMSTART
	v_cvt_f16_f32 v37, v27;

	;;#ASMEND
	;; [unrolled: 4-line block ×4, first 2 shown]
	v_add_u32_e32 v29, 2, v22
	v_add_u32_e32 v28, 4, v22
	;; [unrolled: 1-line block ×4, first 2 shown]
	v_or_b32_e32 v31, 1, v22
	s_waitcnt vmcnt(0)
	v_mad_i64_i32 v[2:3], s[0:1], v1, s13, 0
	v_lshl_add_u64 v[16:17], v[2:3], 1, v[12:13]
	global_load_dwordx4 v[2:5], v[16:17], off
	v_cmp_eq_u32_e64 s[0:1], s14, v24
	s_waitcnt vmcnt(0)
	v_lshrrev_b32_e32 v1, 16, v3
	v_lshrrev_b32_e32 v10, 16, v2
	;; [unrolled: 1-line block ×3, first 2 shown]
	s_and_saveexec_b64 s[8:9], s[0:1]
	s_cbranch_execz .LBB100_42
; %bb.41:                               ;   in Loop: Header=BB100_40 Depth=1
	v_cmp_gt_i32_e32 vcc, s33, v22
	s_nop 1
	v_cndmask_b32_e32 v2, 0, v2, vcc
	v_cmp_gt_i32_e32 vcc, s33, v29
	s_nop 1
	v_cndmask_b32_e32 v3, 0, v3, vcc
	v_cmp_gt_i32_e32 vcc, s15, v30
	s_nop 1
	v_cndmask_b32_e32 v1, 0, v1, vcc
	v_cmp_gt_i32_e32 vcc, s33, v31
	s_nop 1
	v_cndmask_b32_e32 v10, 0, v10, vcc
	v_cmp_gt_i32_e32 vcc, s33, v28
	s_nop 1
	v_cndmask_b32_e32 v4, 0, v4, vcc
	v_cmp_gt_i32_e32 vcc, s33, v27
	s_nop 1
	v_cndmask_b32_e32 v40, 0, v40, vcc
	v_cmp_gt_i32_e32 vcc, s33, v26
	s_nop 1
	v_cndmask_b32_sdwa v41, v11, v5, vcc dst_sel:DWORD dst_unused:UNUSED_PAD src0_sel:DWORD src1_sel:WORD_0
	v_and_b32_e32 v5, 0xffff0000, v5
	v_cmp_gt_i32_e32 vcc, s33, v25
	s_nop 1
	v_cndmask_b32_e32 v5, 0, v5, vcc
	v_or_b32_e32 v5, v41, v5
.LBB100_42:                             ;   in Loop: Header=BB100_40 Depth=1
	s_or_b64 exec, exec, s[8:9]
	v_and_b32_e32 v32, 0xffff, v32
	v_lshlrev_b32_e32 v10, 16, v10
	v_lshlrev_b32_e32 v1, 16, v1
	v_lshl_or_b32 v32, v33, 16, v32
	v_and_b32_e32 v33, 0xffff, v34
	v_and_or_b32 v2, v2, s17, v10
	v_and_or_b32 v1, v3, s17, v1
	v_lshlrev_b32_e32 v3, 16, v40
	v_lshl_or_b32 v33, v35, 16, v33
	v_and_b32_e32 v34, 0xffff, v36
	v_and_b32_e32 v35, 0xffff, v38
	v_and_or_b32 v3, v4, s17, v3
	;;#ASMSTART
	v_pk_mul_f16 v2, v32, v2;

	;;#ASMEND
	;;#ASMSTART
	v_pk_mul_f16 v1, v33, v1;

	;;#ASMEND
	v_lshl_or_b32 v34, v37, 16, v34
	v_lshl_or_b32 v35, v39, 16, v35
	;;#ASMSTART
	v_pk_mul_f16 v3, v34, v3;

	;;#ASMEND
	;;#ASMSTART
	v_pk_mul_f16 v4, v35, v5;

	;;#ASMEND
	;;#ASMSTART
	v_pk_add_f16 v1, v2, v1;

	;;#ASMEND
	s_nop 0
	;;#ASMSTART
	v_pk_add_f16 v1, v1, v3;

	;;#ASMEND
	s_nop 0
	;; [unrolled: 5-line block ×3, first 2 shown]
	v_lshrrev_b32_e32 v2, 16, v1
	v_and_b32_e32 v1, 0xffff, v1
	;;#ASMSTART
	v_cvt_f32_f16 v36, v1;
	;;#ASMEND
	;;#ASMSTART
	v_cvt_f32_f16 v37, v2;
	;;#ASMEND
	global_load_dwordx4 v[2:5], v[16:17], off offset:1024
	s_waitcnt vmcnt(0)
	v_lshrrev_b32_e32 v1, 16, v3
	v_lshrrev_b32_e32 v10, 16, v2
	;; [unrolled: 1-line block ×3, first 2 shown]
	s_and_saveexec_b64 s[8:9], s[0:1]
	s_cbranch_execz .LBB100_44
; %bb.43:                               ;   in Loop: Header=BB100_40 Depth=1
	v_cmp_gt_i32_e32 vcc, s33, v22
	s_nop 1
	v_cndmask_b32_e32 v2, 0, v2, vcc
	v_cmp_gt_i32_e32 vcc, s33, v29
	s_nop 1
	v_cndmask_b32_e32 v3, 0, v3, vcc
	;; [unrolled: 3-line block ×6, first 2 shown]
	v_cmp_gt_i32_e32 vcc, s33, v26
	s_nop 1
	v_cndmask_b32_sdwa v39, v11, v5, vcc dst_sel:DWORD dst_unused:UNUSED_PAD src0_sel:DWORD src1_sel:WORD_0
	v_and_b32_e32 v5, 0xffff0000, v5
	v_cmp_gt_i32_e32 vcc, s33, v25
	s_nop 1
	v_cndmask_b32_e32 v5, 0, v5, vcc
	v_or_b32_e32 v5, v39, v5
.LBB100_44:                             ;   in Loop: Header=BB100_40 Depth=1
	s_or_b64 exec, exec, s[8:9]
	v_lshlrev_b32_e32 v10, 16, v10
	v_lshlrev_b32_e32 v1, 16, v1
	v_and_or_b32 v2, v2, s17, v10
	v_and_or_b32 v1, v3, s17, v1
	v_lshlrev_b32_e32 v3, 16, v38
	v_and_or_b32 v3, v4, s17, v3
	;;#ASMSTART
	v_pk_mul_f16 v2, v32, v2;

	;;#ASMEND
	;;#ASMSTART
	v_pk_mul_f16 v1, v33, v1;

	;;#ASMEND
	;; [unrolled: 4-line block ×4, first 2 shown]
	s_nop 0
	;;#ASMSTART
	v_pk_add_f16 v1, v2, v1;

	;;#ASMEND
	s_nop 0
	;;#ASMSTART
	v_pk_add_f16 v1, v1, v3;

	;;#ASMEND
	s_nop 0
	;;#ASMSTART
	v_pk_add_f16 v1, v1, v4;

	;;#ASMEND
	s_nop 0
	v_lshrrev_b32_e32 v2, 16, v1
	v_and_b32_e32 v1, 0xffff, v1
	;;#ASMSTART
	v_cvt_f32_f16 v38, v1;
	;;#ASMEND
	;;#ASMSTART
	v_cvt_f32_f16 v39, v2;
	;;#ASMEND
	global_load_dwordx4 v[2:5], v[16:17], off offset:2048
	s_waitcnt vmcnt(0)
	v_lshrrev_b32_e32 v1, 16, v3
	v_lshrrev_b32_e32 v10, 16, v2
	;; [unrolled: 1-line block ×3, first 2 shown]
	s_and_saveexec_b64 s[8:9], s[0:1]
	s_cbranch_execz .LBB100_46
; %bb.45:                               ;   in Loop: Header=BB100_40 Depth=1
	v_cmp_gt_i32_e32 vcc, s33, v22
	s_nop 1
	v_cndmask_b32_e32 v2, 0, v2, vcc
	v_cmp_gt_i32_e32 vcc, s33, v29
	s_nop 1
	v_cndmask_b32_e32 v3, 0, v3, vcc
	;; [unrolled: 3-line block ×6, first 2 shown]
	v_cmp_gt_i32_e32 vcc, s33, v26
	s_nop 1
	v_cndmask_b32_sdwa v41, v11, v5, vcc dst_sel:DWORD dst_unused:UNUSED_PAD src0_sel:DWORD src1_sel:WORD_0
	v_and_b32_e32 v5, 0xffff0000, v5
	v_cmp_gt_i32_e32 vcc, s33, v25
	s_nop 1
	v_cndmask_b32_e32 v5, 0, v5, vcc
	v_or_b32_e32 v5, v41, v5
.LBB100_46:                             ;   in Loop: Header=BB100_40 Depth=1
	s_or_b64 exec, exec, s[8:9]
	v_lshlrev_b32_e32 v10, 16, v10
	v_lshlrev_b32_e32 v1, 16, v1
	v_and_or_b32 v2, v2, s17, v10
	v_and_or_b32 v1, v3, s17, v1
	v_lshlrev_b32_e32 v3, 16, v40
	v_and_or_b32 v3, v4, s17, v3
	;;#ASMSTART
	v_pk_mul_f16 v2, v32, v2;

	;;#ASMEND
	;;#ASMSTART
	v_pk_mul_f16 v1, v33, v1;

	;;#ASMEND
	;; [unrolled: 4-line block ×4, first 2 shown]
	s_nop 0
	;;#ASMSTART
	v_pk_add_f16 v1, v2, v1;

	;;#ASMEND
	s_nop 0
	;;#ASMSTART
	v_pk_add_f16 v1, v1, v3;

	;;#ASMEND
	;; [unrolled: 5-line block ×3, first 2 shown]
	s_nop 0
	v_lshrrev_b32_e32 v2, 16, v1
	v_and_b32_e32 v1, 0xffff, v1
	;;#ASMSTART
	v_cvt_f32_f16 v40, v1;
	;;#ASMEND
	;;#ASMSTART
	v_cvt_f32_f16 v41, v2;
	;;#ASMEND
	global_load_dwordx4 v[2:5], v[16:17], off offset:3072
	s_waitcnt vmcnt(0)
	v_lshrrev_b32_e32 v1, 16, v3
	v_lshrrev_b32_e32 v10, 16, v2
	;; [unrolled: 1-line block ×3, first 2 shown]
	s_and_saveexec_b64 s[8:9], s[0:1]
	s_cbranch_execz .LBB100_39
; %bb.47:                               ;   in Loop: Header=BB100_40 Depth=1
	v_cmp_gt_i32_e32 vcc, s33, v22
	s_nop 1
	v_cndmask_b32_e32 v2, 0, v2, vcc
	v_cmp_gt_i32_e32 vcc, s33, v29
	s_nop 1
	v_cndmask_b32_e32 v3, 0, v3, vcc
	;; [unrolled: 3-line block ×6, first 2 shown]
	v_cmp_gt_i32_e32 vcc, s33, v26
	s_nop 1
	v_cndmask_b32_sdwa v17, v11, v5, vcc dst_sel:DWORD dst_unused:UNUSED_PAD src0_sel:DWORD src1_sel:WORD_0
	v_and_b32_e32 v5, 0xffff0000, v5
	v_cmp_gt_i32_e32 vcc, s33, v25
	s_nop 1
	v_cndmask_b32_e32 v5, 0, v5, vcc
	v_or_b32_e32 v5, v17, v5
	s_branch .LBB100_39
.LBB100_48:
	s_or_b64 exec, exec, s[6:7]
.LBB100_49:
	s_or_b64 exec, exec, s[2:3]
	ds_bpermute_b32 v2, v19, v8
	ds_bpermute_b32 v3, v19, v9
	ds_bpermute_b32 v4, v19, v6
	ds_bpermute_b32 v5, v19, v7
	v_and_b32_e32 v1, 0x3c3, v0
	v_cmp_ne_u32_e32 vcc, 64, v1
	s_waitcnt lgkmcnt(2)
	v_pk_add_f32 v[2:3], v[8:9], v[2:3]
	ds_bpermute_b32 v8, v20, v2
	ds_bpermute_b32 v9, v20, v3
	s_waitcnt lgkmcnt(2)
	v_pk_add_f32 v[4:5], v[6:7], v[4:5]
	ds_bpermute_b32 v6, v20, v4
	ds_bpermute_b32 v7, v20, v5
	s_waitcnt lgkmcnt(0)
	v_pk_add_f32 v[2:3], v[2:3], v[8:9]
	s_barrier
	s_and_saveexec_b64 s[0:1], vcc
	s_xor_b64 s[0:1], exec, s[0:1]
; %bb.50:
                                        ; implicit-def: $vgpr18
; %bb.51:
	s_or_saveexec_b64 s[0:1], s[0:1]
	v_pk_add_f32 v[4:5], v[4:5], v[6:7]
	s_xor_b64 exec, exec, s[0:1]
	s_cbranch_execz .LBB100_53
; %bb.52:
	v_add_u32_e32 v6, 0x90, v18
	ds_write2_b32 v6, v2, v3 offset1:16
	ds_write2_b32 v6, v4, v5 offset0:32 offset1:48
.LBB100_53:
	s_or_b64 exec, exec, s[0:1]
	v_cmp_gt_u32_e32 vcc, 64, v0
	v_lshrrev_b32_e32 v0, 2, v0
	s_waitcnt lgkmcnt(0)
	s_barrier
	s_and_saveexec_b64 s[0:1], vcc
	s_cbranch_execz .LBB100_60
; %bb.54:
	v_mov_b32_e32 v6, 0x90
	v_cmp_eq_u32_e32 vcc, 0, v21
	v_lshl_add_u32 v6, v0, 2, v6
	s_and_saveexec_b64 s[2:3], vcc
	s_cbranch_execnz .LBB100_63
; %bb.55:
	s_or_b64 exec, exec, s[2:3]
	s_and_saveexec_b64 s[2:3], vcc
	s_cbranch_execnz .LBB100_64
.LBB100_56:
	s_or_b64 exec, exec, s[2:3]
	s_and_saveexec_b64 s[2:3], vcc
	s_cbranch_execnz .LBB100_65
.LBB100_57:
	s_or_b64 exec, exec, s[2:3]
	s_and_saveexec_b64 s[2:3], vcc
	s_cbranch_execz .LBB100_59
.LBB100_58:
	ds_read_b32 v6, v6 offset:192
	s_waitcnt lgkmcnt(0)
	v_add_f32_e32 v5, v5, v6
.LBB100_59:
	s_or_b64 exec, exec, s[2:3]
.LBB100_60:
	s_or_b64 exec, exec, s[0:1]
	v_cmp_eq_u32_e32 vcc, 0, v1
	s_barrier
	s_and_saveexec_b64 s[0:1], vcc
	s_cbranch_execz .LBB100_62
; %bb.61:
	s_mul_i32 s0, s10, s11
	s_mul_i32 s0, s0, s5
	s_lshl_b32 s0, s0, 6
	s_ashr_i32 s1, s0, 31
	s_lshl_b64 s[0:1], s[0:1], 1
	s_add_u32 s2, s18, s0
	s_mul_i32 s0, s11, s16
	s_addc_u32 s3, s19, s1
	s_ashr_i32 s1, s0, 31
	s_lshl_b64 s[0:1], s[0:1], 1
	s_add_u32 s2, s2, s0
	s_addc_u32 s3, s3, s1
	s_lshl_b32 s0, s4, 6
	s_ashr_i32 s1, s0, 31
	s_lshl_b64 s[0:1], s[0:1], 1
	s_add_u32 s0, s2, s0
	s_addc_u32 s1, s3, s1
	v_lshlrev_b32_e32 v0, 1, v0
	;;#ASMSTART
	v_cvt_f16_f32 v1, v2;

	;;#ASMEND
	global_store_short v0, v1, s[0:1]
	;;#ASMSTART
	v_cvt_f16_f32 v1, v3;

	;;#ASMEND
	global_store_short v0, v1, s[0:1] offset:32
	;;#ASMSTART
	v_cvt_f16_f32 v1, v4;

	;;#ASMEND
	global_store_short v0, v1, s[0:1] offset:64
	;; [unrolled: 5-line block ×3, first 2 shown]
.LBB100_62:
	s_endpgm
.LBB100_63:
	ds_read_b32 v7, v6
	s_waitcnt lgkmcnt(0)
	v_add_f32_e32 v2, v2, v7
	s_or_b64 exec, exec, s[2:3]
	s_and_saveexec_b64 s[2:3], vcc
	s_cbranch_execz .LBB100_56
.LBB100_64:
	ds_read_b32 v7, v6 offset:64
	s_waitcnt lgkmcnt(0)
	v_add_f32_e32 v3, v3, v7
	s_or_b64 exec, exec, s[2:3]
	s_and_saveexec_b64 s[2:3], vcc
	s_cbranch_execz .LBB100_57
.LBB100_65:
	ds_read_b32 v7, v6 offset:128
	s_waitcnt lgkmcnt(0)
	v_add_f32_e32 v4, v4, v7
	s_or_b64 exec, exec, s[2:3]
	s_and_saveexec_b64 s[2:3], vcc
	s_cbranch_execnz .LBB100_58
	s_branch .LBB100_59
	.section	.rodata,"a",@progbits
	.p2align	6, 0x0
	.amdhsa_kernel _ZN4vllm25paged_attention_v1_kernelIttLi64ELi32ELi128ELNS_18Fp8KVCacheDataTypeE0ELb0EEEvPT_PKS2_PKT0_S8_ifPKiSA_iPKfiiiSC_SC_iiiii
		.amdhsa_group_segment_fixed_size 144
		.amdhsa_private_segment_fixed_size 0
		.amdhsa_kernarg_size 384
		.amdhsa_user_sgpr_count 2
		.amdhsa_user_sgpr_dispatch_ptr 0
		.amdhsa_user_sgpr_queue_ptr 0
		.amdhsa_user_sgpr_kernarg_segment_ptr 1
		.amdhsa_user_sgpr_dispatch_id 0
		.amdhsa_user_sgpr_kernarg_preload_length 0
		.amdhsa_user_sgpr_kernarg_preload_offset 0
		.amdhsa_user_sgpr_private_segment_size 0
		.amdhsa_uses_dynamic_stack 0
		.amdhsa_enable_private_segment 0
		.amdhsa_system_sgpr_workgroup_id_x 1
		.amdhsa_system_sgpr_workgroup_id_y 1
		.amdhsa_system_sgpr_workgroup_id_z 1
		.amdhsa_system_sgpr_workgroup_info 0
		.amdhsa_system_vgpr_workitem_id 0
		.amdhsa_next_free_vgpr 63
		.amdhsa_next_free_sgpr 34
		.amdhsa_accum_offset 64
		.amdhsa_reserve_vcc 1
		.amdhsa_float_round_mode_32 0
		.amdhsa_float_round_mode_16_64 0
		.amdhsa_float_denorm_mode_32 3
		.amdhsa_float_denorm_mode_16_64 3
		.amdhsa_dx10_clamp 1
		.amdhsa_ieee_mode 1
		.amdhsa_fp16_overflow 0
		.amdhsa_tg_split 0
		.amdhsa_exception_fp_ieee_invalid_op 0
		.amdhsa_exception_fp_denorm_src 0
		.amdhsa_exception_fp_ieee_div_zero 0
		.amdhsa_exception_fp_ieee_overflow 0
		.amdhsa_exception_fp_ieee_underflow 0
		.amdhsa_exception_fp_ieee_inexact 0
		.amdhsa_exception_int_div_zero 0
	.end_amdhsa_kernel
	.section	.text._ZN4vllm25paged_attention_v1_kernelIttLi64ELi32ELi128ELNS_18Fp8KVCacheDataTypeE0ELb0EEEvPT_PKS2_PKT0_S8_ifPKiSA_iPKfiiiSC_SC_iiiii,"axG",@progbits,_ZN4vllm25paged_attention_v1_kernelIttLi64ELi32ELi128ELNS_18Fp8KVCacheDataTypeE0ELb0EEEvPT_PKS2_PKT0_S8_ifPKiSA_iPKfiiiSC_SC_iiiii,comdat
.Lfunc_end100:
	.size	_ZN4vllm25paged_attention_v1_kernelIttLi64ELi32ELi128ELNS_18Fp8KVCacheDataTypeE0ELb0EEEvPT_PKS2_PKT0_S8_ifPKiSA_iPKfiiiSC_SC_iiiii, .Lfunc_end100-_ZN4vllm25paged_attention_v1_kernelIttLi64ELi32ELi128ELNS_18Fp8KVCacheDataTypeE0ELb0EEEvPT_PKS2_PKT0_S8_ifPKiSA_iPKfiiiSC_SC_iiiii
                                        ; -- End function
	.set _ZN4vllm25paged_attention_v1_kernelIttLi64ELi32ELi128ELNS_18Fp8KVCacheDataTypeE0ELb0EEEvPT_PKS2_PKT0_S8_ifPKiSA_iPKfiiiSC_SC_iiiii.num_vgpr, 63
	.set _ZN4vllm25paged_attention_v1_kernelIttLi64ELi32ELi128ELNS_18Fp8KVCacheDataTypeE0ELb0EEEvPT_PKS2_PKT0_S8_ifPKiSA_iPKfiiiSC_SC_iiiii.num_agpr, 0
	.set _ZN4vllm25paged_attention_v1_kernelIttLi64ELi32ELi128ELNS_18Fp8KVCacheDataTypeE0ELb0EEEvPT_PKS2_PKT0_S8_ifPKiSA_iPKfiiiSC_SC_iiiii.numbered_sgpr, 34
	.set _ZN4vllm25paged_attention_v1_kernelIttLi64ELi32ELi128ELNS_18Fp8KVCacheDataTypeE0ELb0EEEvPT_PKS2_PKT0_S8_ifPKiSA_iPKfiiiSC_SC_iiiii.num_named_barrier, 0
	.set _ZN4vllm25paged_attention_v1_kernelIttLi64ELi32ELi128ELNS_18Fp8KVCacheDataTypeE0ELb0EEEvPT_PKS2_PKT0_S8_ifPKiSA_iPKfiiiSC_SC_iiiii.private_seg_size, 0
	.set _ZN4vllm25paged_attention_v1_kernelIttLi64ELi32ELi128ELNS_18Fp8KVCacheDataTypeE0ELb0EEEvPT_PKS2_PKT0_S8_ifPKiSA_iPKfiiiSC_SC_iiiii.uses_vcc, 1
	.set _ZN4vllm25paged_attention_v1_kernelIttLi64ELi32ELi128ELNS_18Fp8KVCacheDataTypeE0ELb0EEEvPT_PKS2_PKT0_S8_ifPKiSA_iPKfiiiSC_SC_iiiii.uses_flat_scratch, 0
	.set _ZN4vllm25paged_attention_v1_kernelIttLi64ELi32ELi128ELNS_18Fp8KVCacheDataTypeE0ELb0EEEvPT_PKS2_PKT0_S8_ifPKiSA_iPKfiiiSC_SC_iiiii.has_dyn_sized_stack, 0
	.set _ZN4vllm25paged_attention_v1_kernelIttLi64ELi32ELi128ELNS_18Fp8KVCacheDataTypeE0ELb0EEEvPT_PKS2_PKT0_S8_ifPKiSA_iPKfiiiSC_SC_iiiii.has_recursion, 0
	.set _ZN4vllm25paged_attention_v1_kernelIttLi64ELi32ELi128ELNS_18Fp8KVCacheDataTypeE0ELb0EEEvPT_PKS2_PKT0_S8_ifPKiSA_iPKfiiiSC_SC_iiiii.has_indirect_call, 0
	.section	.AMDGPU.csdata,"",@progbits
; Kernel info:
; codeLenInByte = 6548
; TotalNumSgprs: 40
; NumVgprs: 63
; NumAgprs: 0
; TotalNumVgprs: 63
; ScratchSize: 0
; MemoryBound: 0
; FloatMode: 240
; IeeeMode: 1
; LDSByteSize: 144 bytes/workgroup (compile time only)
; SGPRBlocks: 4
; VGPRBlocks: 7
; NumSGPRsForWavesPerEU: 40
; NumVGPRsForWavesPerEU: 63
; AccumOffset: 64
; Occupancy: 8
; WaveLimiterHint : 1
; COMPUTE_PGM_RSRC2:SCRATCH_EN: 0
; COMPUTE_PGM_RSRC2:USER_SGPR: 2
; COMPUTE_PGM_RSRC2:TRAP_HANDLER: 0
; COMPUTE_PGM_RSRC2:TGID_X_EN: 1
; COMPUTE_PGM_RSRC2:TGID_Y_EN: 1
; COMPUTE_PGM_RSRC2:TGID_Z_EN: 1
; COMPUTE_PGM_RSRC2:TIDIG_COMP_CNT: 0
; COMPUTE_PGM_RSRC3_GFX90A:ACCUM_OFFSET: 15
; COMPUTE_PGM_RSRC3_GFX90A:TG_SPLIT: 0
	.section	.text._ZN4vllm25paged_attention_v1_kernelIttLi80ELi32ELi128ELNS_18Fp8KVCacheDataTypeE0ELb0EEEvPT_PKS2_PKT0_S8_ifPKiSA_iPKfiiiSC_SC_iiiii,"axG",@progbits,_ZN4vllm25paged_attention_v1_kernelIttLi80ELi32ELi128ELNS_18Fp8KVCacheDataTypeE0ELb0EEEvPT_PKS2_PKT0_S8_ifPKiSA_iPKfiiiSC_SC_iiiii,comdat
	.protected	_ZN4vllm25paged_attention_v1_kernelIttLi80ELi32ELi128ELNS_18Fp8KVCacheDataTypeE0ELb0EEEvPT_PKS2_PKT0_S8_ifPKiSA_iPKfiiiSC_SC_iiiii ; -- Begin function _ZN4vllm25paged_attention_v1_kernelIttLi80ELi32ELi128ELNS_18Fp8KVCacheDataTypeE0ELb0EEEvPT_PKS2_PKT0_S8_ifPKiSA_iPKfiiiSC_SC_iiiii
	.globl	_ZN4vllm25paged_attention_v1_kernelIttLi80ELi32ELi128ELNS_18Fp8KVCacheDataTypeE0ELb0EEEvPT_PKS2_PKT0_S8_ifPKiSA_iPKfiiiSC_SC_iiiii
	.p2align	8
	.type	_ZN4vllm25paged_attention_v1_kernelIttLi80ELi32ELi128ELNS_18Fp8KVCacheDataTypeE0ELb0EEEvPT_PKS2_PKT0_S8_ifPKiSA_iPKfiiiSC_SC_iiiii,@function
_ZN4vllm25paged_attention_v1_kernelIttLi80ELi32ELi128ELNS_18Fp8KVCacheDataTypeE0ELb0EEEvPT_PKS2_PKT0_S8_ifPKiSA_iPKfiiiSC_SC_iiiii: ; @_ZN4vllm25paged_attention_v1_kernelIttLi80ELi32ELi128ELNS_18Fp8KVCacheDataTypeE0ELb0EEEvPT_PKS2_PKT0_S8_ifPKiSA_iPKfiiiSC_SC_iiiii
; %bb.0:
	s_load_dword s5, s[0:1], 0x80
	s_load_dwordx2 s[6:7], s[0:1], 0x30
	s_load_dwordx2 s[8:9], s[0:1], 0x20
	s_mov_b32 s10, s3
	s_ashr_i32 s11, s3, 31
	s_lshl_b64 s[12:13], s[10:11], 2
	s_waitcnt lgkmcnt(0)
	s_add_u32 s6, s6, s12
	s_addc_u32 s7, s7, s13
	s_abs_i32 s3, s8
	v_cvt_f32_u32_e32 v1, s3
	s_sub_i32 s12, 0, s3
	s_abs_i32 s11, s5
	s_xor_b32 s8, s5, s8
	v_rcp_iflag_f32_e32 v1, v1
	s_ashr_i32 s8, s8, 31
	v_mul_f32_e32 v1, 0x4f7ffffe, v1
	v_cvt_u32_f32_e32 v1, v1
	s_nop 0
	v_readfirstlane_b32 s13, v1
	s_mul_i32 s12, s12, s13
	s_mul_hi_u32 s12, s13, s12
	s_add_i32 s13, s13, s12
	s_mul_hi_u32 s12, s11, s13
	s_mul_i32 s13, s12, s3
	s_sub_i32 s11, s11, s13
	s_add_i32 s13, s12, 1
	s_sub_i32 s14, s11, s3
	s_cmp_ge_u32 s11, s3
	s_cselect_b32 s12, s13, s12
	s_cselect_b32 s11, s14, s11
	s_add_i32 s13, s12, 1
	s_cmp_ge_u32 s11, s3
	s_cselect_b32 s3, s13, s12
	s_xor_b32 s3, s3, s8
	s_sub_i32 s14, s3, s8
	s_abs_i32 s11, s14
	v_cvt_f32_u32_e32 v1, s11
	s_load_dwordx2 s[12:13], s[0:1], 0x40
	s_sub_i32 s3, 0, s11
	s_abs_i32 s18, s2
	v_rcp_iflag_f32_e32 v1, v1
	s_mov_b32 s8, 0
	v_mul_f32_e32 v1, 0x4f7ffffe, v1
	v_cvt_u32_f32_e32 v1, v1
	s_nop 0
	v_readfirstlane_b32 s15, v1
	s_mul_i32 s3, s3, s15
	s_mul_hi_u32 s3, s15, s3
	s_add_i32 s15, s15, s3
	s_waitcnt lgkmcnt(0)
	s_cmp_eq_u64 s[12:13], 0
	s_mul_hi_u32 s19, s18, s15
	s_cbranch_scc1 .LBB101_2
; %bb.1:
	s_ashr_i32 s3, s2, 31
	s_lshl_b64 s[16:17], s[2:3], 2
	s_add_u32 s12, s12, s16
	s_addc_u32 s13, s13, s17
	s_load_dword s8, s[12:13], 0x0
.LBB101_2:
	s_load_dword s33, s[6:7], 0x0
	s_ashr_i32 s7, s14, 31
	s_load_dwordx4 s[12:15], s[0:1], 0x48
	s_ashr_i32 s6, s2, 31
	v_and_b32_e32 v4, 1, v0
	s_waitcnt lgkmcnt(0)
	s_movk_i32 s15, 0x50
	s_mul_i32 s16, s2, 0x50
	v_cmp_gt_u32_e32 vcc, 20, v0
	v_lshlrev_b32_e32 v1, 3, v0
	s_and_saveexec_b64 s[2:3], vcc
	s_cbranch_execz .LBB101_4
; %bb.3:
	s_load_dwordx2 s[20:21], s[0:1], 0x8
	s_mul_i32 s22, s12, s10
	s_ashr_i32 s23, s22, 31
	s_lshl_b64 s[22:23], s[22:23], 1
	v_lshlrev_b32_e32 v5, 2, v0
	s_waitcnt lgkmcnt(0)
	s_add_u32 s12, s20, s22
	s_addc_u32 s22, s21, s23
	s_ashr_i32 s17, s16, 31
	s_lshl_b64 s[20:21], s[16:17], 1
	s_add_u32 s20, s12, s20
	s_addc_u32 s21, s22, s21
	global_load_dwordx2 v[2:3], v1, s[20:21]
	v_and_b32_e32 v5, 0xff8, v5
	v_mad_u32_u24 v5, v4, s15, v5
	s_waitcnt vmcnt(0)
	ds_write_b64 v5, v[2:3]
.LBB101_4:
	s_or_b64 exec, exec, s[2:3]
	s_add_i32 s3, s33, 31
	s_ashr_i32 s12, s3, 31
	s_lshr_b32 s12, s12, 27
	s_add_i32 s3, s3, s12
	s_ashr_i32 s12, s3, 5
	s_xor_b32 s3, s6, s7
	s_mul_i32 s6, s19, s11
	s_sub_i32 s6, s18, s6
	s_add_i32 s7, s19, 1
	s_sub_i32 s15, s6, s11
	s_load_dwordx2 s[20:21], s[0:1], 0x28
	s_load_dword s2, s[0:1], 0x38
	s_cmp_ge_u32 s6, s11
	s_cselect_b32 s7, s7, s19
	s_cselect_b32 s6, s15, s6
	s_add_i32 s15, s7, 1
	s_cmp_ge_u32 s6, s11
	s_cselect_b32 s6, s15, s7
	v_lshrrev_b32_e32 v20, 6, v0
	s_xor_b32 s6, s6, s3
	s_waitcnt lgkmcnt(0)
	s_mul_i32 s22, s2, s10
	s_sub_i32 s15, s6, s3
	s_ashr_i32 s23, s22, 31
	v_cmp_gt_i32_e64 s[6:7], s12, v20
	v_cmp_le_i32_e32 vcc, s12, v20
	v_mbcnt_lo_u32_b32 v6, -1, 0
	s_barrier
                                        ; implicit-def: $vgpr23
                                        ; implicit-def: $vgpr24
                                        ; implicit-def: $vgpr22
	s_and_saveexec_b64 s[2:3], vcc
	s_xor_b64 s[2:3], exec, s[2:3]
; %bb.5:
	v_mbcnt_hi_u32_b32 v23, -1, v6
	v_and_b32_e32 v24, 64, v23
	v_add_u32_e32 v22, 64, v24
                                        ; implicit-def: $vgpr4
                                        ; implicit-def: $vgpr6
; %bb.6:
	s_or_saveexec_b64 s[26:27], s[2:3]
	s_load_dwordx2 s[18:19], s[0:1], 0x0
	s_load_dwordx2 s[24:25], s[0:1], 0x18
	s_load_dword s11, s[0:1], 0x88
	v_mov_b32_e32 v25, 0xff7fffff
	s_mul_i32 s14, s15, s14
	v_lshrrev_b32_e32 v21, 4, v0
	s_xor_b64 exec, exec, s[26:27]
	s_cbranch_execz .LBB101_12
; %bb.7:
	s_load_dwordx2 s[0:1], s[0:1], 0x10
	s_ashr_i32 s15, s14, 31
	s_lshl_b64 s[2:3], s[14:15], 1
	v_bfe_u32 v5, v0, 1, 5
	v_lshlrev_b32_e32 v8, 4, v5
	s_waitcnt lgkmcnt(0)
	s_add_u32 s0, s0, s2
	s_addc_u32 s1, s1, s3
	v_mov_b32_e32 v9, 0
	v_lshl_add_u64 v[2:3], s[0:1], 0, v[8:9]
	s_sub_i32 s15, 1, s33
	s_lshl_b64 s[0:1], s[22:23], 2
	v_and_b32_e32 v8, 8, v1
	v_mul_u32_u24_e32 v26, 0x50, v4
	v_cmp_eq_u32_e32 vcc, 0, v4
	v_lshlrev_b32_e32 v4, 2, v5
	s_add_u32 s0, s20, s0
	v_mbcnt_hi_u32_b32 v23, -1, v6
	v_lshl_add_u64 v[2:3], v[2:3], 0, v[8:9]
	v_lshl_or_b32 v4, v20, 7, v4
	v_and_b32_e32 v8, 60, v21
	s_addc_u32 s1, s21, s1
	v_and_b32_e32 v24, 64, v23
	s_mov_b32 s17, s13
	v_cmp_neq_f32_e64 s[2:3], s8, 0
	v_lshl_or_b32 v27, v20, 5, v5
	v_add_u32_e32 v28, 0xb0, v4
	v_lshl_add_u64 v[4:5], s[0:1], 0, v[8:9]
	v_mov_b32_e32 v25, 0xff7fffff
	s_mov_b64 s[28:29], 0
	s_movk_i32 s34, 0x1000
	v_xor_b32_e32 v29, 1, v23
	v_add_u32_e32 v22, 64, v24
	v_mov_b32_e32 v30, v20
	s_branch .LBB101_9
.LBB101_8:                              ;   in Loop: Header=BB101_9 Depth=1
	s_or_b64 exec, exec, s[30:31]
	v_add_u32_e32 v30, 2, v30
	v_cmp_le_i32_e64 s[0:1], s12, v30
	v_add_u32_e32 v27, 64, v27
	v_add_u32_e32 v28, 0x100, v28
	s_or_b64 s[28:29], s[0:1], s[28:29]
	v_lshl_add_u64 v[4:5], v[4:5], 0, 8
	s_andn2_b64 exec, exec, s[28:29]
	s_cbranch_execz .LBB101_11
.LBB101_9:                              ; =>This Inner Loop Header: Depth=1
	global_load_dword v6, v[4:5], off
	s_waitcnt vmcnt(0) lgkmcnt(0)
	v_mad_i64_i32 v[6:7], s[0:1], v6, s17, 0
	v_lshl_add_u64 v[6:7], v[6:7], 1, v[2:3]
	global_load_dwordx2 v[34:35], v[6:7], off
	global_load_dwordx2 v[36:37], v[6:7], off offset:512
	global_load_dwordx2 v[38:39], v[6:7], off offset:1024
	;; [unrolled: 1-line block ×7, first 2 shown]
	v_add_co_u32_e64 v32, s[0:1], s34, v6
	s_waitcnt vmcnt(7)
	v_and_b32_e32 v43, 0xffff, v34
	v_addc_co_u32_e64 v33, s[0:1], 0, v7, s[0:1]
	global_load_dwordx2 v[8:9], v[32:33], off
	global_load_dwordx2 v[6:7], v[32:33], off offset:512
	ds_read_b64 v[32:33], v26
	v_lshrrev_b32_e32 v44, 16, v35
	v_and_b32_e32 v45, 0xffff, v35
	s_waitcnt vmcnt(5)
	v_lshrrev_b32_e32 v51, 16, v16
	v_and_b32_e32 v52, 0xffff, v16
	s_waitcnt lgkmcnt(0)
	v_lshrrev_b32_e32 v40, 16, v32
	v_and_b32_e32 v31, 0xffff, v32
	v_lshrrev_b32_e32 v41, 16, v33
	v_and_b32_e32 v42, 0xffff, v33
	;;#ASMSTART
	v_cvt_f32_f16 v31, v31;
	;;#ASMEND
	;;#ASMSTART
	v_cvt_f32_f16 v32, v40;
	;;#ASMEND
	v_lshrrev_b32_e32 v40, 16, v34
	v_lshrrev_b32_e32 v53, 16, v17
	v_and_b32_e32 v54, 0xffff, v17
	s_waitcnt vmcnt(4)
	v_lshrrev_b32_e32 v55, 16, v14
	v_and_b32_e32 v56, 0xffff, v14
	v_lshrrev_b32_e32 v57, 16, v15
	v_and_b32_e32 v58, 0xffff, v15
	s_waitcnt vmcnt(3)
	v_lshrrev_b32_e32 v59, 16, v12
	v_and_b32_e32 v60, 0xffff, v12
	v_lshrrev_b32_e32 v61, 16, v13
	v_and_b32_e32 v62, 0xffff, v13
	s_waitcnt vmcnt(2)
	v_lshrrev_b32_e32 v63, 16, v10
	v_and_b32_e32 v64, 0xffff, v10
	v_lshrrev_b32_e32 v65, 16, v11
	v_and_b32_e32 v66, 0xffff, v11
	;;#ASMSTART
	v_cvt_f32_f16 v12, v43;
	;;#ASMEND
	;;#ASMSTART
	v_cvt_f32_f16 v13, v40;
	;;#ASMEND
	;;#ASMSTART
	v_cvt_f32_f16 v14, v42;
	;;#ASMEND
	;;#ASMSTART
	v_cvt_f32_f16 v15, v41;
	;;#ASMEND
	;;#ASMSTART
	v_cvt_f32_f16 v16, v45;
	;;#ASMEND
	;;#ASMSTART
	v_cvt_f32_f16 v17, v44;
	;;#ASMEND
	ds_read_b64 v[10:11], v26 offset:8
	v_lshrrev_b32_e32 v33, 16, v36
	v_and_b32_e32 v34, 0xffff, v36
	v_lshrrev_b32_e32 v35, 16, v37
	v_lshrrev_b32_e32 v49, 16, v19
	v_and_b32_e32 v50, 0xffff, v19
	s_waitcnt lgkmcnt(0)
	v_and_b32_e32 v19, 0xffff, v11
	v_and_b32_e32 v36, 0xffff, v37
	v_lshrrev_b32_e32 v47, 16, v18
	v_and_b32_e32 v48, 0xffff, v18
	v_lshrrev_b32_e32 v37, 16, v38
	;; [unrolled: 2-line block ×3, first 2 shown]
	v_and_b32_e32 v39, 0xffff, v39
	v_cmp_lt_i32_e64 s[0:1], v29, v22
	s_waitcnt vmcnt(1)
	v_lshrrev_b32_e32 v40, 16, v8
	v_and_b32_e32 v41, 0xffff, v8
	v_lshrrev_b32_e32 v42, 16, v9
	v_and_b32_e32 v43, 0xffff, v9
	s_waitcnt vmcnt(0)
	v_lshrrev_b32_e32 v44, 16, v6
	v_and_b32_e32 v45, 0xffff, v6
	v_lshrrev_b32_e32 v8, 16, v10
	v_and_b32_e32 v6, 0xffff, v10
	v_lshrrev_b32_e32 v9, 16, v11
	;;#ASMSTART
	v_cvt_f32_f16 v6, v6;
	;;#ASMEND
	;;#ASMSTART
	v_cvt_f32_f16 v10, v8;
	;;#ASMEND
	;; [unrolled: 3-line block ×8, first 2 shown]
	ds_read_b64 v[8:9], v26 offset:16
	v_mul_f32_e32 v10, v10, v18
	v_mul_f32_e32 v18, v33, v35
	;; [unrolled: 1-line block ×4, first 2 shown]
	v_fmac_f32_e32 v10, v32, v13
	v_fmac_f32_e32 v18, v15, v17
	s_waitcnt lgkmcnt(0)
	v_lshrrev_b32_e32 v13, 16, v8
	v_and_b32_e32 v8, 0xffff, v8
	v_lshrrev_b32_e32 v17, 16, v9
	v_and_b32_e32 v9, 0xffff, v9
	v_fmac_f32_e32 v6, v31, v12
	v_fmac_f32_e32 v11, v14, v16
	;;#ASMSTART
	v_cvt_f32_f16 v12, v8;
	;;#ASMEND
	;;#ASMSTART
	v_cvt_f32_f16 v13, v13;
	;;#ASMEND
	;;#ASMSTART
	v_cvt_f32_f16 v14, v38;
	;;#ASMEND
	;;#ASMSTART
	v_cvt_f32_f16 v15, v37;
	;;#ASMEND
	;;#ASMSTART
	v_cvt_f32_f16 v16, v9;
	;;#ASMEND
	;;#ASMSTART
	v_cvt_f32_f16 v17, v17;
	;;#ASMEND
	;;#ASMSTART
	v_cvt_f32_f16 v19, v39;
	;;#ASMEND
	;;#ASMSTART
	v_cvt_f32_f16 v31, v46;
	;;#ASMEND
	ds_read_b64 v[8:9], v26 offset:24
	v_fmac_f32_e32 v10, v13, v15
	v_fmac_f32_e32 v18, v17, v31
	v_fmac_f32_e32 v6, v12, v14
	v_fmac_f32_e32 v11, v16, v19
	s_waitcnt lgkmcnt(0)
	v_lshrrev_b32_e32 v13, 16, v8
	v_and_b32_e32 v8, 0xffff, v8
	v_lshrrev_b32_e32 v17, 16, v9
	v_and_b32_e32 v9, 0xffff, v9
	;;#ASMSTART
	v_cvt_f32_f16 v12, v8;
	;;#ASMEND
	;;#ASMSTART
	v_cvt_f32_f16 v13, v13;
	;;#ASMEND
	;;#ASMSTART
	v_cvt_f32_f16 v14, v48;
	;;#ASMEND
	;;#ASMSTART
	v_cvt_f32_f16 v15, v47;
	;;#ASMEND
	;;#ASMSTART
	v_cvt_f32_f16 v16, v9;
	;;#ASMEND
	;;#ASMSTART
	v_cvt_f32_f16 v17, v17;
	;;#ASMEND
	;;#ASMSTART
	v_cvt_f32_f16 v19, v50;
	;;#ASMEND
	;;#ASMSTART
	v_cvt_f32_f16 v31, v49;
	;;#ASMEND
	ds_read_b64 v[8:9], v26 offset:32
	v_fmac_f32_e32 v10, v13, v15
	v_fmac_f32_e32 v18, v17, v31
	v_fmac_f32_e32 v6, v12, v14
	v_fmac_f32_e32 v11, v16, v19
	s_waitcnt lgkmcnt(0)
	v_lshrrev_b32_e32 v13, 16, v8
	v_and_b32_e32 v8, 0xffff, v8
	v_lshrrev_b32_e32 v17, 16, v9
	v_and_b32_e32 v9, 0xffff, v9
	;; [unrolled: 34-line block ×6, first 2 shown]
	;;#ASMSTART
	v_cvt_f32_f16 v12, v8;
	;;#ASMEND
	;;#ASMSTART
	v_cvt_f32_f16 v13, v13;
	;;#ASMEND
	;;#ASMSTART
	v_cvt_f32_f16 v14, v41;
	;;#ASMEND
	;;#ASMSTART
	v_cvt_f32_f16 v15, v40;
	;;#ASMEND
	;;#ASMSTART
	v_cvt_f32_f16 v16, v9;
	;;#ASMEND
	;;#ASMSTART
	v_cvt_f32_f16 v17, v17;
	;;#ASMEND
	;;#ASMSTART
	v_cvt_f32_f16 v19, v43;
	;;#ASMEND
	;;#ASMSTART
	v_cvt_f32_f16 v31, v42;
	;;#ASMEND
	ds_read_b64 v[8:9], v26 offset:72
	v_fmac_f32_e32 v6, v12, v14
	v_fmac_f32_e32 v10, v13, v15
	;; [unrolled: 1-line block ×4, first 2 shown]
	s_waitcnt lgkmcnt(0)
	v_lshrrev_b32_e32 v12, 16, v8
	v_and_b32_e32 v8, 0xffff, v8
	;;#ASMSTART
	v_cvt_f32_f16 v8, v8;
	;;#ASMEND
	;;#ASMSTART
	v_cvt_f32_f16 v12, v12;
	;;#ASMEND
	;; [unrolled: 3-line block ×4, first 2 shown]
	v_lshrrev_b32_e32 v15, 16, v9
	v_fmac_f32_e32 v6, v8, v13
	v_fmac_f32_e32 v10, v12, v14
	v_and_b32_e32 v8, 0xffff, v9
	v_lshrrev_b32_e32 v12, 16, v7
	v_and_b32_e32 v7, 0xffff, v7
	;;#ASMSTART
	v_cvt_f32_f16 v8, v8;
	;;#ASMEND
	;;#ASMSTART
	v_cvt_f32_f16 v9, v15;
	;;#ASMEND
	;; [unrolled: 3-line block ×3, first 2 shown]
	v_add_f32_e32 v6, v6, v10
	v_fmac_f32_e32 v11, v8, v7
	;;#ASMSTART
	v_cvt_f32_f16 v12, v12;
	;;#ASMEND
	v_add_f32_e32 v6, v6, v11
	v_fmac_f32_e32 v18, v9, v12
	v_cndmask_b32_e64 v7, v23, v29, s[0:1]
	v_add_f32_e32 v6, v18, v6
	v_lshlrev_b32_e32 v7, 2, v7
	ds_bpermute_b32 v7, v7, v6
	s_and_saveexec_b64 s[30:31], vcc
	s_cbranch_execz .LBB101_8
; %bb.10:                               ;   in Loop: Header=BB101_9 Depth=1
	v_add_u32_e32 v8, s15, v27
	v_cvt_f32_i32_e32 v8, v8
	s_waitcnt lgkmcnt(0)
	v_add_f32_e32 v6, v6, v7
	v_cmp_gt_i32_e64 s[0:1], s33, v27
	v_max_f32_e32 v7, v25, v25
	v_mul_f32_e32 v8, s8, v8
	v_cndmask_b32_e64 v8, 0, v8, s[2:3]
	v_fmac_f32_e32 v8, s9, v6
	v_cndmask_b32_e64 v6, 0, v8, s[0:1]
	ds_write_b32 v28, v6
	v_max_f32_e32 v6, v7, v8
	v_cndmask_b32_e64 v25, v25, v6, s[0:1]
	s_branch .LBB101_8
.LBB101_11:
	s_or_b64 exec, exec, s[28:29]
.LBB101_12:
	s_or_b64 exec, exec, s[26:27]
	v_xor_b32_e32 v2, 32, v23
	v_cmp_lt_i32_e32 vcc, v2, v22
	v_xor_b32_e32 v5, 16, v23
	v_max_f32_e32 v4, v25, v25
	v_cndmask_b32_e32 v2, v23, v2, vcc
	v_lshlrev_b32_e32 v2, 2, v2
	ds_bpermute_b32 v3, v2, v25
	v_cmp_lt_i32_e32 vcc, v5, v22
	v_xor_b32_e32 v6, 8, v23
	s_waitcnt lgkmcnt(0)
	v_xor_b32_e32 v7, 4, v23
	v_xor_b32_e32 v8, 2, v23
	v_max_f32_e32 v3, v3, v3
	v_max_f32_e32 v4, v4, v3
	v_cndmask_b32_e32 v3, v23, v5, vcc
	v_lshlrev_b32_e32 v3, 2, v3
	ds_bpermute_b32 v5, v3, v4
	v_cmp_lt_i32_e32 vcc, v6, v22
	v_and_b32_e32 v18, 63, v0
	s_waitcnt lgkmcnt(0)
	v_max_f32_e32 v5, v5, v5
	v_max_f32_e32 v5, v4, v5
	v_cndmask_b32_e32 v4, v23, v6, vcc
	v_lshlrev_b32_e32 v4, 2, v4
	ds_bpermute_b32 v6, v4, v5
	v_cmp_lt_i32_e32 vcc, v7, v22
	s_waitcnt lgkmcnt(0)
	v_max_f32_e32 v6, v6, v6
	v_max_f32_e32 v6, v5, v6
	v_cndmask_b32_e32 v5, v23, v7, vcc
	v_lshlrev_b32_e32 v5, 2, v5
	ds_bpermute_b32 v7, v5, v6
	v_cmp_lt_i32_e32 vcc, v8, v22
	s_waitcnt lgkmcnt(0)
	v_max_f32_e32 v7, v7, v7
	v_max_f32_e32 v7, v6, v7
	v_cndmask_b32_e32 v6, v23, v8, vcc
	v_lshlrev_b32_e32 v19, 2, v6
	ds_bpermute_b32 v8, v19, v7
	v_cmp_eq_u32_e32 vcc, 0, v18
	v_lshlrev_b32_e32 v6, 2, v20
	s_and_saveexec_b64 s[0:1], vcc
	s_cbranch_execz .LBB101_14
; %bb.13:
	s_waitcnt lgkmcnt(0)
	v_max_f32_e32 v8, v8, v8
	v_max_f32_e32 v7, v7, v7
	;; [unrolled: 1-line block ×3, first 2 shown]
	ds_write_b32 v6, v7 offset:160
.LBB101_14:
	s_or_b64 exec, exec, s[0:1]
	v_cmp_gt_u32_e64 s[0:1], 2, v18
	s_waitcnt lgkmcnt(0)
	v_mov_b32_e32 v8, 0xff7fffff
	v_lshlrev_b32_e32 v7, 2, v18
	s_barrier
	s_and_saveexec_b64 s[2:3], s[0:1]
; %bb.15:
	ds_read_b32 v8, v7 offset:160
; %bb.16:
	s_or_b64 exec, exec, s[2:3]
	v_xor_b32_e32 v9, 1, v23
	v_cmp_lt_i32_e64 s[2:3], v9, v22
	s_nop 1
	v_cndmask_b32_e64 v9, v23, v9, s[2:3]
	v_lshlrev_b32_e32 v22, 2, v9
	s_waitcnt lgkmcnt(0)
	ds_bpermute_b32 v9, v22, v8
	v_max_f32_e32 v8, v8, v8
	s_lshl_b32 s2, s12, 5
	s_min_i32 s15, s2, s33
	v_cmp_gt_i32_e64 s[2:3], s15, v0
	s_waitcnt lgkmcnt(0)
	v_max_f32_e32 v9, v9, v9
	v_max_f32_e32 v8, v8, v9
	v_lshlrev_b32_e32 v9, 2, v24
	ds_bpermute_b32 v9, v9, v8
	v_mov_b32_e32 v8, 0
	s_and_saveexec_b64 s[26:27], s[2:3]
	s_cbranch_execz .LBB101_20
; %bb.17:
	v_mov_b32_e32 v8, 0xb0
	v_lshl_add_u32 v10, v0, 2, v8
	v_mov_b32_e32 v8, 0
	s_mov_b64 s[28:29], 0
	v_mov_b32_e32 v11, v0
.LBB101_18:                             ; =>This Inner Loop Header: Depth=1
	ds_read_b32 v12, v10
	v_add_u32_e32 v11, 0x80, v11
	v_cmp_le_i32_e64 s[8:9], s15, v11
	s_or_b64 s[28:29], s[8:9], s[28:29]
	s_waitcnt lgkmcnt(0)
	v_sub_f32_e32 v12, v12, v9
	v_mul_f32_e32 v12, 0x3fb8aa3b, v12
	v_exp_f32_e32 v12, v12
	ds_write_b32 v10, v12
	v_add_f32_e32 v8, v8, v12
	v_add_u32_e32 v10, 0x200, v10
	s_andn2_b64 exec, exec, s[28:29]
	s_cbranch_execnz .LBB101_18
; %bb.19:
	s_or_b64 exec, exec, s[28:29]
.LBB101_20:
	s_or_b64 exec, exec, s[26:27]
	ds_bpermute_b32 v2, v2, v8
	s_waitcnt lgkmcnt(0)
	v_add_f32_e32 v2, v8, v2
	ds_bpermute_b32 v3, v3, v2
	s_waitcnt lgkmcnt(0)
	v_add_f32_e32 v2, v2, v3
	;; [unrolled: 3-line block ×6, first 2 shown]
	s_and_saveexec_b64 s[8:9], vcc
; %bb.21:
	ds_write_b32 v6, v2 offset:168
; %bb.22:
	s_or_b64 exec, exec, s[8:9]
	s_waitcnt lgkmcnt(0)
	s_barrier
	s_and_saveexec_b64 s[8:9], s[0:1]
; %bb.23:
	ds_read_b32 v2, v7 offset:168
; %bb.24:
	s_or_b64 exec, exec, s[8:9]
	s_waitcnt lgkmcnt(0)
	ds_bpermute_b32 v3, v22, v2
	v_lshlrev_b32_e32 v4, 2, v23
	s_waitcnt lgkmcnt(0)
	v_add_f32_e32 v2, v2, v3
	v_and_b32_e32 v3, 0xffffff00, v4
	ds_bpermute_b32 v2, v3, v2
	s_and_saveexec_b64 s[0:1], s[2:3]
	s_cbranch_execz .LBB101_37
; %bb.25:
	s_waitcnt lgkmcnt(0)
	v_add_f32_e32 v2, 0x358637bd, v2
	v_div_scale_f32 v3, s[2:3], v2, v2, 1.0
	v_rcp_f32_e32 v4, v3
	v_div_scale_f32 v5, vcc, 1.0, v2, 1.0
	s_movk_i32 s2, 0x7f
	v_fma_f32 v6, -v3, v4, 1.0
	v_fmac_f32_e32 v4, v6, v4
	v_mul_f32_e32 v6, v5, v4
	v_fma_f32 v7, -v3, v6, v5
	v_fmac_f32_e32 v6, v7, v4
	v_fma_f32 v3, -v3, v6, v5
	v_div_fmas_f32 v3, v3, v4, v6
	v_xad_u32 v4, v0, -1, s15
	v_div_fixup_f32 v2, v3, v2, 1.0
	v_cmp_lt_u32_e32 vcc, s2, v4
	s_mov_b64 s[8:9], -1
	v_mov_b32_e32 v3, v0
	s_and_saveexec_b64 s[2:3], vcc
	s_cbranch_execz .LBB101_34
; %bb.26:
	v_lshrrev_b32_e32 v4, 7, v4
	v_add_u32_e32 v6, -1, v4
	v_lshrrev_b32_e32 v5, 1, v6
	v_mov_b32_e32 v3, v2
	v_add_u32_e32 v5, 1, v5
	v_cmp_lt_u32_e32 vcc, 13, v6
	v_mov_b32_e32 v8, 0
	s_and_saveexec_b64 s[8:9], vcc
	s_cbranch_execz .LBB101_30
; %bb.27:
	v_mov_b32_e32 v7, 0xb0
	v_and_b32_e32 v6, -8, v5
	v_lshl_add_u32 v7, v0, 2, v7
	s_mov_b32 s17, 0
	s_mov_b64 s[26:27], 0
.LBB101_28:                             ; =>This Inner Loop Header: Depth=1
	ds_read2st64_b32 v[8:9], v7 offset1:2
	ds_read2st64_b32 v[10:11], v7 offset0:4 offset1:6
	ds_read2st64_b32 v[12:13], v7 offset0:8 offset1:10
	;; [unrolled: 1-line block ×3, first 2 shown]
	v_add_u32_e32 v6, -8, v6
	s_waitcnt lgkmcnt(3)
	v_pk_mul_f32 v[8:9], v[2:3], v[8:9]
	s_waitcnt lgkmcnt(2)
	v_pk_mul_f32 v[10:11], v[2:3], v[10:11]
	ds_write2st64_b32 v7, v8, v9 offset1:2
	ds_write2st64_b32 v7, v10, v11 offset0:4 offset1:6
	ds_read2st64_b32 v[10:11], v7 offset0:16 offset1:18
	s_waitcnt lgkmcnt(4)
	v_pk_mul_f32 v[8:9], v[2:3], v[12:13]
	ds_write2st64_b32 v7, v8, v9 offset0:8 offset1:10
	s_waitcnt lgkmcnt(4)
	v_pk_mul_f32 v[8:9], v[2:3], v[14:15]
	ds_write2st64_b32 v7, v8, v9 offset0:12 offset1:14
	ds_read2st64_b32 v[8:9], v7 offset0:20 offset1:22
	s_waitcnt lgkmcnt(3)
	v_pk_mul_f32 v[10:11], v[2:3], v[10:11]
	ds_read2st64_b32 v[12:13], v7 offset0:24 offset1:26
	ds_write2st64_b32 v7, v10, v11 offset0:16 offset1:18
	ds_read2st64_b32 v[10:11], v7 offset0:28 offset1:30
	s_waitcnt lgkmcnt(3)
	v_pk_mul_f32 v[8:9], v[2:3], v[8:9]
	ds_write2st64_b32 v7, v8, v9 offset0:20 offset1:22
	s_waitcnt lgkmcnt(3)
	v_pk_mul_f32 v[8:9], v[2:3], v[12:13]
	ds_write2st64_b32 v7, v8, v9 offset0:24 offset1:26
	s_waitcnt lgkmcnt(2)
	v_pk_mul_f32 v[8:9], v[2:3], v[10:11]
	s_add_i32 s17, s17, 16
	v_cmp_eq_u32_e32 vcc, 0, v6
	ds_write2st64_b32 v7, v8, v9 offset0:28 offset1:30
	v_add_u32_e32 v7, 0x2000, v7
	s_or_b64 s[26:27], vcc, s[26:27]
	v_mov_b32_e32 v8, s17
	s_andn2_b64 exec, exec, s[26:27]
	s_cbranch_execnz .LBB101_28
; %bb.29:
	s_or_b64 exec, exec, s[26:27]
.LBB101_30:
	s_or_b64 exec, exec, s[8:9]
	v_and_b32_e32 v5, 7, v5
	v_cmp_ne_u32_e32 vcc, 0, v5
	s_and_saveexec_b64 s[8:9], vcc
	s_cbranch_execz .LBB101_33
; %bb.31:
	v_lshlrev_b32_e32 v6, 9, v8
	v_lshlrev_b32_e32 v7, 2, v0
	s_movk_i32 s17, 0xb0
	v_add3_u32 v6, v6, v7, s17
	s_mov_b64 s[26:27], 0
.LBB101_32:                             ; =>This Inner Loop Header: Depth=1
	ds_read2st64_b32 v[8:9], v6 offset1:2
	v_add_u32_e32 v5, -1, v5
	v_cmp_eq_u32_e32 vcc, 0, v5
	s_or_b64 s[26:27], vcc, s[26:27]
	s_waitcnt lgkmcnt(0)
	v_pk_mul_f32 v[8:9], v[2:3], v[8:9]
	ds_write2st64_b32 v6, v8, v9 offset1:2
	v_add_u32_e32 v6, 0x400, v6
	s_andn2_b64 exec, exec, s[26:27]
	s_cbranch_execnz .LBB101_32
.LBB101_33:
	s_or_b64 exec, exec, s[8:9]
	v_add_u32_e32 v4, 1, v4
	v_and_b32_e32 v5, 0x3fffffe, v4
	v_cmp_ne_u32_e32 vcc, v4, v5
	v_lshl_add_u32 v3, v5, 7, v0
	s_orn2_b64 s[8:9], vcc, exec
.LBB101_34:
	s_or_b64 exec, exec, s[2:3]
	s_and_b64 exec, exec, s[8:9]
	s_cbranch_execz .LBB101_37
; %bb.35:
	v_mov_b32_e32 v4, 0xb0
	v_lshl_add_u32 v4, v3, 2, v4
	s_mov_b64 s[2:3], 0
.LBB101_36:                             ; =>This Inner Loop Header: Depth=1
	ds_read_b32 v5, v4
	v_add_u32_e32 v3, 0x80, v3
	v_cmp_le_i32_e32 vcc, s15, v3
	s_or_b64 s[2:3], vcc, s[2:3]
	s_waitcnt lgkmcnt(0)
	v_mul_f32_e32 v5, v2, v5
	ds_write_b32 v4, v5
	v_add_u32_e32 v4, 0x200, v4
	s_andn2_b64 exec, exec, s[2:3]
	s_cbranch_execnz .LBB101_36
.LBB101_37:
	s_or_b64 exec, exec, s[0:1]
	v_mov_b32_e32 v7, 0
	v_and_b32_e32 v23, 3, v0
	v_mov_b32_e32 v6, 0
	v_mov_b32_e32 v9, 0
	v_mov_b32_e32 v8, 0
	v_mov_b32_e32 v24, 0
	s_waitcnt lgkmcnt(0)
	s_barrier
	s_and_saveexec_b64 s[2:3], s[6:7]
	s_cbranch_execz .LBB101_51
; %bb.38:
	s_ashr_i32 s15, s14, 31
	s_lshl_b64 s[0:1], s[14:15], 1
	s_add_u32 s0, s24, s0
	v_lshlrev_b32_e32 v2, 4, v0
	s_addc_u32 s1, s25, s1
	v_and_b32_e32 v10, 0x3f0, v2
	v_mov_b32_e32 v11, 0
	v_and_b32_e32 v1, 24, v1
	s_add_i32 s14, s12, -1
	v_lshl_add_u64 v[12:13], s[0:1], 0, v[10:11]
	s_lshl_b64 s[0:1], s[22:23], 2
	v_lshl_or_b32 v25, v20, 5, v1
	v_lshlrev_b32_e32 v1, 5, v23
	s_add_u32 s0, s20, s0
	v_lshl_or_b32 v1, v20, 7, v1
	v_and_b32_e32 v10, 60, v21
	s_addc_u32 s1, s21, s1
	s_mov_b32 s15, s33
	v_add_u32_e32 v26, 0xb0, v1
	v_lshl_add_u64 v[14:15], s[0:1], 0, v[10:11]
	s_mov_b64 s[6:7], 0
	s_mov_b32 s17, 0xffff
	s_movk_i32 s20, 0x1000
	v_mov_b32_e32 v24, 0
	v_mov_b32_e32 v7, 0
	;; [unrolled: 1-line block ×5, first 2 shown]
	s_branch .LBB101_40
.LBB101_39:                             ;   in Loop: Header=BB101_40 Depth=1
	s_or_b64 exec, exec, s[8:9]
	v_lshlrev_b32_e32 v10, 16, v10
	v_lshlrev_b32_e32 v1, 16, v1
	v_and_or_b32 v2, v2, s17, v10
	v_and_or_b32 v1, v3, s17, v1
	v_lshlrev_b32_e32 v3, 16, v16
	v_and_or_b32 v3, v4, s17, v3
	;;#ASMSTART
	v_pk_mul_f16 v2, v33, v2;

	;;#ASMEND
	;;#ASMSTART
	v_pk_mul_f16 v1, v34, v1;

	;;#ASMEND
	;; [unrolled: 4-line block ×4, first 2 shown]
	v_add_f32_e32 v17, v43, v44
	;;#ASMSTART
	v_pk_add_f16 v1, v2, v1;

	;;#ASMEND
	v_add_f32_e32 v7, v7, v17
	;;#ASMSTART
	v_pk_add_f16 v1, v1, v3;

	;;#ASMEND
	;; [unrolled: 5-line block ×3, first 2 shown]
	v_add_f32_e32 v6, v6, v17
	v_lshrrev_b32_e32 v2, 16, v1
	v_and_b32_e32 v1, 0xffff, v1
	v_add_f32_e32 v17, v39, v40
	;;#ASMSTART
	v_cvt_f32_f16 v1, v1;
	;;#ASMEND
	v_add_u32_e32 v20, 2, v20
	v_add_f32_e32 v9, v9, v17
	v_add_f32_e32 v17, v37, v38
	;;#ASMSTART
	v_cvt_f32_f16 v2, v2;
	;;#ASMEND
	v_cmp_le_i32_e32 vcc, s12, v20
	v_add_f32_e32 v1, v1, v2
	v_add_f32_e32 v8, v8, v17
	;; [unrolled: 1-line block ×3, first 2 shown]
	v_add_u32_e32 v25, 64, v25
	v_add_u32_e32 v26, 0x100, v26
	s_or_b64 s[6:7], vcc, s[6:7]
	v_lshl_add_u64 v[14:15], v[14:15], 0, 8
	s_andn2_b64 exec, exec, s[6:7]
	s_cbranch_execz .LBB101_50
.LBB101_40:                             ; =>This Inner Loop Header: Depth=1
	global_load_dword v1, v[14:15], off
	ds_read2_b64 v[2:5], v26 offset1:1
	ds_read2_b64 v[28:31], v26 offset0:2 offset1:3
	v_add_u32_e32 v27, 6, v25
	v_add_u32_e32 v21, 7, v25
	s_waitcnt lgkmcnt(1)
	;;#ASMSTART
	v_cvt_f16_f32 v33, v2;

	;;#ASMEND
	;;#ASMSTART
	v_cvt_f16_f32 v34, v3;

	;;#ASMEND
	;; [unrolled: 4-line block ×4, first 2 shown]
	s_waitcnt lgkmcnt(0)
	;;#ASMSTART
	v_cvt_f16_f32 v37, v28;

	;;#ASMEND
	;;#ASMSTART
	v_cvt_f16_f32 v38, v29;

	;;#ASMEND
	;;#ASMSTART
	v_cvt_f16_f32 v39, v30;

	;;#ASMEND
	;;#ASMSTART
	v_cvt_f16_f32 v40, v31;

	;;#ASMEND
	v_add_u32_e32 v30, 2, v25
	v_add_u32_e32 v29, 4, v25
	;; [unrolled: 1-line block ×3, first 2 shown]
	v_or_b32_e32 v31, 3, v25
	v_or_b32_e32 v32, 1, v25
	s_waitcnt vmcnt(0)
	v_mad_i64_i32 v[2:3], s[0:1], v1, s13, 0
	v_lshl_add_u64 v[16:17], v[2:3], 1, v[12:13]
	global_load_dwordx4 v[2:5], v[16:17], off
	v_cmp_eq_u32_e64 s[0:1], s14, v20
	s_waitcnt vmcnt(0)
	v_lshrrev_b32_e32 v1, 16, v3
	v_lshrrev_b32_e32 v10, 16, v2
	;; [unrolled: 1-line block ×3, first 2 shown]
	s_and_saveexec_b64 s[8:9], s[0:1]
	s_cbranch_execz .LBB101_42
; %bb.41:                               ;   in Loop: Header=BB101_40 Depth=1
	v_cmp_gt_i32_e32 vcc, s33, v25
	s_nop 1
	v_cndmask_b32_e32 v2, 0, v2, vcc
	v_cmp_gt_i32_e32 vcc, s33, v30
	s_nop 1
	v_cndmask_b32_e32 v3, 0, v3, vcc
	;; [unrolled: 3-line block ×6, first 2 shown]
	v_cmp_gt_i32_e32 vcc, s33, v27
	s_nop 1
	v_cndmask_b32_sdwa v42, v11, v5, vcc dst_sel:DWORD dst_unused:UNUSED_PAD src0_sel:DWORD src1_sel:WORD_0
	v_and_b32_e32 v5, 0xffff0000, v5
	v_cmp_gt_i32_e32 vcc, s33, v21
	s_nop 1
	v_cndmask_b32_e32 v5, 0, v5, vcc
	v_or_b32_e32 v5, v42, v5
.LBB101_42:                             ;   in Loop: Header=BB101_40 Depth=1
	s_or_b64 exec, exec, s[8:9]
	v_and_b32_e32 v33, 0xffff, v33
	v_lshlrev_b32_e32 v10, 16, v10
	v_lshlrev_b32_e32 v1, 16, v1
	v_lshl_or_b32 v33, v34, 16, v33
	v_and_b32_e32 v34, 0xffff, v35
	v_and_or_b32 v2, v2, s17, v10
	v_and_or_b32 v1, v3, s17, v1
	v_lshlrev_b32_e32 v3, 16, v41
	v_lshl_or_b32 v34, v36, 16, v34
	v_and_b32_e32 v35, 0xffff, v37
	v_and_b32_e32 v36, 0xffff, v39
	v_and_or_b32 v3, v4, s17, v3
	;;#ASMSTART
	v_pk_mul_f16 v2, v33, v2;

	;;#ASMEND
	;;#ASMSTART
	v_pk_mul_f16 v1, v34, v1;

	;;#ASMEND
	v_lshl_or_b32 v35, v38, 16, v35
	v_lshl_or_b32 v36, v40, 16, v36
	;;#ASMSTART
	v_pk_mul_f16 v3, v35, v3;

	;;#ASMEND
	;;#ASMSTART
	v_pk_mul_f16 v4, v36, v5;

	;;#ASMEND
	;;#ASMSTART
	v_pk_add_f16 v1, v2, v1;

	;;#ASMEND
	s_nop 0
	;;#ASMSTART
	v_pk_add_f16 v1, v1, v3;

	;;#ASMEND
	s_nop 0
	;; [unrolled: 5-line block ×3, first 2 shown]
	v_lshrrev_b32_e32 v2, 16, v1
	v_and_b32_e32 v1, 0xffff, v1
	;;#ASMSTART
	v_cvt_f32_f16 v37, v1;
	;;#ASMEND
	;;#ASMSTART
	v_cvt_f32_f16 v38, v2;
	;;#ASMEND
	global_load_dwordx4 v[2:5], v[16:17], off offset:1024
	s_waitcnt vmcnt(0)
	v_lshrrev_b32_e32 v1, 16, v3
	v_lshrrev_b32_e32 v10, 16, v2
	;; [unrolled: 1-line block ×3, first 2 shown]
	s_and_saveexec_b64 s[8:9], s[0:1]
	s_cbranch_execz .LBB101_44
; %bb.43:                               ;   in Loop: Header=BB101_40 Depth=1
	v_cmp_gt_i32_e32 vcc, s33, v25
	s_nop 1
	v_cndmask_b32_e32 v2, 0, v2, vcc
	v_cmp_gt_i32_e32 vcc, s33, v30
	s_nop 1
	v_cndmask_b32_e32 v3, 0, v3, vcc
	;; [unrolled: 3-line block ×6, first 2 shown]
	v_cmp_gt_i32_e32 vcc, s33, v27
	s_nop 1
	v_cndmask_b32_sdwa v40, v11, v5, vcc dst_sel:DWORD dst_unused:UNUSED_PAD src0_sel:DWORD src1_sel:WORD_0
	v_and_b32_e32 v5, 0xffff0000, v5
	v_cmp_gt_i32_e32 vcc, s33, v21
	s_nop 1
	v_cndmask_b32_e32 v5, 0, v5, vcc
	v_or_b32_e32 v5, v40, v5
.LBB101_44:                             ;   in Loop: Header=BB101_40 Depth=1
	s_or_b64 exec, exec, s[8:9]
	v_lshlrev_b32_e32 v10, 16, v10
	v_lshlrev_b32_e32 v1, 16, v1
	v_and_or_b32 v2, v2, s17, v10
	v_and_or_b32 v1, v3, s17, v1
	v_lshlrev_b32_e32 v3, 16, v39
	v_and_or_b32 v3, v4, s17, v3
	;;#ASMSTART
	v_pk_mul_f16 v2, v33, v2;

	;;#ASMEND
	;;#ASMSTART
	v_pk_mul_f16 v1, v34, v1;

	;;#ASMEND
	;; [unrolled: 4-line block ×4, first 2 shown]
	s_nop 0
	;;#ASMSTART
	v_pk_add_f16 v1, v2, v1;

	;;#ASMEND
	s_nop 0
	;;#ASMSTART
	v_pk_add_f16 v1, v1, v3;

	;;#ASMEND
	;; [unrolled: 5-line block ×3, first 2 shown]
	s_nop 0
	v_lshrrev_b32_e32 v2, 16, v1
	v_and_b32_e32 v1, 0xffff, v1
	;;#ASMSTART
	v_cvt_f32_f16 v39, v1;
	;;#ASMEND
	;;#ASMSTART
	v_cvt_f32_f16 v40, v2;
	;;#ASMEND
	global_load_dwordx4 v[2:5], v[16:17], off offset:2048
	s_waitcnt vmcnt(0)
	v_lshrrev_b32_e32 v1, 16, v3
	v_lshrrev_b32_e32 v10, 16, v2
	;; [unrolled: 1-line block ×3, first 2 shown]
	s_and_saveexec_b64 s[8:9], s[0:1]
	s_cbranch_execz .LBB101_46
; %bb.45:                               ;   in Loop: Header=BB101_40 Depth=1
	v_cmp_gt_i32_e32 vcc, s33, v25
	s_nop 1
	v_cndmask_b32_e32 v2, 0, v2, vcc
	v_cmp_gt_i32_e32 vcc, s33, v30
	s_nop 1
	v_cndmask_b32_e32 v3, 0, v3, vcc
	;; [unrolled: 3-line block ×6, first 2 shown]
	v_cmp_gt_i32_e32 vcc, s33, v27
	s_nop 1
	v_cndmask_b32_sdwa v42, v11, v5, vcc dst_sel:DWORD dst_unused:UNUSED_PAD src0_sel:DWORD src1_sel:WORD_0
	v_and_b32_e32 v5, 0xffff0000, v5
	v_cmp_gt_i32_e32 vcc, s33, v21
	s_nop 1
	v_cndmask_b32_e32 v5, 0, v5, vcc
	v_or_b32_e32 v5, v42, v5
.LBB101_46:                             ;   in Loop: Header=BB101_40 Depth=1
	s_or_b64 exec, exec, s[8:9]
	v_lshlrev_b32_e32 v10, 16, v10
	v_lshlrev_b32_e32 v1, 16, v1
	v_and_or_b32 v2, v2, s17, v10
	v_and_or_b32 v1, v3, s17, v1
	v_lshlrev_b32_e32 v3, 16, v41
	v_and_or_b32 v3, v4, s17, v3
	;;#ASMSTART
	v_pk_mul_f16 v2, v33, v2;

	;;#ASMEND
	;;#ASMSTART
	v_pk_mul_f16 v1, v34, v1;

	;;#ASMEND
	;; [unrolled: 4-line block ×4, first 2 shown]
	s_nop 0
	;;#ASMSTART
	v_pk_add_f16 v1, v2, v1;

	;;#ASMEND
	s_nop 0
	;;#ASMSTART
	v_pk_add_f16 v1, v1, v3;

	;;#ASMEND
	;; [unrolled: 5-line block ×3, first 2 shown]
	s_nop 0
	v_lshrrev_b32_e32 v2, 16, v1
	v_and_b32_e32 v1, 0xffff, v1
	;;#ASMSTART
	v_cvt_f32_f16 v41, v1;
	;;#ASMEND
	;;#ASMSTART
	v_cvt_f32_f16 v42, v2;
	;;#ASMEND
	global_load_dwordx4 v[2:5], v[16:17], off offset:3072
	s_waitcnt vmcnt(0)
	v_lshrrev_b32_e32 v1, 16, v3
	v_lshrrev_b32_e32 v10, 16, v2
	;; [unrolled: 1-line block ×3, first 2 shown]
	s_and_saveexec_b64 s[8:9], s[0:1]
	s_cbranch_execz .LBB101_48
; %bb.47:                               ;   in Loop: Header=BB101_40 Depth=1
	v_cmp_gt_i32_e32 vcc, s33, v25
	s_nop 1
	v_cndmask_b32_e32 v2, 0, v2, vcc
	v_cmp_gt_i32_e32 vcc, s33, v30
	s_nop 1
	v_cndmask_b32_e32 v3, 0, v3, vcc
	;; [unrolled: 3-line block ×6, first 2 shown]
	v_cmp_gt_i32_e32 vcc, s33, v27
	s_nop 1
	v_cndmask_b32_sdwa v44, v11, v5, vcc dst_sel:DWORD dst_unused:UNUSED_PAD src0_sel:DWORD src1_sel:WORD_0
	v_and_b32_e32 v5, 0xffff0000, v5
	v_cmp_gt_i32_e32 vcc, s33, v21
	s_nop 1
	v_cndmask_b32_e32 v5, 0, v5, vcc
	v_or_b32_e32 v5, v44, v5
.LBB101_48:                             ;   in Loop: Header=BB101_40 Depth=1
	s_or_b64 exec, exec, s[8:9]
	v_lshlrev_b32_e32 v10, 16, v10
	v_lshlrev_b32_e32 v1, 16, v1
	v_and_or_b32 v2, v2, s17, v10
	v_and_or_b32 v1, v3, s17, v1
	v_lshlrev_b32_e32 v3, 16, v43
	v_and_or_b32 v3, v4, s17, v3
	;;#ASMSTART
	v_pk_mul_f16 v2, v33, v2;

	;;#ASMEND
	;;#ASMSTART
	v_pk_mul_f16 v1, v34, v1;

	;;#ASMEND
	;; [unrolled: 4-line block ×4, first 2 shown]
	s_nop 0
	;;#ASMSTART
	v_pk_add_f16 v1, v2, v1;

	;;#ASMEND
	s_nop 0
	;;#ASMSTART
	v_pk_add_f16 v1, v1, v3;

	;;#ASMEND
	;; [unrolled: 5-line block ×3, first 2 shown]
	s_nop 0
	v_lshrrev_b32_e32 v2, 16, v1
	v_and_b32_e32 v1, 0xffff, v1
	;;#ASMSTART
	v_cvt_f32_f16 v43, v1;
	;;#ASMEND
	;;#ASMSTART
	v_cvt_f32_f16 v44, v2;
	;;#ASMEND
	v_add_co_u32_e32 v2, vcc, s20, v16
	s_nop 1
	v_addc_co_u32_e32 v3, vcc, 0, v17, vcc
	global_load_dwordx4 v[2:5], v[2:3], off
	s_waitcnt vmcnt(0)
	v_lshrrev_b32_e32 v1, 16, v3
	v_lshrrev_b32_e32 v10, 16, v2
	;; [unrolled: 1-line block ×3, first 2 shown]
	s_and_saveexec_b64 s[8:9], s[0:1]
	s_cbranch_execz .LBB101_39
; %bb.49:                               ;   in Loop: Header=BB101_40 Depth=1
	v_cmp_gt_i32_e32 vcc, s33, v25
	s_nop 1
	v_cndmask_b32_e32 v2, 0, v2, vcc
	v_cmp_gt_i32_e32 vcc, s33, v30
	s_nop 1
	v_cndmask_b32_e32 v3, 0, v3, vcc
	;; [unrolled: 3-line block ×6, first 2 shown]
	v_cmp_gt_i32_e32 vcc, s33, v27
	s_nop 1
	v_cndmask_b32_sdwa v17, v11, v5, vcc dst_sel:DWORD dst_unused:UNUSED_PAD src0_sel:DWORD src1_sel:WORD_0
	v_and_b32_e32 v5, 0xffff0000, v5
	v_cmp_gt_i32_e32 vcc, s33, v21
	s_nop 1
	v_cndmask_b32_e32 v5, 0, v5, vcc
	v_or_b32_e32 v5, v17, v5
	s_branch .LBB101_39
.LBB101_50:
	s_or_b64 exec, exec, s[6:7]
.LBB101_51:
	s_or_b64 exec, exec, s[2:3]
	ds_bpermute_b32 v2, v19, v8
	ds_bpermute_b32 v3, v19, v9
	;; [unrolled: 1-line block ×5, first 2 shown]
	s_waitcnt lgkmcnt(0)
	v_pk_add_f32 v[2:3], v[8:9], v[2:3]
	ds_bpermute_b32 v8, v22, v2
	v_pk_add_f32 v[6:7], v[6:7], v[4:5]
	ds_bpermute_b32 v9, v22, v3
	ds_bpermute_b32 v10, v22, v6
	;; [unrolled: 1-line block ×3, first 2 shown]
	v_add_f32_e32 v1, v24, v1
	s_barrier
	s_waitcnt lgkmcnt(2)
	v_pk_add_f32 v[4:5], v[2:3], v[8:9]
	s_waitcnt lgkmcnt(0)
	v_pk_add_f32 v[2:3], v[6:7], v[10:11]
	ds_bpermute_b32 v7, v22, v1
	v_and_b32_e32 v6, 0x3c3, v0
	v_cmp_ne_u32_e32 vcc, 64, v6
	s_and_saveexec_b64 s[0:1], vcc
	s_xor_b64 s[0:1], exec, s[0:1]
; %bb.52:
                                        ; implicit-def: $vgpr18
; %bb.53:
	s_or_saveexec_b64 s[0:1], s[0:1]
	s_waitcnt lgkmcnt(0)
	v_add_f32_e32 v1, v1, v7
	s_xor_b64 exec, exec, s[0:1]
	s_cbranch_execz .LBB101_55
; %bb.54:
	v_add_u32_e32 v7, 0xb0, v18
	ds_write2_b32 v7, v4, v5 offset1:16
	ds_write2_b32 v7, v2, v3 offset0:32 offset1:48
	ds_write_b32 v7, v1 offset:256
.LBB101_55:
	s_or_b64 exec, exec, s[0:1]
	v_cmp_gt_u32_e32 vcc, 64, v0
	v_lshrrev_b32_e32 v0, 2, v0
	s_waitcnt lgkmcnt(0)
	s_barrier
	s_and_saveexec_b64 s[0:1], vcc
	s_cbranch_execz .LBB101_63
; %bb.56:
	v_mov_b32_e32 v7, 0xb0
	v_cmp_eq_u32_e32 vcc, 0, v23
	v_lshl_add_u32 v7, v0, 2, v7
	s_and_saveexec_b64 s[2:3], vcc
	s_cbranch_execnz .LBB101_66
; %bb.57:
	s_or_b64 exec, exec, s[2:3]
	s_and_saveexec_b64 s[2:3], vcc
	s_cbranch_execnz .LBB101_67
.LBB101_58:
	s_or_b64 exec, exec, s[2:3]
	s_and_saveexec_b64 s[2:3], vcc
	s_cbranch_execnz .LBB101_68
.LBB101_59:
	s_or_b64 exec, exec, s[2:3]
	s_and_saveexec_b64 s[2:3], vcc
	s_cbranch_execnz .LBB101_69
.LBB101_60:
	s_or_b64 exec, exec, s[2:3]
	s_and_saveexec_b64 s[2:3], vcc
	s_cbranch_execz .LBB101_62
.LBB101_61:
	ds_read_b32 v7, v7 offset:256
	s_waitcnt lgkmcnt(0)
	v_add_f32_e32 v1, v1, v7
.LBB101_62:
	s_or_b64 exec, exec, s[2:3]
.LBB101_63:
	s_or_b64 exec, exec, s[0:1]
	v_cmp_eq_u32_e32 vcc, 0, v6
	s_barrier
	s_and_saveexec_b64 s[0:1], vcc
	s_cbranch_execz .LBB101_65
; %bb.64:
	s_mul_i32 s0, s10, s11
	s_mul_i32 s0, s0, s5
	s_mulk_i32 s0, 0x50
	s_ashr_i32 s1, s0, 31
	s_lshl_b64 s[0:1], s[0:1], 1
	s_add_u32 s2, s18, s0
	s_mul_i32 s0, s11, s16
	s_addc_u32 s3, s19, s1
	s_ashr_i32 s1, s0, 31
	s_lshl_b64 s[0:1], s[0:1], 1
	s_add_u32 s2, s2, s0
	s_mul_i32 s0, s4, 0x50
	s_addc_u32 s3, s3, s1
	s_ashr_i32 s1, s0, 31
	s_lshl_b64 s[0:1], s[0:1], 1
	s_add_u32 s0, s2, s0
	s_addc_u32 s1, s3, s1
	v_lshlrev_b32_e32 v0, 1, v0
	;;#ASMSTART
	v_cvt_f16_f32 v4, v4;

	;;#ASMEND
	global_store_short v0, v4, s[0:1]
	;;#ASMSTART
	v_cvt_f16_f32 v4, v5;

	;;#ASMEND
	global_store_short v0, v4, s[0:1] offset:32
	;;#ASMSTART
	v_cvt_f16_f32 v2, v2;

	;;#ASMEND
	global_store_short v0, v2, s[0:1] offset:64
	;; [unrolled: 5-line block ×4, first 2 shown]
.LBB101_65:
	s_endpgm
.LBB101_66:
	ds_read_b32 v8, v7
	s_waitcnt lgkmcnt(0)
	v_add_f32_e32 v4, v4, v8
	s_or_b64 exec, exec, s[2:3]
	s_and_saveexec_b64 s[2:3], vcc
	s_cbranch_execz .LBB101_58
.LBB101_67:
	ds_read_b32 v8, v7 offset:64
	s_waitcnt lgkmcnt(0)
	v_add_f32_e32 v5, v5, v8
	s_or_b64 exec, exec, s[2:3]
	s_and_saveexec_b64 s[2:3], vcc
	s_cbranch_execz .LBB101_59
.LBB101_68:
	ds_read_b32 v8, v7 offset:128
	s_waitcnt lgkmcnt(0)
	v_add_f32_e32 v2, v2, v8
	s_or_b64 exec, exec, s[2:3]
	s_and_saveexec_b64 s[2:3], vcc
	s_cbranch_execz .LBB101_60
.LBB101_69:
	ds_read_b32 v8, v7 offset:192
	s_waitcnt lgkmcnt(0)
	v_add_f32_e32 v3, v3, v8
	s_or_b64 exec, exec, s[2:3]
	s_and_saveexec_b64 s[2:3], vcc
	s_cbranch_execnz .LBB101_61
	s_branch .LBB101_62
	.section	.rodata,"a",@progbits
	.p2align	6, 0x0
	.amdhsa_kernel _ZN4vllm25paged_attention_v1_kernelIttLi80ELi32ELi128ELNS_18Fp8KVCacheDataTypeE0ELb0EEEvPT_PKS2_PKT0_S8_ifPKiSA_iPKfiiiSC_SC_iiiii
		.amdhsa_group_segment_fixed_size 176
		.amdhsa_private_segment_fixed_size 0
		.amdhsa_kernarg_size 384
		.amdhsa_user_sgpr_count 2
		.amdhsa_user_sgpr_dispatch_ptr 0
		.amdhsa_user_sgpr_queue_ptr 0
		.amdhsa_user_sgpr_kernarg_segment_ptr 1
		.amdhsa_user_sgpr_dispatch_id 0
		.amdhsa_user_sgpr_kernarg_preload_length 0
		.amdhsa_user_sgpr_kernarg_preload_offset 0
		.amdhsa_user_sgpr_private_segment_size 0
		.amdhsa_uses_dynamic_stack 0
		.amdhsa_enable_private_segment 0
		.amdhsa_system_sgpr_workgroup_id_x 1
		.amdhsa_system_sgpr_workgroup_id_y 1
		.amdhsa_system_sgpr_workgroup_id_z 1
		.amdhsa_system_sgpr_workgroup_info 0
		.amdhsa_system_vgpr_workitem_id 0
		.amdhsa_next_free_vgpr 67
		.amdhsa_next_free_sgpr 35
		.amdhsa_accum_offset 68
		.amdhsa_reserve_vcc 1
		.amdhsa_float_round_mode_32 0
		.amdhsa_float_round_mode_16_64 0
		.amdhsa_float_denorm_mode_32 3
		.amdhsa_float_denorm_mode_16_64 3
		.amdhsa_dx10_clamp 1
		.amdhsa_ieee_mode 1
		.amdhsa_fp16_overflow 0
		.amdhsa_tg_split 0
		.amdhsa_exception_fp_ieee_invalid_op 0
		.amdhsa_exception_fp_denorm_src 0
		.amdhsa_exception_fp_ieee_div_zero 0
		.amdhsa_exception_fp_ieee_overflow 0
		.amdhsa_exception_fp_ieee_underflow 0
		.amdhsa_exception_fp_ieee_inexact 0
		.amdhsa_exception_int_div_zero 0
	.end_amdhsa_kernel
	.section	.text._ZN4vllm25paged_attention_v1_kernelIttLi80ELi32ELi128ELNS_18Fp8KVCacheDataTypeE0ELb0EEEvPT_PKS2_PKT0_S8_ifPKiSA_iPKfiiiSC_SC_iiiii,"axG",@progbits,_ZN4vllm25paged_attention_v1_kernelIttLi80ELi32ELi128ELNS_18Fp8KVCacheDataTypeE0ELb0EEEvPT_PKS2_PKT0_S8_ifPKiSA_iPKfiiiSC_SC_iiiii,comdat
.Lfunc_end101:
	.size	_ZN4vllm25paged_attention_v1_kernelIttLi80ELi32ELi128ELNS_18Fp8KVCacheDataTypeE0ELb0EEEvPT_PKS2_PKT0_S8_ifPKiSA_iPKfiiiSC_SC_iiiii, .Lfunc_end101-_ZN4vllm25paged_attention_v1_kernelIttLi80ELi32ELi128ELNS_18Fp8KVCacheDataTypeE0ELb0EEEvPT_PKS2_PKT0_S8_ifPKiSA_iPKfiiiSC_SC_iiiii
                                        ; -- End function
	.set _ZN4vllm25paged_attention_v1_kernelIttLi80ELi32ELi128ELNS_18Fp8KVCacheDataTypeE0ELb0EEEvPT_PKS2_PKT0_S8_ifPKiSA_iPKfiiiSC_SC_iiiii.num_vgpr, 67
	.set _ZN4vllm25paged_attention_v1_kernelIttLi80ELi32ELi128ELNS_18Fp8KVCacheDataTypeE0ELb0EEEvPT_PKS2_PKT0_S8_ifPKiSA_iPKfiiiSC_SC_iiiii.num_agpr, 0
	.set _ZN4vllm25paged_attention_v1_kernelIttLi80ELi32ELi128ELNS_18Fp8KVCacheDataTypeE0ELb0EEEvPT_PKS2_PKT0_S8_ifPKiSA_iPKfiiiSC_SC_iiiii.numbered_sgpr, 35
	.set _ZN4vllm25paged_attention_v1_kernelIttLi80ELi32ELi128ELNS_18Fp8KVCacheDataTypeE0ELb0EEEvPT_PKS2_PKT0_S8_ifPKiSA_iPKfiiiSC_SC_iiiii.num_named_barrier, 0
	.set _ZN4vllm25paged_attention_v1_kernelIttLi80ELi32ELi128ELNS_18Fp8KVCacheDataTypeE0ELb0EEEvPT_PKS2_PKT0_S8_ifPKiSA_iPKfiiiSC_SC_iiiii.private_seg_size, 0
	.set _ZN4vllm25paged_attention_v1_kernelIttLi80ELi32ELi128ELNS_18Fp8KVCacheDataTypeE0ELb0EEEvPT_PKS2_PKT0_S8_ifPKiSA_iPKfiiiSC_SC_iiiii.uses_vcc, 1
	.set _ZN4vllm25paged_attention_v1_kernelIttLi80ELi32ELi128ELNS_18Fp8KVCacheDataTypeE0ELb0EEEvPT_PKS2_PKT0_S8_ifPKiSA_iPKfiiiSC_SC_iiiii.uses_flat_scratch, 0
	.set _ZN4vllm25paged_attention_v1_kernelIttLi80ELi32ELi128ELNS_18Fp8KVCacheDataTypeE0ELb0EEEvPT_PKS2_PKT0_S8_ifPKiSA_iPKfiiiSC_SC_iiiii.has_dyn_sized_stack, 0
	.set _ZN4vllm25paged_attention_v1_kernelIttLi80ELi32ELi128ELNS_18Fp8KVCacheDataTypeE0ELb0EEEvPT_PKS2_PKT0_S8_ifPKiSA_iPKfiiiSC_SC_iiiii.has_recursion, 0
	.set _ZN4vllm25paged_attention_v1_kernelIttLi80ELi32ELi128ELNS_18Fp8KVCacheDataTypeE0ELb0EEEvPT_PKS2_PKT0_S8_ifPKiSA_iPKfiiiSC_SC_iiiii.has_indirect_call, 0
	.section	.AMDGPU.csdata,"",@progbits
; Kernel info:
; codeLenInByte = 7496
; TotalNumSgprs: 41
; NumVgprs: 67
; NumAgprs: 0
; TotalNumVgprs: 67
; ScratchSize: 0
; MemoryBound: 0
; FloatMode: 240
; IeeeMode: 1
; LDSByteSize: 176 bytes/workgroup (compile time only)
; SGPRBlocks: 5
; VGPRBlocks: 8
; NumSGPRsForWavesPerEU: 41
; NumVGPRsForWavesPerEU: 67
; AccumOffset: 68
; Occupancy: 7
; WaveLimiterHint : 1
; COMPUTE_PGM_RSRC2:SCRATCH_EN: 0
; COMPUTE_PGM_RSRC2:USER_SGPR: 2
; COMPUTE_PGM_RSRC2:TRAP_HANDLER: 0
; COMPUTE_PGM_RSRC2:TGID_X_EN: 1
; COMPUTE_PGM_RSRC2:TGID_Y_EN: 1
; COMPUTE_PGM_RSRC2:TGID_Z_EN: 1
; COMPUTE_PGM_RSRC2:TIDIG_COMP_CNT: 0
; COMPUTE_PGM_RSRC3_GFX90A:ACCUM_OFFSET: 16
; COMPUTE_PGM_RSRC3_GFX90A:TG_SPLIT: 0
	.section	.text._ZN4vllm25paged_attention_v1_kernelIttLi96ELi32ELi128ELNS_18Fp8KVCacheDataTypeE0ELb0EEEvPT_PKS2_PKT0_S8_ifPKiSA_iPKfiiiSC_SC_iiiii,"axG",@progbits,_ZN4vllm25paged_attention_v1_kernelIttLi96ELi32ELi128ELNS_18Fp8KVCacheDataTypeE0ELb0EEEvPT_PKS2_PKT0_S8_ifPKiSA_iPKfiiiSC_SC_iiiii,comdat
	.protected	_ZN4vllm25paged_attention_v1_kernelIttLi96ELi32ELi128ELNS_18Fp8KVCacheDataTypeE0ELb0EEEvPT_PKS2_PKT0_S8_ifPKiSA_iPKfiiiSC_SC_iiiii ; -- Begin function _ZN4vllm25paged_attention_v1_kernelIttLi96ELi32ELi128ELNS_18Fp8KVCacheDataTypeE0ELb0EEEvPT_PKS2_PKT0_S8_ifPKiSA_iPKfiiiSC_SC_iiiii
	.globl	_ZN4vllm25paged_attention_v1_kernelIttLi96ELi32ELi128ELNS_18Fp8KVCacheDataTypeE0ELb0EEEvPT_PKS2_PKT0_S8_ifPKiSA_iPKfiiiSC_SC_iiiii
	.p2align	8
	.type	_ZN4vllm25paged_attention_v1_kernelIttLi96ELi32ELi128ELNS_18Fp8KVCacheDataTypeE0ELb0EEEvPT_PKS2_PKT0_S8_ifPKiSA_iPKfiiiSC_SC_iiiii,@function
_ZN4vllm25paged_attention_v1_kernelIttLi96ELi32ELi128ELNS_18Fp8KVCacheDataTypeE0ELb0EEEvPT_PKS2_PKT0_S8_ifPKiSA_iPKfiiiSC_SC_iiiii: ; @_ZN4vllm25paged_attention_v1_kernelIttLi96ELi32ELi128ELNS_18Fp8KVCacheDataTypeE0ELb0EEEvPT_PKS2_PKT0_S8_ifPKiSA_iPKfiiiSC_SC_iiiii
; %bb.0:
	s_load_dword s5, s[0:1], 0x80
	s_load_dwordx2 s[6:7], s[0:1], 0x30
	s_load_dwordx2 s[8:9], s[0:1], 0x20
	s_mov_b32 s10, s3
	s_ashr_i32 s11, s3, 31
	s_lshl_b64 s[12:13], s[10:11], 2
	s_waitcnt lgkmcnt(0)
	s_add_u32 s6, s6, s12
	s_addc_u32 s7, s7, s13
	s_abs_i32 s3, s8
	v_cvt_f32_u32_e32 v1, s3
	s_sub_i32 s12, 0, s3
	s_abs_i32 s11, s5
	s_xor_b32 s8, s5, s8
	v_rcp_iflag_f32_e32 v1, v1
	s_ashr_i32 s8, s8, 31
	v_mul_f32_e32 v1, 0x4f7ffffe, v1
	v_cvt_u32_f32_e32 v1, v1
	s_nop 0
	v_readfirstlane_b32 s13, v1
	s_mul_i32 s12, s12, s13
	s_mul_hi_u32 s12, s13, s12
	s_add_i32 s13, s13, s12
	s_mul_hi_u32 s12, s11, s13
	s_mul_i32 s13, s12, s3
	s_sub_i32 s11, s11, s13
	s_add_i32 s13, s12, 1
	s_sub_i32 s14, s11, s3
	s_cmp_ge_u32 s11, s3
	s_cselect_b32 s12, s13, s12
	s_cselect_b32 s11, s14, s11
	s_add_i32 s13, s12, 1
	s_cmp_ge_u32 s11, s3
	s_cselect_b32 s3, s13, s12
	s_xor_b32 s3, s3, s8
	s_sub_i32 s14, s3, s8
	s_abs_i32 s11, s14
	v_cvt_f32_u32_e32 v1, s11
	s_load_dwordx2 s[12:13], s[0:1], 0x40
	s_sub_i32 s3, 0, s11
	s_abs_i32 s18, s2
	v_rcp_iflag_f32_e32 v1, v1
	s_mov_b32 s8, 0
	v_mul_f32_e32 v1, 0x4f7ffffe, v1
	v_cvt_u32_f32_e32 v1, v1
	s_nop 0
	v_readfirstlane_b32 s15, v1
	s_mul_i32 s3, s3, s15
	s_mul_hi_u32 s3, s15, s3
	s_add_i32 s15, s15, s3
	s_waitcnt lgkmcnt(0)
	s_cmp_eq_u64 s[12:13], 0
	s_mul_hi_u32 s19, s18, s15
	s_cbranch_scc1 .LBB102_2
; %bb.1:
	s_ashr_i32 s3, s2, 31
	s_lshl_b64 s[16:17], s[2:3], 2
	s_add_u32 s12, s12, s16
	s_addc_u32 s13, s13, s17
	s_load_dword s8, s[12:13], 0x0
.LBB102_2:
	s_load_dword s33, s[6:7], 0x0
	s_ashr_i32 s7, s14, 31
	s_load_dwordx4 s[12:15], s[0:1], 0x48
	s_ashr_i32 s6, s2, 31
	v_and_b32_e32 v4, 1, v0
	s_waitcnt lgkmcnt(0)
	s_movk_i32 s15, 0x60
	s_mul_i32 s16, s2, 0x60
	v_cmp_gt_u32_e32 vcc, 24, v0
	v_lshlrev_b32_e32 v1, 3, v0
	s_and_saveexec_b64 s[2:3], vcc
	s_cbranch_execz .LBB102_4
; %bb.3:
	s_load_dwordx2 s[20:21], s[0:1], 0x8
	s_mul_i32 s22, s12, s10
	s_ashr_i32 s23, s22, 31
	s_lshl_b64 s[22:23], s[22:23], 1
	v_lshlrev_b32_e32 v5, 2, v0
	s_waitcnt lgkmcnt(0)
	s_add_u32 s12, s20, s22
	s_addc_u32 s22, s21, s23
	s_ashr_i32 s17, s16, 31
	s_lshl_b64 s[20:21], s[16:17], 1
	s_add_u32 s20, s12, s20
	s_addc_u32 s21, s22, s21
	global_load_dwordx2 v[2:3], v1, s[20:21]
	v_and_b32_e32 v5, 0xff8, v5
	v_mad_u32_u24 v5, v4, s15, v5
	s_waitcnt vmcnt(0)
	ds_write_b64 v5, v[2:3]
.LBB102_4:
	s_or_b64 exec, exec, s[2:3]
	s_add_i32 s3, s33, 31
	s_ashr_i32 s12, s3, 31
	s_lshr_b32 s12, s12, 27
	s_add_i32 s3, s3, s12
	s_ashr_i32 s12, s3, 5
	s_xor_b32 s3, s6, s7
	s_mul_i32 s6, s19, s11
	s_sub_i32 s6, s18, s6
	s_add_i32 s7, s19, 1
	s_sub_i32 s15, s6, s11
	s_load_dwordx2 s[20:21], s[0:1], 0x28
	s_load_dword s2, s[0:1], 0x38
	s_cmp_ge_u32 s6, s11
	s_cselect_b32 s7, s7, s19
	s_cselect_b32 s6, s15, s6
	s_add_i32 s15, s7, 1
	s_cmp_ge_u32 s6, s11
	s_cselect_b32 s6, s15, s7
	v_lshrrev_b32_e32 v24, 6, v0
	s_xor_b32 s6, s6, s3
	s_waitcnt lgkmcnt(0)
	s_mul_i32 s22, s2, s10
	s_sub_i32 s15, s6, s3
	s_ashr_i32 s23, s22, 31
	v_cmp_gt_i32_e64 s[6:7], s12, v24
	v_cmp_le_i32_e32 vcc, s12, v24
	v_mbcnt_lo_u32_b32 v6, -1, 0
	s_barrier
                                        ; implicit-def: $vgpr26
                                        ; implicit-def: $vgpr27
                                        ; implicit-def: $vgpr28
	s_and_saveexec_b64 s[2:3], vcc
	s_xor_b64 s[2:3], exec, s[2:3]
; %bb.5:
	v_mbcnt_hi_u32_b32 v26, -1, v6
	v_and_b32_e32 v27, 64, v26
	v_add_u32_e32 v28, 64, v27
                                        ; implicit-def: $vgpr4
                                        ; implicit-def: $vgpr6
; %bb.6:
	s_or_saveexec_b64 s[26:27], s[2:3]
	s_load_dwordx2 s[18:19], s[0:1], 0x0
	s_load_dwordx2 s[24:25], s[0:1], 0x18
	s_load_dword s11, s[0:1], 0x88
	v_mov_b32_e32 v29, 0xff7fffff
	s_mul_i32 s14, s15, s14
	v_lshrrev_b32_e32 v25, 4, v0
	s_xor_b64 exec, exec, s[26:27]
	s_cbranch_execz .LBB102_12
; %bb.7:
	s_load_dwordx2 s[0:1], s[0:1], 0x10
	s_ashr_i32 s15, s14, 31
	s_lshl_b64 s[2:3], s[14:15], 1
	v_bfe_u32 v5, v0, 1, 5
	v_lshlrev_b32_e32 v8, 4, v5
	s_waitcnt lgkmcnt(0)
	s_add_u32 s0, s0, s2
	s_addc_u32 s1, s1, s3
	v_mov_b32_e32 v9, 0
	v_lshl_add_u64 v[2:3], s[0:1], 0, v[8:9]
	s_sub_i32 s15, 1, s33
	s_lshl_b64 s[0:1], s[22:23], 2
	v_and_b32_e32 v8, 8, v1
	v_mul_u32_u24_e32 v30, 0x60, v4
	v_cmp_eq_u32_e32 vcc, 0, v4
	v_lshlrev_b32_e32 v4, 2, v5
	s_add_u32 s0, s20, s0
	v_mbcnt_hi_u32_b32 v26, -1, v6
	v_lshl_add_u64 v[2:3], v[2:3], 0, v[8:9]
	v_lshl_or_b32 v4, v24, 7, v4
	v_and_b32_e32 v8, 60, v25
	s_addc_u32 s1, s21, s1
	v_and_b32_e32 v27, 64, v26
	s_mov_b32 s17, s13
	v_cmp_neq_f32_e64 s[2:3], s8, 0
	v_lshl_or_b32 v31, v24, 5, v5
	v_add_u32_e32 v32, 0xd0, v4
	v_lshl_add_u64 v[4:5], s[0:1], 0, v[8:9]
	v_mov_b32_e32 v29, 0xff7fffff
	s_mov_b64 s[28:29], 0
	s_movk_i32 s34, 0x1000
	v_xor_b32_e32 v33, 1, v26
	v_add_u32_e32 v28, 64, v27
	v_mov_b32_e32 v34, v24
	s_branch .LBB102_9
.LBB102_8:                              ;   in Loop: Header=BB102_9 Depth=1
	s_or_b64 exec, exec, s[30:31]
	v_add_u32_e32 v34, 2, v34
	v_cmp_le_i32_e64 s[0:1], s12, v34
	v_add_u32_e32 v31, 64, v31
	v_add_u32_e32 v32, 0x100, v32
	s_or_b64 s[28:29], s[0:1], s[28:29]
	v_lshl_add_u64 v[4:5], v[4:5], 0, 8
	s_andn2_b64 exec, exec, s[28:29]
	s_cbranch_execz .LBB102_11
.LBB102_9:                              ; =>This Inner Loop Header: Depth=1
	global_load_dword v6, v[4:5], off
	s_waitcnt vmcnt(0) lgkmcnt(0)
	v_mad_i64_i32 v[6:7], s[0:1], v6, s17, 0
	v_lshl_add_u64 v[6:7], v[6:7], 1, v[2:3]
	global_load_dwordx2 v[38:39], v[6:7], off
	global_load_dwordx2 v[40:41], v[6:7], off offset:512
	global_load_dwordx2 v[52:53], v[6:7], off offset:1024
	;; [unrolled: 1-line block ×7, first 2 shown]
	v_add_co_u32_e64 v36, s[0:1], s34, v6
	s_waitcnt vmcnt(7)
	v_lshrrev_b32_e32 v45, 16, v38
	v_addc_co_u32_e64 v37, s[0:1], 0, v7, s[0:1]
	global_load_dwordx2 v[12:13], v[36:37], off
	global_load_dwordx2 v[10:11], v[36:37], off offset:512
	ds_read_b64 v[6:7], v30
	v_and_b32_e32 v47, 0xffff, v38
	v_lshrrev_b32_e32 v48, 16, v39
	v_and_b32_e32 v50, 0xffff, v39
	s_waitcnt vmcnt(3)
	v_lshrrev_b32_e32 v57, 16, v16
	s_waitcnt lgkmcnt(0)
	v_lshrrev_b32_e32 v42, 16, v6
	v_and_b32_e32 v35, 0xffff, v6
	v_lshrrev_b32_e32 v43, 16, v7
	v_and_b32_e32 v44, 0xffff, v7
	global_load_dwordx2 v[8:9], v[36:37], off offset:1024
	global_load_dwordx2 v[6:7], v[36:37], off offset:1536
	;;#ASMSTART
	v_cvt_f32_f16 v35, v35;
	;;#ASMEND
	;;#ASMSTART
	v_cvt_f32_f16 v36, v42;
	;;#ASMEND
	v_and_b32_e32 v58, 0xffff, v16
	v_lshrrev_b32_e32 v59, 16, v17
	v_and_b32_e32 v60, 0xffff, v17
	s_waitcnt vmcnt(4)
	v_lshrrev_b32_e32 v61, 16, v14
	v_and_b32_e32 v62, 0xffff, v14
	v_lshrrev_b32_e32 v63, 16, v15
	v_and_b32_e32 v64, 0xffff, v15
	;;#ASMSTART
	v_cvt_f32_f16 v16, v47;
	;;#ASMEND
	;;#ASMSTART
	v_cvt_f32_f16 v17, v45;
	;;#ASMEND
	;; [unrolled: 3-line block ×6, first 2 shown]
	ds_read_b64 v[14:15], v30 offset:8
	v_lshrrev_b32_e32 v37, 16, v40
	v_and_b32_e32 v38, 0xffff, v40
	v_lshrrev_b32_e32 v39, 16, v41
	v_and_b32_e32 v40, 0xffff, v41
	s_waitcnt lgkmcnt(0)
	v_and_b32_e32 v48, 0xffff, v15
	v_lshrrev_b32_e32 v41, 16, v52
	v_and_b32_e32 v42, 0xffff, v52
	v_lshrrev_b32_e32 v46, 16, v53
	;; [unrolled: 2-line block ×8, first 2 shown]
	v_and_b32_e32 v19, 0xffff, v19
	v_cmp_lt_i32_e64 s[0:1], v33, v28
	s_waitcnt vmcnt(3)
	v_lshrrev_b32_e32 v50, 16, v12
	v_and_b32_e32 v65, 0xffff, v12
	v_lshrrev_b32_e32 v66, 16, v13
	v_and_b32_e32 v67, 0xffff, v13
	s_waitcnt vmcnt(2)
	v_lshrrev_b32_e32 v68, 16, v10
	v_and_b32_e32 v69, 0xffff, v10
	v_and_b32_e32 v10, 0xffff, v14
	v_lshrrev_b32_e32 v12, 16, v14
	v_lshrrev_b32_e32 v13, 16, v15
	;;#ASMSTART
	v_cvt_f32_f16 v10, v10;
	;;#ASMEND
	;;#ASMSTART
	v_cvt_f32_f16 v14, v12;
	;;#ASMEND
	;;#ASMSTART
	v_cvt_f32_f16 v15, v38;
	;;#ASMEND
	;;#ASMSTART
	v_cvt_f32_f16 v37, v37;
	;;#ASMEND
	;;#ASMSTART
	v_cvt_f32_f16 v38, v48;
	;;#ASMEND
	;;#ASMSTART
	v_cvt_f32_f16 v48, v13;
	;;#ASMEND
	;;#ASMSTART
	v_cvt_f32_f16 v40, v40;
	;;#ASMEND
	;;#ASMSTART
	v_cvt_f32_f16 v39, v39;
	;;#ASMEND
	ds_read_b64 v[12:13], v30 offset:16
	v_mul_f32_e32 v15, v10, v15
	v_mul_f32_e32 v14, v14, v37
	v_fmac_f32_e32 v15, v35, v16
	v_mul_f32_e32 v37, v38, v40
	s_waitcnt lgkmcnt(0)
	v_lshrrev_b32_e32 v16, 16, v12
	v_and_b32_e32 v10, 0xffff, v12
	v_lshrrev_b32_e32 v12, 16, v13
	v_and_b32_e32 v13, 0xffff, v13
	v_mul_f32_e32 v38, v48, v39
	v_fmac_f32_e32 v14, v36, v17
	;;#ASMSTART
	v_cvt_f32_f16 v10, v10;
	;;#ASMEND
	;;#ASMSTART
	v_cvt_f32_f16 v16, v16;
	;;#ASMEND
	;; [unrolled: 3-line block ×8, first 2 shown]
	ds_read_b64 v[12:13], v30 offset:24
	v_fmac_f32_e32 v37, v44, v45
	v_fmac_f32_e32 v38, v43, v47
	;; [unrolled: 1-line block ×4, first 2 shown]
	s_waitcnt lgkmcnt(0)
	v_lshrrev_b32_e32 v16, 16, v12
	v_and_b32_e32 v10, 0xffff, v12
	v_lshrrev_b32_e32 v12, 16, v13
	v_and_b32_e32 v13, 0xffff, v13
	v_fmac_f32_e32 v37, v36, v40
	v_fmac_f32_e32 v38, v39, v41
	;;#ASMSTART
	v_cvt_f32_f16 v10, v10;
	;;#ASMEND
	;;#ASMSTART
	v_cvt_f32_f16 v16, v16;
	;;#ASMEND
	;;#ASMSTART
	v_cvt_f32_f16 v17, v22;
	;;#ASMEND
	;;#ASMSTART
	v_cvt_f32_f16 v22, v51;
	;;#ASMEND
	;;#ASMSTART
	v_cvt_f32_f16 v35, v13;
	;;#ASMEND
	;;#ASMSTART
	v_cvt_f32_f16 v36, v12;
	;;#ASMEND
	;;#ASMSTART
	v_cvt_f32_f16 v23, v23;
	;;#ASMEND
	;;#ASMSTART
	v_cvt_f32_f16 v39, v52;
	;;#ASMEND
	ds_read_b64 v[12:13], v30 offset:32
	v_fmac_f32_e32 v15, v10, v17
	v_fmac_f32_e32 v14, v16, v22
	v_fmac_f32_e32 v37, v35, v23
	v_fmac_f32_e32 v38, v36, v39
	s_waitcnt lgkmcnt(0)
	v_lshrrev_b32_e32 v16, 16, v12
	v_and_b32_e32 v10, 0xffff, v12
	v_lshrrev_b32_e32 v12, 16, v13
	v_and_b32_e32 v13, 0xffff, v13
	;;#ASMSTART
	v_cvt_f32_f16 v10, v10;
	;;#ASMEND
	;;#ASMSTART
	v_cvt_f32_f16 v16, v16;
	;;#ASMEND
	;;#ASMSTART
	v_cvt_f32_f16 v17, v20;
	;;#ASMEND
	;;#ASMSTART
	v_cvt_f32_f16 v20, v53;
	;;#ASMEND
	;;#ASMSTART
	v_cvt_f32_f16 v22, v13;
	;;#ASMEND
	;;#ASMSTART
	v_cvt_f32_f16 v23, v12;
	;;#ASMEND
	;;#ASMSTART
	v_cvt_f32_f16 v21, v21;
	;;#ASMEND
	;;#ASMSTART
	v_cvt_f32_f16 v35, v54;
	;;#ASMEND
	ds_read_b64 v[12:13], v30 offset:40
	v_fmac_f32_e32 v15, v10, v17
	v_fmac_f32_e32 v14, v16, v20
	v_fmac_f32_e32 v37, v22, v21
	v_fmac_f32_e32 v38, v23, v35
	s_waitcnt lgkmcnt(0)
	v_lshrrev_b32_e32 v16, 16, v12
	v_and_b32_e32 v10, 0xffff, v12
	v_lshrrev_b32_e32 v12, 16, v13
	v_and_b32_e32 v13, 0xffff, v13
	;; [unrolled: 34-line block ×5, first 2 shown]
	;;#ASMSTART
	v_cvt_f32_f16 v10, v10;
	;;#ASMEND
	;;#ASMSTART
	v_cvt_f32_f16 v16, v16;
	;;#ASMEND
	;; [unrolled: 3-line block ×8, first 2 shown]
	ds_read_b64 v[12:13], v30 offset:72
	v_fmac_f32_e32 v15, v10, v17
	v_fmac_f32_e32 v14, v16, v18
	;; [unrolled: 1-line block ×4, first 2 shown]
	s_waitcnt lgkmcnt(0)
	v_lshrrev_b32_e32 v10, 16, v12
	v_and_b32_e32 v12, 0xffff, v12
	;;#ASMSTART
	v_cvt_f32_f16 v12, v12;
	;;#ASMEND
	;;#ASMSTART
	v_cvt_f32_f16 v16, v10;
	;;#ASMEND
	v_lshrrev_b32_e32 v10, 16, v13
	v_and_b32_e32 v13, 0xffff, v13
	;;#ASMSTART
	v_cvt_f32_f16 v17, v69;
	;;#ASMEND
	;;#ASMSTART
	v_cvt_f32_f16 v18, v68;
	;;#ASMEND
	;; [unrolled: 3-line block ×4, first 2 shown]
	v_lshrrev_b32_e32 v10, 16, v11
	v_and_b32_e32 v11, 0xffff, v11
	;;#ASMSTART
	v_cvt_f32_f16 v20, v11;
	;;#ASMEND
	;;#ASMSTART
	v_cvt_f32_f16 v21, v10;
	;;#ASMEND
	ds_read_b64 v[10:11], v30 offset:80
	v_fmac_f32_e32 v15, v12, v17
	v_fmac_f32_e32 v14, v16, v18
	s_waitcnt vmcnt(1)
	v_lshrrev_b32_e32 v16, 16, v8
	v_and_b32_e32 v8, 0xffff, v8
	s_waitcnt lgkmcnt(0)
	v_lshrrev_b32_e32 v12, 16, v10
	v_and_b32_e32 v10, 0xffff, v10
	v_fmac_f32_e32 v37, v13, v20
	;;#ASMSTART
	v_cvt_f32_f16 v10, v10;
	;;#ASMEND
	;;#ASMSTART
	v_cvt_f32_f16 v12, v12;
	;;#ASMEND
	;; [unrolled: 3-line block ×3, first 2 shown]
	v_lshrrev_b32_e32 v8, 16, v11
	v_and_b32_e32 v11, 0xffff, v11
	;;#ASMSTART
	v_cvt_f32_f16 v16, v16;
	;;#ASMEND
	;;#ASMSTART
	v_cvt_f32_f16 v11, v11;
	;;#ASMEND
	;; [unrolled: 3-line block ×3, first 2 shown]
	v_lshrrev_b32_e32 v8, 16, v9
	v_and_b32_e32 v9, 0xffff, v9
	v_fmac_f32_e32 v38, v19, v21
	;;#ASMSTART
	v_cvt_f32_f16 v18, v9;
	;;#ASMEND
	;;#ASMSTART
	v_cvt_f32_f16 v19, v8;
	;;#ASMEND
	ds_read_b64 v[8:9], v30 offset:88
	v_fmac_f32_e32 v15, v10, v13
	v_fmac_f32_e32 v37, v11, v18
	s_waitcnt vmcnt(0)
	v_lshrrev_b32_e32 v11, 16, v6
	v_and_b32_e32 v6, 0xffff, v6
	s_waitcnt lgkmcnt(0)
	v_lshrrev_b32_e32 v10, 16, v8
	v_and_b32_e32 v8, 0xffff, v8
	;;#ASMSTART
	v_cvt_f32_f16 v8, v8;
	;;#ASMEND
	;;#ASMSTART
	v_cvt_f32_f16 v10, v10;
	;;#ASMEND
	;; [unrolled: 3-line block ×3, first 2 shown]
	v_fmac_f32_e32 v14, v12, v16
	v_fmac_f32_e32 v15, v8, v6
	v_and_b32_e32 v6, 0xffff, v9
	;;#ASMSTART
	v_cvt_f32_f16 v11, v11;
	;;#ASMEND
	v_lshrrev_b32_e32 v8, 16, v9
	v_fmac_f32_e32 v14, v10, v11
	;;#ASMSTART
	v_cvt_f32_f16 v6, v6;
	;;#ASMEND
	v_lshrrev_b32_e32 v9, 16, v7
	v_and_b32_e32 v7, 0xffff, v7
	v_fmac_f32_e32 v38, v17, v19
	;;#ASMSTART
	v_cvt_f32_f16 v8, v8;
	;;#ASMEND
	;;#ASMSTART
	v_cvt_f32_f16 v7, v7;
	;;#ASMEND
	;; [unrolled: 3-line block ×3, first 2 shown]
	s_nop 0
	v_fmac_f32_e32 v37, v6, v7
	v_add_f32_e32 v6, v15, v14
	v_fmac_f32_e32 v38, v8, v9
	v_add_f32_e32 v6, v6, v37
	v_cndmask_b32_e64 v7, v26, v33, s[0:1]
	v_add_f32_e32 v6, v38, v6
	v_lshlrev_b32_e32 v7, 2, v7
	ds_bpermute_b32 v7, v7, v6
	s_and_saveexec_b64 s[30:31], vcc
	s_cbranch_execz .LBB102_8
; %bb.10:                               ;   in Loop: Header=BB102_9 Depth=1
	v_add_u32_e32 v8, s15, v31
	v_cvt_f32_i32_e32 v8, v8
	s_waitcnt lgkmcnt(0)
	v_add_f32_e32 v6, v6, v7
	v_cmp_gt_i32_e64 s[0:1], s33, v31
	v_max_f32_e32 v7, v29, v29
	v_mul_f32_e32 v8, s8, v8
	v_cndmask_b32_e64 v8, 0, v8, s[2:3]
	v_fmac_f32_e32 v8, s9, v6
	v_cndmask_b32_e64 v6, 0, v8, s[0:1]
	ds_write_b32 v32, v6
	v_max_f32_e32 v6, v7, v8
	v_cndmask_b32_e64 v29, v29, v6, s[0:1]
	s_branch .LBB102_8
.LBB102_11:
	s_or_b64 exec, exec, s[28:29]
.LBB102_12:
	s_or_b64 exec, exec, s[26:27]
	v_xor_b32_e32 v2, 32, v26
	v_cmp_lt_i32_e32 vcc, v2, v28
	v_xor_b32_e32 v5, 16, v26
	v_max_f32_e32 v4, v29, v29
	v_cndmask_b32_e32 v2, v26, v2, vcc
	v_lshlrev_b32_e32 v2, 2, v2
	ds_bpermute_b32 v3, v2, v29
	v_cmp_lt_i32_e32 vcc, v5, v28
	v_xor_b32_e32 v6, 8, v26
	s_waitcnt lgkmcnt(0)
	v_xor_b32_e32 v7, 4, v26
	v_xor_b32_e32 v8, 2, v26
	v_max_f32_e32 v3, v3, v3
	v_max_f32_e32 v4, v4, v3
	v_cndmask_b32_e32 v3, v26, v5, vcc
	v_lshlrev_b32_e32 v3, 2, v3
	ds_bpermute_b32 v5, v3, v4
	v_cmp_lt_i32_e32 vcc, v6, v28
	v_and_b32_e32 v20, 63, v0
	s_waitcnt lgkmcnt(0)
	v_max_f32_e32 v5, v5, v5
	v_max_f32_e32 v5, v4, v5
	v_cndmask_b32_e32 v4, v26, v6, vcc
	v_lshlrev_b32_e32 v4, 2, v4
	ds_bpermute_b32 v6, v4, v5
	v_cmp_lt_i32_e32 vcc, v7, v28
	s_waitcnt lgkmcnt(0)
	v_max_f32_e32 v6, v6, v6
	v_max_f32_e32 v6, v5, v6
	v_cndmask_b32_e32 v5, v26, v7, vcc
	v_lshlrev_b32_e32 v5, 2, v5
	ds_bpermute_b32 v7, v5, v6
	v_cmp_lt_i32_e32 vcc, v8, v28
	s_waitcnt lgkmcnt(0)
	v_max_f32_e32 v7, v7, v7
	v_max_f32_e32 v7, v6, v7
	v_cndmask_b32_e32 v6, v26, v8, vcc
	v_lshlrev_b32_e32 v21, 2, v6
	ds_bpermute_b32 v8, v21, v7
	v_cmp_eq_u32_e32 vcc, 0, v20
	v_lshlrev_b32_e32 v6, 2, v24
	s_and_saveexec_b64 s[0:1], vcc
	s_cbranch_execz .LBB102_14
; %bb.13:
	s_waitcnt lgkmcnt(0)
	v_max_f32_e32 v8, v8, v8
	v_max_f32_e32 v7, v7, v7
	;; [unrolled: 1-line block ×3, first 2 shown]
	ds_write_b32 v6, v7 offset:192
.LBB102_14:
	s_or_b64 exec, exec, s[0:1]
	v_cmp_gt_u32_e64 s[0:1], 2, v20
	s_waitcnt lgkmcnt(0)
	v_mov_b32_e32 v8, 0xff7fffff
	v_lshlrev_b32_e32 v7, 2, v20
	s_barrier
	s_and_saveexec_b64 s[2:3], s[0:1]
; %bb.15:
	ds_read_b32 v8, v7 offset:192
; %bb.16:
	s_or_b64 exec, exec, s[2:3]
	v_xor_b32_e32 v9, 1, v26
	v_cmp_lt_i32_e64 s[2:3], v9, v28
	s_nop 1
	v_cndmask_b32_e64 v9, v26, v9, s[2:3]
	v_lshlrev_b32_e32 v22, 2, v9
	s_waitcnt lgkmcnt(0)
	ds_bpermute_b32 v9, v22, v8
	v_max_f32_e32 v8, v8, v8
	s_lshl_b32 s2, s12, 5
	s_min_i32 s15, s2, s33
	v_cmp_gt_i32_e64 s[2:3], s15, v0
	s_waitcnt lgkmcnt(0)
	v_max_f32_e32 v9, v9, v9
	v_max_f32_e32 v8, v8, v9
	v_lshlrev_b32_e32 v9, 2, v27
	ds_bpermute_b32 v9, v9, v8
	v_mov_b32_e32 v8, 0
	s_and_saveexec_b64 s[26:27], s[2:3]
	s_cbranch_execz .LBB102_20
; %bb.17:
	v_mov_b32_e32 v8, 0xd0
	v_lshl_add_u32 v10, v0, 2, v8
	v_mov_b32_e32 v8, 0
	s_mov_b64 s[28:29], 0
	v_mov_b32_e32 v11, v0
.LBB102_18:                             ; =>This Inner Loop Header: Depth=1
	ds_read_b32 v12, v10
	v_add_u32_e32 v11, 0x80, v11
	v_cmp_le_i32_e64 s[8:9], s15, v11
	s_or_b64 s[28:29], s[8:9], s[28:29]
	s_waitcnt lgkmcnt(0)
	v_sub_f32_e32 v12, v12, v9
	v_mul_f32_e32 v12, 0x3fb8aa3b, v12
	v_exp_f32_e32 v12, v12
	ds_write_b32 v10, v12
	v_add_f32_e32 v8, v8, v12
	v_add_u32_e32 v10, 0x200, v10
	s_andn2_b64 exec, exec, s[28:29]
	s_cbranch_execnz .LBB102_18
; %bb.19:
	s_or_b64 exec, exec, s[28:29]
.LBB102_20:
	s_or_b64 exec, exec, s[26:27]
	ds_bpermute_b32 v2, v2, v8
	s_waitcnt lgkmcnt(0)
	v_add_f32_e32 v2, v8, v2
	ds_bpermute_b32 v3, v3, v2
	s_waitcnt lgkmcnt(0)
	v_add_f32_e32 v2, v2, v3
	;; [unrolled: 3-line block ×6, first 2 shown]
	s_and_saveexec_b64 s[8:9], vcc
; %bb.21:
	ds_write_b32 v6, v2 offset:200
; %bb.22:
	s_or_b64 exec, exec, s[8:9]
	s_waitcnt lgkmcnt(0)
	s_barrier
	s_and_saveexec_b64 s[8:9], s[0:1]
; %bb.23:
	ds_read_b32 v2, v7 offset:200
; %bb.24:
	s_or_b64 exec, exec, s[8:9]
	s_waitcnt lgkmcnt(0)
	ds_bpermute_b32 v3, v22, v2
	v_lshlrev_b32_e32 v4, 2, v26
	s_waitcnt lgkmcnt(0)
	v_add_f32_e32 v2, v2, v3
	v_and_b32_e32 v3, 0xffffff00, v4
	ds_bpermute_b32 v2, v3, v2
	s_and_saveexec_b64 s[0:1], s[2:3]
	s_cbranch_execz .LBB102_37
; %bb.25:
	s_waitcnt lgkmcnt(0)
	v_add_f32_e32 v2, 0x358637bd, v2
	v_div_scale_f32 v3, s[2:3], v2, v2, 1.0
	v_rcp_f32_e32 v4, v3
	v_div_scale_f32 v5, vcc, 1.0, v2, 1.0
	s_movk_i32 s2, 0x7f
	v_fma_f32 v6, -v3, v4, 1.0
	v_fmac_f32_e32 v4, v6, v4
	v_mul_f32_e32 v6, v5, v4
	v_fma_f32 v7, -v3, v6, v5
	v_fmac_f32_e32 v6, v7, v4
	v_fma_f32 v3, -v3, v6, v5
	v_div_fmas_f32 v3, v3, v4, v6
	v_xad_u32 v4, v0, -1, s15
	v_div_fixup_f32 v2, v3, v2, 1.0
	v_cmp_lt_u32_e32 vcc, s2, v4
	s_mov_b64 s[8:9], -1
	v_mov_b32_e32 v3, v0
	s_and_saveexec_b64 s[2:3], vcc
	s_cbranch_execz .LBB102_34
; %bb.26:
	v_lshrrev_b32_e32 v4, 7, v4
	v_add_u32_e32 v6, -1, v4
	v_lshrrev_b32_e32 v5, 1, v6
	v_mov_b32_e32 v3, v2
	v_add_u32_e32 v5, 1, v5
	v_cmp_lt_u32_e32 vcc, 13, v6
	v_mov_b32_e32 v8, 0
	s_and_saveexec_b64 s[8:9], vcc
	s_cbranch_execz .LBB102_30
; %bb.27:
	v_mov_b32_e32 v7, 0xd0
	v_and_b32_e32 v6, -8, v5
	v_lshl_add_u32 v7, v0, 2, v7
	s_mov_b32 s17, 0
	s_mov_b64 s[26:27], 0
.LBB102_28:                             ; =>This Inner Loop Header: Depth=1
	ds_read2st64_b32 v[8:9], v7 offset1:2
	ds_read2st64_b32 v[10:11], v7 offset0:4 offset1:6
	ds_read2st64_b32 v[12:13], v7 offset0:8 offset1:10
	;; [unrolled: 1-line block ×3, first 2 shown]
	v_add_u32_e32 v6, -8, v6
	s_waitcnt lgkmcnt(3)
	v_pk_mul_f32 v[8:9], v[2:3], v[8:9]
	s_waitcnt lgkmcnt(2)
	v_pk_mul_f32 v[10:11], v[2:3], v[10:11]
	ds_write2st64_b32 v7, v8, v9 offset1:2
	ds_write2st64_b32 v7, v10, v11 offset0:4 offset1:6
	ds_read2st64_b32 v[10:11], v7 offset0:16 offset1:18
	s_waitcnt lgkmcnt(4)
	v_pk_mul_f32 v[8:9], v[2:3], v[12:13]
	ds_write2st64_b32 v7, v8, v9 offset0:8 offset1:10
	s_waitcnt lgkmcnt(4)
	v_pk_mul_f32 v[8:9], v[2:3], v[14:15]
	ds_write2st64_b32 v7, v8, v9 offset0:12 offset1:14
	ds_read2st64_b32 v[8:9], v7 offset0:20 offset1:22
	s_waitcnt lgkmcnt(3)
	v_pk_mul_f32 v[10:11], v[2:3], v[10:11]
	ds_read2st64_b32 v[12:13], v7 offset0:24 offset1:26
	ds_write2st64_b32 v7, v10, v11 offset0:16 offset1:18
	ds_read2st64_b32 v[10:11], v7 offset0:28 offset1:30
	s_waitcnt lgkmcnt(3)
	v_pk_mul_f32 v[8:9], v[2:3], v[8:9]
	ds_write2st64_b32 v7, v8, v9 offset0:20 offset1:22
	s_waitcnt lgkmcnt(3)
	v_pk_mul_f32 v[8:9], v[2:3], v[12:13]
	ds_write2st64_b32 v7, v8, v9 offset0:24 offset1:26
	s_waitcnt lgkmcnt(2)
	v_pk_mul_f32 v[8:9], v[2:3], v[10:11]
	s_add_i32 s17, s17, 16
	v_cmp_eq_u32_e32 vcc, 0, v6
	ds_write2st64_b32 v7, v8, v9 offset0:28 offset1:30
	v_add_u32_e32 v7, 0x2000, v7
	s_or_b64 s[26:27], vcc, s[26:27]
	v_mov_b32_e32 v8, s17
	s_andn2_b64 exec, exec, s[26:27]
	s_cbranch_execnz .LBB102_28
; %bb.29:
	s_or_b64 exec, exec, s[26:27]
.LBB102_30:
	s_or_b64 exec, exec, s[8:9]
	v_and_b32_e32 v5, 7, v5
	v_cmp_ne_u32_e32 vcc, 0, v5
	s_and_saveexec_b64 s[8:9], vcc
	s_cbranch_execz .LBB102_33
; %bb.31:
	v_lshlrev_b32_e32 v6, 9, v8
	v_lshlrev_b32_e32 v7, 2, v0
	s_movk_i32 s17, 0xd0
	v_add3_u32 v6, v6, v7, s17
	s_mov_b64 s[26:27], 0
.LBB102_32:                             ; =>This Inner Loop Header: Depth=1
	ds_read2st64_b32 v[8:9], v6 offset1:2
	v_add_u32_e32 v5, -1, v5
	v_cmp_eq_u32_e32 vcc, 0, v5
	s_or_b64 s[26:27], vcc, s[26:27]
	s_waitcnt lgkmcnt(0)
	v_pk_mul_f32 v[8:9], v[2:3], v[8:9]
	ds_write2st64_b32 v6, v8, v9 offset1:2
	v_add_u32_e32 v6, 0x400, v6
	s_andn2_b64 exec, exec, s[26:27]
	s_cbranch_execnz .LBB102_32
.LBB102_33:
	s_or_b64 exec, exec, s[8:9]
	v_add_u32_e32 v4, 1, v4
	v_and_b32_e32 v5, 0x3fffffe, v4
	v_cmp_ne_u32_e32 vcc, v4, v5
	v_lshl_add_u32 v3, v5, 7, v0
	s_orn2_b64 s[8:9], vcc, exec
.LBB102_34:
	s_or_b64 exec, exec, s[2:3]
	s_and_b64 exec, exec, s[8:9]
	s_cbranch_execz .LBB102_37
; %bb.35:
	v_mov_b32_e32 v4, 0xd0
	v_lshl_add_u32 v4, v3, 2, v4
	s_mov_b64 s[2:3], 0
.LBB102_36:                             ; =>This Inner Loop Header: Depth=1
	ds_read_b32 v5, v4
	v_add_u32_e32 v3, 0x80, v3
	v_cmp_le_i32_e32 vcc, s15, v3
	s_or_b64 s[2:3], vcc, s[2:3]
	s_waitcnt lgkmcnt(0)
	v_mul_f32_e32 v5, v2, v5
	ds_write_b32 v4, v5
	v_add_u32_e32 v4, 0x200, v4
	s_andn2_b64 exec, exec, s[2:3]
	s_cbranch_execnz .LBB102_36
.LBB102_37:
	s_or_b64 exec, exec, s[0:1]
	v_mov_b32_e32 v7, 0
	v_and_b32_e32 v23, 3, v0
	v_mov_b32_e32 v6, 0
	v_mov_b32_e32 v9, 0
	;; [unrolled: 1-line block ×5, first 2 shown]
	s_waitcnt lgkmcnt(0)
	s_barrier
	s_and_saveexec_b64 s[2:3], s[6:7]
	s_cbranch_execz .LBB102_53
; %bb.38:
	s_ashr_i32 s15, s14, 31
	s_lshl_b64 s[0:1], s[14:15], 1
	s_add_u32 s0, s24, s0
	v_lshlrev_b32_e32 v2, 4, v0
	s_addc_u32 s1, s25, s1
	v_and_b32_e32 v12, 0x3f0, v2
	v_mov_b32_e32 v13, 0
	v_and_b32_e32 v1, 24, v1
	s_add_i32 s14, s12, -1
	v_lshl_add_u64 v[14:15], s[0:1], 0, v[12:13]
	s_lshl_b64 s[0:1], s[22:23], 2
	v_lshl_or_b32 v26, v24, 5, v1
	v_lshlrev_b32_e32 v1, 5, v23
	s_add_u32 s0, s20, s0
	v_lshl_or_b32 v1, v24, 7, v1
	v_and_b32_e32 v12, 60, v25
	s_addc_u32 s1, s21, s1
	s_mov_b32 s15, s33
	v_add_u32_e32 v27, 0xd0, v1
	v_lshl_add_u64 v[16:17], s[0:1], 0, v[12:13]
	s_mov_b64 s[6:7], 0
	s_mov_b32 s17, 0xffff
	s_movk_i32 s20, 0x1000
	v_mov_b32_e32 v7, 0
	v_mov_b32_e32 v6, 0
	;; [unrolled: 1-line block ×6, first 2 shown]
	s_branch .LBB102_40
.LBB102_39:                             ;   in Loop: Header=BB102_40 Depth=1
	s_or_b64 exec, exec, s[8:9]
	v_lshlrev_b32_e32 v12, 16, v12
	v_lshlrev_b32_e32 v1, 16, v1
	v_and_or_b32 v2, v2, s17, v12
	v_and_or_b32 v1, v3, s17, v1
	v_lshlrev_b32_e32 v3, 16, v18
	v_and_or_b32 v3, v4, s17, v3
	;;#ASMSTART
	v_pk_mul_f16 v2, v34, v2;

	;;#ASMEND
	;;#ASMSTART
	v_pk_mul_f16 v1, v35, v1;

	;;#ASMEND
	;; [unrolled: 4-line block ×4, first 2 shown]
	v_add_f32_e32 v19, v46, v47
	;;#ASMSTART
	v_pk_add_f16 v1, v2, v1;

	;;#ASMEND
	v_add_f32_e32 v6, v6, v19
	;;#ASMSTART
	v_pk_add_f16 v1, v1, v3;

	;;#ASMEND
	;; [unrolled: 5-line block ×3, first 2 shown]
	v_add_f32_e32 v9, v9, v19
	v_add_f32_e32 v19, v42, v43
	v_lshrrev_b32_e32 v2, 16, v1
	v_and_b32_e32 v1, 0xffff, v1
	v_add_f32_e32 v8, v8, v19
	v_add_f32_e32 v19, v40, v41
	;;#ASMSTART
	v_cvt_f32_f16 v1, v1;
	;;#ASMEND
	v_add_u32_e32 v24, 2, v24
	v_add_f32_e32 v11, v11, v19
	v_add_f32_e32 v19, v38, v39
	;;#ASMSTART
	v_cvt_f32_f16 v2, v2;
	;;#ASMEND
	v_cmp_le_i32_e32 vcc, s12, v24
	v_add_f32_e32 v1, v1, v2
	v_add_f32_e32 v10, v10, v19
	;; [unrolled: 1-line block ×3, first 2 shown]
	v_add_u32_e32 v26, 64, v26
	v_add_u32_e32 v27, 0x100, v27
	s_or_b64 s[6:7], vcc, s[6:7]
	v_lshl_add_u64 v[16:17], v[16:17], 0, 8
	s_andn2_b64 exec, exec, s[6:7]
	s_cbranch_execz .LBB102_52
.LBB102_40:                             ; =>This Inner Loop Header: Depth=1
	global_load_dword v1, v[16:17], off
	ds_read2_b64 v[2:5], v27 offset1:1
	ds_read2_b64 v[28:31], v27 offset0:2 offset1:3
	v_add_u32_e32 v25, 7, v26
	v_or_b32_e32 v32, 3, v26
	s_waitcnt lgkmcnt(1)
	;;#ASMSTART
	v_cvt_f16_f32 v34, v2;

	;;#ASMEND
	;;#ASMSTART
	v_cvt_f16_f32 v35, v3;

	;;#ASMEND
	;; [unrolled: 4-line block ×4, first 2 shown]
	s_waitcnt lgkmcnt(0)
	;;#ASMSTART
	v_cvt_f16_f32 v38, v28;

	;;#ASMEND
	;;#ASMSTART
	v_cvt_f16_f32 v39, v29;

	;;#ASMEND
	;; [unrolled: 4-line block ×4, first 2 shown]
	v_add_u32_e32 v31, 2, v26
	v_add_u32_e32 v30, 4, v26
	;; [unrolled: 1-line block ×4, first 2 shown]
	v_or_b32_e32 v33, 1, v26
	s_waitcnt vmcnt(0)
	v_mad_i64_i32 v[2:3], s[0:1], v1, s13, 0
	v_lshl_add_u64 v[18:19], v[2:3], 1, v[14:15]
	global_load_dwordx4 v[2:5], v[18:19], off
	v_cmp_eq_u32_e64 s[0:1], s14, v24
	s_waitcnt vmcnt(0)
	v_lshrrev_b32_e32 v1, 16, v3
	v_lshrrev_b32_e32 v12, 16, v2
	;; [unrolled: 1-line block ×3, first 2 shown]
	s_and_saveexec_b64 s[8:9], s[0:1]
	s_cbranch_execz .LBB102_42
; %bb.41:                               ;   in Loop: Header=BB102_40 Depth=1
	v_cmp_gt_i32_e32 vcc, s33, v26
	s_nop 1
	v_cndmask_b32_e32 v2, 0, v2, vcc
	v_cmp_gt_i32_e32 vcc, s33, v31
	s_nop 1
	v_cndmask_b32_e32 v3, 0, v3, vcc
	;; [unrolled: 3-line block ×6, first 2 shown]
	v_cmp_gt_i32_e32 vcc, s33, v28
	s_nop 1
	v_cndmask_b32_sdwa v43, v13, v5, vcc dst_sel:DWORD dst_unused:UNUSED_PAD src0_sel:DWORD src1_sel:WORD_0
	v_and_b32_e32 v5, 0xffff0000, v5
	v_cmp_gt_i32_e32 vcc, s33, v25
	s_nop 1
	v_cndmask_b32_e32 v5, 0, v5, vcc
	v_or_b32_e32 v5, v43, v5
.LBB102_42:                             ;   in Loop: Header=BB102_40 Depth=1
	s_or_b64 exec, exec, s[8:9]
	v_and_b32_e32 v34, 0xffff, v34
	v_lshlrev_b32_e32 v12, 16, v12
	v_lshlrev_b32_e32 v1, 16, v1
	v_lshl_or_b32 v34, v35, 16, v34
	v_and_b32_e32 v35, 0xffff, v36
	v_and_or_b32 v2, v2, s17, v12
	v_and_or_b32 v1, v3, s17, v1
	v_lshlrev_b32_e32 v3, 16, v42
	v_lshl_or_b32 v35, v37, 16, v35
	v_and_b32_e32 v36, 0xffff, v38
	v_and_b32_e32 v37, 0xffff, v40
	v_and_or_b32 v3, v4, s17, v3
	;;#ASMSTART
	v_pk_mul_f16 v2, v34, v2;

	;;#ASMEND
	;;#ASMSTART
	v_pk_mul_f16 v1, v35, v1;

	;;#ASMEND
	v_lshl_or_b32 v36, v39, 16, v36
	v_lshl_or_b32 v37, v41, 16, v37
	;;#ASMSTART
	v_pk_mul_f16 v3, v36, v3;

	;;#ASMEND
	;;#ASMSTART
	v_pk_mul_f16 v4, v37, v5;

	;;#ASMEND
	;;#ASMSTART
	v_pk_add_f16 v1, v2, v1;

	;;#ASMEND
	s_nop 0
	;;#ASMSTART
	v_pk_add_f16 v1, v1, v3;

	;;#ASMEND
	s_nop 0
	;; [unrolled: 5-line block ×3, first 2 shown]
	v_lshrrev_b32_e32 v2, 16, v1
	v_and_b32_e32 v1, 0xffff, v1
	;;#ASMSTART
	v_cvt_f32_f16 v38, v1;
	;;#ASMEND
	;;#ASMSTART
	v_cvt_f32_f16 v39, v2;
	;;#ASMEND
	global_load_dwordx4 v[2:5], v[18:19], off offset:1024
	s_waitcnt vmcnt(0)
	v_lshrrev_b32_e32 v1, 16, v3
	v_lshrrev_b32_e32 v12, 16, v2
	;; [unrolled: 1-line block ×3, first 2 shown]
	s_and_saveexec_b64 s[8:9], s[0:1]
	s_cbranch_execz .LBB102_44
; %bb.43:                               ;   in Loop: Header=BB102_40 Depth=1
	v_cmp_gt_i32_e32 vcc, s33, v26
	s_nop 1
	v_cndmask_b32_e32 v2, 0, v2, vcc
	v_cmp_gt_i32_e32 vcc, s33, v31
	s_nop 1
	v_cndmask_b32_e32 v3, 0, v3, vcc
	;; [unrolled: 3-line block ×6, first 2 shown]
	v_cmp_gt_i32_e32 vcc, s33, v28
	s_nop 1
	v_cndmask_b32_sdwa v41, v13, v5, vcc dst_sel:DWORD dst_unused:UNUSED_PAD src0_sel:DWORD src1_sel:WORD_0
	v_and_b32_e32 v5, 0xffff0000, v5
	v_cmp_gt_i32_e32 vcc, s33, v25
	s_nop 1
	v_cndmask_b32_e32 v5, 0, v5, vcc
	v_or_b32_e32 v5, v41, v5
.LBB102_44:                             ;   in Loop: Header=BB102_40 Depth=1
	s_or_b64 exec, exec, s[8:9]
	v_lshlrev_b32_e32 v12, 16, v12
	v_lshlrev_b32_e32 v1, 16, v1
	v_and_or_b32 v2, v2, s17, v12
	v_and_or_b32 v1, v3, s17, v1
	v_lshlrev_b32_e32 v3, 16, v40
	v_and_or_b32 v3, v4, s17, v3
	;;#ASMSTART
	v_pk_mul_f16 v2, v34, v2;

	;;#ASMEND
	;;#ASMSTART
	v_pk_mul_f16 v1, v35, v1;

	;;#ASMEND
	;; [unrolled: 4-line block ×4, first 2 shown]
	s_nop 0
	;;#ASMSTART
	v_pk_add_f16 v1, v2, v1;

	;;#ASMEND
	s_nop 0
	;;#ASMSTART
	v_pk_add_f16 v1, v1, v3;

	;;#ASMEND
	;; [unrolled: 5-line block ×3, first 2 shown]
	s_nop 0
	v_lshrrev_b32_e32 v2, 16, v1
	v_and_b32_e32 v1, 0xffff, v1
	;;#ASMSTART
	v_cvt_f32_f16 v40, v1;
	;;#ASMEND
	;;#ASMSTART
	v_cvt_f32_f16 v41, v2;
	;;#ASMEND
	global_load_dwordx4 v[2:5], v[18:19], off offset:2048
	s_waitcnt vmcnt(0)
	v_lshrrev_b32_e32 v1, 16, v3
	v_lshrrev_b32_e32 v12, 16, v2
	;; [unrolled: 1-line block ×3, first 2 shown]
	s_and_saveexec_b64 s[8:9], s[0:1]
	s_cbranch_execz .LBB102_46
; %bb.45:                               ;   in Loop: Header=BB102_40 Depth=1
	v_cmp_gt_i32_e32 vcc, s33, v26
	s_nop 1
	v_cndmask_b32_e32 v2, 0, v2, vcc
	v_cmp_gt_i32_e32 vcc, s33, v31
	s_nop 1
	v_cndmask_b32_e32 v3, 0, v3, vcc
	;; [unrolled: 3-line block ×6, first 2 shown]
	v_cmp_gt_i32_e32 vcc, s33, v28
	s_nop 1
	v_cndmask_b32_sdwa v43, v13, v5, vcc dst_sel:DWORD dst_unused:UNUSED_PAD src0_sel:DWORD src1_sel:WORD_0
	v_and_b32_e32 v5, 0xffff0000, v5
	v_cmp_gt_i32_e32 vcc, s33, v25
	s_nop 1
	v_cndmask_b32_e32 v5, 0, v5, vcc
	v_or_b32_e32 v5, v43, v5
.LBB102_46:                             ;   in Loop: Header=BB102_40 Depth=1
	s_or_b64 exec, exec, s[8:9]
	v_lshlrev_b32_e32 v12, 16, v12
	v_lshlrev_b32_e32 v1, 16, v1
	v_and_or_b32 v2, v2, s17, v12
	v_and_or_b32 v1, v3, s17, v1
	v_lshlrev_b32_e32 v3, 16, v42
	v_and_or_b32 v3, v4, s17, v3
	;;#ASMSTART
	v_pk_mul_f16 v2, v34, v2;

	;;#ASMEND
	;;#ASMSTART
	v_pk_mul_f16 v1, v35, v1;

	;;#ASMEND
	;; [unrolled: 4-line block ×4, first 2 shown]
	s_nop 0
	;;#ASMSTART
	v_pk_add_f16 v1, v2, v1;

	;;#ASMEND
	s_nop 0
	;;#ASMSTART
	v_pk_add_f16 v1, v1, v3;

	;;#ASMEND
	;; [unrolled: 5-line block ×3, first 2 shown]
	s_nop 0
	v_lshrrev_b32_e32 v2, 16, v1
	v_and_b32_e32 v1, 0xffff, v1
	;;#ASMSTART
	v_cvt_f32_f16 v42, v1;
	;;#ASMEND
	;;#ASMSTART
	v_cvt_f32_f16 v43, v2;
	;;#ASMEND
	global_load_dwordx4 v[2:5], v[18:19], off offset:3072
	s_waitcnt vmcnt(0)
	v_lshrrev_b32_e32 v1, 16, v3
	v_lshrrev_b32_e32 v12, 16, v2
	;; [unrolled: 1-line block ×3, first 2 shown]
	s_and_saveexec_b64 s[8:9], s[0:1]
	s_cbranch_execz .LBB102_48
; %bb.47:                               ;   in Loop: Header=BB102_40 Depth=1
	v_cmp_gt_i32_e32 vcc, s33, v26
	s_nop 1
	v_cndmask_b32_e32 v2, 0, v2, vcc
	v_cmp_gt_i32_e32 vcc, s33, v31
	s_nop 1
	v_cndmask_b32_e32 v3, 0, v3, vcc
	;; [unrolled: 3-line block ×6, first 2 shown]
	v_cmp_gt_i32_e32 vcc, s33, v28
	s_nop 1
	v_cndmask_b32_sdwa v45, v13, v5, vcc dst_sel:DWORD dst_unused:UNUSED_PAD src0_sel:DWORD src1_sel:WORD_0
	v_and_b32_e32 v5, 0xffff0000, v5
	v_cmp_gt_i32_e32 vcc, s33, v25
	s_nop 1
	v_cndmask_b32_e32 v5, 0, v5, vcc
	v_or_b32_e32 v5, v45, v5
.LBB102_48:                             ;   in Loop: Header=BB102_40 Depth=1
	s_or_b64 exec, exec, s[8:9]
	v_lshlrev_b32_e32 v12, 16, v12
	v_lshlrev_b32_e32 v1, 16, v1
	v_and_or_b32 v2, v2, s17, v12
	v_and_or_b32 v1, v3, s17, v1
	v_lshlrev_b32_e32 v3, 16, v44
	v_and_or_b32 v3, v4, s17, v3
	;;#ASMSTART
	v_pk_mul_f16 v2, v34, v2;

	;;#ASMEND
	;;#ASMSTART
	v_pk_mul_f16 v1, v35, v1;

	;;#ASMEND
	;; [unrolled: 4-line block ×4, first 2 shown]
	v_add_co_u32_e32 v18, vcc, s20, v18
	;;#ASMSTART
	v_pk_add_f16 v1, v2, v1;

	;;#ASMEND
	s_nop 0
	;;#ASMSTART
	v_pk_add_f16 v1, v1, v3;

	;;#ASMEND
	s_nop 0
	v_addc_co_u32_e32 v19, vcc, 0, v19, vcc
	;;#ASMSTART
	v_pk_add_f16 v1, v1, v4;

	;;#ASMEND
	s_nop 0
	v_lshrrev_b32_e32 v2, 16, v1
	v_and_b32_e32 v1, 0xffff, v1
	;;#ASMSTART
	v_cvt_f32_f16 v44, v1;
	;;#ASMEND
	;;#ASMSTART
	v_cvt_f32_f16 v45, v2;
	;;#ASMEND
	global_load_dwordx4 v[2:5], v[18:19], off
	s_waitcnt vmcnt(0)
	v_lshrrev_b32_e32 v1, 16, v3
	v_lshrrev_b32_e32 v12, 16, v2
	v_lshrrev_b32_e32 v46, 16, v4
	s_and_saveexec_b64 s[8:9], s[0:1]
	s_cbranch_execz .LBB102_50
; %bb.49:                               ;   in Loop: Header=BB102_40 Depth=1
	v_cmp_gt_i32_e32 vcc, s33, v26
	s_nop 1
	v_cndmask_b32_e32 v2, 0, v2, vcc
	v_cmp_gt_i32_e32 vcc, s33, v31
	s_nop 1
	v_cndmask_b32_e32 v3, 0, v3, vcc
	;; [unrolled: 3-line block ×6, first 2 shown]
	v_cmp_gt_i32_e32 vcc, s33, v28
	s_nop 1
	v_cndmask_b32_sdwa v47, v13, v5, vcc dst_sel:DWORD dst_unused:UNUSED_PAD src0_sel:DWORD src1_sel:WORD_0
	v_and_b32_e32 v5, 0xffff0000, v5
	v_cmp_gt_i32_e32 vcc, s33, v25
	s_nop 1
	v_cndmask_b32_e32 v5, 0, v5, vcc
	v_or_b32_e32 v5, v47, v5
.LBB102_50:                             ;   in Loop: Header=BB102_40 Depth=1
	s_or_b64 exec, exec, s[8:9]
	v_lshlrev_b32_e32 v12, 16, v12
	v_lshlrev_b32_e32 v1, 16, v1
	v_and_or_b32 v2, v2, s17, v12
	v_and_or_b32 v1, v3, s17, v1
	v_lshlrev_b32_e32 v3, 16, v46
	v_and_or_b32 v3, v4, s17, v3
	;;#ASMSTART
	v_pk_mul_f16 v2, v34, v2;

	;;#ASMEND
	;;#ASMSTART
	v_pk_mul_f16 v1, v35, v1;

	;;#ASMEND
	;; [unrolled: 4-line block ×4, first 2 shown]
	s_nop 0
	;;#ASMSTART
	v_pk_add_f16 v1, v2, v1;

	;;#ASMEND
	s_nop 0
	;;#ASMSTART
	v_pk_add_f16 v1, v1, v3;

	;;#ASMEND
	s_nop 0
	;;#ASMSTART
	v_pk_add_f16 v1, v1, v4;

	;;#ASMEND
	s_nop 0
	v_lshrrev_b32_e32 v2, 16, v1
	v_and_b32_e32 v1, 0xffff, v1
	;;#ASMSTART
	v_cvt_f32_f16 v46, v1;
	;;#ASMEND
	;;#ASMSTART
	v_cvt_f32_f16 v47, v2;
	;;#ASMEND
	global_load_dwordx4 v[2:5], v[18:19], off offset:1024
	s_waitcnt vmcnt(0)
	v_lshrrev_b32_e32 v1, 16, v3
	v_lshrrev_b32_e32 v12, 16, v2
	;; [unrolled: 1-line block ×3, first 2 shown]
	s_and_saveexec_b64 s[8:9], s[0:1]
	s_cbranch_execz .LBB102_39
; %bb.51:                               ;   in Loop: Header=BB102_40 Depth=1
	v_cmp_gt_i32_e32 vcc, s33, v26
	s_nop 1
	v_cndmask_b32_e32 v2, 0, v2, vcc
	v_cmp_gt_i32_e32 vcc, s33, v31
	s_nop 1
	v_cndmask_b32_e32 v3, 0, v3, vcc
	;; [unrolled: 3-line block ×6, first 2 shown]
	v_cmp_gt_i32_e32 vcc, s33, v28
	s_nop 1
	v_cndmask_b32_sdwa v19, v13, v5, vcc dst_sel:DWORD dst_unused:UNUSED_PAD src0_sel:DWORD src1_sel:WORD_0
	v_and_b32_e32 v5, 0xffff0000, v5
	v_cmp_gt_i32_e32 vcc, s33, v25
	s_nop 1
	v_cndmask_b32_e32 v5, 0, v5, vcc
	v_or_b32_e32 v5, v19, v5
	s_branch .LBB102_39
.LBB102_52:
	s_or_b64 exec, exec, s[6:7]
.LBB102_53:
	s_or_b64 exec, exec, s[2:3]
	ds_bpermute_b32 v2, v21, v10
	ds_bpermute_b32 v3, v21, v11
	;; [unrolled: 1-line block ×6, first 2 shown]
	s_waitcnt lgkmcnt(4)
	v_pk_add_f32 v[2:3], v[10:11], v[2:3]
	ds_bpermute_b32 v10, v22, v2
	s_waitcnt lgkmcnt(3)
	v_pk_add_f32 v[8:9], v[8:9], v[4:5]
	ds_bpermute_b32 v11, v22, v3
	ds_bpermute_b32 v12, v22, v8
	;; [unrolled: 1-line block ×3, first 2 shown]
	s_waitcnt lgkmcnt(4)
	v_pk_add_f32 v[6:7], v[6:7], v[14:15]
	v_and_b32_e32 v1, 0x3c3, v0
	s_waitcnt lgkmcnt(2)
	v_pk_add_f32 v[4:5], v[2:3], v[10:11]
	v_cmp_ne_u32_e32 vcc, 64, v1
	s_waitcnt lgkmcnt(0)
	v_pk_add_f32 v[2:3], v[8:9], v[12:13]
	ds_bpermute_b32 v8, v22, v6
	ds_bpermute_b32 v9, v22, v7
	s_waitcnt lgkmcnt(0)
	s_barrier
	s_and_saveexec_b64 s[0:1], vcc
	s_xor_b64 s[0:1], exec, s[0:1]
; %bb.54:
                                        ; implicit-def: $vgpr20
; %bb.55:
	s_or_saveexec_b64 s[0:1], s[0:1]
	v_pk_add_f32 v[6:7], v[6:7], v[8:9]
	s_xor_b64 exec, exec, s[0:1]
	s_cbranch_execz .LBB102_57
; %bb.56:
	v_add_u32_e32 v8, 0xd0, v20
	ds_write2_b32 v8, v4, v5 offset1:16
	ds_write2_b32 v8, v2, v3 offset0:32 offset1:48
	ds_write2_b32 v8, v6, v7 offset0:64 offset1:80
.LBB102_57:
	s_or_b64 exec, exec, s[0:1]
	v_cmp_gt_u32_e32 vcc, 64, v0
	v_lshrrev_b32_e32 v0, 2, v0
	s_waitcnt lgkmcnt(0)
	s_barrier
	s_and_saveexec_b64 s[0:1], vcc
	s_cbranch_execz .LBB102_66
; %bb.58:
	v_mov_b32_e32 v8, 0xd0
	v_cmp_eq_u32_e32 vcc, 0, v23
	v_lshl_add_u32 v8, v0, 2, v8
	s_and_saveexec_b64 s[2:3], vcc
	s_cbranch_execnz .LBB102_69
; %bb.59:
	s_or_b64 exec, exec, s[2:3]
	s_and_saveexec_b64 s[2:3], vcc
	s_cbranch_execnz .LBB102_70
.LBB102_60:
	s_or_b64 exec, exec, s[2:3]
	s_and_saveexec_b64 s[2:3], vcc
	s_cbranch_execnz .LBB102_71
.LBB102_61:
	s_or_b64 exec, exec, s[2:3]
	s_and_saveexec_b64 s[2:3], vcc
	s_cbranch_execnz .LBB102_72
.LBB102_62:
	s_or_b64 exec, exec, s[2:3]
	s_and_saveexec_b64 s[2:3], vcc
	s_cbranch_execnz .LBB102_73
.LBB102_63:
	s_or_b64 exec, exec, s[2:3]
	s_and_saveexec_b64 s[2:3], vcc
	s_cbranch_execz .LBB102_65
.LBB102_64:
	ds_read_b32 v8, v8 offset:320
	s_waitcnt lgkmcnt(0)
	v_add_f32_e32 v7, v7, v8
.LBB102_65:
	s_or_b64 exec, exec, s[2:3]
.LBB102_66:
	s_or_b64 exec, exec, s[0:1]
	v_cmp_eq_u32_e32 vcc, 0, v1
	s_barrier
	s_and_saveexec_b64 s[0:1], vcc
	s_cbranch_execz .LBB102_68
; %bb.67:
	s_mul_i32 s0, s10, s11
	s_mul_i32 s0, s0, s5
	s_mulk_i32 s0, 0x60
	s_ashr_i32 s1, s0, 31
	s_lshl_b64 s[0:1], s[0:1], 1
	s_add_u32 s2, s18, s0
	s_mul_i32 s0, s11, s16
	s_addc_u32 s3, s19, s1
	s_ashr_i32 s1, s0, 31
	s_lshl_b64 s[0:1], s[0:1], 1
	s_add_u32 s2, s2, s0
	s_mul_i32 s0, s4, 0x60
	s_addc_u32 s3, s3, s1
	s_ashr_i32 s1, s0, 31
	s_lshl_b64 s[0:1], s[0:1], 1
	s_add_u32 s0, s2, s0
	s_addc_u32 s1, s3, s1
	v_lshlrev_b32_e32 v0, 1, v0
	;;#ASMSTART
	v_cvt_f16_f32 v1, v4;

	;;#ASMEND
	global_store_short v0, v1, s[0:1]
	;;#ASMSTART
	v_cvt_f16_f32 v1, v5;

	;;#ASMEND
	global_store_short v0, v1, s[0:1] offset:32
	;;#ASMSTART
	v_cvt_f16_f32 v1, v2;

	;;#ASMEND
	global_store_short v0, v1, s[0:1] offset:64
	;; [unrolled: 5-line block ×5, first 2 shown]
.LBB102_68:
	s_endpgm
.LBB102_69:
	ds_read_b32 v9, v8
	s_waitcnt lgkmcnt(0)
	v_add_f32_e32 v4, v4, v9
	s_or_b64 exec, exec, s[2:3]
	s_and_saveexec_b64 s[2:3], vcc
	s_cbranch_execz .LBB102_60
.LBB102_70:
	ds_read_b32 v9, v8 offset:64
	s_waitcnt lgkmcnt(0)
	v_add_f32_e32 v5, v5, v9
	s_or_b64 exec, exec, s[2:3]
	s_and_saveexec_b64 s[2:3], vcc
	s_cbranch_execz .LBB102_61
.LBB102_71:
	ds_read_b32 v9, v8 offset:128
	s_waitcnt lgkmcnt(0)
	v_add_f32_e32 v2, v2, v9
	s_or_b64 exec, exec, s[2:3]
	s_and_saveexec_b64 s[2:3], vcc
	s_cbranch_execz .LBB102_62
.LBB102_72:
	ds_read_b32 v9, v8 offset:192
	s_waitcnt lgkmcnt(0)
	v_add_f32_e32 v3, v3, v9
	s_or_b64 exec, exec, s[2:3]
	s_and_saveexec_b64 s[2:3], vcc
	s_cbranch_execz .LBB102_63
.LBB102_73:
	ds_read_b32 v9, v8 offset:256
	s_waitcnt lgkmcnt(0)
	v_add_f32_e32 v6, v6, v9
	s_or_b64 exec, exec, s[2:3]
	s_and_saveexec_b64 s[2:3], vcc
	s_cbranch_execnz .LBB102_64
	s_branch .LBB102_65
	.section	.rodata,"a",@progbits
	.p2align	6, 0x0
	.amdhsa_kernel _ZN4vllm25paged_attention_v1_kernelIttLi96ELi32ELi128ELNS_18Fp8KVCacheDataTypeE0ELb0EEEvPT_PKS2_PKT0_S8_ifPKiSA_iPKfiiiSC_SC_iiiii
		.amdhsa_group_segment_fixed_size 208
		.amdhsa_private_segment_fixed_size 0
		.amdhsa_kernarg_size 384
		.amdhsa_user_sgpr_count 2
		.amdhsa_user_sgpr_dispatch_ptr 0
		.amdhsa_user_sgpr_queue_ptr 0
		.amdhsa_user_sgpr_kernarg_segment_ptr 1
		.amdhsa_user_sgpr_dispatch_id 0
		.amdhsa_user_sgpr_kernarg_preload_length 0
		.amdhsa_user_sgpr_kernarg_preload_offset 0
		.amdhsa_user_sgpr_private_segment_size 0
		.amdhsa_uses_dynamic_stack 0
		.amdhsa_enable_private_segment 0
		.amdhsa_system_sgpr_workgroup_id_x 1
		.amdhsa_system_sgpr_workgroup_id_y 1
		.amdhsa_system_sgpr_workgroup_id_z 1
		.amdhsa_system_sgpr_workgroup_info 0
		.amdhsa_system_vgpr_workitem_id 0
		.amdhsa_next_free_vgpr 70
		.amdhsa_next_free_sgpr 35
		.amdhsa_accum_offset 72
		.amdhsa_reserve_vcc 1
		.amdhsa_float_round_mode_32 0
		.amdhsa_float_round_mode_16_64 0
		.amdhsa_float_denorm_mode_32 3
		.amdhsa_float_denorm_mode_16_64 3
		.amdhsa_dx10_clamp 1
		.amdhsa_ieee_mode 1
		.amdhsa_fp16_overflow 0
		.amdhsa_tg_split 0
		.amdhsa_exception_fp_ieee_invalid_op 0
		.amdhsa_exception_fp_denorm_src 0
		.amdhsa_exception_fp_ieee_div_zero 0
		.amdhsa_exception_fp_ieee_overflow 0
		.amdhsa_exception_fp_ieee_underflow 0
		.amdhsa_exception_fp_ieee_inexact 0
		.amdhsa_exception_int_div_zero 0
	.end_amdhsa_kernel
	.section	.text._ZN4vllm25paged_attention_v1_kernelIttLi96ELi32ELi128ELNS_18Fp8KVCacheDataTypeE0ELb0EEEvPT_PKS2_PKT0_S8_ifPKiSA_iPKfiiiSC_SC_iiiii,"axG",@progbits,_ZN4vllm25paged_attention_v1_kernelIttLi96ELi32ELi128ELNS_18Fp8KVCacheDataTypeE0ELb0EEEvPT_PKS2_PKT0_S8_ifPKiSA_iPKfiiiSC_SC_iiiii,comdat
.Lfunc_end102:
	.size	_ZN4vllm25paged_attention_v1_kernelIttLi96ELi32ELi128ELNS_18Fp8KVCacheDataTypeE0ELb0EEEvPT_PKS2_PKT0_S8_ifPKiSA_iPKfiiiSC_SC_iiiii, .Lfunc_end102-_ZN4vllm25paged_attention_v1_kernelIttLi96ELi32ELi128ELNS_18Fp8KVCacheDataTypeE0ELb0EEEvPT_PKS2_PKT0_S8_ifPKiSA_iPKfiiiSC_SC_iiiii
                                        ; -- End function
	.set _ZN4vllm25paged_attention_v1_kernelIttLi96ELi32ELi128ELNS_18Fp8KVCacheDataTypeE0ELb0EEEvPT_PKS2_PKT0_S8_ifPKiSA_iPKfiiiSC_SC_iiiii.num_vgpr, 70
	.set _ZN4vllm25paged_attention_v1_kernelIttLi96ELi32ELi128ELNS_18Fp8KVCacheDataTypeE0ELb0EEEvPT_PKS2_PKT0_S8_ifPKiSA_iPKfiiiSC_SC_iiiii.num_agpr, 0
	.set _ZN4vllm25paged_attention_v1_kernelIttLi96ELi32ELi128ELNS_18Fp8KVCacheDataTypeE0ELb0EEEvPT_PKS2_PKT0_S8_ifPKiSA_iPKfiiiSC_SC_iiiii.numbered_sgpr, 35
	.set _ZN4vllm25paged_attention_v1_kernelIttLi96ELi32ELi128ELNS_18Fp8KVCacheDataTypeE0ELb0EEEvPT_PKS2_PKT0_S8_ifPKiSA_iPKfiiiSC_SC_iiiii.num_named_barrier, 0
	.set _ZN4vllm25paged_attention_v1_kernelIttLi96ELi32ELi128ELNS_18Fp8KVCacheDataTypeE0ELb0EEEvPT_PKS2_PKT0_S8_ifPKiSA_iPKfiiiSC_SC_iiiii.private_seg_size, 0
	.set _ZN4vllm25paged_attention_v1_kernelIttLi96ELi32ELi128ELNS_18Fp8KVCacheDataTypeE0ELb0EEEvPT_PKS2_PKT0_S8_ifPKiSA_iPKfiiiSC_SC_iiiii.uses_vcc, 1
	.set _ZN4vllm25paged_attention_v1_kernelIttLi96ELi32ELi128ELNS_18Fp8KVCacheDataTypeE0ELb0EEEvPT_PKS2_PKT0_S8_ifPKiSA_iPKfiiiSC_SC_iiiii.uses_flat_scratch, 0
	.set _ZN4vllm25paged_attention_v1_kernelIttLi96ELi32ELi128ELNS_18Fp8KVCacheDataTypeE0ELb0EEEvPT_PKS2_PKT0_S8_ifPKiSA_iPKfiiiSC_SC_iiiii.has_dyn_sized_stack, 0
	.set _ZN4vllm25paged_attention_v1_kernelIttLi96ELi32ELi128ELNS_18Fp8KVCacheDataTypeE0ELb0EEEvPT_PKS2_PKT0_S8_ifPKiSA_iPKfiiiSC_SC_iiiii.has_recursion, 0
	.set _ZN4vllm25paged_attention_v1_kernelIttLi96ELi32ELi128ELNS_18Fp8KVCacheDataTypeE0ELb0EEEvPT_PKS2_PKT0_S8_ifPKiSA_iPKfiiiSC_SC_iiiii.has_indirect_call, 0
	.section	.AMDGPU.csdata,"",@progbits
; Kernel info:
; codeLenInByte = 8384
; TotalNumSgprs: 41
; NumVgprs: 70
; NumAgprs: 0
; TotalNumVgprs: 70
; ScratchSize: 0
; MemoryBound: 0
; FloatMode: 240
; IeeeMode: 1
; LDSByteSize: 208 bytes/workgroup (compile time only)
; SGPRBlocks: 5
; VGPRBlocks: 8
; NumSGPRsForWavesPerEU: 41
; NumVGPRsForWavesPerEU: 70
; AccumOffset: 72
; Occupancy: 7
; WaveLimiterHint : 1
; COMPUTE_PGM_RSRC2:SCRATCH_EN: 0
; COMPUTE_PGM_RSRC2:USER_SGPR: 2
; COMPUTE_PGM_RSRC2:TRAP_HANDLER: 0
; COMPUTE_PGM_RSRC2:TGID_X_EN: 1
; COMPUTE_PGM_RSRC2:TGID_Y_EN: 1
; COMPUTE_PGM_RSRC2:TGID_Z_EN: 1
; COMPUTE_PGM_RSRC2:TIDIG_COMP_CNT: 0
; COMPUTE_PGM_RSRC3_GFX90A:ACCUM_OFFSET: 17
; COMPUTE_PGM_RSRC3_GFX90A:TG_SPLIT: 0
	.section	.text._ZN4vllm25paged_attention_v1_kernelIttLi112ELi32ELi128ELNS_18Fp8KVCacheDataTypeE0ELb0EEEvPT_PKS2_PKT0_S8_ifPKiSA_iPKfiiiSC_SC_iiiii,"axG",@progbits,_ZN4vllm25paged_attention_v1_kernelIttLi112ELi32ELi128ELNS_18Fp8KVCacheDataTypeE0ELb0EEEvPT_PKS2_PKT0_S8_ifPKiSA_iPKfiiiSC_SC_iiiii,comdat
	.protected	_ZN4vllm25paged_attention_v1_kernelIttLi112ELi32ELi128ELNS_18Fp8KVCacheDataTypeE0ELb0EEEvPT_PKS2_PKT0_S8_ifPKiSA_iPKfiiiSC_SC_iiiii ; -- Begin function _ZN4vllm25paged_attention_v1_kernelIttLi112ELi32ELi128ELNS_18Fp8KVCacheDataTypeE0ELb0EEEvPT_PKS2_PKT0_S8_ifPKiSA_iPKfiiiSC_SC_iiiii
	.globl	_ZN4vllm25paged_attention_v1_kernelIttLi112ELi32ELi128ELNS_18Fp8KVCacheDataTypeE0ELb0EEEvPT_PKS2_PKT0_S8_ifPKiSA_iPKfiiiSC_SC_iiiii
	.p2align	8
	.type	_ZN4vllm25paged_attention_v1_kernelIttLi112ELi32ELi128ELNS_18Fp8KVCacheDataTypeE0ELb0EEEvPT_PKS2_PKT0_S8_ifPKiSA_iPKfiiiSC_SC_iiiii,@function
_ZN4vllm25paged_attention_v1_kernelIttLi112ELi32ELi128ELNS_18Fp8KVCacheDataTypeE0ELb0EEEvPT_PKS2_PKT0_S8_ifPKiSA_iPKfiiiSC_SC_iiiii: ; @_ZN4vllm25paged_attention_v1_kernelIttLi112ELi32ELi128ELNS_18Fp8KVCacheDataTypeE0ELb0EEEvPT_PKS2_PKT0_S8_ifPKiSA_iPKfiiiSC_SC_iiiii
; %bb.0:
	s_load_dword s5, s[0:1], 0x80
	s_load_dwordx2 s[6:7], s[0:1], 0x30
	s_load_dwordx2 s[8:9], s[0:1], 0x20
	s_mov_b32 s10, s3
	s_ashr_i32 s11, s3, 31
	s_lshl_b64 s[12:13], s[10:11], 2
	s_waitcnt lgkmcnt(0)
	s_add_u32 s6, s6, s12
	s_addc_u32 s7, s7, s13
	s_abs_i32 s3, s8
	v_cvt_f32_u32_e32 v1, s3
	s_sub_i32 s12, 0, s3
	s_abs_i32 s11, s5
	s_xor_b32 s8, s5, s8
	v_rcp_iflag_f32_e32 v1, v1
	s_ashr_i32 s8, s8, 31
	v_mul_f32_e32 v1, 0x4f7ffffe, v1
	v_cvt_u32_f32_e32 v1, v1
	s_nop 0
	v_readfirstlane_b32 s13, v1
	s_mul_i32 s12, s12, s13
	s_mul_hi_u32 s12, s13, s12
	s_add_i32 s13, s13, s12
	s_mul_hi_u32 s12, s11, s13
	s_mul_i32 s13, s12, s3
	s_sub_i32 s11, s11, s13
	s_add_i32 s13, s12, 1
	s_sub_i32 s14, s11, s3
	s_cmp_ge_u32 s11, s3
	s_cselect_b32 s12, s13, s12
	s_cselect_b32 s11, s14, s11
	s_add_i32 s13, s12, 1
	s_cmp_ge_u32 s11, s3
	s_cselect_b32 s3, s13, s12
	s_xor_b32 s3, s3, s8
	s_sub_i32 s14, s3, s8
	s_abs_i32 s11, s14
	v_cvt_f32_u32_e32 v1, s11
	s_load_dwordx2 s[12:13], s[0:1], 0x40
	s_sub_i32 s3, 0, s11
	s_abs_i32 s18, s2
	v_rcp_iflag_f32_e32 v1, v1
	s_mov_b32 s8, 0
	v_mul_f32_e32 v1, 0x4f7ffffe, v1
	v_cvt_u32_f32_e32 v1, v1
	s_nop 0
	v_readfirstlane_b32 s15, v1
	s_mul_i32 s3, s3, s15
	s_mul_hi_u32 s3, s15, s3
	s_add_i32 s15, s15, s3
	s_waitcnt lgkmcnt(0)
	s_cmp_eq_u64 s[12:13], 0
	s_mul_hi_u32 s19, s18, s15
	s_cbranch_scc1 .LBB103_2
; %bb.1:
	s_ashr_i32 s3, s2, 31
	s_lshl_b64 s[16:17], s[2:3], 2
	s_add_u32 s12, s12, s16
	s_addc_u32 s13, s13, s17
	s_load_dword s8, s[12:13], 0x0
.LBB103_2:
	s_load_dword s33, s[6:7], 0x0
	s_ashr_i32 s7, s14, 31
	s_load_dwordx4 s[12:15], s[0:1], 0x48
	s_ashr_i32 s6, s2, 31
	v_and_b32_e32 v4, 1, v0
	s_waitcnt lgkmcnt(0)
	s_movk_i32 s15, 0x70
	s_mul_i32 s16, s2, 0x70
	v_cmp_gt_u32_e32 vcc, 28, v0
	v_lshlrev_b32_e32 v1, 3, v0
	s_and_saveexec_b64 s[2:3], vcc
	s_cbranch_execz .LBB103_4
; %bb.3:
	s_load_dwordx2 s[20:21], s[0:1], 0x8
	s_mul_i32 s22, s12, s10
	s_ashr_i32 s23, s22, 31
	s_lshl_b64 s[22:23], s[22:23], 1
	v_lshlrev_b32_e32 v5, 2, v0
	s_waitcnt lgkmcnt(0)
	s_add_u32 s12, s20, s22
	s_addc_u32 s22, s21, s23
	s_ashr_i32 s17, s16, 31
	s_lshl_b64 s[20:21], s[16:17], 1
	s_add_u32 s20, s12, s20
	s_addc_u32 s21, s22, s21
	global_load_dwordx2 v[2:3], v1, s[20:21]
	v_and_b32_e32 v5, 0xff8, v5
	v_mad_u32_u24 v5, v4, s15, v5
	s_waitcnt vmcnt(0)
	ds_write_b64 v5, v[2:3]
.LBB103_4:
	s_or_b64 exec, exec, s[2:3]
	s_add_i32 s3, s33, 31
	s_ashr_i32 s12, s3, 31
	s_lshr_b32 s12, s12, 27
	s_add_i32 s3, s3, s12
	s_ashr_i32 s12, s3, 5
	s_xor_b32 s3, s6, s7
	s_mul_i32 s6, s19, s11
	s_sub_i32 s6, s18, s6
	s_add_i32 s7, s19, 1
	s_sub_i32 s15, s6, s11
	s_load_dwordx2 s[20:21], s[0:1], 0x28
	s_load_dword s2, s[0:1], 0x38
	s_cmp_ge_u32 s6, s11
	s_cselect_b32 s7, s7, s19
	s_cselect_b32 s6, s15, s6
	s_add_i32 s15, s7, 1
	s_cmp_ge_u32 s6, s11
	s_cselect_b32 s6, s15, s7
	v_lshrrev_b32_e32 v28, 6, v0
	s_xor_b32 s6, s6, s3
	s_waitcnt lgkmcnt(0)
	s_mul_i32 s22, s2, s10
	s_sub_i32 s15, s6, s3
	s_ashr_i32 s23, s22, 31
	v_cmp_gt_i32_e64 s[6:7], s12, v28
	v_cmp_le_i32_e32 vcc, s12, v28
	v_mbcnt_lo_u32_b32 v6, -1, 0
	s_barrier
                                        ; implicit-def: $vgpr30
                                        ; implicit-def: $vgpr31
                                        ; implicit-def: $vgpr32
	s_and_saveexec_b64 s[2:3], vcc
	s_xor_b64 s[2:3], exec, s[2:3]
; %bb.5:
	v_mbcnt_hi_u32_b32 v30, -1, v6
	v_and_b32_e32 v31, 64, v30
	v_add_u32_e32 v32, 64, v31
                                        ; implicit-def: $vgpr4
                                        ; implicit-def: $vgpr6
; %bb.6:
	s_or_saveexec_b64 s[26:27], s[2:3]
	s_load_dwordx2 s[18:19], s[0:1], 0x0
	s_load_dwordx2 s[24:25], s[0:1], 0x18
	s_load_dword s11, s[0:1], 0x88
	v_mov_b32_e32 v33, 0xff7fffff
	s_mul_i32 s14, s15, s14
	v_lshrrev_b32_e32 v29, 4, v0
	s_xor_b64 exec, exec, s[26:27]
	s_cbranch_execz .LBB103_12
; %bb.7:
	s_load_dwordx2 s[0:1], s[0:1], 0x10
	s_ashr_i32 s15, s14, 31
	s_lshl_b64 s[2:3], s[14:15], 1
	v_bfe_u32 v5, v0, 1, 5
	v_lshlrev_b32_e32 v8, 4, v5
	s_waitcnt lgkmcnt(0)
	s_add_u32 s0, s0, s2
	s_addc_u32 s1, s1, s3
	v_mov_b32_e32 v9, 0
	v_lshl_add_u64 v[2:3], s[0:1], 0, v[8:9]
	s_sub_i32 s15, 1, s33
	s_lshl_b64 s[0:1], s[22:23], 2
	v_and_b32_e32 v8, 8, v1
	v_mul_u32_u24_e32 v34, 0x70, v4
	v_cmp_eq_u32_e32 vcc, 0, v4
	v_lshlrev_b32_e32 v4, 2, v5
	s_add_u32 s0, s20, s0
	v_mbcnt_hi_u32_b32 v30, -1, v6
	v_lshl_add_u64 v[2:3], v[2:3], 0, v[8:9]
	v_lshl_or_b32 v4, v28, 7, v4
	v_and_b32_e32 v8, 60, v29
	s_addc_u32 s1, s21, s1
	v_and_b32_e32 v31, 64, v30
	s_mov_b32 s17, s13
	v_cmp_neq_f32_e64 s[2:3], s8, 0
	v_lshl_or_b32 v35, v28, 5, v5
	v_add_u32_e32 v36, 0xf0, v4
	v_lshl_add_u64 v[4:5], s[0:1], 0, v[8:9]
	v_mov_b32_e32 v33, 0xff7fffff
	s_mov_b64 s[28:29], 0
	s_movk_i32 s34, 0x1000
	v_xor_b32_e32 v37, 1, v30
	v_add_u32_e32 v32, 64, v31
	v_mov_b32_e32 v38, v28
	s_branch .LBB103_9
.LBB103_8:                              ;   in Loop: Header=BB103_9 Depth=1
	s_or_b64 exec, exec, s[30:31]
	v_add_u32_e32 v38, 2, v38
	v_cmp_le_i32_e64 s[0:1], s12, v38
	v_add_u32_e32 v35, 64, v35
	v_add_u32_e32 v36, 0x100, v36
	s_or_b64 s[28:29], s[0:1], s[28:29]
	v_lshl_add_u64 v[4:5], v[4:5], 0, 8
	s_andn2_b64 exec, exec, s[28:29]
	s_cbranch_execz .LBB103_11
.LBB103_9:                              ; =>This Inner Loop Header: Depth=1
	global_load_dword v6, v[4:5], off
	s_waitcnt vmcnt(0) lgkmcnt(0)
	v_mad_i64_i32 v[6:7], s[0:1], v6, s17, 0
	v_lshl_add_u64 v[6:7], v[6:7], 1, v[2:3]
	global_load_dwordx2 v[42:43], v[6:7], off
	global_load_dwordx2 v[44:45], v[6:7], off offset:512
	global_load_dwordx2 v[46:47], v[6:7], off offset:1024
	;; [unrolled: 1-line block ×7, first 2 shown]
	v_add_co_u32_e64 v40, s[0:1], s34, v6
	s_waitcnt vmcnt(7)
	v_lshrrev_b32_e32 v54, 16, v42
	v_addc_co_u32_e64 v41, s[0:1], 0, v7, s[0:1]
	global_load_dwordx2 v[16:17], v[40:41], off
	ds_read_b64 v[6:7], v34
	v_and_b32_e32 v51, 0xffff, v42
	v_lshrrev_b32_e32 v58, 16, v43
	v_and_b32_e32 v57, 0xffff, v43
	s_waitcnt vmcnt(4)
	v_lshrrev_b32_e32 v59, 16, v24
	s_waitcnt lgkmcnt(0)
	v_lshrrev_b32_e32 v39, 16, v6
	v_and_b32_e32 v48, 0xffff, v6
	v_lshrrev_b32_e32 v52, 16, v7
	v_and_b32_e32 v53, 0xffff, v7
	global_load_dwordx2 v[14:15], v[40:41], off offset:512
	global_load_dwordx2 v[12:13], v[40:41], off offset:1024
	;; [unrolled: 1-line block ×5, first 2 shown]
	;;#ASMSTART
	v_cvt_f32_f16 v40, v48;
	;;#ASMEND
	;;#ASMSTART
	v_cvt_f32_f16 v39, v39;
	;;#ASMEND
	;; [unrolled: 3-line block ×8, first 2 shown]
	ds_read_b64 v[52:53], v34 offset:8
	v_and_b32_e32 v60, 0xffff, v24
	v_and_b32_e32 v50, 0xffff, v44
	v_lshrrev_b32_e32 v61, 16, v25
	v_and_b32_e32 v62, 0xffff, v25
	s_waitcnt lgkmcnt(0)
	v_and_b32_e32 v24, 0xffff, v52
	;;#ASMSTART
	v_cvt_f32_f16 v24, v24;
	;;#ASMEND
	v_lshrrev_b32_e32 v25, 16, v52
	;;#ASMSTART
	v_cvt_f32_f16 v25, v25;
	;;#ASMEND
	;;#ASMSTART
	v_cvt_f32_f16 v50, v50;
	;;#ASMEND
	v_lshrrev_b32_e32 v43, 16, v44
	v_mul_f32_e32 v24, v24, v50
	v_fmac_f32_e32 v24, v40, v51
	s_waitcnt vmcnt(8)
	v_lshrrev_b32_e32 v50, 16, v22
	v_and_b32_e32 v51, 0xffff, v22
	;;#ASMSTART
	v_cvt_f32_f16 v22, v43;
	;;#ASMEND
	s_waitcnt vmcnt(6)
	v_lshrrev_b32_e32 v66, 16, v18
	v_mul_f32_e32 v22, v25, v22
	v_and_b32_e32 v67, 0xffff, v18
	v_lshrrev_b32_e32 v68, 16, v19
	v_and_b32_e32 v69, 0xffff, v19
	v_lshrrev_b32_e32 v19, 16, v53
	v_and_b32_e32 v18, 0xffff, v53
	v_and_b32_e32 v44, 0xffff, v45
	v_lshrrev_b32_e32 v43, 16, v20
	v_fmac_f32_e32 v22, v39, v54
	v_and_b32_e32 v54, 0xffff, v20
	;;#ASMSTART
	v_cvt_f32_f16 v18, v18;
	;;#ASMEND
	;;#ASMSTART
	v_cvt_f32_f16 v19, v19;
	;;#ASMEND
	;; [unrolled: 3-line block ×3, first 2 shown]
	v_lshrrev_b32_e32 v42, 16, v45
	v_lshrrev_b32_e32 v52, 16, v23
	v_and_b32_e32 v63, 0xffff, v23
	v_lshrrev_b32_e32 v64, 16, v21
	v_and_b32_e32 v65, 0xffff, v21
	v_mul_f32_e32 v18, v18, v20
	;;#ASMSTART
	v_cvt_f32_f16 v23, v42;
	;;#ASMEND
	ds_read_b64 v[20:21], v34 offset:16
	v_mul_f32_e32 v19, v19, v23
	v_lshrrev_b32_e32 v41, 16, v46
	v_and_b32_e32 v46, 0xffff, v46
	v_lshrrev_b32_e32 v45, 16, v47
	s_waitcnt lgkmcnt(0)
	v_lshrrev_b32_e32 v23, 16, v20
	v_and_b32_e32 v20, 0xffff, v20
	;;#ASMSTART
	v_cvt_f32_f16 v20, v20;
	;;#ASMEND
	;;#ASMSTART
	v_cvt_f32_f16 v23, v23;
	;;#ASMEND
	;; [unrolled: 3-line block ×3, first 2 shown]
	v_and_b32_e32 v47, 0xffff, v47
	v_fmac_f32_e32 v24, v20, v25
	v_lshrrev_b32_e32 v20, 16, v21
	v_and_b32_e32 v21, 0xffff, v21
	v_fmac_f32_e32 v18, v55, v57
	v_fmac_f32_e32 v19, v56, v58
	v_lshrrev_b32_e32 v48, 16, v26
	v_and_b32_e32 v26, 0xffff, v26
	v_lshrrev_b32_e32 v49, 16, v27
	v_and_b32_e32 v27, 0xffff, v27
	v_cmp_lt_i32_e64 s[0:1], v37, v32
	s_waitcnt vmcnt(5)
	v_lshrrev_b32_e32 v42, 16, v16
	v_and_b32_e32 v44, 0xffff, v16
	;;#ASMSTART
	v_cvt_f32_f16 v16, v41;
	;;#ASMEND
	;;#ASMSTART
	v_cvt_f32_f16 v25, v21;
	;;#ASMEND
	;; [unrolled: 3-line block ×5, first 2 shown]
	ds_read_b64 v[20:21], v34 offset:24
	v_lshrrev_b32_e32 v46, 16, v17
	v_fmac_f32_e32 v22, v23, v16
	v_and_b32_e32 v45, 0xffff, v17
	v_fmac_f32_e32 v18, v25, v40
	v_fmac_f32_e32 v19, v39, v41
	s_waitcnt lgkmcnt(0)
	v_lshrrev_b32_e32 v16, 16, v20
	v_and_b32_e32 v17, 0xffff, v20
	v_lshrrev_b32_e32 v39, 16, v21
	v_and_b32_e32 v40, 0xffff, v21
	;;#ASMSTART
	v_cvt_f32_f16 v20, v17;
	;;#ASMEND
	;;#ASMSTART
	v_cvt_f32_f16 v21, v16;
	;;#ASMEND
	;; [unrolled: 3-line block ×8, first 2 shown]
	ds_read_b64 v[16:17], v34 offset:32
	s_waitcnt vmcnt(4)
	v_lshrrev_b32_e32 v47, 16, v14
	v_fmac_f32_e32 v24, v20, v23
	v_and_b32_e32 v41, 0xffff, v14
	v_fmac_f32_e32 v22, v21, v25
	s_waitcnt lgkmcnt(0)
	v_lshrrev_b32_e32 v20, 16, v16
	v_and_b32_e32 v14, 0xffff, v16
	v_lshrrev_b32_e32 v16, 16, v17
	v_and_b32_e32 v17, 0xffff, v17
	v_fmac_f32_e32 v18, v26, v27
	v_fmac_f32_e32 v19, v39, v40
	;;#ASMSTART
	v_cvt_f32_f16 v14, v14;
	;;#ASMEND
	;;#ASMSTART
	v_cvt_f32_f16 v20, v20;
	;;#ASMEND
	;;#ASMSTART
	v_cvt_f32_f16 v21, v60;
	;;#ASMEND
	;;#ASMSTART
	v_cvt_f32_f16 v23, v59;
	;;#ASMEND
	;;#ASMSTART
	v_cvt_f32_f16 v25, v17;
	;;#ASMEND
	;;#ASMSTART
	v_cvt_f32_f16 v26, v16;
	;;#ASMEND
	;;#ASMSTART
	v_cvt_f32_f16 v27, v62;
	;;#ASMEND
	;;#ASMSTART
	v_cvt_f32_f16 v39, v61;
	;;#ASMEND
	ds_read_b64 v[16:17], v34 offset:40
	v_fmac_f32_e32 v24, v14, v21
	v_fmac_f32_e32 v22, v20, v23
	v_fmac_f32_e32 v18, v25, v27
	v_fmac_f32_e32 v19, v26, v39
	s_waitcnt lgkmcnt(0)
	v_lshrrev_b32_e32 v20, 16, v16
	v_and_b32_e32 v14, 0xffff, v16
	v_lshrrev_b32_e32 v16, 16, v17
	v_and_b32_e32 v17, 0xffff, v17
	;;#ASMSTART
	v_cvt_f32_f16 v14, v14;
	;;#ASMEND
	;;#ASMSTART
	v_cvt_f32_f16 v20, v20;
	;;#ASMEND
	;;#ASMSTART
	v_cvt_f32_f16 v21, v51;
	;;#ASMEND
	;;#ASMSTART
	v_cvt_f32_f16 v23, v50;
	;;#ASMEND
	;;#ASMSTART
	v_cvt_f32_f16 v25, v17;
	;;#ASMEND
	;;#ASMSTART
	v_cvt_f32_f16 v26, v16;
	;;#ASMEND
	;;#ASMSTART
	v_cvt_f32_f16 v27, v63;
	;;#ASMEND
	;;#ASMSTART
	v_cvt_f32_f16 v39, v52;
	;;#ASMEND
	ds_read_b64 v[16:17], v34 offset:48
	v_fmac_f32_e32 v24, v14, v21
	v_fmac_f32_e32 v22, v20, v23
	v_fmac_f32_e32 v18, v25, v27
	v_fmac_f32_e32 v19, v26, v39
	s_waitcnt lgkmcnt(0)
	v_lshrrev_b32_e32 v20, 16, v16
	v_and_b32_e32 v14, 0xffff, v16
	v_lshrrev_b32_e32 v16, 16, v17
	v_and_b32_e32 v17, 0xffff, v17
	;; [unrolled: 34-line block ×4, first 2 shown]
	;;#ASMSTART
	v_cvt_f32_f16 v14, v14;
	;;#ASMEND
	;;#ASMSTART
	v_cvt_f32_f16 v20, v20;
	;;#ASMEND
	;;#ASMSTART
	v_cvt_f32_f16 v21, v44;
	;;#ASMEND
	;;#ASMSTART
	v_cvt_f32_f16 v23, v42;
	;;#ASMEND
	;;#ASMSTART
	v_cvt_f32_f16 v25, v17;
	;;#ASMEND
	;;#ASMSTART
	v_cvt_f32_f16 v26, v16;
	;;#ASMEND
	;;#ASMSTART
	v_cvt_f32_f16 v27, v45;
	;;#ASMEND
	;;#ASMSTART
	v_cvt_f32_f16 v39, v46;
	;;#ASMEND
	ds_read_b64 v[16:17], v34 offset:72
	v_fmac_f32_e32 v24, v14, v21
	v_fmac_f32_e32 v22, v20, v23
	;; [unrolled: 1-line block ×4, first 2 shown]
	s_waitcnt lgkmcnt(0)
	v_lshrrev_b32_e32 v14, 16, v16
	v_and_b32_e32 v16, 0xffff, v16
	;;#ASMSTART
	v_cvt_f32_f16 v16, v16;
	;;#ASMEND
	;;#ASMSTART
	v_cvt_f32_f16 v20, v14;
	;;#ASMEND
	v_lshrrev_b32_e32 v14, 16, v17
	v_and_b32_e32 v17, 0xffff, v17
	;;#ASMSTART
	v_cvt_f32_f16 v21, v41;
	;;#ASMEND
	;;#ASMSTART
	v_cvt_f32_f16 v23, v47;
	;;#ASMEND
	;; [unrolled: 3-line block ×4, first 2 shown]
	v_lshrrev_b32_e32 v14, 16, v15
	v_and_b32_e32 v15, 0xffff, v15
	;;#ASMSTART
	v_cvt_f32_f16 v26, v15;
	;;#ASMEND
	;;#ASMSTART
	v_cvt_f32_f16 v27, v14;
	;;#ASMEND
	ds_read_b64 v[14:15], v34 offset:80
	v_fmac_f32_e32 v24, v16, v21
	v_fmac_f32_e32 v22, v20, v23
	s_waitcnt vmcnt(3)
	v_lshrrev_b32_e32 v20, 16, v12
	v_and_b32_e32 v12, 0xffff, v12
	s_waitcnt lgkmcnt(0)
	v_lshrrev_b32_e32 v16, 16, v14
	v_and_b32_e32 v14, 0xffff, v14
	v_fmac_f32_e32 v18, v17, v26
	;;#ASMSTART
	v_cvt_f32_f16 v14, v14;
	;;#ASMEND
	;;#ASMSTART
	v_cvt_f32_f16 v16, v16;
	;;#ASMEND
	;;#ASMSTART
	v_cvt_f32_f16 v17, v12;
	;;#ASMEND
	v_lshrrev_b32_e32 v12, 16, v15
	v_and_b32_e32 v15, 0xffff, v15
	;;#ASMSTART
	v_cvt_f32_f16 v20, v20;
	;;#ASMEND
	;;#ASMSTART
	v_cvt_f32_f16 v15, v15;
	;;#ASMEND
	;;#ASMSTART
	v_cvt_f32_f16 v21, v12;
	;;#ASMEND
	v_lshrrev_b32_e32 v12, 16, v13
	v_and_b32_e32 v13, 0xffff, v13
	v_fmac_f32_e32 v19, v25, v27
	;;#ASMSTART
	v_cvt_f32_f16 v23, v13;
	;;#ASMEND
	;;#ASMSTART
	v_cvt_f32_f16 v25, v12;
	;;#ASMEND
	ds_read_b64 v[12:13], v34 offset:88
	v_fmac_f32_e32 v24, v14, v17
	v_fmac_f32_e32 v22, v16, v20
	s_waitcnt vmcnt(2)
	v_lshrrev_b32_e32 v16, 16, v10
	v_and_b32_e32 v10, 0xffff, v10
	s_waitcnt lgkmcnt(0)
	v_lshrrev_b32_e32 v14, 16, v12
	v_and_b32_e32 v12, 0xffff, v12
	v_fmac_f32_e32 v18, v15, v23
	;;#ASMSTART
	v_cvt_f32_f16 v12, v12;
	;;#ASMEND
	;;#ASMSTART
	v_cvt_f32_f16 v14, v14;
	;;#ASMEND
	;;#ASMSTART
	v_cvt_f32_f16 v15, v10;
	;;#ASMEND
	v_lshrrev_b32_e32 v10, 16, v13
	v_and_b32_e32 v13, 0xffff, v13
	;;#ASMSTART
	v_cvt_f32_f16 v16, v16;
	;;#ASMEND
	;;#ASMSTART
	v_cvt_f32_f16 v13, v13;
	;;#ASMEND
	;;#ASMSTART
	v_cvt_f32_f16 v17, v10;
	;;#ASMEND
	v_lshrrev_b32_e32 v10, 16, v11
	v_and_b32_e32 v11, 0xffff, v11
	v_fmac_f32_e32 v19, v21, v25
	;; [unrolled: 39-line block ×3, first 2 shown]
	;;#ASMSTART
	v_cvt_f32_f16 v16, v9;
	;;#ASMEND
	;;#ASMSTART
	v_cvt_f32_f16 v17, v8;
	;;#ASMEND
	ds_read_b64 v[8:9], v34 offset:104
	v_fmac_f32_e32 v24, v10, v13
	v_fmac_f32_e32 v18, v11, v16
	s_waitcnt vmcnt(0)
	v_lshrrev_b32_e32 v11, 16, v6
	v_and_b32_e32 v6, 0xffff, v6
	s_waitcnt lgkmcnt(0)
	v_lshrrev_b32_e32 v10, 16, v8
	v_and_b32_e32 v8, 0xffff, v8
	;;#ASMSTART
	v_cvt_f32_f16 v8, v8;
	;;#ASMEND
	;;#ASMSTART
	v_cvt_f32_f16 v10, v10;
	;;#ASMEND
	;; [unrolled: 3-line block ×3, first 2 shown]
	v_fmac_f32_e32 v22, v12, v14
	v_fmac_f32_e32 v24, v8, v6
	v_and_b32_e32 v6, 0xffff, v9
	;;#ASMSTART
	v_cvt_f32_f16 v11, v11;
	;;#ASMEND
	v_lshrrev_b32_e32 v8, 16, v9
	v_fmac_f32_e32 v22, v10, v11
	;;#ASMSTART
	v_cvt_f32_f16 v6, v6;
	;;#ASMEND
	v_lshrrev_b32_e32 v9, 16, v7
	v_and_b32_e32 v7, 0xffff, v7
	v_fmac_f32_e32 v19, v15, v17
	;;#ASMSTART
	v_cvt_f32_f16 v8, v8;
	;;#ASMEND
	;;#ASMSTART
	v_cvt_f32_f16 v7, v7;
	;;#ASMEND
	;; [unrolled: 3-line block ×3, first 2 shown]
	s_nop 0
	v_fmac_f32_e32 v18, v6, v7
	v_add_f32_e32 v6, v24, v22
	v_fmac_f32_e32 v19, v8, v9
	v_add_f32_e32 v6, v6, v18
	v_cndmask_b32_e64 v7, v30, v37, s[0:1]
	v_add_f32_e32 v6, v19, v6
	v_lshlrev_b32_e32 v7, 2, v7
	ds_bpermute_b32 v7, v7, v6
	s_and_saveexec_b64 s[30:31], vcc
	s_cbranch_execz .LBB103_8
; %bb.10:                               ;   in Loop: Header=BB103_9 Depth=1
	v_add_u32_e32 v8, s15, v35
	v_cvt_f32_i32_e32 v8, v8
	s_waitcnt lgkmcnt(0)
	v_add_f32_e32 v6, v6, v7
	v_cmp_gt_i32_e64 s[0:1], s33, v35
	v_max_f32_e32 v7, v33, v33
	v_mul_f32_e32 v8, s8, v8
	v_cndmask_b32_e64 v8, 0, v8, s[2:3]
	v_fmac_f32_e32 v8, s9, v6
	v_cndmask_b32_e64 v6, 0, v8, s[0:1]
	ds_write_b32 v36, v6
	v_max_f32_e32 v6, v7, v8
	v_cndmask_b32_e64 v33, v33, v6, s[0:1]
	s_branch .LBB103_8
.LBB103_11:
	s_or_b64 exec, exec, s[28:29]
.LBB103_12:
	s_or_b64 exec, exec, s[26:27]
	v_xor_b32_e32 v2, 32, v30
	v_cmp_lt_i32_e32 vcc, v2, v32
	v_xor_b32_e32 v5, 16, v30
	v_max_f32_e32 v4, v33, v33
	v_cndmask_b32_e32 v2, v30, v2, vcc
	v_lshlrev_b32_e32 v2, 2, v2
	ds_bpermute_b32 v3, v2, v33
	v_cmp_lt_i32_e32 vcc, v5, v32
	v_xor_b32_e32 v6, 8, v30
	s_waitcnt lgkmcnt(0)
	v_xor_b32_e32 v7, 4, v30
	v_xor_b32_e32 v8, 2, v30
	v_max_f32_e32 v3, v3, v3
	v_max_f32_e32 v4, v4, v3
	v_cndmask_b32_e32 v3, v30, v5, vcc
	v_lshlrev_b32_e32 v3, 2, v3
	ds_bpermute_b32 v5, v3, v4
	v_cmp_lt_i32_e32 vcc, v6, v32
	v_and_b32_e32 v20, 63, v0
	s_waitcnt lgkmcnt(0)
	v_max_f32_e32 v5, v5, v5
	v_max_f32_e32 v5, v4, v5
	v_cndmask_b32_e32 v4, v30, v6, vcc
	v_lshlrev_b32_e32 v4, 2, v4
	ds_bpermute_b32 v6, v4, v5
	v_cmp_lt_i32_e32 vcc, v7, v32
	s_waitcnt lgkmcnt(0)
	v_max_f32_e32 v6, v6, v6
	v_max_f32_e32 v6, v5, v6
	v_cndmask_b32_e32 v5, v30, v7, vcc
	v_lshlrev_b32_e32 v5, 2, v5
	ds_bpermute_b32 v7, v5, v6
	v_cmp_lt_i32_e32 vcc, v8, v32
	s_waitcnt lgkmcnt(0)
	v_max_f32_e32 v7, v7, v7
	v_max_f32_e32 v7, v6, v7
	v_cndmask_b32_e32 v6, v30, v8, vcc
	v_lshlrev_b32_e32 v21, 2, v6
	ds_bpermute_b32 v8, v21, v7
	v_cmp_eq_u32_e32 vcc, 0, v20
	v_lshlrev_b32_e32 v6, 2, v28
	s_and_saveexec_b64 s[0:1], vcc
	s_cbranch_execz .LBB103_14
; %bb.13:
	s_waitcnt lgkmcnt(0)
	v_max_f32_e32 v8, v8, v8
	v_max_f32_e32 v7, v7, v7
	;; [unrolled: 1-line block ×3, first 2 shown]
	ds_write_b32 v6, v7 offset:224
.LBB103_14:
	s_or_b64 exec, exec, s[0:1]
	v_cmp_gt_u32_e64 s[0:1], 2, v20
	s_waitcnt lgkmcnt(0)
	v_mov_b32_e32 v8, 0xff7fffff
	v_lshlrev_b32_e32 v7, 2, v20
	s_barrier
	s_and_saveexec_b64 s[2:3], s[0:1]
; %bb.15:
	ds_read_b32 v8, v7 offset:224
; %bb.16:
	s_or_b64 exec, exec, s[2:3]
	v_xor_b32_e32 v9, 1, v30
	v_cmp_lt_i32_e64 s[2:3], v9, v32
	s_nop 1
	v_cndmask_b32_e64 v9, v30, v9, s[2:3]
	v_lshlrev_b32_e32 v22, 2, v9
	s_waitcnt lgkmcnt(0)
	ds_bpermute_b32 v9, v22, v8
	v_max_f32_e32 v8, v8, v8
	s_lshl_b32 s2, s12, 5
	s_min_i32 s15, s2, s33
	v_cmp_gt_i32_e64 s[2:3], s15, v0
	s_waitcnt lgkmcnt(0)
	v_max_f32_e32 v9, v9, v9
	v_max_f32_e32 v8, v8, v9
	v_lshlrev_b32_e32 v9, 2, v31
	ds_bpermute_b32 v9, v9, v8
	v_mov_b32_e32 v8, 0
	s_and_saveexec_b64 s[26:27], s[2:3]
	s_cbranch_execz .LBB103_20
; %bb.17:
	v_mov_b32_e32 v8, 0xf0
	v_lshl_add_u32 v10, v0, 2, v8
	v_mov_b32_e32 v8, 0
	s_mov_b64 s[28:29], 0
	v_mov_b32_e32 v11, v0
.LBB103_18:                             ; =>This Inner Loop Header: Depth=1
	ds_read_b32 v12, v10
	v_add_u32_e32 v11, 0x80, v11
	v_cmp_le_i32_e64 s[8:9], s15, v11
	s_or_b64 s[28:29], s[8:9], s[28:29]
	s_waitcnt lgkmcnt(0)
	v_sub_f32_e32 v12, v12, v9
	v_mul_f32_e32 v12, 0x3fb8aa3b, v12
	v_exp_f32_e32 v12, v12
	ds_write_b32 v10, v12
	v_add_f32_e32 v8, v8, v12
	v_add_u32_e32 v10, 0x200, v10
	s_andn2_b64 exec, exec, s[28:29]
	s_cbranch_execnz .LBB103_18
; %bb.19:
	s_or_b64 exec, exec, s[28:29]
.LBB103_20:
	s_or_b64 exec, exec, s[26:27]
	ds_bpermute_b32 v2, v2, v8
	s_waitcnt lgkmcnt(0)
	v_add_f32_e32 v2, v8, v2
	ds_bpermute_b32 v3, v3, v2
	s_waitcnt lgkmcnt(0)
	v_add_f32_e32 v2, v2, v3
	;; [unrolled: 3-line block ×6, first 2 shown]
	s_and_saveexec_b64 s[8:9], vcc
; %bb.21:
	ds_write_b32 v6, v2 offset:232
; %bb.22:
	s_or_b64 exec, exec, s[8:9]
	s_waitcnt lgkmcnt(0)
	s_barrier
	s_and_saveexec_b64 s[8:9], s[0:1]
; %bb.23:
	ds_read_b32 v2, v7 offset:232
; %bb.24:
	s_or_b64 exec, exec, s[8:9]
	s_waitcnt lgkmcnt(0)
	ds_bpermute_b32 v3, v22, v2
	v_lshlrev_b32_e32 v4, 2, v30
	s_waitcnt lgkmcnt(0)
	v_add_f32_e32 v2, v2, v3
	v_and_b32_e32 v3, 0xffffff00, v4
	ds_bpermute_b32 v2, v3, v2
	s_and_saveexec_b64 s[0:1], s[2:3]
	s_cbranch_execz .LBB103_37
; %bb.25:
	s_waitcnt lgkmcnt(0)
	v_add_f32_e32 v2, 0x358637bd, v2
	v_div_scale_f32 v3, s[2:3], v2, v2, 1.0
	v_rcp_f32_e32 v4, v3
	v_div_scale_f32 v5, vcc, 1.0, v2, 1.0
	s_movk_i32 s2, 0x7f
	v_fma_f32 v6, -v3, v4, 1.0
	v_fmac_f32_e32 v4, v6, v4
	v_mul_f32_e32 v6, v5, v4
	v_fma_f32 v7, -v3, v6, v5
	v_fmac_f32_e32 v6, v7, v4
	v_fma_f32 v3, -v3, v6, v5
	v_div_fmas_f32 v3, v3, v4, v6
	v_xad_u32 v4, v0, -1, s15
	v_div_fixup_f32 v2, v3, v2, 1.0
	v_cmp_lt_u32_e32 vcc, s2, v4
	s_mov_b64 s[8:9], -1
	v_mov_b32_e32 v3, v0
	s_and_saveexec_b64 s[2:3], vcc
	s_cbranch_execz .LBB103_34
; %bb.26:
	v_lshrrev_b32_e32 v4, 7, v4
	v_add_u32_e32 v6, -1, v4
	v_lshrrev_b32_e32 v5, 1, v6
	v_mov_b32_e32 v3, v2
	v_add_u32_e32 v5, 1, v5
	v_cmp_lt_u32_e32 vcc, 13, v6
	v_mov_b32_e32 v8, 0
	s_and_saveexec_b64 s[8:9], vcc
	s_cbranch_execz .LBB103_30
; %bb.27:
	v_mov_b32_e32 v7, 0xf0
	v_and_b32_e32 v6, -8, v5
	v_lshl_add_u32 v7, v0, 2, v7
	s_mov_b32 s17, 0
	s_mov_b64 s[26:27], 0
.LBB103_28:                             ; =>This Inner Loop Header: Depth=1
	ds_read2st64_b32 v[8:9], v7 offset1:2
	ds_read2st64_b32 v[10:11], v7 offset0:4 offset1:6
	ds_read2st64_b32 v[12:13], v7 offset0:8 offset1:10
	;; [unrolled: 1-line block ×3, first 2 shown]
	v_add_u32_e32 v6, -8, v6
	s_waitcnt lgkmcnt(3)
	v_pk_mul_f32 v[8:9], v[2:3], v[8:9]
	s_waitcnt lgkmcnt(2)
	v_pk_mul_f32 v[10:11], v[2:3], v[10:11]
	ds_write2st64_b32 v7, v8, v9 offset1:2
	ds_write2st64_b32 v7, v10, v11 offset0:4 offset1:6
	ds_read2st64_b32 v[10:11], v7 offset0:16 offset1:18
	s_waitcnt lgkmcnt(4)
	v_pk_mul_f32 v[8:9], v[2:3], v[12:13]
	ds_write2st64_b32 v7, v8, v9 offset0:8 offset1:10
	s_waitcnt lgkmcnt(4)
	v_pk_mul_f32 v[8:9], v[2:3], v[14:15]
	ds_write2st64_b32 v7, v8, v9 offset0:12 offset1:14
	ds_read2st64_b32 v[8:9], v7 offset0:20 offset1:22
	s_waitcnt lgkmcnt(3)
	v_pk_mul_f32 v[10:11], v[2:3], v[10:11]
	ds_read2st64_b32 v[12:13], v7 offset0:24 offset1:26
	ds_write2st64_b32 v7, v10, v11 offset0:16 offset1:18
	ds_read2st64_b32 v[10:11], v7 offset0:28 offset1:30
	s_waitcnt lgkmcnt(3)
	v_pk_mul_f32 v[8:9], v[2:3], v[8:9]
	ds_write2st64_b32 v7, v8, v9 offset0:20 offset1:22
	s_waitcnt lgkmcnt(3)
	v_pk_mul_f32 v[8:9], v[2:3], v[12:13]
	ds_write2st64_b32 v7, v8, v9 offset0:24 offset1:26
	s_waitcnt lgkmcnt(2)
	v_pk_mul_f32 v[8:9], v[2:3], v[10:11]
	s_add_i32 s17, s17, 16
	v_cmp_eq_u32_e32 vcc, 0, v6
	ds_write2st64_b32 v7, v8, v9 offset0:28 offset1:30
	v_add_u32_e32 v7, 0x2000, v7
	s_or_b64 s[26:27], vcc, s[26:27]
	v_mov_b32_e32 v8, s17
	s_andn2_b64 exec, exec, s[26:27]
	s_cbranch_execnz .LBB103_28
; %bb.29:
	s_or_b64 exec, exec, s[26:27]
.LBB103_30:
	s_or_b64 exec, exec, s[8:9]
	v_and_b32_e32 v5, 7, v5
	v_cmp_ne_u32_e32 vcc, 0, v5
	s_and_saveexec_b64 s[8:9], vcc
	s_cbranch_execz .LBB103_33
; %bb.31:
	v_lshlrev_b32_e32 v6, 9, v8
	v_lshlrev_b32_e32 v7, 2, v0
	s_movk_i32 s17, 0xf0
	v_add3_u32 v6, v6, v7, s17
	s_mov_b64 s[26:27], 0
.LBB103_32:                             ; =>This Inner Loop Header: Depth=1
	ds_read2st64_b32 v[8:9], v6 offset1:2
	v_add_u32_e32 v5, -1, v5
	v_cmp_eq_u32_e32 vcc, 0, v5
	s_or_b64 s[26:27], vcc, s[26:27]
	s_waitcnt lgkmcnt(0)
	v_pk_mul_f32 v[8:9], v[2:3], v[8:9]
	ds_write2st64_b32 v6, v8, v9 offset1:2
	v_add_u32_e32 v6, 0x400, v6
	s_andn2_b64 exec, exec, s[26:27]
	s_cbranch_execnz .LBB103_32
.LBB103_33:
	s_or_b64 exec, exec, s[8:9]
	v_add_u32_e32 v4, 1, v4
	v_and_b32_e32 v5, 0x3fffffe, v4
	v_cmp_ne_u32_e32 vcc, v4, v5
	v_lshl_add_u32 v3, v5, 7, v0
	s_orn2_b64 s[8:9], vcc, exec
.LBB103_34:
	s_or_b64 exec, exec, s[2:3]
	s_and_b64 exec, exec, s[8:9]
	s_cbranch_execz .LBB103_37
; %bb.35:
	v_mov_b32_e32 v4, 0xf0
	v_lshl_add_u32 v4, v3, 2, v4
	s_mov_b64 s[2:3], 0
.LBB103_36:                             ; =>This Inner Loop Header: Depth=1
	ds_read_b32 v5, v4
	v_add_u32_e32 v3, 0x80, v3
	v_cmp_le_i32_e32 vcc, s15, v3
	s_or_b64 s[2:3], vcc, s[2:3]
	s_waitcnt lgkmcnt(0)
	v_mul_f32_e32 v5, v2, v5
	ds_write_b32 v4, v5
	v_add_u32_e32 v4, 0x200, v4
	s_andn2_b64 exec, exec, s[2:3]
	s_cbranch_execnz .LBB103_36
.LBB103_37:
	s_or_b64 exec, exec, s[0:1]
	v_mov_b32_e32 v7, 0
	v_and_b32_e32 v23, 3, v0
	v_mov_b32_e32 v6, 0
	v_mov_b32_e32 v9, 0
	;; [unrolled: 1-line block ×6, first 2 shown]
	s_waitcnt lgkmcnt(0)
	s_barrier
	s_and_saveexec_b64 s[2:3], s[6:7]
	s_cbranch_execz .LBB103_55
; %bb.38:
	s_ashr_i32 s15, s14, 31
	s_lshl_b64 s[0:1], s[14:15], 1
	s_add_u32 s0, s24, s0
	v_lshlrev_b32_e32 v2, 4, v0
	s_addc_u32 s1, s25, s1
	v_and_b32_e32 v12, 0x3f0, v2
	v_mov_b32_e32 v13, 0
	v_and_b32_e32 v1, 24, v1
	s_add_i32 s14, s12, -1
	v_lshl_add_u64 v[14:15], s[0:1], 0, v[12:13]
	s_lshl_b64 s[0:1], s[22:23], 2
	v_lshl_or_b32 v25, v28, 5, v1
	v_lshlrev_b32_e32 v1, 5, v23
	s_add_u32 s0, s20, s0
	v_lshl_or_b32 v1, v28, 7, v1
	v_and_b32_e32 v12, 60, v29
	s_addc_u32 s1, s21, s1
	s_mov_b32 s15, s33
	v_add_u32_e32 v26, 0xf0, v1
	v_lshl_add_u64 v[16:17], s[0:1], 0, v[12:13]
	s_mov_b64 s[6:7], 0
	s_mov_b32 s17, 0xffff
	s_movk_i32 s20, 0x1000
	v_mov_b32_e32 v24, 0
	v_mov_b32_e32 v7, 0
	;; [unrolled: 1-line block ×7, first 2 shown]
	s_branch .LBB103_40
.LBB103_39:                             ;   in Loop: Header=BB103_40 Depth=1
	s_or_b64 exec, exec, s[8:9]
	v_lshlrev_b32_e32 v12, 16, v12
	v_lshlrev_b32_e32 v1, 16, v1
	v_and_or_b32 v2, v2, s17, v12
	v_and_or_b32 v1, v3, s17, v1
	v_lshlrev_b32_e32 v3, 16, v18
	v_and_or_b32 v3, v4, s17, v3
	;;#ASMSTART
	v_pk_mul_f16 v2, v35, v2;

	;;#ASMEND
	;;#ASMSTART
	v_pk_mul_f16 v1, v36, v1;

	;;#ASMEND
	v_add_f32_e32 v19, v49, v50
	;;#ASMSTART
	v_pk_mul_f16 v3, v37, v3;

	;;#ASMEND
	;;#ASMSTART
	v_pk_mul_f16 v4, v38, v5;

	;;#ASMEND
	;;#ASMSTART
	v_pk_add_f16 v1, v2, v1;

	;;#ASMEND
	v_add_f32_e32 v7, v7, v19
	v_add_f32_e32 v19, v47, v48
	;;#ASMSTART
	v_pk_add_f16 v1, v1, v3;

	;;#ASMEND
	v_add_f32_e32 v6, v6, v19
	v_add_f32_e32 v19, v45, v46
	;; [unrolled: 6-line block ×3, first 2 shown]
	v_lshrrev_b32_e32 v2, 16, v1
	v_and_b32_e32 v1, 0xffff, v1
	v_add_f32_e32 v8, v8, v19
	v_add_f32_e32 v19, v41, v42
	;;#ASMSTART
	v_cvt_f32_f16 v1, v1;
	;;#ASMEND
	v_add_u32_e32 v28, 2, v28
	v_add_f32_e32 v11, v11, v19
	v_add_f32_e32 v19, v39, v40
	;;#ASMSTART
	v_cvt_f32_f16 v2, v2;
	;;#ASMEND
	v_cmp_le_i32_e32 vcc, s12, v28
	v_add_f32_e32 v1, v1, v2
	v_add_f32_e32 v10, v10, v19
	v_add_f32_e32 v24, v24, v1
	v_add_u32_e32 v25, 64, v25
	v_add_u32_e32 v26, 0x100, v26
	s_or_b64 s[6:7], vcc, s[6:7]
	v_lshl_add_u64 v[16:17], v[16:17], 0, 8
	s_andn2_b64 exec, exec, s[6:7]
	s_cbranch_execz .LBB103_54
.LBB103_40:                             ; =>This Inner Loop Header: Depth=1
	global_load_dword v1, v[16:17], off
	ds_read2_b64 v[2:5], v26 offset1:1
	ds_read2_b64 v[30:33], v26 offset0:2 offset1:3
	v_add_u32_e32 v29, 6, v25
	v_add_u32_e32 v27, 7, v25
	s_waitcnt lgkmcnt(1)
	;;#ASMSTART
	v_cvt_f16_f32 v35, v2;

	;;#ASMEND
	;;#ASMSTART
	v_cvt_f16_f32 v36, v3;

	;;#ASMEND
	;; [unrolled: 4-line block ×4, first 2 shown]
	s_waitcnt lgkmcnt(0)
	;;#ASMSTART
	v_cvt_f16_f32 v39, v30;

	;;#ASMEND
	;;#ASMSTART
	v_cvt_f16_f32 v40, v31;

	;;#ASMEND
	;; [unrolled: 4-line block ×4, first 2 shown]
	v_add_u32_e32 v32, 2, v25
	v_add_u32_e32 v31, 4, v25
	;; [unrolled: 1-line block ×3, first 2 shown]
	v_or_b32_e32 v33, 3, v25
	v_or_b32_e32 v34, 1, v25
	s_waitcnt vmcnt(0)
	v_mad_i64_i32 v[2:3], s[0:1], v1, s13, 0
	v_lshl_add_u64 v[18:19], v[2:3], 1, v[14:15]
	global_load_dwordx4 v[2:5], v[18:19], off
	v_cmp_eq_u32_e64 s[0:1], s14, v28
	s_waitcnt vmcnt(0)
	v_lshrrev_b32_e32 v1, 16, v3
	v_lshrrev_b32_e32 v12, 16, v2
	;; [unrolled: 1-line block ×3, first 2 shown]
	s_and_saveexec_b64 s[8:9], s[0:1]
	s_cbranch_execz .LBB103_42
; %bb.41:                               ;   in Loop: Header=BB103_40 Depth=1
	v_cmp_gt_i32_e32 vcc, s33, v25
	s_nop 1
	v_cndmask_b32_e32 v2, 0, v2, vcc
	v_cmp_gt_i32_e32 vcc, s33, v32
	s_nop 1
	v_cndmask_b32_e32 v3, 0, v3, vcc
	;; [unrolled: 3-line block ×6, first 2 shown]
	v_cmp_gt_i32_e32 vcc, s33, v29
	s_nop 1
	v_cndmask_b32_sdwa v44, v13, v5, vcc dst_sel:DWORD dst_unused:UNUSED_PAD src0_sel:DWORD src1_sel:WORD_0
	v_and_b32_e32 v5, 0xffff0000, v5
	v_cmp_gt_i32_e32 vcc, s33, v27
	s_nop 1
	v_cndmask_b32_e32 v5, 0, v5, vcc
	v_or_b32_e32 v5, v44, v5
.LBB103_42:                             ;   in Loop: Header=BB103_40 Depth=1
	s_or_b64 exec, exec, s[8:9]
	v_and_b32_e32 v35, 0xffff, v35
	v_lshlrev_b32_e32 v12, 16, v12
	v_lshlrev_b32_e32 v1, 16, v1
	v_lshl_or_b32 v35, v36, 16, v35
	v_and_b32_e32 v36, 0xffff, v37
	v_and_or_b32 v2, v2, s17, v12
	v_and_or_b32 v1, v3, s17, v1
	v_lshlrev_b32_e32 v3, 16, v43
	v_lshl_or_b32 v36, v38, 16, v36
	v_and_b32_e32 v37, 0xffff, v39
	v_and_b32_e32 v38, 0xffff, v41
	v_and_or_b32 v3, v4, s17, v3
	;;#ASMSTART
	v_pk_mul_f16 v2, v35, v2;

	;;#ASMEND
	;;#ASMSTART
	v_pk_mul_f16 v1, v36, v1;

	;;#ASMEND
	v_lshl_or_b32 v37, v40, 16, v37
	v_lshl_or_b32 v38, v42, 16, v38
	;;#ASMSTART
	v_pk_mul_f16 v3, v37, v3;

	;;#ASMEND
	;;#ASMSTART
	v_pk_mul_f16 v4, v38, v5;

	;;#ASMEND
	;;#ASMSTART
	v_pk_add_f16 v1, v2, v1;

	;;#ASMEND
	s_nop 0
	;;#ASMSTART
	v_pk_add_f16 v1, v1, v3;

	;;#ASMEND
	s_nop 0
	;; [unrolled: 5-line block ×3, first 2 shown]
	v_lshrrev_b32_e32 v2, 16, v1
	v_and_b32_e32 v1, 0xffff, v1
	;;#ASMSTART
	v_cvt_f32_f16 v39, v1;
	;;#ASMEND
	;;#ASMSTART
	v_cvt_f32_f16 v40, v2;
	;;#ASMEND
	global_load_dwordx4 v[2:5], v[18:19], off offset:1024
	s_waitcnt vmcnt(0)
	v_lshrrev_b32_e32 v1, 16, v3
	v_lshrrev_b32_e32 v12, 16, v2
	;; [unrolled: 1-line block ×3, first 2 shown]
	s_and_saveexec_b64 s[8:9], s[0:1]
	s_cbranch_execz .LBB103_44
; %bb.43:                               ;   in Loop: Header=BB103_40 Depth=1
	v_cmp_gt_i32_e32 vcc, s33, v25
	s_nop 1
	v_cndmask_b32_e32 v2, 0, v2, vcc
	v_cmp_gt_i32_e32 vcc, s33, v32
	s_nop 1
	v_cndmask_b32_e32 v3, 0, v3, vcc
	;; [unrolled: 3-line block ×6, first 2 shown]
	v_cmp_gt_i32_e32 vcc, s33, v29
	s_nop 1
	v_cndmask_b32_sdwa v42, v13, v5, vcc dst_sel:DWORD dst_unused:UNUSED_PAD src0_sel:DWORD src1_sel:WORD_0
	v_and_b32_e32 v5, 0xffff0000, v5
	v_cmp_gt_i32_e32 vcc, s33, v27
	s_nop 1
	v_cndmask_b32_e32 v5, 0, v5, vcc
	v_or_b32_e32 v5, v42, v5
.LBB103_44:                             ;   in Loop: Header=BB103_40 Depth=1
	s_or_b64 exec, exec, s[8:9]
	v_lshlrev_b32_e32 v12, 16, v12
	v_lshlrev_b32_e32 v1, 16, v1
	v_and_or_b32 v2, v2, s17, v12
	v_and_or_b32 v1, v3, s17, v1
	v_lshlrev_b32_e32 v3, 16, v41
	v_and_or_b32 v3, v4, s17, v3
	;;#ASMSTART
	v_pk_mul_f16 v2, v35, v2;

	;;#ASMEND
	;;#ASMSTART
	v_pk_mul_f16 v1, v36, v1;

	;;#ASMEND
	;; [unrolled: 4-line block ×4, first 2 shown]
	s_nop 0
	;;#ASMSTART
	v_pk_add_f16 v1, v2, v1;

	;;#ASMEND
	s_nop 0
	;;#ASMSTART
	v_pk_add_f16 v1, v1, v3;

	;;#ASMEND
	;; [unrolled: 5-line block ×3, first 2 shown]
	s_nop 0
	v_lshrrev_b32_e32 v2, 16, v1
	v_and_b32_e32 v1, 0xffff, v1
	;;#ASMSTART
	v_cvt_f32_f16 v41, v1;
	;;#ASMEND
	;;#ASMSTART
	v_cvt_f32_f16 v42, v2;
	;;#ASMEND
	global_load_dwordx4 v[2:5], v[18:19], off offset:2048
	s_waitcnt vmcnt(0)
	v_lshrrev_b32_e32 v1, 16, v3
	v_lshrrev_b32_e32 v12, 16, v2
	;; [unrolled: 1-line block ×3, first 2 shown]
	s_and_saveexec_b64 s[8:9], s[0:1]
	s_cbranch_execz .LBB103_46
; %bb.45:                               ;   in Loop: Header=BB103_40 Depth=1
	v_cmp_gt_i32_e32 vcc, s33, v25
	s_nop 1
	v_cndmask_b32_e32 v2, 0, v2, vcc
	v_cmp_gt_i32_e32 vcc, s33, v32
	s_nop 1
	v_cndmask_b32_e32 v3, 0, v3, vcc
	;; [unrolled: 3-line block ×6, first 2 shown]
	v_cmp_gt_i32_e32 vcc, s33, v29
	s_nop 1
	v_cndmask_b32_sdwa v44, v13, v5, vcc dst_sel:DWORD dst_unused:UNUSED_PAD src0_sel:DWORD src1_sel:WORD_0
	v_and_b32_e32 v5, 0xffff0000, v5
	v_cmp_gt_i32_e32 vcc, s33, v27
	s_nop 1
	v_cndmask_b32_e32 v5, 0, v5, vcc
	v_or_b32_e32 v5, v44, v5
.LBB103_46:                             ;   in Loop: Header=BB103_40 Depth=1
	s_or_b64 exec, exec, s[8:9]
	v_lshlrev_b32_e32 v12, 16, v12
	v_lshlrev_b32_e32 v1, 16, v1
	v_and_or_b32 v2, v2, s17, v12
	v_and_or_b32 v1, v3, s17, v1
	v_lshlrev_b32_e32 v3, 16, v43
	v_and_or_b32 v3, v4, s17, v3
	;;#ASMSTART
	v_pk_mul_f16 v2, v35, v2;

	;;#ASMEND
	;;#ASMSTART
	v_pk_mul_f16 v1, v36, v1;

	;;#ASMEND
	;; [unrolled: 4-line block ×4, first 2 shown]
	s_nop 0
	;;#ASMSTART
	v_pk_add_f16 v1, v2, v1;

	;;#ASMEND
	s_nop 0
	;;#ASMSTART
	v_pk_add_f16 v1, v1, v3;

	;;#ASMEND
	;; [unrolled: 5-line block ×3, first 2 shown]
	s_nop 0
	v_lshrrev_b32_e32 v2, 16, v1
	v_and_b32_e32 v1, 0xffff, v1
	;;#ASMSTART
	v_cvt_f32_f16 v43, v1;
	;;#ASMEND
	;;#ASMSTART
	v_cvt_f32_f16 v44, v2;
	;;#ASMEND
	global_load_dwordx4 v[2:5], v[18:19], off offset:3072
	s_waitcnt vmcnt(0)
	v_lshrrev_b32_e32 v1, 16, v3
	v_lshrrev_b32_e32 v12, 16, v2
	;; [unrolled: 1-line block ×3, first 2 shown]
	s_and_saveexec_b64 s[8:9], s[0:1]
	s_cbranch_execz .LBB103_48
; %bb.47:                               ;   in Loop: Header=BB103_40 Depth=1
	v_cmp_gt_i32_e32 vcc, s33, v25
	s_nop 1
	v_cndmask_b32_e32 v2, 0, v2, vcc
	v_cmp_gt_i32_e32 vcc, s33, v32
	s_nop 1
	v_cndmask_b32_e32 v3, 0, v3, vcc
	;; [unrolled: 3-line block ×6, first 2 shown]
	v_cmp_gt_i32_e32 vcc, s33, v29
	s_nop 1
	v_cndmask_b32_sdwa v46, v13, v5, vcc dst_sel:DWORD dst_unused:UNUSED_PAD src0_sel:DWORD src1_sel:WORD_0
	v_and_b32_e32 v5, 0xffff0000, v5
	v_cmp_gt_i32_e32 vcc, s33, v27
	s_nop 1
	v_cndmask_b32_e32 v5, 0, v5, vcc
	v_or_b32_e32 v5, v46, v5
.LBB103_48:                             ;   in Loop: Header=BB103_40 Depth=1
	s_or_b64 exec, exec, s[8:9]
	v_lshlrev_b32_e32 v12, 16, v12
	v_lshlrev_b32_e32 v1, 16, v1
	v_and_or_b32 v2, v2, s17, v12
	v_and_or_b32 v1, v3, s17, v1
	v_lshlrev_b32_e32 v3, 16, v45
	v_and_or_b32 v3, v4, s17, v3
	;;#ASMSTART
	v_pk_mul_f16 v2, v35, v2;

	;;#ASMEND
	;;#ASMSTART
	v_pk_mul_f16 v1, v36, v1;

	;;#ASMEND
	;; [unrolled: 4-line block ×4, first 2 shown]
	v_add_co_u32_e32 v18, vcc, s20, v18
	;;#ASMSTART
	v_pk_add_f16 v1, v2, v1;

	;;#ASMEND
	s_nop 0
	;;#ASMSTART
	v_pk_add_f16 v1, v1, v3;

	;;#ASMEND
	s_nop 0
	v_addc_co_u32_e32 v19, vcc, 0, v19, vcc
	;;#ASMSTART
	v_pk_add_f16 v1, v1, v4;

	;;#ASMEND
	s_nop 0
	v_lshrrev_b32_e32 v2, 16, v1
	v_and_b32_e32 v1, 0xffff, v1
	;;#ASMSTART
	v_cvt_f32_f16 v45, v1;
	;;#ASMEND
	;;#ASMSTART
	v_cvt_f32_f16 v46, v2;
	;;#ASMEND
	global_load_dwordx4 v[2:5], v[18:19], off
	s_waitcnt vmcnt(0)
	v_lshrrev_b32_e32 v1, 16, v3
	v_lshrrev_b32_e32 v12, 16, v2
	;; [unrolled: 1-line block ×3, first 2 shown]
	s_and_saveexec_b64 s[8:9], s[0:1]
	s_cbranch_execz .LBB103_50
; %bb.49:                               ;   in Loop: Header=BB103_40 Depth=1
	v_cmp_gt_i32_e32 vcc, s33, v25
	s_nop 1
	v_cndmask_b32_e32 v2, 0, v2, vcc
	v_cmp_gt_i32_e32 vcc, s33, v32
	s_nop 1
	v_cndmask_b32_e32 v3, 0, v3, vcc
	;; [unrolled: 3-line block ×6, first 2 shown]
	v_cmp_gt_i32_e32 vcc, s33, v29
	s_nop 1
	v_cndmask_b32_sdwa v48, v13, v5, vcc dst_sel:DWORD dst_unused:UNUSED_PAD src0_sel:DWORD src1_sel:WORD_0
	v_and_b32_e32 v5, 0xffff0000, v5
	v_cmp_gt_i32_e32 vcc, s33, v27
	s_nop 1
	v_cndmask_b32_e32 v5, 0, v5, vcc
	v_or_b32_e32 v5, v48, v5
.LBB103_50:                             ;   in Loop: Header=BB103_40 Depth=1
	s_or_b64 exec, exec, s[8:9]
	v_lshlrev_b32_e32 v12, 16, v12
	v_lshlrev_b32_e32 v1, 16, v1
	v_and_or_b32 v2, v2, s17, v12
	v_and_or_b32 v1, v3, s17, v1
	v_lshlrev_b32_e32 v3, 16, v47
	v_and_or_b32 v3, v4, s17, v3
	;;#ASMSTART
	v_pk_mul_f16 v2, v35, v2;

	;;#ASMEND
	;;#ASMSTART
	v_pk_mul_f16 v1, v36, v1;

	;;#ASMEND
	;; [unrolled: 4-line block ×4, first 2 shown]
	s_nop 0
	;;#ASMSTART
	v_pk_add_f16 v1, v2, v1;

	;;#ASMEND
	s_nop 0
	;;#ASMSTART
	v_pk_add_f16 v1, v1, v3;

	;;#ASMEND
	;; [unrolled: 5-line block ×3, first 2 shown]
	s_nop 0
	v_lshrrev_b32_e32 v2, 16, v1
	v_and_b32_e32 v1, 0xffff, v1
	;;#ASMSTART
	v_cvt_f32_f16 v47, v1;
	;;#ASMEND
	;;#ASMSTART
	v_cvt_f32_f16 v48, v2;
	;;#ASMEND
	global_load_dwordx4 v[2:5], v[18:19], off offset:1024
	s_waitcnt vmcnt(0)
	v_lshrrev_b32_e32 v1, 16, v3
	v_lshrrev_b32_e32 v12, 16, v2
	;; [unrolled: 1-line block ×3, first 2 shown]
	s_and_saveexec_b64 s[8:9], s[0:1]
	s_cbranch_execz .LBB103_52
; %bb.51:                               ;   in Loop: Header=BB103_40 Depth=1
	v_cmp_gt_i32_e32 vcc, s33, v25
	s_nop 1
	v_cndmask_b32_e32 v2, 0, v2, vcc
	v_cmp_gt_i32_e32 vcc, s33, v32
	s_nop 1
	v_cndmask_b32_e32 v3, 0, v3, vcc
	;; [unrolled: 3-line block ×6, first 2 shown]
	v_cmp_gt_i32_e32 vcc, s33, v29
	s_nop 1
	v_cndmask_b32_sdwa v50, v13, v5, vcc dst_sel:DWORD dst_unused:UNUSED_PAD src0_sel:DWORD src1_sel:WORD_0
	v_and_b32_e32 v5, 0xffff0000, v5
	v_cmp_gt_i32_e32 vcc, s33, v27
	s_nop 1
	v_cndmask_b32_e32 v5, 0, v5, vcc
	v_or_b32_e32 v5, v50, v5
.LBB103_52:                             ;   in Loop: Header=BB103_40 Depth=1
	s_or_b64 exec, exec, s[8:9]
	v_lshlrev_b32_e32 v12, 16, v12
	v_lshlrev_b32_e32 v1, 16, v1
	v_and_or_b32 v2, v2, s17, v12
	v_and_or_b32 v1, v3, s17, v1
	v_lshlrev_b32_e32 v3, 16, v49
	v_and_or_b32 v3, v4, s17, v3
	;;#ASMSTART
	v_pk_mul_f16 v2, v35, v2;

	;;#ASMEND
	;;#ASMSTART
	v_pk_mul_f16 v1, v36, v1;

	;;#ASMEND
	;; [unrolled: 4-line block ×4, first 2 shown]
	s_nop 0
	;;#ASMSTART
	v_pk_add_f16 v1, v2, v1;

	;;#ASMEND
	s_nop 0
	;;#ASMSTART
	v_pk_add_f16 v1, v1, v3;

	;;#ASMEND
	;; [unrolled: 5-line block ×3, first 2 shown]
	s_nop 0
	v_lshrrev_b32_e32 v2, 16, v1
	v_and_b32_e32 v1, 0xffff, v1
	;;#ASMSTART
	v_cvt_f32_f16 v49, v1;
	;;#ASMEND
	;;#ASMSTART
	v_cvt_f32_f16 v50, v2;
	;;#ASMEND
	global_load_dwordx4 v[2:5], v[18:19], off offset:2048
	s_waitcnt vmcnt(0)
	v_lshrrev_b32_e32 v1, 16, v3
	v_lshrrev_b32_e32 v12, 16, v2
	;; [unrolled: 1-line block ×3, first 2 shown]
	s_and_saveexec_b64 s[8:9], s[0:1]
	s_cbranch_execz .LBB103_39
; %bb.53:                               ;   in Loop: Header=BB103_40 Depth=1
	v_cmp_gt_i32_e32 vcc, s33, v25
	s_nop 1
	v_cndmask_b32_e32 v2, 0, v2, vcc
	v_cmp_gt_i32_e32 vcc, s33, v32
	s_nop 1
	v_cndmask_b32_e32 v3, 0, v3, vcc
	;; [unrolled: 3-line block ×6, first 2 shown]
	v_cmp_gt_i32_e32 vcc, s33, v29
	s_nop 1
	v_cndmask_b32_sdwa v19, v13, v5, vcc dst_sel:DWORD dst_unused:UNUSED_PAD src0_sel:DWORD src1_sel:WORD_0
	v_and_b32_e32 v5, 0xffff0000, v5
	v_cmp_gt_i32_e32 vcc, s33, v27
	s_nop 1
	v_cndmask_b32_e32 v5, 0, v5, vcc
	v_or_b32_e32 v5, v19, v5
	s_branch .LBB103_39
.LBB103_54:
	s_or_b64 exec, exec, s[6:7]
.LBB103_55:
	s_or_b64 exec, exec, s[2:3]
	ds_bpermute_b32 v4, v21, v8
	ds_bpermute_b32 v5, v21, v9
	;; [unrolled: 1-line block ×6, first 2 shown]
	s_waitcnt lgkmcnt(4)
	v_pk_add_f32 v[4:5], v[8:9], v[4:5]
	ds_bpermute_b32 v8, v22, v4
	ds_bpermute_b32 v9, v22, v5
	;; [unrolled: 1-line block ×3, first 2 shown]
	s_waitcnt lgkmcnt(5)
	v_pk_add_f32 v[2:3], v[10:11], v[2:3]
	s_waitcnt lgkmcnt(3)
	v_pk_add_f32 v[12:13], v[6:7], v[12:13]
	ds_bpermute_b32 v10, v22, v2
	ds_bpermute_b32 v11, v22, v3
	;; [unrolled: 1-line block ×4, first 2 shown]
	s_waitcnt lgkmcnt(5)
	v_pk_add_f32 v[4:5], v[4:5], v[8:9]
	s_waitcnt lgkmcnt(4)
	v_add_f32_e32 v8, v24, v1
	ds_bpermute_b32 v9, v22, v8
	v_and_b32_e32 v1, 0x3c3, v0
	s_waitcnt lgkmcnt(3)
	v_pk_add_f32 v[6:7], v[2:3], v[10:11]
	s_waitcnt lgkmcnt(1)
	v_pk_add_f32 v[2:3], v[12:13], v[14:15]
	v_cmp_ne_u32_e32 vcc, 64, v1
	s_waitcnt lgkmcnt(0)
	s_barrier
	s_and_saveexec_b64 s[0:1], vcc
	s_xor_b64 s[0:1], exec, s[0:1]
; %bb.56:
                                        ; implicit-def: $vgpr20
; %bb.57:
	s_or_saveexec_b64 s[0:1], s[0:1]
	v_add_f32_e32 v8, v8, v9
	s_xor_b64 exec, exec, s[0:1]
	s_cbranch_execz .LBB103_59
; %bb.58:
	v_add_u32_e32 v9, 0xf0, v20
	ds_write2_b32 v9, v6, v7 offset1:16
	ds_write2_b32 v9, v4, v5 offset0:32 offset1:48
	ds_write2_b32 v9, v2, v3 offset0:64 offset1:80
	ds_write_b32 v9, v8 offset:384
.LBB103_59:
	s_or_b64 exec, exec, s[0:1]
	v_cmp_gt_u32_e32 vcc, 64, v0
	v_lshrrev_b32_e32 v0, 2, v0
	s_waitcnt lgkmcnt(0)
	s_barrier
	s_and_saveexec_b64 s[0:1], vcc
	s_cbranch_execz .LBB103_69
; %bb.60:
	v_mov_b32_e32 v9, 0xf0
	v_cmp_eq_u32_e32 vcc, 0, v23
	v_lshl_add_u32 v9, v0, 2, v9
	s_and_saveexec_b64 s[2:3], vcc
	s_cbranch_execnz .LBB103_72
; %bb.61:
	s_or_b64 exec, exec, s[2:3]
	s_and_saveexec_b64 s[2:3], vcc
	s_cbranch_execnz .LBB103_73
.LBB103_62:
	s_or_b64 exec, exec, s[2:3]
	s_and_saveexec_b64 s[2:3], vcc
	s_cbranch_execnz .LBB103_74
.LBB103_63:
	s_or_b64 exec, exec, s[2:3]
	s_and_saveexec_b64 s[2:3], vcc
	s_cbranch_execnz .LBB103_75
.LBB103_64:
	s_or_b64 exec, exec, s[2:3]
	s_and_saveexec_b64 s[2:3], vcc
	s_cbranch_execnz .LBB103_76
.LBB103_65:
	s_or_b64 exec, exec, s[2:3]
	s_and_saveexec_b64 s[2:3], vcc
	s_cbranch_execnz .LBB103_77
.LBB103_66:
	s_or_b64 exec, exec, s[2:3]
	s_and_saveexec_b64 s[2:3], vcc
	s_cbranch_execz .LBB103_68
.LBB103_67:
	ds_read_b32 v9, v9 offset:384
	s_waitcnt lgkmcnt(0)
	v_add_f32_e32 v8, v8, v9
.LBB103_68:
	s_or_b64 exec, exec, s[2:3]
.LBB103_69:
	s_or_b64 exec, exec, s[0:1]
	v_cmp_eq_u32_e32 vcc, 0, v1
	s_barrier
	s_and_saveexec_b64 s[0:1], vcc
	s_cbranch_execz .LBB103_71
; %bb.70:
	s_mul_i32 s0, s10, s11
	s_mul_i32 s0, s0, s5
	s_mulk_i32 s0, 0x70
	s_ashr_i32 s1, s0, 31
	s_lshl_b64 s[0:1], s[0:1], 1
	s_add_u32 s2, s18, s0
	s_mul_i32 s0, s11, s16
	s_addc_u32 s3, s19, s1
	s_ashr_i32 s1, s0, 31
	s_lshl_b64 s[0:1], s[0:1], 1
	s_add_u32 s2, s2, s0
	s_mul_i32 s0, s4, 0x70
	s_addc_u32 s3, s3, s1
	s_ashr_i32 s1, s0, 31
	s_lshl_b64 s[0:1], s[0:1], 1
	s_add_u32 s0, s2, s0
	s_addc_u32 s1, s3, s1
	v_lshlrev_b32_e32 v0, 1, v0
	;;#ASMSTART
	v_cvt_f16_f32 v1, v6;

	;;#ASMEND
	global_store_short v0, v1, s[0:1]
	;;#ASMSTART
	v_cvt_f16_f32 v1, v7;

	;;#ASMEND
	global_store_short v0, v1, s[0:1] offset:32
	;;#ASMSTART
	v_cvt_f16_f32 v1, v4;

	;;#ASMEND
	global_store_short v0, v1, s[0:1] offset:64
	;; [unrolled: 5-line block ×6, first 2 shown]
.LBB103_71:
	s_endpgm
.LBB103_72:
	ds_read_b32 v10, v9
	s_waitcnt lgkmcnt(0)
	v_add_f32_e32 v6, v6, v10
	s_or_b64 exec, exec, s[2:3]
	s_and_saveexec_b64 s[2:3], vcc
	s_cbranch_execz .LBB103_62
.LBB103_73:
	ds_read_b32 v10, v9 offset:64
	s_waitcnt lgkmcnt(0)
	v_add_f32_e32 v7, v7, v10
	s_or_b64 exec, exec, s[2:3]
	s_and_saveexec_b64 s[2:3], vcc
	s_cbranch_execz .LBB103_63
.LBB103_74:
	ds_read_b32 v10, v9 offset:128
	s_waitcnt lgkmcnt(0)
	v_add_f32_e32 v4, v4, v10
	s_or_b64 exec, exec, s[2:3]
	s_and_saveexec_b64 s[2:3], vcc
	s_cbranch_execz .LBB103_64
.LBB103_75:
	ds_read_b32 v10, v9 offset:192
	s_waitcnt lgkmcnt(0)
	v_add_f32_e32 v5, v5, v10
	s_or_b64 exec, exec, s[2:3]
	s_and_saveexec_b64 s[2:3], vcc
	s_cbranch_execz .LBB103_65
.LBB103_76:
	ds_read_b32 v10, v9 offset:256
	s_waitcnt lgkmcnt(0)
	v_add_f32_e32 v2, v2, v10
	s_or_b64 exec, exec, s[2:3]
	s_and_saveexec_b64 s[2:3], vcc
	s_cbranch_execz .LBB103_66
.LBB103_77:
	ds_read_b32 v10, v9 offset:320
	s_waitcnt lgkmcnt(0)
	v_add_f32_e32 v3, v3, v10
	s_or_b64 exec, exec, s[2:3]
	s_and_saveexec_b64 s[2:3], vcc
	s_cbranch_execnz .LBB103_67
	s_branch .LBB103_68
	.section	.rodata,"a",@progbits
	.p2align	6, 0x0
	.amdhsa_kernel _ZN4vllm25paged_attention_v1_kernelIttLi112ELi32ELi128ELNS_18Fp8KVCacheDataTypeE0ELb0EEEvPT_PKS2_PKT0_S8_ifPKiSA_iPKfiiiSC_SC_iiiii
		.amdhsa_group_segment_fixed_size 240
		.amdhsa_private_segment_fixed_size 0
		.amdhsa_kernarg_size 384
		.amdhsa_user_sgpr_count 2
		.amdhsa_user_sgpr_dispatch_ptr 0
		.amdhsa_user_sgpr_queue_ptr 0
		.amdhsa_user_sgpr_kernarg_segment_ptr 1
		.amdhsa_user_sgpr_dispatch_id 0
		.amdhsa_user_sgpr_kernarg_preload_length 0
		.amdhsa_user_sgpr_kernarg_preload_offset 0
		.amdhsa_user_sgpr_private_segment_size 0
		.amdhsa_uses_dynamic_stack 0
		.amdhsa_enable_private_segment 0
		.amdhsa_system_sgpr_workgroup_id_x 1
		.amdhsa_system_sgpr_workgroup_id_y 1
		.amdhsa_system_sgpr_workgroup_id_z 1
		.amdhsa_system_sgpr_workgroup_info 0
		.amdhsa_system_vgpr_workitem_id 0
		.amdhsa_next_free_vgpr 70
		.amdhsa_next_free_sgpr 35
		.amdhsa_accum_offset 72
		.amdhsa_reserve_vcc 1
		.amdhsa_float_round_mode_32 0
		.amdhsa_float_round_mode_16_64 0
		.amdhsa_float_denorm_mode_32 3
		.amdhsa_float_denorm_mode_16_64 3
		.amdhsa_dx10_clamp 1
		.amdhsa_ieee_mode 1
		.amdhsa_fp16_overflow 0
		.amdhsa_tg_split 0
		.amdhsa_exception_fp_ieee_invalid_op 0
		.amdhsa_exception_fp_denorm_src 0
		.amdhsa_exception_fp_ieee_div_zero 0
		.amdhsa_exception_fp_ieee_overflow 0
		.amdhsa_exception_fp_ieee_underflow 0
		.amdhsa_exception_fp_ieee_inexact 0
		.amdhsa_exception_int_div_zero 0
	.end_amdhsa_kernel
	.section	.text._ZN4vllm25paged_attention_v1_kernelIttLi112ELi32ELi128ELNS_18Fp8KVCacheDataTypeE0ELb0EEEvPT_PKS2_PKT0_S8_ifPKiSA_iPKfiiiSC_SC_iiiii,"axG",@progbits,_ZN4vllm25paged_attention_v1_kernelIttLi112ELi32ELi128ELNS_18Fp8KVCacheDataTypeE0ELb0EEEvPT_PKS2_PKT0_S8_ifPKiSA_iPKfiiiSC_SC_iiiii,comdat
.Lfunc_end103:
	.size	_ZN4vllm25paged_attention_v1_kernelIttLi112ELi32ELi128ELNS_18Fp8KVCacheDataTypeE0ELb0EEEvPT_PKS2_PKT0_S8_ifPKiSA_iPKfiiiSC_SC_iiiii, .Lfunc_end103-_ZN4vllm25paged_attention_v1_kernelIttLi112ELi32ELi128ELNS_18Fp8KVCacheDataTypeE0ELb0EEEvPT_PKS2_PKT0_S8_ifPKiSA_iPKfiiiSC_SC_iiiii
                                        ; -- End function
	.set _ZN4vllm25paged_attention_v1_kernelIttLi112ELi32ELi128ELNS_18Fp8KVCacheDataTypeE0ELb0EEEvPT_PKS2_PKT0_S8_ifPKiSA_iPKfiiiSC_SC_iiiii.num_vgpr, 70
	.set _ZN4vllm25paged_attention_v1_kernelIttLi112ELi32ELi128ELNS_18Fp8KVCacheDataTypeE0ELb0EEEvPT_PKS2_PKT0_S8_ifPKiSA_iPKfiiiSC_SC_iiiii.num_agpr, 0
	.set _ZN4vllm25paged_attention_v1_kernelIttLi112ELi32ELi128ELNS_18Fp8KVCacheDataTypeE0ELb0EEEvPT_PKS2_PKT0_S8_ifPKiSA_iPKfiiiSC_SC_iiiii.numbered_sgpr, 35
	.set _ZN4vllm25paged_attention_v1_kernelIttLi112ELi32ELi128ELNS_18Fp8KVCacheDataTypeE0ELb0EEEvPT_PKS2_PKT0_S8_ifPKiSA_iPKfiiiSC_SC_iiiii.num_named_barrier, 0
	.set _ZN4vllm25paged_attention_v1_kernelIttLi112ELi32ELi128ELNS_18Fp8KVCacheDataTypeE0ELb0EEEvPT_PKS2_PKT0_S8_ifPKiSA_iPKfiiiSC_SC_iiiii.private_seg_size, 0
	.set _ZN4vllm25paged_attention_v1_kernelIttLi112ELi32ELi128ELNS_18Fp8KVCacheDataTypeE0ELb0EEEvPT_PKS2_PKT0_S8_ifPKiSA_iPKfiiiSC_SC_iiiii.uses_vcc, 1
	.set _ZN4vllm25paged_attention_v1_kernelIttLi112ELi32ELi128ELNS_18Fp8KVCacheDataTypeE0ELb0EEEvPT_PKS2_PKT0_S8_ifPKiSA_iPKfiiiSC_SC_iiiii.uses_flat_scratch, 0
	.set _ZN4vllm25paged_attention_v1_kernelIttLi112ELi32ELi128ELNS_18Fp8KVCacheDataTypeE0ELb0EEEvPT_PKS2_PKT0_S8_ifPKiSA_iPKfiiiSC_SC_iiiii.has_dyn_sized_stack, 0
	.set _ZN4vllm25paged_attention_v1_kernelIttLi112ELi32ELi128ELNS_18Fp8KVCacheDataTypeE0ELb0EEEvPT_PKS2_PKT0_S8_ifPKiSA_iPKfiiiSC_SC_iiiii.has_recursion, 0
	.set _ZN4vllm25paged_attention_v1_kernelIttLi112ELi32ELi128ELNS_18Fp8KVCacheDataTypeE0ELb0EEEvPT_PKS2_PKT0_S8_ifPKiSA_iPKfiiiSC_SC_iiiii.has_indirect_call, 0
	.section	.AMDGPU.csdata,"",@progbits
; Kernel info:
; codeLenInByte = 9296
; TotalNumSgprs: 41
; NumVgprs: 70
; NumAgprs: 0
; TotalNumVgprs: 70
; ScratchSize: 0
; MemoryBound: 0
; FloatMode: 240
; IeeeMode: 1
; LDSByteSize: 240 bytes/workgroup (compile time only)
; SGPRBlocks: 5
; VGPRBlocks: 8
; NumSGPRsForWavesPerEU: 41
; NumVGPRsForWavesPerEU: 70
; AccumOffset: 72
; Occupancy: 7
; WaveLimiterHint : 1
; COMPUTE_PGM_RSRC2:SCRATCH_EN: 0
; COMPUTE_PGM_RSRC2:USER_SGPR: 2
; COMPUTE_PGM_RSRC2:TRAP_HANDLER: 0
; COMPUTE_PGM_RSRC2:TGID_X_EN: 1
; COMPUTE_PGM_RSRC2:TGID_Y_EN: 1
; COMPUTE_PGM_RSRC2:TGID_Z_EN: 1
; COMPUTE_PGM_RSRC2:TIDIG_COMP_CNT: 0
; COMPUTE_PGM_RSRC3_GFX90A:ACCUM_OFFSET: 17
; COMPUTE_PGM_RSRC3_GFX90A:TG_SPLIT: 0
	.section	.text._ZN4vllm25paged_attention_v1_kernelIttLi120ELi32ELi128ELNS_18Fp8KVCacheDataTypeE0ELb0EEEvPT_PKS2_PKT0_S8_ifPKiSA_iPKfiiiSC_SC_iiiii,"axG",@progbits,_ZN4vllm25paged_attention_v1_kernelIttLi120ELi32ELi128ELNS_18Fp8KVCacheDataTypeE0ELb0EEEvPT_PKS2_PKT0_S8_ifPKiSA_iPKfiiiSC_SC_iiiii,comdat
	.protected	_ZN4vllm25paged_attention_v1_kernelIttLi120ELi32ELi128ELNS_18Fp8KVCacheDataTypeE0ELb0EEEvPT_PKS2_PKT0_S8_ifPKiSA_iPKfiiiSC_SC_iiiii ; -- Begin function _ZN4vllm25paged_attention_v1_kernelIttLi120ELi32ELi128ELNS_18Fp8KVCacheDataTypeE0ELb0EEEvPT_PKS2_PKT0_S8_ifPKiSA_iPKfiiiSC_SC_iiiii
	.globl	_ZN4vllm25paged_attention_v1_kernelIttLi120ELi32ELi128ELNS_18Fp8KVCacheDataTypeE0ELb0EEEvPT_PKS2_PKT0_S8_ifPKiSA_iPKfiiiSC_SC_iiiii
	.p2align	8
	.type	_ZN4vllm25paged_attention_v1_kernelIttLi120ELi32ELi128ELNS_18Fp8KVCacheDataTypeE0ELb0EEEvPT_PKS2_PKT0_S8_ifPKiSA_iPKfiiiSC_SC_iiiii,@function
_ZN4vllm25paged_attention_v1_kernelIttLi120ELi32ELi128ELNS_18Fp8KVCacheDataTypeE0ELb0EEEvPT_PKS2_PKT0_S8_ifPKiSA_iPKfiiiSC_SC_iiiii: ; @_ZN4vllm25paged_attention_v1_kernelIttLi120ELi32ELi128ELNS_18Fp8KVCacheDataTypeE0ELb0EEEvPT_PKS2_PKT0_S8_ifPKiSA_iPKfiiiSC_SC_iiiii
; %bb.0:
	s_load_dword s5, s[0:1], 0x80
	s_load_dwordx2 s[6:7], s[0:1], 0x30
	s_load_dwordx2 s[8:9], s[0:1], 0x20
	s_mov_b32 s10, s3
	s_ashr_i32 s11, s3, 31
	s_lshl_b64 s[12:13], s[10:11], 2
	s_waitcnt lgkmcnt(0)
	s_add_u32 s6, s6, s12
	s_addc_u32 s7, s7, s13
	s_abs_i32 s3, s8
	v_cvt_f32_u32_e32 v1, s3
	s_sub_i32 s12, 0, s3
	s_abs_i32 s11, s5
	s_xor_b32 s8, s5, s8
	v_rcp_iflag_f32_e32 v1, v1
	s_ashr_i32 s8, s8, 31
	v_mul_f32_e32 v1, 0x4f7ffffe, v1
	v_cvt_u32_f32_e32 v1, v1
	s_nop 0
	v_readfirstlane_b32 s13, v1
	s_mul_i32 s12, s12, s13
	s_mul_hi_u32 s12, s13, s12
	s_add_i32 s13, s13, s12
	s_mul_hi_u32 s12, s11, s13
	s_mul_i32 s13, s12, s3
	s_sub_i32 s11, s11, s13
	s_add_i32 s13, s12, 1
	s_sub_i32 s14, s11, s3
	s_cmp_ge_u32 s11, s3
	s_cselect_b32 s12, s13, s12
	s_cselect_b32 s11, s14, s11
	s_add_i32 s13, s12, 1
	s_cmp_ge_u32 s11, s3
	s_cselect_b32 s3, s13, s12
	s_xor_b32 s3, s3, s8
	s_sub_i32 s14, s3, s8
	s_abs_i32 s11, s14
	v_cvt_f32_u32_e32 v1, s11
	s_load_dwordx2 s[12:13], s[0:1], 0x40
	s_sub_i32 s3, 0, s11
	s_abs_i32 s18, s2
	v_rcp_iflag_f32_e32 v1, v1
	s_mov_b32 s8, 0
	v_mul_f32_e32 v1, 0x4f7ffffe, v1
	v_cvt_u32_f32_e32 v1, v1
	s_nop 0
	v_readfirstlane_b32 s15, v1
	s_mul_i32 s3, s3, s15
	s_mul_hi_u32 s3, s15, s3
	s_add_i32 s15, s15, s3
	s_waitcnt lgkmcnt(0)
	s_cmp_eq_u64 s[12:13], 0
	s_mul_hi_u32 s19, s18, s15
	s_cbranch_scc1 .LBB104_2
; %bb.1:
	s_ashr_i32 s3, s2, 31
	s_lshl_b64 s[16:17], s[2:3], 2
	s_add_u32 s12, s12, s16
	s_addc_u32 s13, s13, s17
	s_load_dword s8, s[12:13], 0x0
.LBB104_2:
	s_load_dword s33, s[6:7], 0x0
	s_ashr_i32 s7, s14, 31
	s_load_dwordx4 s[12:15], s[0:1], 0x48
	s_ashr_i32 s6, s2, 31
	v_and_b32_e32 v4, 1, v0
	s_waitcnt lgkmcnt(0)
	s_movk_i32 s15, 0x78
	s_mul_i32 s16, s2, 0x78
	v_cmp_gt_u32_e32 vcc, 30, v0
	v_lshlrev_b32_e32 v1, 3, v0
	s_and_saveexec_b64 s[2:3], vcc
	s_cbranch_execz .LBB104_4
; %bb.3:
	s_load_dwordx2 s[20:21], s[0:1], 0x8
	s_mul_i32 s22, s12, s10
	s_ashr_i32 s23, s22, 31
	s_lshl_b64 s[22:23], s[22:23], 1
	v_lshlrev_b32_e32 v5, 2, v0
	s_waitcnt lgkmcnt(0)
	s_add_u32 s12, s20, s22
	s_addc_u32 s22, s21, s23
	s_ashr_i32 s17, s16, 31
	s_lshl_b64 s[20:21], s[16:17], 1
	s_add_u32 s20, s12, s20
	s_addc_u32 s21, s22, s21
	global_load_dwordx2 v[2:3], v1, s[20:21]
	v_and_b32_e32 v5, 0xff8, v5
	v_mad_u32_u24 v5, v4, s15, v5
	s_waitcnt vmcnt(0)
	ds_write_b64 v5, v[2:3]
.LBB104_4:
	s_or_b64 exec, exec, s[2:3]
	s_add_i32 s3, s33, 31
	s_ashr_i32 s12, s3, 31
	s_lshr_b32 s12, s12, 27
	s_add_i32 s3, s3, s12
	s_ashr_i32 s17, s3, 5
	s_xor_b32 s3, s6, s7
	s_mul_i32 s6, s19, s11
	s_sub_i32 s6, s18, s6
	s_add_i32 s7, s19, 1
	s_sub_i32 s12, s6, s11
	s_load_dwordx2 s[20:21], s[0:1], 0x28
	s_load_dword s2, s[0:1], 0x38
	s_cmp_ge_u32 s6, s11
	s_cselect_b32 s7, s7, s19
	s_cselect_b32 s6, s12, s6
	s_add_i32 s12, s7, 1
	s_cmp_ge_u32 s6, s11
	s_cselect_b32 s6, s12, s7
	v_lshrrev_b32_e32 v32, 6, v0
	s_xor_b32 s6, s6, s3
	s_waitcnt lgkmcnt(0)
	s_mul_i32 s22, s2, s10
	s_sub_i32 s12, s6, s3
	s_ashr_i32 s23, s22, 31
	v_cmp_le_i32_e64 s[6:7], s17, v32
	v_mbcnt_lo_u32_b32 v6, -1, 0
	s_barrier
                                        ; implicit-def: $vgpr34
                                        ; implicit-def: $vgpr35
                                        ; implicit-def: $vgpr36
	s_and_saveexec_b64 s[2:3], s[6:7]
	s_xor_b64 s[2:3], exec, s[2:3]
; %bb.5:
	v_mbcnt_hi_u32_b32 v34, -1, v6
	v_and_b32_e32 v35, 64, v34
	v_add_u32_e32 v36, 64, v35
                                        ; implicit-def: $vgpr4
                                        ; implicit-def: $vgpr6
; %bb.6:
	s_or_saveexec_b64 s[26:27], s[2:3]
	s_load_dwordx2 s[18:19], s[0:1], 0x0
	s_load_dwordx2 s[24:25], s[0:1], 0x18
	s_load_dword s11, s[0:1], 0x88
	v_mov_b32_e32 v37, 0xff7fffff
	s_mul_i32 s14, s12, s14
	v_lshrrev_b32_e32 v33, 4, v0
	s_xor_b64 exec, exec, s[26:27]
	s_cbranch_execz .LBB104_12
; %bb.7:
	s_load_dwordx2 s[0:1], s[0:1], 0x10
	s_ashr_i32 s15, s14, 31
	s_lshl_b64 s[2:3], s[14:15], 1
	v_bfe_u32 v5, v0, 1, 5
	v_lshlrev_b32_e32 v8, 4, v5
	s_waitcnt lgkmcnt(0)
	s_add_u32 s0, s0, s2
	s_addc_u32 s1, s1, s3
	v_mov_b32_e32 v9, 0
	v_lshl_add_u64 v[2:3], s[0:1], 0, v[8:9]
	s_sub_i32 s15, 1, s33
	s_lshl_b64 s[0:1], s[22:23], 2
	v_and_b32_e32 v8, 8, v1
	v_mul_u32_u24_e32 v38, 0x78, v4
	v_cmp_eq_u32_e32 vcc, 0, v4
	v_lshlrev_b32_e32 v4, 2, v5
	s_add_u32 s0, s20, s0
	v_mbcnt_hi_u32_b32 v34, -1, v6
	v_lshl_add_u64 v[2:3], v[2:3], 0, v[8:9]
	v_lshl_or_b32 v4, v32, 7, v4
	v_and_b32_e32 v8, 60, v33
	s_addc_u32 s1, s21, s1
	v_and_b32_e32 v35, 64, v34
	s_mov_b32 s12, s13
	v_cmp_neq_f32_e64 s[2:3], s8, 0
	v_lshl_or_b32 v39, v32, 5, v5
	v_add_u32_e32 v40, 0x100, v4
	v_lshl_add_u64 v[4:5], s[0:1], 0, v[8:9]
	v_mov_b32_e32 v37, 0xff7fffff
	s_mov_b64 s[28:29], 0
	s_movk_i32 s34, 0x1000
	v_xor_b32_e32 v41, 1, v34
	v_add_u32_e32 v36, 64, v35
	v_mov_b32_e32 v42, v32
	s_branch .LBB104_9
.LBB104_8:                              ;   in Loop: Header=BB104_9 Depth=1
	s_or_b64 exec, exec, s[30:31]
	v_add_u32_e32 v42, 2, v42
	v_cmp_le_i32_e64 s[0:1], s17, v42
	v_add_u32_e32 v39, 64, v39
	v_add_u32_e32 v40, 0x100, v40
	s_or_b64 s[28:29], s[0:1], s[28:29]
	v_lshl_add_u64 v[4:5], v[4:5], 0, 8
	s_andn2_b64 exec, exec, s[28:29]
	s_cbranch_execz .LBB104_11
.LBB104_9:                              ; =>This Inner Loop Header: Depth=1
	global_load_dword v6, v[4:5], off
	s_waitcnt vmcnt(0) lgkmcnt(0)
	v_mad_i64_i32 v[6:7], s[0:1], v6, s12, 0
	v_lshl_add_u64 v[6:7], v[6:7], 1, v[2:3]
	global_load_dwordx2 v[30:31], v[6:7], off
	global_load_dwordx2 v[44:45], v[6:7], off offset:512
	global_load_dwordx2 v[52:53], v[6:7], off offset:1024
	;; [unrolled: 1-line block ×7, first 2 shown]
	v_add_co_u32_e64 v46, s[0:1], s34, v6
	ds_read_b64 v[8:9], v38
	s_nop 0
	v_addc_co_u32_e64 v47, s[0:1], 0, v7, s[0:1]
	global_load_dwordx2 v[20:21], v[46:47], off
	v_cmp_lt_i32_e64 s[0:1], v41, v36
	s_waitcnt lgkmcnt(0)
	v_lshrrev_b32_e32 v43, 16, v8
	v_and_b32_e32 v48, 0xffff, v8
	v_lshrrev_b32_e32 v55, 16, v9
	v_and_b32_e32 v54, 0xffff, v9
	global_load_dwordx2 v[16:17], v[46:47], off offset:512
	global_load_dwordx2 v[14:15], v[46:47], off offset:1024
	;; [unrolled: 1-line block ×6, first 2 shown]
	;;#ASMSTART
	v_cvt_f32_f16 v51, v48;
	;;#ASMEND
	;;#ASMSTART
	v_cvt_f32_f16 v43, v43;
	;;#ASMEND
	s_waitcnt vmcnt(14)
	v_lshrrev_b32_e32 v56, 16, v30
	v_and_b32_e32 v30, 0xffff, v30
	v_lshrrev_b32_e32 v57, 16, v31
	v_and_b32_e32 v31, 0xffff, v31
	s_waitcnt vmcnt(13)
	v_lshrrev_b32_e32 v49, 16, v44
	v_and_b32_e32 v58, 0xffff, v44
	v_lshrrev_b32_e32 v48, 16, v45
	v_and_b32_e32 v50, 0xffff, v45
	;; [unrolled: 5-line block ×3, first 2 shown]
	;;#ASMSTART
	v_cvt_f32_f16 v52, v30;
	;;#ASMEND
	;;#ASMSTART
	v_cvt_f32_f16 v53, v56;
	;;#ASMEND
	;; [unrolled: 3-line block ×6, first 2 shown]
	ds_read_b64 v[30:31], v38 offset:8
	s_waitcnt vmcnt(11)
	v_lshrrev_b32_e32 v59, 16, v28
	v_and_b32_e32 v60, 0xffff, v28
	v_lshrrev_b32_e32 v61, 16, v29
	v_and_b32_e32 v62, 0xffff, v29
	s_waitcnt lgkmcnt(0)
	v_and_b32_e32 v28, 0xffff, v30
	;;#ASMSTART
	v_cvt_f32_f16 v28, v28;
	;;#ASMEND
	v_lshrrev_b32_e32 v29, 16, v30
	;;#ASMSTART
	v_cvt_f32_f16 v29, v29;
	;;#ASMEND
	;;#ASMSTART
	v_cvt_f32_f16 v30, v58;
	;;#ASMEND
	s_waitcnt vmcnt(8)
	v_lshrrev_b32_e32 v65, 16, v22
	v_mul_f32_e32 v28, v28, v30
	v_fmac_f32_e32 v28, v51, v52
	v_lshrrev_b32_e32 v51, 16, v26
	v_and_b32_e32 v52, 0xffff, v26
	;;#ASMSTART
	v_cvt_f32_f16 v26, v49;
	;;#ASMEND
	v_and_b32_e32 v66, 0xffff, v22
	v_mul_f32_e32 v26, v29, v26
	v_lshrrev_b32_e32 v67, 16, v23
	v_and_b32_e32 v68, 0xffff, v23
	v_lshrrev_b32_e32 v23, 16, v31
	v_and_b32_e32 v22, 0xffff, v31
	v_lshrrev_b32_e32 v49, 16, v24
	v_fmac_f32_e32 v26, v43, v53
	v_and_b32_e32 v43, 0xffff, v24
	;;#ASMSTART
	v_cvt_f32_f16 v22, v22;
	;;#ASMEND
	;;#ASMSTART
	v_cvt_f32_f16 v23, v23;
	;;#ASMEND
	;; [unrolled: 3-line block ×3, first 2 shown]
	v_lshrrev_b32_e32 v58, 16, v27
	v_and_b32_e32 v63, 0xffff, v27
	v_lshrrev_b32_e32 v53, 16, v25
	v_and_b32_e32 v64, 0xffff, v25
	v_mul_f32_e32 v22, v22, v24
	;;#ASMSTART
	v_cvt_f32_f16 v27, v48;
	;;#ASMEND
	ds_read_b64 v[24:25], v38 offset:16
	v_mul_f32_e32 v23, v23, v27
	v_fmac_f32_e32 v22, v54, v56
	s_waitcnt vmcnt(7)
	v_lshrrev_b32_e32 v48, 16, v18
	v_lshrrev_b32_e32 v50, 16, v19
	s_waitcnt lgkmcnt(0)
	v_lshrrev_b32_e32 v27, 16, v24
	v_and_b32_e32 v24, 0xffff, v24
	;;#ASMSTART
	v_cvt_f32_f16 v24, v24;
	;;#ASMEND
	;;#ASMSTART
	v_cvt_f32_f16 v27, v27;
	;;#ASMEND
	;; [unrolled: 3-line block ×3, first 2 shown]
	v_and_b32_e32 v47, 0xffff, v18
	v_fmac_f32_e32 v28, v24, v29
	v_and_b32_e32 v54, 0xffff, v19
	v_lshrrev_b32_e32 v19, 16, v25
	v_and_b32_e32 v24, 0xffff, v25
	;;#ASMSTART
	v_cvt_f32_f16 v18, v44;
	;;#ASMEND
	;;#ASMSTART
	v_cvt_f32_f16 v24, v24;
	;;#ASMEND
	;; [unrolled: 3-line block ×5, first 2 shown]
	v_fmac_f32_e32 v23, v55, v57
	v_fmac_f32_e32 v26, v27, v18
	ds_read_b64 v[18:19], v38 offset:24
	s_waitcnt vmcnt(6)
	v_lshrrev_b32_e32 v55, 16, v20
	v_and_b32_e32 v44, 0xffff, v20
	v_fmac_f32_e32 v22, v24, v29
	v_fmac_f32_e32 v23, v25, v30
	s_waitcnt lgkmcnt(0)
	v_lshrrev_b32_e32 v20, 16, v18
	v_and_b32_e32 v18, 0xffff, v18
	v_lshrrev_b32_e32 v25, 16, v19
	v_and_b32_e32 v24, 0xffff, v19
	;;#ASMSTART
	v_cvt_f32_f16 v18, v18;
	;;#ASMEND
	;;#ASMSTART
	v_cvt_f32_f16 v20, v20;
	;;#ASMEND
	;; [unrolled: 3-line block ×3, first 2 shown]
	v_lshrrev_b32_e32 v45, 16, v21
	v_and_b32_e32 v46, 0xffff, v21
	;;#ASMSTART
	v_cvt_f32_f16 v21, v59;
	;;#ASMEND
	;;#ASMSTART
	v_cvt_f32_f16 v24, v24;
	;;#ASMEND
	;; [unrolled: 3-line block ×5, first 2 shown]
	v_fmac_f32_e32 v28, v18, v19
	ds_read_b64 v[18:19], v38 offset:32
	v_fmac_f32_e32 v26, v20, v21
	v_fmac_f32_e32 v23, v25, v29
	;; [unrolled: 1-line block ×3, first 2 shown]
	s_waitcnt vmcnt(5)
	v_lshrrev_b32_e32 v56, 16, v16
	s_waitcnt lgkmcnt(0)
	v_lshrrev_b32_e32 v21, 16, v18
	v_and_b32_e32 v18, 0xffff, v18
	v_lshrrev_b32_e32 v29, 16, v19
	v_and_b32_e32 v19, 0xffff, v19
	;;#ASMSTART
	v_cvt_f32_f16 v20, v18;
	;;#ASMEND
	;;#ASMSTART
	v_cvt_f32_f16 v21, v21;
	;;#ASMEND
	;;#ASMSTART
	v_cvt_f32_f16 v24, v52;
	;;#ASMEND
	;;#ASMSTART
	v_cvt_f32_f16 v25, v51;
	;;#ASMEND
	;;#ASMSTART
	v_cvt_f32_f16 v27, v19;
	;;#ASMEND
	;;#ASMSTART
	v_cvt_f32_f16 v29, v29;
	;;#ASMEND
	;;#ASMSTART
	v_cvt_f32_f16 v30, v63;
	;;#ASMEND
	;;#ASMSTART
	v_cvt_f32_f16 v31, v58;
	;;#ASMEND
	ds_read_b64 v[18:19], v38 offset:40
	v_fmac_f32_e32 v26, v21, v25
	v_fmac_f32_e32 v23, v29, v31
	v_fmac_f32_e32 v28, v20, v24
	v_fmac_f32_e32 v22, v27, v30
	s_waitcnt lgkmcnt(0)
	v_lshrrev_b32_e32 v21, 16, v18
	v_and_b32_e32 v18, 0xffff, v18
	v_lshrrev_b32_e32 v29, 16, v19
	v_and_b32_e32 v19, 0xffff, v19
	;;#ASMSTART
	v_cvt_f32_f16 v20, v18;
	;;#ASMEND
	;;#ASMSTART
	v_cvt_f32_f16 v21, v21;
	;;#ASMEND
	;;#ASMSTART
	v_cvt_f32_f16 v24, v43;
	;;#ASMEND
	;;#ASMSTART
	v_cvt_f32_f16 v25, v49;
	;;#ASMEND
	;;#ASMSTART
	v_cvt_f32_f16 v27, v19;
	;;#ASMEND
	;;#ASMSTART
	v_cvt_f32_f16 v29, v29;
	;;#ASMEND
	;;#ASMSTART
	v_cvt_f32_f16 v30, v64;
	;;#ASMEND
	;;#ASMSTART
	v_cvt_f32_f16 v31, v53;
	;;#ASMEND
	ds_read_b64 v[18:19], v38 offset:48
	v_fmac_f32_e32 v26, v21, v25
	v_fmac_f32_e32 v23, v29, v31
	v_fmac_f32_e32 v28, v20, v24
	v_fmac_f32_e32 v22, v27, v30
	;; [unrolled: 34-line block ×4, first 2 shown]
	s_waitcnt lgkmcnt(0)
	v_lshrrev_b32_e32 v21, 16, v18
	v_and_b32_e32 v18, 0xffff, v18
	v_lshrrev_b32_e32 v29, 16, v19
	v_and_b32_e32 v19, 0xffff, v19
	;;#ASMSTART
	v_cvt_f32_f16 v20, v18;
	;;#ASMEND
	;;#ASMSTART
	v_cvt_f32_f16 v21, v21;
	;;#ASMEND
	;; [unrolled: 3-line block ×8, first 2 shown]
	ds_read_b64 v[18:19], v38 offset:72
	v_fmac_f32_e32 v28, v20, v24
	v_and_b32_e32 v16, 0xffff, v16
	v_fmac_f32_e32 v26, v21, v25
	v_fmac_f32_e32 v22, v27, v30
	s_waitcnt lgkmcnt(0)
	v_lshrrev_b32_e32 v20, 16, v18
	v_and_b32_e32 v18, 0xffff, v18
	;;#ASMSTART
	v_cvt_f32_f16 v18, v18;
	;;#ASMEND
	;;#ASMSTART
	v_cvt_f32_f16 v20, v20;
	;;#ASMEND
	;;#ASMSTART
	v_cvt_f32_f16 v21, v16;
	;;#ASMEND
	v_lshrrev_b32_e32 v16, 16, v19
	v_and_b32_e32 v19, 0xffff, v19
	;;#ASMSTART
	v_cvt_f32_f16 v24, v56;
	;;#ASMEND
	;;#ASMSTART
	v_cvt_f32_f16 v19, v19;
	;;#ASMEND
	;;#ASMSTART
	v_cvt_f32_f16 v25, v16;
	;;#ASMEND
	v_lshrrev_b32_e32 v16, 16, v17
	v_and_b32_e32 v17, 0xffff, v17
	v_fmac_f32_e32 v23, v29, v31
	;;#ASMSTART
	v_cvt_f32_f16 v27, v17;
	;;#ASMEND
	;;#ASMSTART
	v_cvt_f32_f16 v29, v16;
	;;#ASMEND
	ds_read_b64 v[16:17], v38 offset:80
	v_fmac_f32_e32 v28, v18, v21
	v_fmac_f32_e32 v26, v20, v24
	s_waitcnt vmcnt(4)
	v_lshrrev_b32_e32 v20, 16, v14
	v_and_b32_e32 v14, 0xffff, v14
	s_waitcnt lgkmcnt(0)
	v_lshrrev_b32_e32 v18, 16, v16
	v_and_b32_e32 v16, 0xffff, v16
	v_fmac_f32_e32 v22, v19, v27
	;;#ASMSTART
	v_cvt_f32_f16 v16, v16;
	;;#ASMEND
	;;#ASMSTART
	v_cvt_f32_f16 v18, v18;
	;;#ASMEND
	;;#ASMSTART
	v_cvt_f32_f16 v19, v14;
	;;#ASMEND
	v_lshrrev_b32_e32 v14, 16, v17
	v_and_b32_e32 v17, 0xffff, v17
	;;#ASMSTART
	v_cvt_f32_f16 v20, v20;
	;;#ASMEND
	;;#ASMSTART
	v_cvt_f32_f16 v17, v17;
	;;#ASMEND
	;;#ASMSTART
	v_cvt_f32_f16 v21, v14;
	;;#ASMEND
	v_lshrrev_b32_e32 v14, 16, v15
	v_and_b32_e32 v15, 0xffff, v15
	v_fmac_f32_e32 v23, v25, v29
	;;#ASMSTART
	v_cvt_f32_f16 v24, v15;
	;;#ASMEND
	;;#ASMSTART
	v_cvt_f32_f16 v25, v14;
	;;#ASMEND
	ds_read_b64 v[14:15], v38 offset:88
	v_fmac_f32_e32 v28, v16, v19
	v_fmac_f32_e32 v26, v18, v20
	s_waitcnt vmcnt(3)
	v_lshrrev_b32_e32 v18, 16, v12
	v_and_b32_e32 v12, 0xffff, v12
	s_waitcnt lgkmcnt(0)
	v_lshrrev_b32_e32 v16, 16, v14
	v_and_b32_e32 v14, 0xffff, v14
	v_fmac_f32_e32 v22, v17, v24
	;; [unrolled: 39-line block ×4, first 2 shown]
	;;#ASMSTART
	v_cvt_f32_f16 v10, v10;
	;;#ASMEND
	;;#ASMSTART
	v_cvt_f32_f16 v12, v12;
	;;#ASMEND
	;; [unrolled: 3-line block ×3, first 2 shown]
	v_lshrrev_b32_e32 v8, 16, v11
	v_and_b32_e32 v11, 0xffff, v11
	;;#ASMSTART
	v_cvt_f32_f16 v14, v14;
	;;#ASMEND
	;;#ASMSTART
	v_cvt_f32_f16 v11, v11;
	;;#ASMEND
	;; [unrolled: 3-line block ×3, first 2 shown]
	v_lshrrev_b32_e32 v8, 16, v9
	v_and_b32_e32 v9, 0xffff, v9
	v_fmac_f32_e32 v23, v17, v19
	;;#ASMSTART
	v_cvt_f32_f16 v16, v9;
	;;#ASMEND
	;;#ASMSTART
	v_cvt_f32_f16 v17, v8;
	;;#ASMEND
	ds_read_b64 v[8:9], v38 offset:112
	v_fmac_f32_e32 v28, v10, v13
	v_fmac_f32_e32 v22, v11, v16
	s_waitcnt vmcnt(0)
	v_lshrrev_b32_e32 v11, 16, v6
	v_and_b32_e32 v6, 0xffff, v6
	s_waitcnt lgkmcnt(0)
	v_lshrrev_b32_e32 v10, 16, v8
	v_and_b32_e32 v8, 0xffff, v8
	;;#ASMSTART
	v_cvt_f32_f16 v8, v8;
	;;#ASMEND
	;;#ASMSTART
	v_cvt_f32_f16 v10, v10;
	;;#ASMEND
	;; [unrolled: 3-line block ×3, first 2 shown]
	v_fmac_f32_e32 v26, v12, v14
	v_fmac_f32_e32 v28, v8, v6
	v_and_b32_e32 v6, 0xffff, v9
	;;#ASMSTART
	v_cvt_f32_f16 v11, v11;
	;;#ASMEND
	v_lshrrev_b32_e32 v8, 16, v9
	v_fmac_f32_e32 v26, v10, v11
	;;#ASMSTART
	v_cvt_f32_f16 v6, v6;
	;;#ASMEND
	v_lshrrev_b32_e32 v9, 16, v7
	v_and_b32_e32 v7, 0xffff, v7
	v_fmac_f32_e32 v23, v15, v17
	;;#ASMSTART
	v_cvt_f32_f16 v8, v8;
	;;#ASMEND
	;;#ASMSTART
	v_cvt_f32_f16 v7, v7;
	;;#ASMEND
	;; [unrolled: 3-line block ×3, first 2 shown]
	s_nop 0
	v_fmac_f32_e32 v22, v6, v7
	v_add_f32_e32 v6, v28, v26
	v_fmac_f32_e32 v23, v8, v9
	v_add_f32_e32 v6, v6, v22
	v_cndmask_b32_e64 v7, v34, v41, s[0:1]
	v_add_f32_e32 v6, v23, v6
	v_lshlrev_b32_e32 v7, 2, v7
	ds_bpermute_b32 v7, v7, v6
	s_and_saveexec_b64 s[30:31], vcc
	s_cbranch_execz .LBB104_8
; %bb.10:                               ;   in Loop: Header=BB104_9 Depth=1
	v_add_u32_e32 v8, s15, v39
	v_cvt_f32_i32_e32 v8, v8
	s_waitcnt lgkmcnt(0)
	v_add_f32_e32 v6, v6, v7
	v_cmp_gt_i32_e64 s[0:1], s33, v39
	v_max_f32_e32 v7, v37, v37
	v_mul_f32_e32 v8, s8, v8
	v_cndmask_b32_e64 v8, 0, v8, s[2:3]
	v_fmac_f32_e32 v8, s9, v6
	v_cndmask_b32_e64 v6, 0, v8, s[0:1]
	ds_write_b32 v40, v6
	v_max_f32_e32 v6, v7, v8
	v_cndmask_b32_e64 v37, v37, v6, s[0:1]
	s_branch .LBB104_8
.LBB104_11:
	s_or_b64 exec, exec, s[28:29]
.LBB104_12:
	s_or_b64 exec, exec, s[26:27]
	v_xor_b32_e32 v2, 32, v34
	v_cmp_lt_i32_e32 vcc, v2, v36
	v_xor_b32_e32 v5, 16, v34
	v_max_f32_e32 v4, v37, v37
	v_cndmask_b32_e32 v2, v34, v2, vcc
	v_lshlrev_b32_e32 v2, 2, v2
	ds_bpermute_b32 v3, v2, v37
	v_cmp_lt_i32_e32 vcc, v5, v36
	v_xor_b32_e32 v6, 8, v34
	s_waitcnt lgkmcnt(0)
	v_xor_b32_e32 v7, 4, v34
	v_xor_b32_e32 v9, 2, v34
	v_max_f32_e32 v3, v3, v3
	v_max_f32_e32 v4, v4, v3
	v_cndmask_b32_e32 v3, v34, v5, vcc
	v_lshlrev_b32_e32 v3, 2, v3
	ds_bpermute_b32 v5, v3, v4
	v_cmp_lt_i32_e32 vcc, v6, v36
	s_waitcnt lgkmcnt(0)
	v_max_f32_e32 v5, v5, v5
	v_max_f32_e32 v4, v4, v5
	v_cndmask_b32_e32 v5, v34, v6, vcc
	v_lshlrev_b32_e32 v5, 2, v5
	ds_bpermute_b32 v6, v5, v4
	v_cmp_lt_i32_e32 vcc, v7, v36
	s_waitcnt lgkmcnt(0)
	;; [unrolled: 7-line block ×3, first 2 shown]
	v_max_f32_e32 v7, v7, v7
	v_max_f32_e32 v8, v4, v7
	v_cndmask_b32_e32 v4, v34, v9, vcc
	v_lshlrev_b32_e32 v25, 2, v4
	ds_bpermute_b32 v9, v25, v8
	v_and_b32_e32 v4, 63, v0
	v_cmp_eq_u32_e32 vcc, 0, v4
	v_lshlrev_b32_e32 v7, 2, v32
	s_and_saveexec_b64 s[0:1], vcc
	s_cbranch_execz .LBB104_14
; %bb.13:
	s_waitcnt lgkmcnt(0)
	v_max_f32_e32 v9, v9, v9
	v_max_f32_e32 v8, v8, v8
	;; [unrolled: 1-line block ×3, first 2 shown]
	ds_write_b32 v7, v8 offset:240
.LBB104_14:
	s_or_b64 exec, exec, s[0:1]
	v_cmp_gt_u32_e64 s[0:1], 2, v4
	s_waitcnt lgkmcnt(0)
	v_mov_b32_e32 v9, 0xff7fffff
	v_lshlrev_b32_e32 v8, 2, v4
	s_barrier
	s_and_saveexec_b64 s[2:3], s[0:1]
; %bb.15:
	ds_read_b32 v9, v8 offset:240
; %bb.16:
	s_or_b64 exec, exec, s[2:3]
	v_xor_b32_e32 v10, 1, v34
	v_cmp_lt_i32_e64 s[2:3], v10, v36
	s_nop 1
	v_cndmask_b32_e64 v10, v34, v10, s[2:3]
	v_lshlrev_b32_e32 v26, 2, v10
	s_waitcnt lgkmcnt(0)
	ds_bpermute_b32 v10, v26, v9
	v_max_f32_e32 v9, v9, v9
	s_lshl_b32 s2, s17, 5
	s_min_i32 s12, s2, s33
	v_cmp_gt_i32_e64 s[2:3], s12, v0
	s_waitcnt lgkmcnt(0)
	v_max_f32_e32 v10, v10, v10
	v_max_f32_e32 v9, v9, v10
	v_lshlrev_b32_e32 v10, 2, v35
	ds_bpermute_b32 v10, v10, v9
	v_mov_b32_e32 v9, 0
	s_and_saveexec_b64 s[26:27], s[2:3]
	s_cbranch_execz .LBB104_20
; %bb.17:
	v_mov_b32_e32 v9, 0x100
	v_lshl_add_u32 v11, v0, 2, v9
	v_mov_b32_e32 v9, 0
	s_mov_b64 s[28:29], 0
	v_mov_b32_e32 v12, v0
.LBB104_18:                             ; =>This Inner Loop Header: Depth=1
	ds_read_b32 v13, v11
	v_add_u32_e32 v12, 0x80, v12
	v_cmp_le_i32_e64 s[8:9], s12, v12
	s_or_b64 s[28:29], s[8:9], s[28:29]
	s_waitcnt lgkmcnt(0)
	v_sub_f32_e32 v13, v13, v10
	v_mul_f32_e32 v13, 0x3fb8aa3b, v13
	v_exp_f32_e32 v13, v13
	ds_write_b32 v11, v13
	v_add_f32_e32 v9, v9, v13
	v_add_u32_e32 v11, 0x200, v11
	s_andn2_b64 exec, exec, s[28:29]
	s_cbranch_execnz .LBB104_18
; %bb.19:
	s_or_b64 exec, exec, s[28:29]
.LBB104_20:
	s_or_b64 exec, exec, s[26:27]
	ds_bpermute_b32 v2, v2, v9
	s_waitcnt lgkmcnt(0)
	v_add_f32_e32 v2, v9, v2
	ds_bpermute_b32 v3, v3, v2
	s_waitcnt lgkmcnt(0)
	v_add_f32_e32 v2, v2, v3
	;; [unrolled: 3-line block ×6, first 2 shown]
	s_and_saveexec_b64 s[8:9], vcc
; %bb.21:
	ds_write_b32 v7, v2 offset:248
; %bb.22:
	s_or_b64 exec, exec, s[8:9]
	s_waitcnt lgkmcnt(0)
	s_barrier
	s_and_saveexec_b64 s[8:9], s[0:1]
; %bb.23:
	ds_read_b32 v2, v8 offset:248
; %bb.24:
	s_or_b64 exec, exec, s[8:9]
	s_waitcnt lgkmcnt(0)
	ds_bpermute_b32 v3, v26, v2
	v_lshlrev_b32_e32 v5, 2, v34
	s_waitcnt lgkmcnt(0)
	v_add_f32_e32 v2, v2, v3
	v_and_b32_e32 v3, 0xffffff00, v5
	ds_bpermute_b32 v2, v3, v2
	s_and_saveexec_b64 s[0:1], s[2:3]
	s_cbranch_execz .LBB104_37
; %bb.25:
	s_waitcnt lgkmcnt(0)
	v_add_f32_e32 v2, 0x358637bd, v2
	v_div_scale_f32 v3, s[2:3], v2, v2, 1.0
	v_rcp_f32_e32 v5, v3
	v_div_scale_f32 v6, vcc, 1.0, v2, 1.0
	s_movk_i32 s2, 0x7f
	v_fma_f32 v7, -v3, v5, 1.0
	v_fmac_f32_e32 v5, v7, v5
	v_mul_f32_e32 v7, v6, v5
	v_fma_f32 v8, -v3, v7, v6
	v_fmac_f32_e32 v7, v8, v5
	v_fma_f32 v3, -v3, v7, v6
	v_div_fmas_f32 v3, v3, v5, v7
	v_xad_u32 v5, v0, -1, s12
	v_div_fixup_f32 v2, v3, v2, 1.0
	v_cmp_lt_u32_e32 vcc, s2, v5
	s_mov_b64 s[8:9], -1
	v_mov_b32_e32 v3, v0
	s_and_saveexec_b64 s[2:3], vcc
	s_cbranch_execz .LBB104_34
; %bb.26:
	v_lshrrev_b32_e32 v5, 7, v5
	v_add_u32_e32 v7, -1, v5
	v_lshrrev_b32_e32 v6, 1, v7
	v_mov_b32_e32 v3, v2
	v_add_u32_e32 v6, 1, v6
	v_cmp_lt_u32_e32 vcc, 13, v7
	v_mov_b32_e32 v9, 0
	s_and_saveexec_b64 s[8:9], vcc
	s_cbranch_execz .LBB104_30
; %bb.27:
	v_mov_b32_e32 v8, 0x100
	v_and_b32_e32 v7, -8, v6
	v_lshl_add_u32 v8, v0, 2, v8
	s_mov_b32 s15, 0
	s_mov_b64 s[26:27], 0
.LBB104_28:                             ; =>This Inner Loop Header: Depth=1
	ds_read2st64_b32 v[10:11], v8 offset1:2
	ds_read2st64_b32 v[12:13], v8 offset0:4 offset1:6
	ds_read2st64_b32 v[14:15], v8 offset0:8 offset1:10
	;; [unrolled: 1-line block ×3, first 2 shown]
	v_add_u32_e32 v7, -8, v7
	s_waitcnt lgkmcnt(3)
	v_pk_mul_f32 v[10:11], v[2:3], v[10:11]
	s_waitcnt lgkmcnt(2)
	v_pk_mul_f32 v[12:13], v[2:3], v[12:13]
	ds_write2st64_b32 v8, v10, v11 offset1:2
	ds_write2st64_b32 v8, v12, v13 offset0:4 offset1:6
	ds_read2st64_b32 v[12:13], v8 offset0:16 offset1:18
	s_waitcnt lgkmcnt(4)
	v_pk_mul_f32 v[10:11], v[2:3], v[14:15]
	ds_write2st64_b32 v8, v10, v11 offset0:8 offset1:10
	s_waitcnt lgkmcnt(4)
	v_pk_mul_f32 v[10:11], v[2:3], v[16:17]
	ds_write2st64_b32 v8, v10, v11 offset0:12 offset1:14
	ds_read2st64_b32 v[10:11], v8 offset0:20 offset1:22
	s_waitcnt lgkmcnt(3)
	v_pk_mul_f32 v[12:13], v[2:3], v[12:13]
	ds_read2st64_b32 v[14:15], v8 offset0:24 offset1:26
	ds_write2st64_b32 v8, v12, v13 offset0:16 offset1:18
	ds_read2st64_b32 v[12:13], v8 offset0:28 offset1:30
	s_waitcnt lgkmcnt(3)
	v_pk_mul_f32 v[10:11], v[2:3], v[10:11]
	ds_write2st64_b32 v8, v10, v11 offset0:20 offset1:22
	s_waitcnt lgkmcnt(3)
	v_pk_mul_f32 v[10:11], v[2:3], v[14:15]
	ds_write2st64_b32 v8, v10, v11 offset0:24 offset1:26
	s_waitcnt lgkmcnt(2)
	v_pk_mul_f32 v[10:11], v[2:3], v[12:13]
	s_add_i32 s15, s15, 16
	v_cmp_eq_u32_e32 vcc, 0, v7
	ds_write2st64_b32 v8, v10, v11 offset0:28 offset1:30
	v_add_u32_e32 v8, 0x2000, v8
	s_or_b64 s[26:27], vcc, s[26:27]
	v_mov_b32_e32 v9, s15
	s_andn2_b64 exec, exec, s[26:27]
	s_cbranch_execnz .LBB104_28
; %bb.29:
	s_or_b64 exec, exec, s[26:27]
.LBB104_30:
	s_or_b64 exec, exec, s[8:9]
	v_and_b32_e32 v6, 7, v6
	v_cmp_ne_u32_e32 vcc, 0, v6
	s_and_saveexec_b64 s[8:9], vcc
	s_cbranch_execz .LBB104_33
; %bb.31:
	v_lshlrev_b32_e32 v7, 9, v9
	v_lshlrev_b32_e32 v8, 2, v0
	s_movk_i32 s15, 0x100
	v_add3_u32 v7, v7, v8, s15
	s_mov_b64 s[26:27], 0
.LBB104_32:                             ; =>This Inner Loop Header: Depth=1
	ds_read2st64_b32 v[8:9], v7 offset1:2
	v_add_u32_e32 v6, -1, v6
	v_cmp_eq_u32_e32 vcc, 0, v6
	s_or_b64 s[26:27], vcc, s[26:27]
	s_waitcnt lgkmcnt(0)
	v_pk_mul_f32 v[8:9], v[2:3], v[8:9]
	ds_write2st64_b32 v7, v8, v9 offset1:2
	v_add_u32_e32 v7, 0x400, v7
	s_andn2_b64 exec, exec, s[26:27]
	s_cbranch_execnz .LBB104_32
.LBB104_33:
	s_or_b64 exec, exec, s[8:9]
	v_add_u32_e32 v5, 1, v5
	v_and_b32_e32 v6, 0x3fffffe, v5
	v_cmp_ne_u32_e32 vcc, v5, v6
	v_lshl_add_u32 v3, v6, 7, v0
	s_orn2_b64 s[8:9], vcc, exec
.LBB104_34:
	s_or_b64 exec, exec, s[2:3]
	s_and_b64 exec, exec, s[8:9]
	s_cbranch_execz .LBB104_37
; %bb.35:
	v_mov_b32_e32 v5, 0x100
	v_lshl_add_u32 v5, v3, 2, v5
	s_mov_b64 s[2:3], 0
.LBB104_36:                             ; =>This Inner Loop Header: Depth=1
	ds_read_b32 v6, v5
	v_add_u32_e32 v3, 0x80, v3
	v_cmp_le_i32_e32 vcc, s12, v3
	s_or_b64 s[2:3], vcc, s[2:3]
	s_waitcnt lgkmcnt(0)
	v_mul_f32_e32 v6, v2, v6
	ds_write_b32 v5, v6
	v_add_u32_e32 v5, 0x200, v5
	s_andn2_b64 exec, exec, s[2:3]
	s_cbranch_execnz .LBB104_36
.LBB104_37:
	s_or_b64 exec, exec, s[0:1]
	v_lshrrev_b32_e32 v27, 2, v4
	s_waitcnt lgkmcnt(0)
	s_barrier
	s_and_saveexec_b64 s[0:1], s[6:7]
	s_xor_b64 s[0:1], exec, s[0:1]
; %bb.38:
	v_lshrrev_b32_e32 v27, 2, v4
                                        ; implicit-def: $vgpr32
                                        ; implicit-def: $vgpr1
                                        ; implicit-def: $vgpr33
; %bb.39:
	s_or_saveexec_b64 s[6:7], s[0:1]
	v_mov_b32_e32 v7, 0
	v_and_b32_e32 v28, 3, v0
	v_mov_b32_e32 v6, 0
	v_mov_b32_e32 v9, 0
	;; [unrolled: 1-line block ×7, first 2 shown]
	s_xor_b64 exec, exec, s[6:7]
	s_cbranch_execz .LBB104_61
; %bb.40:
	s_ashr_i32 s15, s14, 31
	s_lshl_b64 s[0:1], s[14:15], 1
	s_add_u32 s8, s24, s0
	v_and_b32_e32 v1, 24, v1
	s_addc_u32 s9, s25, s1
	s_add_i32 s24, s17, -1
	v_or_b32_e32 v3, 0x70, v27
	s_lshl_b64 s[2:3], s[22:23], 2
	v_lshl_or_b32 v2, v27, 5, v1
	v_lshl_or_b32 v4, v3, 5, v1
	;; [unrolled: 1-line block ×3, first 2 shown]
	v_lshlrev_b32_e32 v1, 5, v28
	s_add_u32 s2, s20, s2
	v_mov_b32_e32 v15, 0
	s_movk_i32 s0, 0x78
	v_lshl_or_b32 v1, v32, 7, v1
	v_and_b32_e32 v14, 60, v33
	s_addc_u32 s3, s21, s3
	s_mov_b32 s26, s13
	v_cmp_gt_u32_e64 s[0:1], s0, v3
	s_mov_b32 s25, s33
	v_add_u32_e32 v30, 0x100, v1
	v_lshl_add_u64 v[16:17], s[2:3], 0, v[14:15]
	s_mov_b64 s[12:13], 0
	v_lshlrev_b32_e32 v18, 1, v2
	v_mov_b32_e32 v19, v15
	s_mov_b32 s22, 0xffff
	s_movk_i32 s23, 0x1000
	v_lshlrev_b32_e32 v14, 1, v4
	v_mov_b32_e32 v7, v15
	v_mov_b32_e32 v6, v15
	;; [unrolled: 1-line block ×8, first 2 shown]
	s_branch .LBB104_43
.LBB104_41:                             ;   in Loop: Header=BB104_43 Depth=1
	s_or_b64 exec, exec, s[20:21]
	v_lshlrev_b32_e32 v20, 16, v20
	v_lshlrev_b32_e32 v1, 16, v1
	v_and_or_b32 v2, v2, s22, v20
	v_and_or_b32 v1, v3, s22, v1
	v_lshlrev_b32_e32 v3, 16, v21
	v_and_or_b32 v3, v4, s22, v3
	;;#ASMSTART
	v_pk_mul_f16 v2, v35, v2;

	;;#ASMEND
	;;#ASMSTART
	v_pk_mul_f16 v1, v36, v1;

	;;#ASMEND
	;; [unrolled: 4-line block ×4, first 2 shown]
	s_nop 0
	;;#ASMSTART
	v_pk_add_f16 v1, v2, v1;

	;;#ASMEND
	s_nop 0
	;;#ASMSTART
	v_pk_add_f16 v1, v1, v3;

	;;#ASMEND
	;; [unrolled: 5-line block ×3, first 2 shown]
	s_nop 0
	v_lshrrev_b32_e32 v2, 16, v1
	v_and_b32_e32 v1, 0xffff, v1
	;;#ASMSTART
	v_cvt_f32_f16 v1, v1;
	;;#ASMEND
	;;#ASMSTART
	v_cvt_f32_f16 v2, v2;
	;;#ASMEND
	s_nop 0
	v_add_f32_e32 v1, v1, v2
	v_add_f32_e32 v7, v7, v1
.LBB104_42:                             ;   in Loop: Header=BB104_43 Depth=1
	s_or_b64 exec, exec, s[14:15]
	v_add_f32_e32 v1, v22, v23
	v_add_f32_e32 v6, v6, v1
	;; [unrolled: 1-line block ×11, first 2 shown]
	v_add_u32_e32 v32, 2, v32
	v_add_f32_e32 v13, v13, v1
	v_add_f32_e32 v1, v31, v33
	v_cmp_le_i32_e32 vcc, s17, v32
	v_add_f32_e32 v12, v12, v1
	v_add_u32_e32 v29, 64, v29
	v_add_u32_e32 v30, 0x100, v30
	s_or_b64 s[12:13], vcc, s[12:13]
	v_lshl_add_u64 v[16:17], v[16:17], 0, 8
	s_andn2_b64 exec, exec, s[12:13]
	s_cbranch_execz .LBB104_60
.LBB104_43:                             ; =>This Inner Loop Header: Depth=1
	global_load_dword v1, v[16:17], off
	ds_read2_b64 v[2:5], v30 offset1:1
	ds_read2_b64 v[20:23], v30 offset0:2 offset1:3
	s_waitcnt lgkmcnt(1)
	;;#ASMSTART
	v_cvt_f16_f32 v31, v2;

	;;#ASMEND
	;;#ASMSTART
	v_cvt_f16_f32 v33, v3;

	;;#ASMEND
	;; [unrolled: 4-line block ×4, first 2 shown]
	s_waitcnt lgkmcnt(0)
	;;#ASMSTART
	v_cvt_f16_f32 v37, v20;

	;;#ASMEND
	;;#ASMSTART
	v_cvt_f16_f32 v38, v21;

	;;#ASMEND
	;; [unrolled: 4-line block ×4, first 2 shown]
	s_waitcnt vmcnt(0)
	v_mad_i64_i32 v[2:3], s[2:3], v1, s26, 0
	v_lshl_add_u64 v[20:21], v[2:3], 1, s[8:9]
	v_lshl_add_u64 v[22:23], v[20:21], 0, v[18:19]
	global_load_dwordx4 v[2:5], v[22:23], off
	v_cmp_eq_u32_e64 s[2:3], s24, v32
	s_waitcnt vmcnt(0)
	v_lshrrev_b32_e32 v1, 16, v3
	v_lshrrev_b32_e32 v24, 16, v2
	;; [unrolled: 1-line block ×3, first 2 shown]
	s_and_saveexec_b64 s[14:15], s[2:3]
	s_cbranch_execz .LBB104_45
; %bb.44:                               ;   in Loop: Header=BB104_43 Depth=1
	v_cmp_gt_i32_e32 vcc, s33, v29
	v_add_u32_e32 v43, 2, v29
	v_or_b32_e32 v35, 3, v29
	v_cndmask_b32_e32 v2, 0, v2, vcc
	v_cmp_gt_i32_e32 vcc, s33, v43
	v_or_b32_e32 v42, 1, v29
	s_nop 0
	v_cndmask_b32_e32 v3, 0, v3, vcc
	v_cmp_gt_i32_e32 vcc, s25, v35
	v_add_u32_e32 v35, 4, v29
	s_nop 0
	v_cndmask_b32_e32 v1, 0, v1, vcc
	v_cmp_gt_i32_e32 vcc, s33, v42
	v_add_u32_e32 v42, 7, v29
	;; [unrolled: 4-line block ×4, first 2 shown]
	s_nop 0
	v_cndmask_b32_e32 v41, 0, v41, vcc
	v_cmp_gt_i32_e32 vcc, s33, v35
	s_nop 1
	v_cndmask_b32_sdwa v35, v15, v5, vcc dst_sel:DWORD dst_unused:UNUSED_PAD src0_sel:DWORD src1_sel:WORD_0
	v_and_b32_e32 v5, 0xffff0000, v5
	v_cmp_gt_i32_e32 vcc, s33, v42
	s_nop 1
	v_cndmask_b32_e32 v5, 0, v5, vcc
	v_or_b32_e32 v5, v35, v5
.LBB104_45:                             ;   in Loop: Header=BB104_43 Depth=1
	s_or_b64 exec, exec, s[14:15]
	v_and_b32_e32 v31, 0xffff, v31
	v_lshl_or_b32 v35, v33, 16, v31
	v_and_b32_e32 v31, 0xffff, v34
	v_lshlrev_b32_e32 v24, 16, v24
	v_lshlrev_b32_e32 v1, 16, v1
	v_lshl_or_b32 v36, v36, 16, v31
	v_and_b32_e32 v31, 0xffff, v37
	v_and_or_b32 v2, v2, s22, v24
	v_and_or_b32 v1, v3, s22, v1
	v_lshlrev_b32_e32 v3, 16, v41
	v_lshl_or_b32 v37, v38, 16, v31
	v_and_b32_e32 v31, 0xffff, v39
	v_and_or_b32 v3, v4, s22, v3
	;;#ASMSTART
	v_pk_mul_f16 v2, v35, v2;

	;;#ASMEND
	;;#ASMSTART
	v_pk_mul_f16 v1, v36, v1;

	;;#ASMEND
	v_lshl_or_b32 v34, v40, 16, v31
	;;#ASMSTART
	v_pk_mul_f16 v3, v37, v3;

	;;#ASMEND
	;;#ASMSTART
	v_pk_mul_f16 v4, v34, v5;

	;;#ASMEND
	;;#ASMSTART
	v_pk_add_f16 v1, v2, v1;

	;;#ASMEND
	s_nop 0
	;;#ASMSTART
	v_pk_add_f16 v1, v1, v3;

	;;#ASMEND
	s_nop 0
	;; [unrolled: 5-line block ×3, first 2 shown]
	v_lshrrev_b32_e32 v2, 16, v1
	v_and_b32_e32 v1, 0xffff, v1
	;;#ASMSTART
	v_cvt_f32_f16 v31, v1;
	;;#ASMEND
	;;#ASMSTART
	v_cvt_f32_f16 v33, v2;
	;;#ASMEND
	global_load_dwordx4 v[2:5], v[22:23], off offset:1024
	s_waitcnt vmcnt(0)
	v_lshrrev_b32_e32 v1, 16, v3
	v_lshrrev_b32_e32 v24, 16, v2
	;; [unrolled: 1-line block ×3, first 2 shown]
	s_and_saveexec_b64 s[14:15], s[2:3]
	s_cbranch_execz .LBB104_47
; %bb.46:                               ;   in Loop: Header=BB104_43 Depth=1
	v_cmp_gt_i32_e32 vcc, s33, v29
	v_add_u32_e32 v41, 2, v29
	v_or_b32_e32 v39, 3, v29
	v_cndmask_b32_e32 v2, 0, v2, vcc
	v_cmp_gt_i32_e32 vcc, s33, v41
	v_or_b32_e32 v40, 1, v29
	s_nop 0
	v_cndmask_b32_e32 v3, 0, v3, vcc
	v_cmp_gt_i32_e32 vcc, s25, v39
	v_add_u32_e32 v39, 4, v29
	s_nop 0
	v_cndmask_b32_e32 v1, 0, v1, vcc
	v_cmp_gt_i32_e32 vcc, s33, v40
	v_add_u32_e32 v40, 7, v29
	;; [unrolled: 4-line block ×4, first 2 shown]
	s_nop 0
	v_cndmask_b32_e32 v38, 0, v38, vcc
	v_cmp_gt_i32_e32 vcc, s33, v39
	s_nop 1
	v_cndmask_b32_sdwa v39, v15, v5, vcc dst_sel:DWORD dst_unused:UNUSED_PAD src0_sel:DWORD src1_sel:WORD_0
	v_and_b32_e32 v5, 0xffff0000, v5
	v_cmp_gt_i32_e32 vcc, s33, v40
	s_nop 1
	v_cndmask_b32_e32 v5, 0, v5, vcc
	v_or_b32_e32 v5, v39, v5
.LBB104_47:                             ;   in Loop: Header=BB104_43 Depth=1
	s_or_b64 exec, exec, s[14:15]
	v_lshlrev_b32_e32 v24, 16, v24
	v_lshlrev_b32_e32 v1, 16, v1
	v_and_or_b32 v2, v2, s22, v24
	v_and_or_b32 v1, v3, s22, v1
	v_lshlrev_b32_e32 v3, 16, v38
	v_and_or_b32 v3, v4, s22, v3
	;;#ASMSTART
	v_pk_mul_f16 v2, v35, v2;

	;;#ASMEND
	;;#ASMSTART
	v_pk_mul_f16 v1, v36, v1;

	;;#ASMEND
	;; [unrolled: 4-line block ×4, first 2 shown]
	s_nop 0
	;;#ASMSTART
	v_pk_add_f16 v1, v2, v1;

	;;#ASMEND
	s_nop 0
	;;#ASMSTART
	v_pk_add_f16 v1, v1, v3;

	;;#ASMEND
	;; [unrolled: 5-line block ×3, first 2 shown]
	s_nop 0
	v_lshrrev_b32_e32 v2, 16, v1
	v_and_b32_e32 v1, 0xffff, v1
	;;#ASMSTART
	v_cvt_f32_f16 v38, v1;
	;;#ASMEND
	;;#ASMSTART
	v_cvt_f32_f16 v39, v2;
	;;#ASMEND
	global_load_dwordx4 v[2:5], v[22:23], off offset:2048
	s_waitcnt vmcnt(0)
	v_lshrrev_b32_e32 v1, 16, v3
	v_lshrrev_b32_e32 v24, 16, v2
	;; [unrolled: 1-line block ×3, first 2 shown]
	s_and_saveexec_b64 s[14:15], s[2:3]
	s_cbranch_execz .LBB104_49
; %bb.48:                               ;   in Loop: Header=BB104_43 Depth=1
	v_cmp_gt_i32_e32 vcc, s33, v29
	v_add_u32_e32 v43, 2, v29
	v_or_b32_e32 v41, 3, v29
	v_cndmask_b32_e32 v2, 0, v2, vcc
	v_cmp_gt_i32_e32 vcc, s33, v43
	v_or_b32_e32 v42, 1, v29
	s_nop 0
	v_cndmask_b32_e32 v3, 0, v3, vcc
	v_cmp_gt_i32_e32 vcc, s25, v41
	v_add_u32_e32 v41, 4, v29
	s_nop 0
	v_cndmask_b32_e32 v1, 0, v1, vcc
	v_cmp_gt_i32_e32 vcc, s33, v42
	v_add_u32_e32 v42, 7, v29
	;; [unrolled: 4-line block ×4, first 2 shown]
	s_nop 0
	v_cndmask_b32_e32 v40, 0, v40, vcc
	v_cmp_gt_i32_e32 vcc, s33, v41
	s_nop 1
	v_cndmask_b32_sdwa v41, v15, v5, vcc dst_sel:DWORD dst_unused:UNUSED_PAD src0_sel:DWORD src1_sel:WORD_0
	v_and_b32_e32 v5, 0xffff0000, v5
	v_cmp_gt_i32_e32 vcc, s33, v42
	s_nop 1
	v_cndmask_b32_e32 v5, 0, v5, vcc
	v_or_b32_e32 v5, v41, v5
.LBB104_49:                             ;   in Loop: Header=BB104_43 Depth=1
	s_or_b64 exec, exec, s[14:15]
	v_lshlrev_b32_e32 v24, 16, v24
	v_lshlrev_b32_e32 v1, 16, v1
	v_and_or_b32 v2, v2, s22, v24
	v_and_or_b32 v1, v3, s22, v1
	v_lshlrev_b32_e32 v3, 16, v40
	v_and_or_b32 v3, v4, s22, v3
	;;#ASMSTART
	v_pk_mul_f16 v2, v35, v2;

	;;#ASMEND
	;;#ASMSTART
	v_pk_mul_f16 v1, v36, v1;

	;;#ASMEND
	;; [unrolled: 4-line block ×4, first 2 shown]
	s_nop 0
	;;#ASMSTART
	v_pk_add_f16 v1, v2, v1;

	;;#ASMEND
	s_nop 0
	;;#ASMSTART
	v_pk_add_f16 v1, v1, v3;

	;;#ASMEND
	;; [unrolled: 5-line block ×3, first 2 shown]
	s_nop 0
	v_lshrrev_b32_e32 v2, 16, v1
	v_and_b32_e32 v1, 0xffff, v1
	;;#ASMSTART
	v_cvt_f32_f16 v40, v1;
	;;#ASMEND
	;;#ASMSTART
	v_cvt_f32_f16 v41, v2;
	;;#ASMEND
	global_load_dwordx4 v[2:5], v[22:23], off offset:3072
	s_waitcnt vmcnt(0)
	v_lshrrev_b32_e32 v1, 16, v3
	v_lshrrev_b32_e32 v24, 16, v2
	;; [unrolled: 1-line block ×3, first 2 shown]
	s_and_saveexec_b64 s[14:15], s[2:3]
	s_cbranch_execz .LBB104_51
; %bb.50:                               ;   in Loop: Header=BB104_43 Depth=1
	v_cmp_gt_i32_e32 vcc, s33, v29
	v_add_u32_e32 v45, 2, v29
	v_or_b32_e32 v43, 3, v29
	v_cndmask_b32_e32 v2, 0, v2, vcc
	v_cmp_gt_i32_e32 vcc, s33, v45
	v_or_b32_e32 v44, 1, v29
	s_nop 0
	v_cndmask_b32_e32 v3, 0, v3, vcc
	v_cmp_gt_i32_e32 vcc, s25, v43
	v_add_u32_e32 v43, 4, v29
	s_nop 0
	v_cndmask_b32_e32 v1, 0, v1, vcc
	v_cmp_gt_i32_e32 vcc, s33, v44
	v_add_u32_e32 v44, 7, v29
	;; [unrolled: 4-line block ×4, first 2 shown]
	s_nop 0
	v_cndmask_b32_e32 v42, 0, v42, vcc
	v_cmp_gt_i32_e32 vcc, s33, v43
	s_nop 1
	v_cndmask_b32_sdwa v43, v15, v5, vcc dst_sel:DWORD dst_unused:UNUSED_PAD src0_sel:DWORD src1_sel:WORD_0
	v_and_b32_e32 v5, 0xffff0000, v5
	v_cmp_gt_i32_e32 vcc, s33, v44
	s_nop 1
	v_cndmask_b32_e32 v5, 0, v5, vcc
	v_or_b32_e32 v5, v43, v5
.LBB104_51:                             ;   in Loop: Header=BB104_43 Depth=1
	s_or_b64 exec, exec, s[14:15]
	v_lshlrev_b32_e32 v24, 16, v24
	v_lshlrev_b32_e32 v1, 16, v1
	v_and_or_b32 v2, v2, s22, v24
	v_and_or_b32 v1, v3, s22, v1
	v_lshlrev_b32_e32 v3, 16, v42
	v_and_or_b32 v3, v4, s22, v3
	;;#ASMSTART
	v_pk_mul_f16 v2, v35, v2;

	;;#ASMEND
	;;#ASMSTART
	v_pk_mul_f16 v1, v36, v1;

	;;#ASMEND
	;; [unrolled: 4-line block ×4, first 2 shown]
	v_add_co_u32_e32 v22, vcc, s23, v22
	;;#ASMSTART
	v_pk_add_f16 v1, v2, v1;

	;;#ASMEND
	s_nop 0
	;;#ASMSTART
	v_pk_add_f16 v1, v1, v3;

	;;#ASMEND
	s_nop 0
	v_addc_co_u32_e32 v23, vcc, 0, v23, vcc
	;;#ASMSTART
	v_pk_add_f16 v1, v1, v4;

	;;#ASMEND
	s_nop 0
	v_lshrrev_b32_e32 v2, 16, v1
	v_and_b32_e32 v1, 0xffff, v1
	;;#ASMSTART
	v_cvt_f32_f16 v42, v1;
	;;#ASMEND
	;;#ASMSTART
	v_cvt_f32_f16 v43, v2;
	;;#ASMEND
	global_load_dwordx4 v[2:5], v[22:23], off
	s_waitcnt vmcnt(0)
	v_lshrrev_b32_e32 v1, 16, v3
	v_lshrrev_b32_e32 v24, 16, v2
	;; [unrolled: 1-line block ×3, first 2 shown]
	s_and_saveexec_b64 s[14:15], s[2:3]
	s_cbranch_execz .LBB104_53
; %bb.52:                               ;   in Loop: Header=BB104_43 Depth=1
	v_cmp_gt_i32_e32 vcc, s33, v29
	v_add_u32_e32 v47, 2, v29
	v_or_b32_e32 v45, 3, v29
	v_cndmask_b32_e32 v2, 0, v2, vcc
	v_cmp_gt_i32_e32 vcc, s33, v47
	v_or_b32_e32 v46, 1, v29
	s_nop 0
	v_cndmask_b32_e32 v3, 0, v3, vcc
	v_cmp_gt_i32_e32 vcc, s25, v45
	v_add_u32_e32 v45, 4, v29
	s_nop 0
	v_cndmask_b32_e32 v1, 0, v1, vcc
	v_cmp_gt_i32_e32 vcc, s33, v46
	v_add_u32_e32 v46, 7, v29
	s_nop 0
	v_cndmask_b32_e32 v24, 0, v24, vcc
	v_cmp_gt_i32_e32 vcc, s33, v45
	v_add_u32_e32 v45, 5, v29
	s_nop 0
	v_cndmask_b32_e32 v4, 0, v4, vcc
	v_cmp_gt_i32_e32 vcc, s33, v45
	v_add_u32_e32 v45, 6, v29
	s_nop 0
	v_cndmask_b32_e32 v44, 0, v44, vcc
	v_cmp_gt_i32_e32 vcc, s33, v45
	s_nop 1
	v_cndmask_b32_sdwa v45, v15, v5, vcc dst_sel:DWORD dst_unused:UNUSED_PAD src0_sel:DWORD src1_sel:WORD_0
	v_and_b32_e32 v5, 0xffff0000, v5
	v_cmp_gt_i32_e32 vcc, s33, v46
	s_nop 1
	v_cndmask_b32_e32 v5, 0, v5, vcc
	v_or_b32_e32 v5, v45, v5
.LBB104_53:                             ;   in Loop: Header=BB104_43 Depth=1
	s_or_b64 exec, exec, s[14:15]
	v_lshlrev_b32_e32 v24, 16, v24
	v_lshlrev_b32_e32 v1, 16, v1
	v_and_or_b32 v2, v2, s22, v24
	v_and_or_b32 v1, v3, s22, v1
	v_lshlrev_b32_e32 v3, 16, v44
	v_and_or_b32 v3, v4, s22, v3
	;;#ASMSTART
	v_pk_mul_f16 v2, v35, v2;

	;;#ASMEND
	;;#ASMSTART
	v_pk_mul_f16 v1, v36, v1;

	;;#ASMEND
	;; [unrolled: 4-line block ×4, first 2 shown]
	s_nop 0
	;;#ASMSTART
	v_pk_add_f16 v1, v2, v1;

	;;#ASMEND
	s_nop 0
	;;#ASMSTART
	v_pk_add_f16 v1, v1, v3;

	;;#ASMEND
	;; [unrolled: 5-line block ×3, first 2 shown]
	s_nop 0
	v_lshrrev_b32_e32 v2, 16, v1
	v_and_b32_e32 v1, 0xffff, v1
	;;#ASMSTART
	v_cvt_f32_f16 v44, v1;
	;;#ASMEND
	;;#ASMSTART
	v_cvt_f32_f16 v45, v2;
	;;#ASMEND
	global_load_dwordx4 v[2:5], v[22:23], off offset:1024
	s_waitcnt vmcnt(0)
	v_lshrrev_b32_e32 v1, 16, v3
	v_lshrrev_b32_e32 v24, 16, v2
	;; [unrolled: 1-line block ×3, first 2 shown]
	s_and_saveexec_b64 s[14:15], s[2:3]
	s_cbranch_execz .LBB104_55
; %bb.54:                               ;   in Loop: Header=BB104_43 Depth=1
	v_cmp_gt_i32_e32 vcc, s33, v29
	v_add_u32_e32 v49, 2, v29
	v_or_b32_e32 v47, 3, v29
	v_cndmask_b32_e32 v2, 0, v2, vcc
	v_cmp_gt_i32_e32 vcc, s33, v49
	v_or_b32_e32 v48, 1, v29
	s_nop 0
	v_cndmask_b32_e32 v3, 0, v3, vcc
	v_cmp_gt_i32_e32 vcc, s25, v47
	v_add_u32_e32 v47, 4, v29
	s_nop 0
	v_cndmask_b32_e32 v1, 0, v1, vcc
	v_cmp_gt_i32_e32 vcc, s33, v48
	v_add_u32_e32 v48, 7, v29
	;; [unrolled: 4-line block ×4, first 2 shown]
	s_nop 0
	v_cndmask_b32_e32 v46, 0, v46, vcc
	v_cmp_gt_i32_e32 vcc, s33, v47
	s_nop 1
	v_cndmask_b32_sdwa v47, v15, v5, vcc dst_sel:DWORD dst_unused:UNUSED_PAD src0_sel:DWORD src1_sel:WORD_0
	v_and_b32_e32 v5, 0xffff0000, v5
	v_cmp_gt_i32_e32 vcc, s33, v48
	s_nop 1
	v_cndmask_b32_e32 v5, 0, v5, vcc
	v_or_b32_e32 v5, v47, v5
.LBB104_55:                             ;   in Loop: Header=BB104_43 Depth=1
	s_or_b64 exec, exec, s[14:15]
	v_lshlrev_b32_e32 v24, 16, v24
	v_lshlrev_b32_e32 v1, 16, v1
	v_and_or_b32 v2, v2, s22, v24
	v_and_or_b32 v1, v3, s22, v1
	v_lshlrev_b32_e32 v3, 16, v46
	v_and_or_b32 v3, v4, s22, v3
	;;#ASMSTART
	v_pk_mul_f16 v2, v35, v2;

	;;#ASMEND
	;;#ASMSTART
	v_pk_mul_f16 v1, v36, v1;

	;;#ASMEND
	;; [unrolled: 4-line block ×4, first 2 shown]
	s_nop 0
	;;#ASMSTART
	v_pk_add_f16 v1, v2, v1;

	;;#ASMEND
	s_nop 0
	;;#ASMSTART
	v_pk_add_f16 v1, v1, v3;

	;;#ASMEND
	;; [unrolled: 5-line block ×3, first 2 shown]
	s_nop 0
	v_lshrrev_b32_e32 v2, 16, v1
	v_and_b32_e32 v1, 0xffff, v1
	;;#ASMSTART
	v_cvt_f32_f16 v24, v1;
	;;#ASMEND
	;;#ASMSTART
	v_cvt_f32_f16 v46, v2;
	;;#ASMEND
	global_load_dwordx4 v[2:5], v[22:23], off offset:2048
	s_waitcnt vmcnt(0)
	v_lshrrev_b32_e32 v1, 16, v3
	v_lshrrev_b32_e32 v22, 16, v2
	;; [unrolled: 1-line block ×3, first 2 shown]
	s_and_saveexec_b64 s[14:15], s[2:3]
	s_cbranch_execz .LBB104_57
; %bb.56:                               ;   in Loop: Header=BB104_43 Depth=1
	v_cmp_gt_i32_e32 vcc, s33, v29
	v_add_u32_e32 v49, 2, v29
	v_or_b32_e32 v47, 3, v29
	v_cndmask_b32_e32 v2, 0, v2, vcc
	v_cmp_gt_i32_e32 vcc, s33, v49
	v_or_b32_e32 v48, 1, v29
	s_nop 0
	v_cndmask_b32_e32 v3, 0, v3, vcc
	v_cmp_gt_i32_e32 vcc, s25, v47
	v_add_u32_e32 v47, 4, v29
	s_nop 0
	v_cndmask_b32_e32 v1, 0, v1, vcc
	v_cmp_gt_i32_e32 vcc, s33, v48
	v_add_u32_e32 v48, 7, v29
	;; [unrolled: 4-line block ×4, first 2 shown]
	s_nop 0
	v_cndmask_b32_e32 v23, 0, v23, vcc
	v_cmp_gt_i32_e32 vcc, s33, v47
	s_nop 1
	v_cndmask_b32_sdwa v47, v15, v5, vcc dst_sel:DWORD dst_unused:UNUSED_PAD src0_sel:DWORD src1_sel:WORD_0
	v_and_b32_e32 v5, 0xffff0000, v5
	v_cmp_gt_i32_e32 vcc, s33, v48
	s_nop 1
	v_cndmask_b32_e32 v5, 0, v5, vcc
	v_or_b32_e32 v5, v47, v5
.LBB104_57:                             ;   in Loop: Header=BB104_43 Depth=1
	s_or_b64 exec, exec, s[14:15]
	v_lshlrev_b32_e32 v22, 16, v22
	v_lshlrev_b32_e32 v1, 16, v1
	v_and_or_b32 v2, v2, s22, v22
	v_and_or_b32 v1, v3, s22, v1
	v_lshlrev_b32_e32 v3, 16, v23
	v_and_or_b32 v3, v4, s22, v3
	;;#ASMSTART
	v_pk_mul_f16 v2, v35, v2;

	;;#ASMEND
	;;#ASMSTART
	v_pk_mul_f16 v1, v36, v1;

	;;#ASMEND
	;; [unrolled: 4-line block ×4, first 2 shown]
	s_nop 0
	;;#ASMSTART
	v_pk_add_f16 v1, v2, v1;

	;;#ASMEND
	s_nop 0
	;;#ASMSTART
	v_pk_add_f16 v1, v1, v3;

	;;#ASMEND
	s_nop 0
	;;#ASMSTART
	v_pk_add_f16 v1, v1, v4;

	;;#ASMEND
	s_nop 0
	v_lshrrev_b32_e32 v2, 16, v1
	v_and_b32_e32 v1, 0xffff, v1
	;;#ASMSTART
	v_cvt_f32_f16 v22, v1;
	;;#ASMEND
	;;#ASMSTART
	v_cvt_f32_f16 v23, v2;
	;;#ASMEND
	s_and_saveexec_b64 s[14:15], s[0:1]
	s_cbranch_execz .LBB104_42
; %bb.58:                               ;   in Loop: Header=BB104_43 Depth=1
	v_lshl_add_u64 v[2:3], v[20:21], 0, v[14:15]
	global_load_dwordx4 v[2:5], v[2:3], off
	s_waitcnt vmcnt(0)
	v_lshrrev_b32_e32 v1, 16, v3
	v_lshrrev_b32_e32 v20, 16, v2
	;; [unrolled: 1-line block ×3, first 2 shown]
	s_and_saveexec_b64 s[20:21], s[2:3]
	s_cbranch_execz .LBB104_41
; %bb.59:                               ;   in Loop: Header=BB104_43 Depth=1
	v_cmp_gt_i32_e32 vcc, s33, v29
	v_add_u32_e32 v49, 2, v29
	v_or_b32_e32 v47, 3, v29
	v_cndmask_b32_e32 v2, 0, v2, vcc
	v_cmp_gt_i32_e32 vcc, s33, v49
	v_or_b32_e32 v48, 1, v29
	s_nop 0
	v_cndmask_b32_e32 v3, 0, v3, vcc
	v_cmp_gt_i32_e32 vcc, s25, v47
	v_add_u32_e32 v47, 4, v29
	s_nop 0
	v_cndmask_b32_e32 v1, 0, v1, vcc
	v_cmp_gt_i32_e32 vcc, s33, v48
	v_add_u32_e32 v48, 7, v29
	;; [unrolled: 4-line block ×4, first 2 shown]
	s_nop 0
	v_cndmask_b32_e32 v21, 0, v21, vcc
	v_cmp_gt_i32_e32 vcc, s33, v47
	s_nop 1
	v_cndmask_b32_sdwa v47, v15, v5, vcc dst_sel:DWORD dst_unused:UNUSED_PAD src0_sel:DWORD src1_sel:WORD_0
	v_and_b32_e32 v5, 0xffff0000, v5
	v_cmp_gt_i32_e32 vcc, s33, v48
	s_nop 1
	v_cndmask_b32_e32 v5, 0, v5, vcc
	v_or_b32_e32 v5, v47, v5
	s_branch .LBB104_41
.LBB104_60:
	s_or_b64 exec, exec, s[12:13]
.LBB104_61:
	s_or_b64 exec, exec, s[6:7]
	ds_bpermute_b32 v4, v25, v10
	ds_bpermute_b32 v5, v25, v11
	;; [unrolled: 1-line block ×6, first 2 shown]
	s_waitcnt lgkmcnt(4)
	v_pk_add_f32 v[4:5], v[10:11], v[4:5]
	ds_bpermute_b32 v10, v25, v8
	ds_bpermute_b32 v11, v25, v9
	s_waitcnt lgkmcnt(4)
	v_pk_add_f32 v[2:3], v[12:13], v[2:3]
	s_waitcnt lgkmcnt(2)
	v_pk_add_f32 v[16:17], v[6:7], v[16:17]
	ds_bpermute_b32 v12, v26, v2
	ds_bpermute_b32 v13, v26, v3
	s_waitcnt lgkmcnt(2)
	v_pk_add_f32 v[10:11], v[8:9], v[10:11]
	ds_bpermute_b32 v14, v26, v4
	ds_bpermute_b32 v15, v26, v5
	;; [unrolled: 1-line block ×6, first 2 shown]
	v_and_b32_e32 v1, 0x3c0, v0
	s_waitcnt lgkmcnt(6)
	v_pk_add_f32 v[8:9], v[2:3], v[12:13]
	s_waitcnt lgkmcnt(4)
	v_pk_add_f32 v[6:7], v[4:5], v[14:15]
	;; [unrolled: 2-line block ×4, first 2 shown]
	v_cmp_eq_u32_e64 s[0:1], 64, v1
	v_cmp_eq_u32_e32 vcc, 0, v28
	s_barrier
	s_and_saveexec_b64 s[2:3], s[0:1]
	s_cbranch_execz .LBB104_66
; %bb.62:
	s_and_saveexec_b64 s[0:1], vcc
	s_cbranch_execz .LBB104_64
; %bb.63:
	v_mov_b32_e32 v1, 0x100
	v_lshl_add_u32 v1, v27, 2, v1
	ds_write2_b32 v1, v8, v9 offset1:16
	ds_write2_b32 v1, v6, v7 offset0:32 offset1:48
	ds_write2_b32 v1, v4, v5 offset0:64 offset1:80
	ds_write_b32 v1, v2 offset:384
.LBB104_64:
	s_or_b64 exec, exec, s[0:1]
	v_or_b32_e32 v1, 0x70, v27
	s_movk_i32 s0, 0x78
	v_cmp_gt_u32_e64 s[0:1], s0, v1
	s_and_b64 s[0:1], vcc, s[0:1]
	s_and_b64 exec, exec, s[0:1]
; %bb.65:
	v_mov_b32_e32 v1, 0x100
	v_lshl_add_u32 v1, v27, 2, v1
	ds_write_b32 v1, v3 offset:448
.LBB104_66:
	s_or_b64 exec, exec, s[2:3]
	v_cmp_gt_u32_e64 s[0:1], 64, v0
	v_lshrrev_b32_e32 v0, 2, v0
	s_waitcnt lgkmcnt(0)
	s_barrier
	s_and_saveexec_b64 s[6:7], s[0:1]
	s_cbranch_execz .LBB104_84
; %bb.67:
	s_and_saveexec_b64 s[2:3], vcc
	s_cbranch_execz .LBB104_69
; %bb.68:
	v_mov_b32_e32 v1, 0x100
	v_lshl_add_u32 v1, v0, 2, v1
	ds_read_b32 v1, v1
	s_waitcnt lgkmcnt(0)
	v_add_f32_e32 v8, v8, v1
.LBB104_69:
	s_or_b64 exec, exec, s[2:3]
	v_or_b32_e32 v1, 16, v0
	s_movk_i32 s8, 0x78
	v_cmp_gt_u32_e64 s[2:3], s8, v1
	s_and_b64 s[12:13], vcc, s[2:3]
	s_and_saveexec_b64 s[2:3], s[12:13]
	s_cbranch_execz .LBB104_71
; %bb.70:
	v_mov_b32_e32 v1, 0x100
	v_lshl_add_u32 v1, v0, 2, v1
	ds_read_b32 v1, v1 offset:64
	s_waitcnt lgkmcnt(0)
	v_add_f32_e32 v9, v9, v1
.LBB104_71:
	s_or_b64 exec, exec, s[2:3]
	v_or_b32_e32 v1, 32, v0
	v_cmp_gt_u32_e64 s[2:3], s8, v1
	s_and_b64 s[8:9], vcc, s[2:3]
	s_and_saveexec_b64 s[2:3], s[8:9]
	s_cbranch_execz .LBB104_73
; %bb.72:
	v_mov_b32_e32 v1, 0x100
	v_lshl_add_u32 v1, v0, 2, v1
	ds_read_b32 v1, v1 offset:128
	s_waitcnt lgkmcnt(0)
	v_add_f32_e32 v6, v6, v1
.LBB104_73:
	s_or_b64 exec, exec, s[2:3]
	v_or_b32_e32 v1, 48, v0
	s_movk_i32 s8, 0x78
	v_cmp_gt_u32_e64 s[2:3], s8, v1
	s_and_b64 s[12:13], vcc, s[2:3]
	s_and_saveexec_b64 s[2:3], s[12:13]
	s_cbranch_execz .LBB104_75
; %bb.74:
	v_mov_b32_e32 v1, 0x100
	v_lshl_add_u32 v1, v0, 2, v1
	ds_read_b32 v1, v1 offset:192
	s_waitcnt lgkmcnt(0)
	v_add_f32_e32 v7, v7, v1
.LBB104_75:
	s_or_b64 exec, exec, s[2:3]
	v_or_b32_e32 v1, 64, v0
	v_cmp_gt_u32_e64 s[2:3], s8, v1
	s_and_b64 s[8:9], vcc, s[2:3]
	s_and_saveexec_b64 s[2:3], s[8:9]
	s_cbranch_execz .LBB104_77
; %bb.76:
	v_mov_b32_e32 v1, 0x100
	v_lshl_add_u32 v1, v0, 2, v1
	ds_read_b32 v1, v1 offset:256
	s_waitcnt lgkmcnt(0)
	v_add_f32_e32 v4, v4, v1
.LBB104_77:
	;; [unrolled: 27-line block ×3, first 2 shown]
	s_or_b64 exec, exec, s[2:3]
	v_or_b32_e32 v1, 0x70, v0
	s_movk_i32 s2, 0x78
	v_cmp_gt_u32_e64 s[2:3], s2, v1
	s_and_b64 s[8:9], vcc, s[2:3]
	s_and_saveexec_b64 s[2:3], s[8:9]
	s_cbranch_execz .LBB104_83
; %bb.82:
	v_mov_b32_e32 v1, 0x100
	v_lshl_add_u32 v1, v0, 2, v1
	ds_read_b32 v1, v1 offset:448
	s_waitcnt lgkmcnt(0)
	v_add_f32_e32 v3, v3, v1
.LBB104_83:
	s_or_b64 exec, exec, s[2:3]
.LBB104_84:
	s_or_b64 exec, exec, s[6:7]
	s_barrier
	s_and_saveexec_b64 s[2:3], s[0:1]
	s_cbranch_execz .LBB104_101
; %bb.85:
	s_mul_i32 s0, s10, s11
	s_mul_i32 s0, s0, s5
	s_mulk_i32 s0, 0x78
	s_ashr_i32 s1, s0, 31
	s_lshl_b64 s[0:1], s[0:1], 1
	s_add_u32 s2, s18, s0
	s_mul_i32 s0, s11, s16
	s_addc_u32 s3, s19, s1
	s_ashr_i32 s1, s0, 31
	s_lshl_b64 s[0:1], s[0:1], 1
	s_add_u32 s2, s2, s0
	s_mul_i32 s0, s4, 0x78
	s_addc_u32 s3, s3, s1
	s_ashr_i32 s1, s0, 31
	s_lshl_b64 s[0:1], s[0:1], 1
	s_add_u32 s2, s2, s0
	s_movk_i32 s5, 0x78
	s_addc_u32 s3, s3, s1
	v_lshlrev_b32_e32 v1, 1, v0
	s_and_saveexec_b64 s[0:1], vcc
	s_cbranch_execz .LBB104_87
; %bb.86:
	;;#ASMSTART
	v_cvt_f16_f32 v8, v8;

	;;#ASMEND
	global_store_short v1, v8, s[2:3]
.LBB104_87:
	s_or_b64 exec, exec, s[0:1]
	v_or_b32_e32 v8, 16, v0
	v_cmp_gt_u32_e64 s[0:1], s5, v8
	s_and_b64 s[4:5], vcc, s[0:1]
	s_and_saveexec_b64 s[0:1], s[4:5]
	s_cbranch_execz .LBB104_89
; %bb.88:
	;;#ASMSTART
	v_cvt_f16_f32 v8, v9;

	;;#ASMEND
	global_store_short v1, v8, s[2:3] offset:32
.LBB104_89:
	s_or_b64 exec, exec, s[0:1]
	v_or_b32_e32 v8, 32, v0
	s_movk_i32 s4, 0x78
	v_cmp_gt_u32_e64 s[0:1], s4, v8
	s_and_b64 s[6:7], vcc, s[0:1]
	s_and_saveexec_b64 s[0:1], s[6:7]
	s_cbranch_execz .LBB104_91
; %bb.90:
	;;#ASMSTART
	v_cvt_f16_f32 v6, v6;

	;;#ASMEND
	global_store_short v1, v6, s[2:3] offset:64
.LBB104_91:
	s_or_b64 exec, exec, s[0:1]
	v_or_b32_e32 v6, 48, v0
	v_cmp_gt_u32_e64 s[0:1], s4, v6
	s_and_b64 s[4:5], vcc, s[0:1]
	s_and_saveexec_b64 s[0:1], s[4:5]
	s_cbranch_execz .LBB104_93
; %bb.92:
	;;#ASMSTART
	v_cvt_f16_f32 v6, v7;

	;;#ASMEND
	global_store_short v1, v6, s[2:3] offset:96
.LBB104_93:
	s_or_b64 exec, exec, s[0:1]
	v_or_b32_e32 v6, 64, v0
	s_movk_i32 s4, 0x78
	v_cmp_gt_u32_e64 s[0:1], s4, v6
	s_and_b64 s[6:7], vcc, s[0:1]
	s_and_saveexec_b64 s[0:1], s[6:7]
	s_cbranch_execz .LBB104_95
; %bb.94:
	;;#ASMSTART
	v_cvt_f16_f32 v4, v4;

	;;#ASMEND
	global_store_short v1, v4, s[2:3] offset:128
.LBB104_95:
	;; [unrolled: 27-line block ×3, first 2 shown]
	s_or_b64 exec, exec, s[0:1]
	v_or_b32_e32 v0, 0x70, v0
	v_cmp_gt_u32_e64 s[0:1], s4, v0
	s_and_b64 s[0:1], vcc, s[0:1]
	s_and_b64 exec, exec, s[0:1]
	s_cbranch_execz .LBB104_101
; %bb.100:
	;;#ASMSTART
	v_cvt_f16_f32 v0, v3;

	;;#ASMEND
	global_store_short v1, v0, s[2:3] offset:224
.LBB104_101:
	s_endpgm
	.section	.rodata,"a",@progbits
	.p2align	6, 0x0
	.amdhsa_kernel _ZN4vllm25paged_attention_v1_kernelIttLi120ELi32ELi128ELNS_18Fp8KVCacheDataTypeE0ELb0EEEvPT_PKS2_PKT0_S8_ifPKiSA_iPKfiiiSC_SC_iiiii
		.amdhsa_group_segment_fixed_size 256
		.amdhsa_private_segment_fixed_size 0
		.amdhsa_kernarg_size 384
		.amdhsa_user_sgpr_count 2
		.amdhsa_user_sgpr_dispatch_ptr 0
		.amdhsa_user_sgpr_queue_ptr 0
		.amdhsa_user_sgpr_kernarg_segment_ptr 1
		.amdhsa_user_sgpr_dispatch_id 0
		.amdhsa_user_sgpr_kernarg_preload_length 0
		.amdhsa_user_sgpr_kernarg_preload_offset 0
		.amdhsa_user_sgpr_private_segment_size 0
		.amdhsa_uses_dynamic_stack 0
		.amdhsa_enable_private_segment 0
		.amdhsa_system_sgpr_workgroup_id_x 1
		.amdhsa_system_sgpr_workgroup_id_y 1
		.amdhsa_system_sgpr_workgroup_id_z 1
		.amdhsa_system_sgpr_workgroup_info 0
		.amdhsa_system_vgpr_workitem_id 0
		.amdhsa_next_free_vgpr 69
		.amdhsa_next_free_sgpr 35
		.amdhsa_accum_offset 72
		.amdhsa_reserve_vcc 1
		.amdhsa_float_round_mode_32 0
		.amdhsa_float_round_mode_16_64 0
		.amdhsa_float_denorm_mode_32 3
		.amdhsa_float_denorm_mode_16_64 3
		.amdhsa_dx10_clamp 1
		.amdhsa_ieee_mode 1
		.amdhsa_fp16_overflow 0
		.amdhsa_tg_split 0
		.amdhsa_exception_fp_ieee_invalid_op 0
		.amdhsa_exception_fp_denorm_src 0
		.amdhsa_exception_fp_ieee_div_zero 0
		.amdhsa_exception_fp_ieee_overflow 0
		.amdhsa_exception_fp_ieee_underflow 0
		.amdhsa_exception_fp_ieee_inexact 0
		.amdhsa_exception_int_div_zero 0
	.end_amdhsa_kernel
	.section	.text._ZN4vllm25paged_attention_v1_kernelIttLi120ELi32ELi128ELNS_18Fp8KVCacheDataTypeE0ELb0EEEvPT_PKS2_PKT0_S8_ifPKiSA_iPKfiiiSC_SC_iiiii,"axG",@progbits,_ZN4vllm25paged_attention_v1_kernelIttLi120ELi32ELi128ELNS_18Fp8KVCacheDataTypeE0ELb0EEEvPT_PKS2_PKT0_S8_ifPKiSA_iPKfiiiSC_SC_iiiii,comdat
.Lfunc_end104:
	.size	_ZN4vllm25paged_attention_v1_kernelIttLi120ELi32ELi128ELNS_18Fp8KVCacheDataTypeE0ELb0EEEvPT_PKS2_PKT0_S8_ifPKiSA_iPKfiiiSC_SC_iiiii, .Lfunc_end104-_ZN4vllm25paged_attention_v1_kernelIttLi120ELi32ELi128ELNS_18Fp8KVCacheDataTypeE0ELb0EEEvPT_PKS2_PKT0_S8_ifPKiSA_iPKfiiiSC_SC_iiiii
                                        ; -- End function
	.set _ZN4vllm25paged_attention_v1_kernelIttLi120ELi32ELi128ELNS_18Fp8KVCacheDataTypeE0ELb0EEEvPT_PKS2_PKT0_S8_ifPKiSA_iPKfiiiSC_SC_iiiii.num_vgpr, 69
	.set _ZN4vllm25paged_attention_v1_kernelIttLi120ELi32ELi128ELNS_18Fp8KVCacheDataTypeE0ELb0EEEvPT_PKS2_PKT0_S8_ifPKiSA_iPKfiiiSC_SC_iiiii.num_agpr, 0
	.set _ZN4vllm25paged_attention_v1_kernelIttLi120ELi32ELi128ELNS_18Fp8KVCacheDataTypeE0ELb0EEEvPT_PKS2_PKT0_S8_ifPKiSA_iPKfiiiSC_SC_iiiii.numbered_sgpr, 35
	.set _ZN4vllm25paged_attention_v1_kernelIttLi120ELi32ELi128ELNS_18Fp8KVCacheDataTypeE0ELb0EEEvPT_PKS2_PKT0_S8_ifPKiSA_iPKfiiiSC_SC_iiiii.num_named_barrier, 0
	.set _ZN4vllm25paged_attention_v1_kernelIttLi120ELi32ELi128ELNS_18Fp8KVCacheDataTypeE0ELb0EEEvPT_PKS2_PKT0_S8_ifPKiSA_iPKfiiiSC_SC_iiiii.private_seg_size, 0
	.set _ZN4vllm25paged_attention_v1_kernelIttLi120ELi32ELi128ELNS_18Fp8KVCacheDataTypeE0ELb0EEEvPT_PKS2_PKT0_S8_ifPKiSA_iPKfiiiSC_SC_iiiii.uses_vcc, 1
	.set _ZN4vllm25paged_attention_v1_kernelIttLi120ELi32ELi128ELNS_18Fp8KVCacheDataTypeE0ELb0EEEvPT_PKS2_PKT0_S8_ifPKiSA_iPKfiiiSC_SC_iiiii.uses_flat_scratch, 0
	.set _ZN4vllm25paged_attention_v1_kernelIttLi120ELi32ELi128ELNS_18Fp8KVCacheDataTypeE0ELb0EEEvPT_PKS2_PKT0_S8_ifPKiSA_iPKfiiiSC_SC_iiiii.has_dyn_sized_stack, 0
	.set _ZN4vllm25paged_attention_v1_kernelIttLi120ELi32ELi128ELNS_18Fp8KVCacheDataTypeE0ELb0EEEvPT_PKS2_PKT0_S8_ifPKiSA_iPKfiiiSC_SC_iiiii.has_recursion, 0
	.set _ZN4vllm25paged_attention_v1_kernelIttLi120ELi32ELi128ELNS_18Fp8KVCacheDataTypeE0ELb0EEEvPT_PKS2_PKT0_S8_ifPKiSA_iPKfiiiSC_SC_iiiii.has_indirect_call, 0
	.section	.AMDGPU.csdata,"",@progbits
; Kernel info:
; codeLenInByte = 10704
; TotalNumSgprs: 41
; NumVgprs: 69
; NumAgprs: 0
; TotalNumVgprs: 69
; ScratchSize: 0
; MemoryBound: 0
; FloatMode: 240
; IeeeMode: 1
; LDSByteSize: 256 bytes/workgroup (compile time only)
; SGPRBlocks: 5
; VGPRBlocks: 8
; NumSGPRsForWavesPerEU: 41
; NumVGPRsForWavesPerEU: 69
; AccumOffset: 72
; Occupancy: 7
; WaveLimiterHint : 1
; COMPUTE_PGM_RSRC2:SCRATCH_EN: 0
; COMPUTE_PGM_RSRC2:USER_SGPR: 2
; COMPUTE_PGM_RSRC2:TRAP_HANDLER: 0
; COMPUTE_PGM_RSRC2:TGID_X_EN: 1
; COMPUTE_PGM_RSRC2:TGID_Y_EN: 1
; COMPUTE_PGM_RSRC2:TGID_Z_EN: 1
; COMPUTE_PGM_RSRC2:TIDIG_COMP_CNT: 0
; COMPUTE_PGM_RSRC3_GFX90A:ACCUM_OFFSET: 17
; COMPUTE_PGM_RSRC3_GFX90A:TG_SPLIT: 0
	.section	.text._ZN4vllm25paged_attention_v1_kernelIttLi128ELi32ELi128ELNS_18Fp8KVCacheDataTypeE0ELb0EEEvPT_PKS2_PKT0_S8_ifPKiSA_iPKfiiiSC_SC_iiiii,"axG",@progbits,_ZN4vllm25paged_attention_v1_kernelIttLi128ELi32ELi128ELNS_18Fp8KVCacheDataTypeE0ELb0EEEvPT_PKS2_PKT0_S8_ifPKiSA_iPKfiiiSC_SC_iiiii,comdat
	.protected	_ZN4vllm25paged_attention_v1_kernelIttLi128ELi32ELi128ELNS_18Fp8KVCacheDataTypeE0ELb0EEEvPT_PKS2_PKT0_S8_ifPKiSA_iPKfiiiSC_SC_iiiii ; -- Begin function _ZN4vllm25paged_attention_v1_kernelIttLi128ELi32ELi128ELNS_18Fp8KVCacheDataTypeE0ELb0EEEvPT_PKS2_PKT0_S8_ifPKiSA_iPKfiiiSC_SC_iiiii
	.globl	_ZN4vllm25paged_attention_v1_kernelIttLi128ELi32ELi128ELNS_18Fp8KVCacheDataTypeE0ELb0EEEvPT_PKS2_PKT0_S8_ifPKiSA_iPKfiiiSC_SC_iiiii
	.p2align	8
	.type	_ZN4vllm25paged_attention_v1_kernelIttLi128ELi32ELi128ELNS_18Fp8KVCacheDataTypeE0ELb0EEEvPT_PKS2_PKT0_S8_ifPKiSA_iPKfiiiSC_SC_iiiii,@function
_ZN4vllm25paged_attention_v1_kernelIttLi128ELi32ELi128ELNS_18Fp8KVCacheDataTypeE0ELb0EEEvPT_PKS2_PKT0_S8_ifPKiSA_iPKfiiiSC_SC_iiiii: ; @_ZN4vllm25paged_attention_v1_kernelIttLi128ELi32ELi128ELNS_18Fp8KVCacheDataTypeE0ELb0EEEvPT_PKS2_PKT0_S8_ifPKiSA_iPKfiiiSC_SC_iiiii
; %bb.0:
	s_load_dword s5, s[0:1], 0x80
	s_load_dwordx2 s[6:7], s[0:1], 0x30
	s_load_dwordx2 s[8:9], s[0:1], 0x20
	s_mov_b32 s10, s3
	s_ashr_i32 s11, s3, 31
	s_lshl_b64 s[12:13], s[10:11], 2
	s_waitcnt lgkmcnt(0)
	s_add_u32 s6, s6, s12
	s_addc_u32 s7, s7, s13
	s_abs_i32 s3, s8
	v_cvt_f32_u32_e32 v1, s3
	s_sub_i32 s12, 0, s3
	s_abs_i32 s11, s5
	s_xor_b32 s8, s5, s8
	v_rcp_iflag_f32_e32 v1, v1
	s_ashr_i32 s8, s8, 31
	v_mul_f32_e32 v1, 0x4f7ffffe, v1
	v_cvt_u32_f32_e32 v1, v1
	s_nop 0
	v_readfirstlane_b32 s13, v1
	s_mul_i32 s12, s12, s13
	s_mul_hi_u32 s12, s13, s12
	s_add_i32 s13, s13, s12
	s_mul_hi_u32 s12, s11, s13
	s_mul_i32 s13, s12, s3
	s_sub_i32 s11, s11, s13
	s_add_i32 s13, s12, 1
	s_sub_i32 s14, s11, s3
	s_cmp_ge_u32 s11, s3
	s_cselect_b32 s12, s13, s12
	s_cselect_b32 s11, s14, s11
	s_add_i32 s13, s12, 1
	s_cmp_ge_u32 s11, s3
	s_cselect_b32 s3, s13, s12
	s_xor_b32 s3, s3, s8
	s_sub_i32 s14, s3, s8
	s_abs_i32 s11, s14
	v_cvt_f32_u32_e32 v1, s11
	s_load_dwordx2 s[12:13], s[0:1], 0x40
	s_sub_i32 s3, 0, s11
	s_abs_i32 s18, s2
	v_rcp_iflag_f32_e32 v1, v1
	s_mov_b32 s8, 0
	v_mul_f32_e32 v1, 0x4f7ffffe, v1
	v_cvt_u32_f32_e32 v1, v1
	s_nop 0
	v_readfirstlane_b32 s15, v1
	s_mul_i32 s3, s3, s15
	s_mul_hi_u32 s3, s15, s3
	s_add_i32 s15, s15, s3
	s_waitcnt lgkmcnt(0)
	s_cmp_eq_u64 s[12:13], 0
	s_mul_hi_u32 s19, s18, s15
	s_cbranch_scc1 .LBB105_2
; %bb.1:
	s_ashr_i32 s3, s2, 31
	s_lshl_b64 s[16:17], s[2:3], 2
	s_add_u32 s12, s12, s16
	s_addc_u32 s13, s13, s17
	s_load_dword s8, s[12:13], 0x0
.LBB105_2:
	s_load_dword s33, s[6:7], 0x0
	s_ashr_i32 s7, s14, 31
	s_load_dwordx4 s[12:15], s[0:1], 0x48
	s_ashr_i32 s6, s2, 31
	v_and_b32_e32 v4, 1, v0
	s_lshl_b32 s16, s2, 7
	v_cmp_gt_u32_e32 vcc, 32, v0
	v_lshlrev_b32_e32 v1, 3, v0
	s_and_saveexec_b64 s[2:3], vcc
	s_cbranch_execz .LBB105_4
; %bb.3:
	s_load_dwordx2 s[20:21], s[0:1], 0x8
	s_waitcnt lgkmcnt(0)
	s_mul_i32 s22, s12, s10
	s_ashr_i32 s23, s22, 31
	s_lshl_b64 s[22:23], s[22:23], 1
	v_lshlrev_b32_e32 v5, 2, v0
	s_add_u32 s12, s20, s22
	s_addc_u32 s15, s21, s23
	s_ashr_i32 s17, s16, 31
	s_lshl_b64 s[20:21], s[16:17], 1
	s_add_u32 s20, s12, s20
	s_addc_u32 s21, s15, s21
	global_load_dwordx2 v[2:3], v1, s[20:21]
	v_and_b32_e32 v5, 0xff8, v5
	v_lshl_add_u32 v5, v4, 7, v5
	s_waitcnt vmcnt(0)
	ds_write_b64 v5, v[2:3]
.LBB105_4:
	s_or_b64 exec, exec, s[2:3]
	s_waitcnt lgkmcnt(0)
	s_add_i32 s3, s33, 31
	s_ashr_i32 s12, s3, 31
	s_lshr_b32 s12, s12, 27
	s_add_i32 s3, s3, s12
	s_ashr_i32 s12, s3, 5
	s_xor_b32 s3, s6, s7
	s_mul_i32 s6, s19, s11
	s_sub_i32 s6, s18, s6
	s_add_i32 s7, s19, 1
	s_sub_i32 s15, s6, s11
	s_load_dwordx2 s[20:21], s[0:1], 0x28
	s_load_dword s2, s[0:1], 0x38
	s_cmp_ge_u32 s6, s11
	s_cselect_b32 s7, s7, s19
	s_cselect_b32 s6, s15, s6
	s_add_i32 s15, s7, 1
	s_cmp_ge_u32 s6, s11
	s_cselect_b32 s6, s15, s7
	v_lshrrev_b32_e32 v32, 6, v0
	s_xor_b32 s6, s6, s3
	s_waitcnt lgkmcnt(0)
	s_mul_i32 s22, s2, s10
	s_sub_i32 s15, s6, s3
	s_ashr_i32 s23, s22, 31
	v_cmp_gt_i32_e64 s[6:7], s12, v32
	v_cmp_le_i32_e32 vcc, s12, v32
	v_mbcnt_lo_u32_b32 v6, -1, 0
	s_barrier
                                        ; implicit-def: $vgpr34
                                        ; implicit-def: $vgpr35
                                        ; implicit-def: $vgpr36
	s_and_saveexec_b64 s[2:3], vcc
	s_xor_b64 s[2:3], exec, s[2:3]
; %bb.5:
	v_mbcnt_hi_u32_b32 v34, -1, v6
	v_and_b32_e32 v35, 64, v34
	v_add_u32_e32 v36, 64, v35
                                        ; implicit-def: $vgpr4
                                        ; implicit-def: $vgpr6
; %bb.6:
	s_or_saveexec_b64 s[26:27], s[2:3]
	s_load_dwordx2 s[18:19], s[0:1], 0x0
	s_load_dwordx2 s[24:25], s[0:1], 0x18
	s_load_dword s11, s[0:1], 0x88
	v_mov_b32_e32 v37, 0xff7fffff
	s_mul_i32 s14, s15, s14
	v_lshrrev_b32_e32 v33, 4, v0
	s_xor_b64 exec, exec, s[26:27]
	s_cbranch_execz .LBB105_12
; %bb.7:
	s_load_dwordx2 s[0:1], s[0:1], 0x10
	s_ashr_i32 s15, s14, 31
	s_lshl_b64 s[2:3], s[14:15], 1
	v_bfe_u32 v5, v0, 1, 5
	v_lshlrev_b32_e32 v8, 4, v5
	s_waitcnt lgkmcnt(0)
	s_add_u32 s0, s0, s2
	s_addc_u32 s1, s1, s3
	v_mov_b32_e32 v9, 0
	v_lshl_add_u64 v[2:3], s[0:1], 0, v[8:9]
	s_sub_i32 s15, 1, s33
	s_lshl_b64 s[0:1], s[22:23], 2
	v_and_b32_e32 v8, 8, v1
	v_lshlrev_b32_e32 v38, 7, v4
	v_cmp_eq_u32_e32 vcc, 0, v4
	v_lshlrev_b32_e32 v4, 2, v5
	s_add_u32 s0, s20, s0
	v_mbcnt_hi_u32_b32 v34, -1, v6
	v_lshl_add_u64 v[2:3], v[2:3], 0, v[8:9]
	v_lshl_or_b32 v4, v32, 7, v4
	v_and_b32_e32 v8, 60, v33
	s_addc_u32 s1, s21, s1
	v_and_b32_e32 v35, 64, v34
	s_mov_b32 s17, s13
	v_cmp_neq_f32_e64 s[2:3], s8, 0
	v_lshl_or_b32 v39, v32, 5, v5
	v_add_u32_e32 v40, 0x110, v4
	v_lshl_add_u64 v[4:5], s[0:1], 0, v[8:9]
	v_mov_b32_e32 v37, 0xff7fffff
	s_mov_b64 s[28:29], 0
	s_movk_i32 s34, 0x1000
	v_xor_b32_e32 v41, 1, v34
	v_add_u32_e32 v36, 64, v35
	v_mov_b32_e32 v42, v32
	s_branch .LBB105_9
.LBB105_8:                              ;   in Loop: Header=BB105_9 Depth=1
	s_or_b64 exec, exec, s[30:31]
	v_add_u32_e32 v42, 2, v42
	v_cmp_le_i32_e64 s[0:1], s12, v42
	v_add_u32_e32 v39, 64, v39
	v_add_u32_e32 v40, 0x100, v40
	s_or_b64 s[28:29], s[0:1], s[28:29]
	v_lshl_add_u64 v[4:5], v[4:5], 0, 8
	s_andn2_b64 exec, exec, s[28:29]
	s_cbranch_execz .LBB105_11
.LBB105_9:                              ; =>This Inner Loop Header: Depth=1
	global_load_dword v6, v[4:5], off
	s_waitcnt vmcnt(0) lgkmcnt(0)
	v_mad_i64_i32 v[6:7], s[0:1], v6, s17, 0
	v_lshl_add_u64 v[6:7], v[6:7], 1, v[2:3]
	global_load_dwordx2 v[46:47], v[6:7], off
	global_load_dwordx2 v[52:53], v[6:7], off offset:512
	global_load_dwordx2 v[60:61], v[6:7], off offset:1024
	;; [unrolled: 1-line block ×7, first 2 shown]
	v_add_co_u32_e64 v44, s[0:1], s34, v6
	s_waitcnt vmcnt(7)
	v_lshrrev_b32_e32 v55, 16, v46
	v_addc_co_u32_e64 v45, s[0:1], 0, v7, s[0:1]
	global_load_dwordx2 v[20:21], v[44:45], off
	ds_read_b64 v[6:7], v38
	v_and_b32_e32 v57, 0xffff, v46
	v_lshrrev_b32_e32 v58, 16, v47
	v_and_b32_e32 v59, 0xffff, v47
	s_waitcnt vmcnt(7)
	v_and_b32_e32 v46, 0xffff, v52
	s_waitcnt lgkmcnt(0)
	v_lshrrev_b32_e32 v48, 16, v6
	v_and_b32_e32 v43, 0xffff, v6
	v_lshrrev_b32_e32 v49, 16, v7
	v_and_b32_e32 v51, 0xffff, v7
	global_load_dwordx2 v[18:19], v[44:45], off offset:512
	global_load_dwordx2 v[16:17], v[44:45], off offset:1024
	;; [unrolled: 1-line block ×7, first 2 shown]
	;;#ASMSTART
	v_cvt_f32_f16 v43, v43;
	;;#ASMEND
	;;#ASMSTART
	v_cvt_f32_f16 v44, v48;
	;;#ASMEND
	v_lshrrev_b32_e32 v45, 16, v52
	v_lshrrev_b32_e32 v47, 16, v53
	v_and_b32_e32 v52, 0xffff, v53
	s_waitcnt vmcnt(13)
	v_lshrrev_b32_e32 v48, 16, v60
	v_and_b32_e32 v50, 0xffff, v60
	v_lshrrev_b32_e32 v53, 16, v61
	v_and_b32_e32 v54, 0xffff, v61
	s_waitcnt vmcnt(12)
	v_lshrrev_b32_e32 v60, 16, v31
	v_and_b32_e32 v61, 0xffff, v31
	s_waitcnt vmcnt(11)
	v_lshrrev_b32_e32 v62, 16, v28
	v_and_b32_e32 v63, 0xffff, v28
	v_lshrrev_b32_e32 v64, 16, v29
	v_and_b32_e32 v65, 0xffff, v29
	s_waitcnt vmcnt(10)
	v_lshrrev_b32_e32 v66, 16, v26
	v_and_b32_e32 v67, 0xffff, v26
	;; [unrolled: 5-line block ×3, first 2 shown]
	v_lshrrev_b32_e32 v76, 16, v23
	v_and_b32_e32 v77, 0xffff, v23
	;;#ASMSTART
	v_cvt_f32_f16 v26, v57;
	;;#ASMEND
	;;#ASMSTART
	v_cvt_f32_f16 v27, v55;
	;;#ASMEND
	;; [unrolled: 3-line block ×6, first 2 shown]
	ds_read_b64 v[22:23], v38 offset:8
	v_lshrrev_b32_e32 v70, 16, v24
	v_and_b32_e32 v71, 0xffff, v24
	v_lshrrev_b32_e32 v72, 16, v25
	v_and_b32_e32 v73, 0xffff, v25
	s_waitcnt lgkmcnt(0)
	v_lshrrev_b32_e32 v24, 16, v23
	v_and_b32_e32 v25, 0xffff, v23
	v_lshrrev_b32_e32 v56, 16, v30
	v_and_b32_e32 v30, 0xffff, v30
	v_cmp_lt_i32_e64 s[0:1], v41, v36
	s_waitcnt vmcnt(7)
	v_lshrrev_b32_e32 v55, 16, v20
	v_and_b32_e32 v57, 0xffff, v20
	v_lshrrev_b32_e32 v58, 16, v21
	v_and_b32_e32 v59, 0xffff, v21
	v_and_b32_e32 v20, 0xffff, v22
	v_lshrrev_b32_e32 v21, 16, v22
	;;#ASMSTART
	v_cvt_f32_f16 v20, v20;
	;;#ASMEND
	;;#ASMSTART
	v_cvt_f32_f16 v21, v21;
	;;#ASMEND
	;; [unrolled: 3-line block ×8, first 2 shown]
	ds_read_b64 v[24:25], v38 offset:16
	v_mul_f32_e32 v20, v20, v22
	v_mul_f32_e32 v21, v21, v23
	;; [unrolled: 1-line block ×4, first 2 shown]
	v_fmac_f32_e32 v20, v43, v26
	v_fmac_f32_e32 v21, v44, v27
	s_waitcnt lgkmcnt(0)
	v_lshrrev_b32_e32 v27, 16, v24
	v_and_b32_e32 v24, 0xffff, v24
	v_lshrrev_b32_e32 v43, 16, v25
	v_and_b32_e32 v25, 0xffff, v25
	v_fmac_f32_e32 v22, v28, v31
	v_fmac_f32_e32 v23, v29, v49
	;;#ASMSTART
	v_cvt_f32_f16 v26, v24;
	;;#ASMEND
	;;#ASMSTART
	v_cvt_f32_f16 v27, v27;
	;;#ASMEND
	;;#ASMSTART
	v_cvt_f32_f16 v28, v50;
	;;#ASMEND
	;;#ASMSTART
	v_cvt_f32_f16 v29, v48;
	;;#ASMEND
	;;#ASMSTART
	v_cvt_f32_f16 v31, v25;
	;;#ASMEND
	;;#ASMSTART
	v_cvt_f32_f16 v43, v43;
	;;#ASMEND
	;;#ASMSTART
	v_cvt_f32_f16 v44, v54;
	;;#ASMEND
	;;#ASMSTART
	v_cvt_f32_f16 v45, v53;
	;;#ASMEND
	ds_read_b64 v[24:25], v38 offset:24
	v_fmac_f32_e32 v21, v27, v29
	v_fmac_f32_e32 v22, v31, v44
	v_fmac_f32_e32 v20, v26, v28
	v_fmac_f32_e32 v23, v43, v45
	s_waitcnt lgkmcnt(0)
	v_lshrrev_b32_e32 v27, 16, v24
	v_and_b32_e32 v24, 0xffff, v24
	v_lshrrev_b32_e32 v31, 16, v25
	v_and_b32_e32 v25, 0xffff, v25
	;;#ASMSTART
	v_cvt_f32_f16 v26, v24;
	;;#ASMEND
	;;#ASMSTART
	v_cvt_f32_f16 v27, v27;
	;;#ASMEND
	;;#ASMSTART
	v_cvt_f32_f16 v28, v30;
	;;#ASMEND
	;;#ASMSTART
	v_cvt_f32_f16 v29, v56;
	;;#ASMEND
	;;#ASMSTART
	v_cvt_f32_f16 v30, v25;
	;;#ASMEND
	;;#ASMSTART
	v_cvt_f32_f16 v31, v31;
	;;#ASMEND
	;;#ASMSTART
	v_cvt_f32_f16 v43, v61;
	;;#ASMEND
	;;#ASMSTART
	v_cvt_f32_f16 v44, v60;
	;;#ASMEND
	ds_read_b64 v[24:25], v38 offset:32
	v_fmac_f32_e32 v21, v27, v29
	v_fmac_f32_e32 v23, v31, v44
	v_fmac_f32_e32 v20, v26, v28
	v_fmac_f32_e32 v22, v30, v43
	s_waitcnt lgkmcnt(0)
	v_lshrrev_b32_e32 v27, 16, v24
	v_and_b32_e32 v24, 0xffff, v24
	v_lshrrev_b32_e32 v31, 16, v25
	v_and_b32_e32 v25, 0xffff, v25
	;; [unrolled: 34-line block ×6, first 2 shown]
	;;#ASMSTART
	v_cvt_f32_f16 v26, v24;
	;;#ASMEND
	;;#ASMSTART
	v_cvt_f32_f16 v27, v27;
	;;#ASMEND
	;; [unrolled: 3-line block ×8, first 2 shown]
	ds_read_b64 v[24:25], v38 offset:72
	v_fmac_f32_e32 v20, v26, v28
	s_waitcnt vmcnt(6)
	v_lshrrev_b32_e32 v28, 16, v18
	v_and_b32_e32 v18, 0xffff, v18
	v_fmac_f32_e32 v21, v27, v29
	s_waitcnt lgkmcnt(0)
	v_lshrrev_b32_e32 v26, 16, v24
	v_and_b32_e32 v24, 0xffff, v24
	;;#ASMSTART
	v_cvt_f32_f16 v24, v24;
	;;#ASMEND
	;;#ASMSTART
	v_cvt_f32_f16 v26, v26;
	;;#ASMEND
	;; [unrolled: 3-line block ×3, first 2 shown]
	v_lshrrev_b32_e32 v18, 16, v25
	v_and_b32_e32 v25, 0xffff, v25
	;;#ASMSTART
	v_cvt_f32_f16 v28, v28;
	;;#ASMEND
	;;#ASMSTART
	v_cvt_f32_f16 v25, v25;
	;;#ASMEND
	;; [unrolled: 3-line block ×3, first 2 shown]
	v_lshrrev_b32_e32 v18, 16, v19
	v_and_b32_e32 v19, 0xffff, v19
	v_fmac_f32_e32 v22, v30, v43
	v_fmac_f32_e32 v23, v31, v44
	;;#ASMSTART
	v_cvt_f32_f16 v30, v19;
	;;#ASMEND
	;;#ASMSTART
	v_cvt_f32_f16 v31, v18;
	;;#ASMEND
	ds_read_b64 v[18:19], v38 offset:80
	v_fmac_f32_e32 v20, v24, v27
	v_fmac_f32_e32 v21, v26, v28
	s_waitcnt vmcnt(5)
	v_lshrrev_b32_e32 v26, 16, v16
	v_and_b32_e32 v16, 0xffff, v16
	s_waitcnt lgkmcnt(0)
	v_lshrrev_b32_e32 v24, 16, v18
	v_and_b32_e32 v18, 0xffff, v18
	v_fmac_f32_e32 v22, v25, v30
	;;#ASMSTART
	v_cvt_f32_f16 v18, v18;
	;;#ASMEND
	;;#ASMSTART
	v_cvt_f32_f16 v24, v24;
	;;#ASMEND
	;;#ASMSTART
	v_cvt_f32_f16 v25, v16;
	;;#ASMEND
	v_lshrrev_b32_e32 v16, 16, v19
	v_and_b32_e32 v19, 0xffff, v19
	;;#ASMSTART
	v_cvt_f32_f16 v26, v26;
	;;#ASMEND
	;;#ASMSTART
	v_cvt_f32_f16 v19, v19;
	;;#ASMEND
	;;#ASMSTART
	v_cvt_f32_f16 v27, v16;
	;;#ASMEND
	v_lshrrev_b32_e32 v16, 16, v17
	v_and_b32_e32 v17, 0xffff, v17
	v_fmac_f32_e32 v23, v29, v31
	;;#ASMSTART
	v_cvt_f32_f16 v28, v17;
	;;#ASMEND
	;;#ASMSTART
	v_cvt_f32_f16 v29, v16;
	;;#ASMEND
	ds_read_b64 v[16:17], v38 offset:88
	v_fmac_f32_e32 v20, v18, v25
	v_fmac_f32_e32 v21, v24, v26
	s_waitcnt vmcnt(4)
	v_lshrrev_b32_e32 v24, 16, v14
	v_and_b32_e32 v14, 0xffff, v14
	s_waitcnt lgkmcnt(0)
	v_lshrrev_b32_e32 v18, 16, v16
	v_and_b32_e32 v16, 0xffff, v16
	v_fmac_f32_e32 v22, v19, v28
	;;#ASMSTART
	v_cvt_f32_f16 v16, v16;
	;;#ASMEND
	;;#ASMSTART
	v_cvt_f32_f16 v18, v18;
	;;#ASMEND
	;;#ASMSTART
	v_cvt_f32_f16 v19, v14;
	;;#ASMEND
	v_lshrrev_b32_e32 v14, 16, v17
	v_and_b32_e32 v17, 0xffff, v17
	;;#ASMSTART
	v_cvt_f32_f16 v24, v24;
	;;#ASMEND
	;;#ASMSTART
	v_cvt_f32_f16 v17, v17;
	;;#ASMEND
	;;#ASMSTART
	v_cvt_f32_f16 v25, v14;
	;;#ASMEND
	v_lshrrev_b32_e32 v14, 16, v15
	v_and_b32_e32 v15, 0xffff, v15
	;; [unrolled: 39-line block ×5, first 2 shown]
	v_fmac_f32_e32 v23, v17, v19
	;;#ASMSTART
	v_cvt_f32_f16 v16, v9;
	;;#ASMEND
	;;#ASMSTART
	v_cvt_f32_f16 v17, v8;
	;;#ASMEND
	ds_read_b64 v[8:9], v38 offset:120
	v_fmac_f32_e32 v20, v10, v13
	v_fmac_f32_e32 v22, v11, v16
	s_waitcnt vmcnt(0)
	v_lshrrev_b32_e32 v11, 16, v6
	v_and_b32_e32 v6, 0xffff, v6
	s_waitcnt lgkmcnt(0)
	v_lshrrev_b32_e32 v10, 16, v8
	v_and_b32_e32 v8, 0xffff, v8
	;;#ASMSTART
	v_cvt_f32_f16 v8, v8;
	;;#ASMEND
	;;#ASMSTART
	v_cvt_f32_f16 v10, v10;
	;;#ASMEND
	;; [unrolled: 3-line block ×3, first 2 shown]
	v_fmac_f32_e32 v21, v12, v14
	v_fmac_f32_e32 v20, v8, v6
	v_and_b32_e32 v6, 0xffff, v9
	;;#ASMSTART
	v_cvt_f32_f16 v11, v11;
	;;#ASMEND
	v_lshrrev_b32_e32 v8, 16, v9
	v_fmac_f32_e32 v21, v10, v11
	;;#ASMSTART
	v_cvt_f32_f16 v6, v6;
	;;#ASMEND
	v_lshrrev_b32_e32 v9, 16, v7
	v_and_b32_e32 v7, 0xffff, v7
	v_fmac_f32_e32 v23, v15, v17
	;;#ASMSTART
	v_cvt_f32_f16 v8, v8;
	;;#ASMEND
	;;#ASMSTART
	v_cvt_f32_f16 v7, v7;
	;;#ASMEND
	;; [unrolled: 3-line block ×3, first 2 shown]
	s_nop 0
	v_fmac_f32_e32 v22, v6, v7
	v_add_f32_e32 v6, v20, v21
	v_fmac_f32_e32 v23, v8, v9
	v_add_f32_e32 v6, v6, v22
	v_cndmask_b32_e64 v7, v34, v41, s[0:1]
	v_add_f32_e32 v6, v23, v6
	v_lshlrev_b32_e32 v7, 2, v7
	ds_bpermute_b32 v7, v7, v6
	s_and_saveexec_b64 s[30:31], vcc
	s_cbranch_execz .LBB105_8
; %bb.10:                               ;   in Loop: Header=BB105_9 Depth=1
	v_add_u32_e32 v8, s15, v39
	v_cvt_f32_i32_e32 v8, v8
	s_waitcnt lgkmcnt(0)
	v_add_f32_e32 v6, v6, v7
	v_cmp_gt_i32_e64 s[0:1], s33, v39
	v_max_f32_e32 v7, v37, v37
	v_mul_f32_e32 v8, s8, v8
	v_cndmask_b32_e64 v8, 0, v8, s[2:3]
	v_fmac_f32_e32 v8, s9, v6
	v_cndmask_b32_e64 v6, 0, v8, s[0:1]
	ds_write_b32 v40, v6
	v_max_f32_e32 v6, v7, v8
	v_cndmask_b32_e64 v37, v37, v6, s[0:1]
	s_branch .LBB105_8
.LBB105_11:
	s_or_b64 exec, exec, s[28:29]
.LBB105_12:
	s_or_b64 exec, exec, s[26:27]
	v_xor_b32_e32 v2, 32, v34
	v_cmp_lt_i32_e32 vcc, v2, v36
	v_xor_b32_e32 v5, 16, v34
	v_max_f32_e32 v4, v37, v37
	v_cndmask_b32_e32 v2, v34, v2, vcc
	v_lshlrev_b32_e32 v2, 2, v2
	ds_bpermute_b32 v3, v2, v37
	v_cmp_lt_i32_e32 vcc, v5, v36
	v_xor_b32_e32 v6, 8, v34
	s_waitcnt lgkmcnt(0)
	v_xor_b32_e32 v7, 4, v34
	v_xor_b32_e32 v8, 2, v34
	v_max_f32_e32 v3, v3, v3
	v_max_f32_e32 v4, v4, v3
	v_cndmask_b32_e32 v3, v34, v5, vcc
	v_lshlrev_b32_e32 v3, 2, v3
	ds_bpermute_b32 v5, v3, v4
	v_cmp_lt_i32_e32 vcc, v6, v36
	v_and_b32_e32 v22, 63, v0
	s_waitcnt lgkmcnt(0)
	v_max_f32_e32 v5, v5, v5
	v_max_f32_e32 v5, v4, v5
	v_cndmask_b32_e32 v4, v34, v6, vcc
	v_lshlrev_b32_e32 v4, 2, v4
	ds_bpermute_b32 v6, v4, v5
	v_cmp_lt_i32_e32 vcc, v7, v36
	s_waitcnt lgkmcnt(0)
	v_max_f32_e32 v6, v6, v6
	v_max_f32_e32 v6, v5, v6
	v_cndmask_b32_e32 v5, v34, v7, vcc
	v_lshlrev_b32_e32 v5, 2, v5
	ds_bpermute_b32 v7, v5, v6
	v_cmp_lt_i32_e32 vcc, v8, v36
	s_waitcnt lgkmcnt(0)
	v_max_f32_e32 v7, v7, v7
	v_max_f32_e32 v7, v6, v7
	v_cndmask_b32_e32 v6, v34, v8, vcc
	v_lshlrev_b32_e32 v23, 2, v6
	ds_bpermute_b32 v8, v23, v7
	v_cmp_eq_u32_e32 vcc, 0, v22
	v_lshlrev_b32_e32 v6, 2, v32
	s_and_saveexec_b64 s[0:1], vcc
	s_cbranch_execz .LBB105_14
; %bb.13:
	s_waitcnt lgkmcnt(0)
	v_max_f32_e32 v8, v8, v8
	v_max_f32_e32 v7, v7, v7
	;; [unrolled: 1-line block ×3, first 2 shown]
	ds_write_b32 v6, v7 offset:256
.LBB105_14:
	s_or_b64 exec, exec, s[0:1]
	v_cmp_gt_u32_e64 s[0:1], 2, v22
	s_waitcnt lgkmcnt(0)
	v_mov_b32_e32 v8, 0xff7fffff
	v_lshlrev_b32_e32 v7, 2, v22
	s_barrier
	s_and_saveexec_b64 s[2:3], s[0:1]
; %bb.15:
	ds_read_b32 v8, v7 offset:256
; %bb.16:
	s_or_b64 exec, exec, s[2:3]
	v_xor_b32_e32 v9, 1, v34
	v_cmp_lt_i32_e64 s[2:3], v9, v36
	s_nop 1
	v_cndmask_b32_e64 v9, v34, v9, s[2:3]
	v_lshlrev_b32_e32 v24, 2, v9
	s_waitcnt lgkmcnt(0)
	ds_bpermute_b32 v9, v24, v8
	v_max_f32_e32 v8, v8, v8
	s_lshl_b32 s2, s12, 5
	s_min_i32 s15, s2, s33
	v_cmp_gt_i32_e64 s[2:3], s15, v0
	s_waitcnt lgkmcnt(0)
	v_max_f32_e32 v9, v9, v9
	v_max_f32_e32 v8, v8, v9
	v_lshlrev_b32_e32 v9, 2, v35
	ds_bpermute_b32 v9, v9, v8
	v_mov_b32_e32 v8, 0
	s_and_saveexec_b64 s[26:27], s[2:3]
	s_cbranch_execz .LBB105_20
; %bb.17:
	v_mov_b32_e32 v8, 0x110
	v_lshl_add_u32 v10, v0, 2, v8
	v_mov_b32_e32 v8, 0
	s_mov_b64 s[28:29], 0
	v_mov_b32_e32 v11, v0
.LBB105_18:                             ; =>This Inner Loop Header: Depth=1
	ds_read_b32 v12, v10
	v_add_u32_e32 v11, 0x80, v11
	v_cmp_le_i32_e64 s[8:9], s15, v11
	s_or_b64 s[28:29], s[8:9], s[28:29]
	s_waitcnt lgkmcnt(0)
	v_sub_f32_e32 v12, v12, v9
	v_mul_f32_e32 v12, 0x3fb8aa3b, v12
	v_exp_f32_e32 v12, v12
	ds_write_b32 v10, v12
	v_add_f32_e32 v8, v8, v12
	v_add_u32_e32 v10, 0x200, v10
	s_andn2_b64 exec, exec, s[28:29]
	s_cbranch_execnz .LBB105_18
; %bb.19:
	s_or_b64 exec, exec, s[28:29]
.LBB105_20:
	s_or_b64 exec, exec, s[26:27]
	ds_bpermute_b32 v2, v2, v8
	s_waitcnt lgkmcnt(0)
	v_add_f32_e32 v2, v8, v2
	ds_bpermute_b32 v3, v3, v2
	s_waitcnt lgkmcnt(0)
	v_add_f32_e32 v2, v2, v3
	;; [unrolled: 3-line block ×6, first 2 shown]
	s_and_saveexec_b64 s[8:9], vcc
; %bb.21:
	ds_write_b32 v6, v2 offset:264
; %bb.22:
	s_or_b64 exec, exec, s[8:9]
	s_waitcnt lgkmcnt(0)
	s_barrier
	s_and_saveexec_b64 s[8:9], s[0:1]
; %bb.23:
	ds_read_b32 v2, v7 offset:264
; %bb.24:
	s_or_b64 exec, exec, s[8:9]
	s_waitcnt lgkmcnt(0)
	ds_bpermute_b32 v3, v24, v2
	v_lshlrev_b32_e32 v4, 2, v34
	s_waitcnt lgkmcnt(0)
	v_add_f32_e32 v2, v2, v3
	v_and_b32_e32 v3, 0xffffff00, v4
	ds_bpermute_b32 v2, v3, v2
	s_and_saveexec_b64 s[0:1], s[2:3]
	s_cbranch_execz .LBB105_37
; %bb.25:
	s_waitcnt lgkmcnt(0)
	v_add_f32_e32 v2, 0x358637bd, v2
	v_div_scale_f32 v3, s[2:3], v2, v2, 1.0
	v_rcp_f32_e32 v4, v3
	v_div_scale_f32 v5, vcc, 1.0, v2, 1.0
	s_movk_i32 s2, 0x7f
	v_fma_f32 v6, -v3, v4, 1.0
	v_fmac_f32_e32 v4, v6, v4
	v_mul_f32_e32 v6, v5, v4
	v_fma_f32 v7, -v3, v6, v5
	v_fmac_f32_e32 v6, v7, v4
	v_fma_f32 v3, -v3, v6, v5
	v_div_fmas_f32 v3, v3, v4, v6
	v_xad_u32 v4, v0, -1, s15
	v_div_fixup_f32 v2, v3, v2, 1.0
	v_cmp_lt_u32_e32 vcc, s2, v4
	s_mov_b64 s[8:9], -1
	v_mov_b32_e32 v3, v0
	s_and_saveexec_b64 s[2:3], vcc
	s_cbranch_execz .LBB105_34
; %bb.26:
	v_lshrrev_b32_e32 v4, 7, v4
	v_add_u32_e32 v6, -1, v4
	v_lshrrev_b32_e32 v5, 1, v6
	v_mov_b32_e32 v3, v2
	v_add_u32_e32 v5, 1, v5
	v_cmp_lt_u32_e32 vcc, 13, v6
	v_mov_b32_e32 v8, 0
	s_and_saveexec_b64 s[8:9], vcc
	s_cbranch_execz .LBB105_30
; %bb.27:
	v_mov_b32_e32 v7, 0x110
	v_and_b32_e32 v6, -8, v5
	v_lshl_add_u32 v7, v0, 2, v7
	s_mov_b32 s17, 0
	s_mov_b64 s[26:27], 0
.LBB105_28:                             ; =>This Inner Loop Header: Depth=1
	ds_read2st64_b32 v[8:9], v7 offset1:2
	ds_read2st64_b32 v[10:11], v7 offset0:4 offset1:6
	ds_read2st64_b32 v[12:13], v7 offset0:8 offset1:10
	;; [unrolled: 1-line block ×3, first 2 shown]
	v_add_u32_e32 v6, -8, v6
	s_waitcnt lgkmcnt(3)
	v_pk_mul_f32 v[8:9], v[2:3], v[8:9]
	s_waitcnt lgkmcnt(2)
	v_pk_mul_f32 v[10:11], v[2:3], v[10:11]
	ds_write2st64_b32 v7, v8, v9 offset1:2
	ds_write2st64_b32 v7, v10, v11 offset0:4 offset1:6
	ds_read2st64_b32 v[10:11], v7 offset0:16 offset1:18
	s_waitcnt lgkmcnt(4)
	v_pk_mul_f32 v[8:9], v[2:3], v[12:13]
	ds_write2st64_b32 v7, v8, v9 offset0:8 offset1:10
	s_waitcnt lgkmcnt(4)
	v_pk_mul_f32 v[8:9], v[2:3], v[14:15]
	ds_write2st64_b32 v7, v8, v9 offset0:12 offset1:14
	ds_read2st64_b32 v[8:9], v7 offset0:20 offset1:22
	s_waitcnt lgkmcnt(3)
	v_pk_mul_f32 v[10:11], v[2:3], v[10:11]
	ds_read2st64_b32 v[12:13], v7 offset0:24 offset1:26
	ds_write2st64_b32 v7, v10, v11 offset0:16 offset1:18
	ds_read2st64_b32 v[10:11], v7 offset0:28 offset1:30
	s_waitcnt lgkmcnt(3)
	v_pk_mul_f32 v[8:9], v[2:3], v[8:9]
	ds_write2st64_b32 v7, v8, v9 offset0:20 offset1:22
	s_waitcnt lgkmcnt(3)
	v_pk_mul_f32 v[8:9], v[2:3], v[12:13]
	ds_write2st64_b32 v7, v8, v9 offset0:24 offset1:26
	s_waitcnt lgkmcnt(2)
	v_pk_mul_f32 v[8:9], v[2:3], v[10:11]
	s_add_i32 s17, s17, 16
	v_cmp_eq_u32_e32 vcc, 0, v6
	ds_write2st64_b32 v7, v8, v9 offset0:28 offset1:30
	v_add_u32_e32 v7, 0x2000, v7
	s_or_b64 s[26:27], vcc, s[26:27]
	v_mov_b32_e32 v8, s17
	s_andn2_b64 exec, exec, s[26:27]
	s_cbranch_execnz .LBB105_28
; %bb.29:
	s_or_b64 exec, exec, s[26:27]
.LBB105_30:
	s_or_b64 exec, exec, s[8:9]
	v_and_b32_e32 v5, 7, v5
	v_cmp_ne_u32_e32 vcc, 0, v5
	s_and_saveexec_b64 s[8:9], vcc
	s_cbranch_execz .LBB105_33
; %bb.31:
	v_lshlrev_b32_e32 v6, 9, v8
	v_lshlrev_b32_e32 v7, 2, v0
	s_movk_i32 s17, 0x110
	v_add3_u32 v6, v6, v7, s17
	s_mov_b64 s[26:27], 0
.LBB105_32:                             ; =>This Inner Loop Header: Depth=1
	ds_read2st64_b32 v[8:9], v6 offset1:2
	v_add_u32_e32 v5, -1, v5
	v_cmp_eq_u32_e32 vcc, 0, v5
	s_or_b64 s[26:27], vcc, s[26:27]
	s_waitcnt lgkmcnt(0)
	v_pk_mul_f32 v[8:9], v[2:3], v[8:9]
	ds_write2st64_b32 v6, v8, v9 offset1:2
	v_add_u32_e32 v6, 0x400, v6
	s_andn2_b64 exec, exec, s[26:27]
	s_cbranch_execnz .LBB105_32
.LBB105_33:
	s_or_b64 exec, exec, s[8:9]
	v_add_u32_e32 v4, 1, v4
	v_and_b32_e32 v5, 0x3fffffe, v4
	v_cmp_ne_u32_e32 vcc, v4, v5
	v_lshl_add_u32 v3, v5, 7, v0
	s_orn2_b64 s[8:9], vcc, exec
.LBB105_34:
	s_or_b64 exec, exec, s[2:3]
	s_and_b64 exec, exec, s[8:9]
	s_cbranch_execz .LBB105_37
; %bb.35:
	v_mov_b32_e32 v4, 0x110
	v_lshl_add_u32 v4, v3, 2, v4
	s_mov_b64 s[2:3], 0
.LBB105_36:                             ; =>This Inner Loop Header: Depth=1
	ds_read_b32 v5, v4
	v_add_u32_e32 v3, 0x80, v3
	v_cmp_le_i32_e32 vcc, s15, v3
	s_or_b64 s[2:3], vcc, s[2:3]
	s_waitcnt lgkmcnt(0)
	v_mul_f32_e32 v5, v2, v5
	ds_write_b32 v4, v5
	v_add_u32_e32 v4, 0x200, v4
	s_andn2_b64 exec, exec, s[2:3]
	s_cbranch_execnz .LBB105_36
.LBB105_37:
	s_or_b64 exec, exec, s[0:1]
	v_mov_b32_e32 v7, 0
	v_and_b32_e32 v25, 3, v0
	v_mov_b32_e32 v6, 0
	v_mov_b32_e32 v9, 0
	;; [unrolled: 1-line block ×7, first 2 shown]
	s_waitcnt lgkmcnt(0)
	s_barrier
	s_and_saveexec_b64 s[2:3], s[6:7]
	s_cbranch_execz .LBB105_57
; %bb.38:
	s_ashr_i32 s15, s14, 31
	s_lshl_b64 s[0:1], s[14:15], 1
	s_add_u32 s0, s24, s0
	v_lshlrev_b32_e32 v2, 4, v0
	s_addc_u32 s1, s25, s1
	v_and_b32_e32 v14, 0x3f0, v2
	v_mov_b32_e32 v15, 0
	v_and_b32_e32 v1, 24, v1
	s_add_i32 s14, s12, -1
	v_lshl_add_u64 v[16:17], s[0:1], 0, v[14:15]
	s_lshl_b64 s[0:1], s[22:23], 2
	v_lshl_or_b32 v26, v32, 5, v1
	v_lshlrev_b32_e32 v1, 5, v25
	s_add_u32 s0, s20, s0
	v_lshl_or_b32 v1, v32, 7, v1
	v_and_b32_e32 v14, 60, v33
	s_addc_u32 s1, s21, s1
	s_mov_b32 s15, s33
	v_add_u32_e32 v27, 0x110, v1
	v_lshl_add_u64 v[18:19], s[0:1], 0, v[14:15]
	s_mov_b64 s[6:7], 0
	s_mov_b32 s17, 0xffff
	s_movk_i32 s20, 0x1000
	v_mov_b32_e32 v7, 0
	v_mov_b32_e32 v6, 0
	;; [unrolled: 1-line block ×8, first 2 shown]
	s_branch .LBB105_40
.LBB105_39:                             ;   in Loop: Header=BB105_40 Depth=1
	s_or_b64 exec, exec, s[8:9]
	v_lshlrev_b32_e32 v14, 16, v14
	v_lshlrev_b32_e32 v1, 16, v1
	v_and_or_b32 v2, v2, s17, v14
	v_and_or_b32 v1, v3, s17, v1
	v_lshlrev_b32_e32 v3, 16, v20
	v_add_f32_e32 v21, v52, v53
	v_and_or_b32 v3, v4, s17, v3
	;;#ASMSTART
	v_pk_mul_f16 v2, v35, v2;

	;;#ASMEND
	;;#ASMSTART
	v_pk_mul_f16 v1, v36, v1;

	;;#ASMEND
	v_add_f32_e32 v6, v6, v21
	v_add_f32_e32 v21, v50, v51
	;;#ASMSTART
	v_pk_mul_f16 v3, v37, v3;

	;;#ASMEND
	;;#ASMSTART
	v_pk_mul_f16 v4, v38, v5;

	;;#ASMEND
	;;#ASMSTART
	v_pk_add_f16 v1, v2, v1;

	;;#ASMEND
	v_add_f32_e32 v9, v9, v21
	v_add_f32_e32 v21, v48, v49
	;;#ASMSTART
	v_pk_add_f16 v1, v1, v3;

	;;#ASMEND
	v_add_f32_e32 v8, v8, v21
	v_add_f32_e32 v21, v46, v47
	;; [unrolled: 6-line block ×3, first 2 shown]
	v_lshrrev_b32_e32 v2, 16, v1
	v_and_b32_e32 v1, 0xffff, v1
	v_add_f32_e32 v10, v10, v21
	v_add_f32_e32 v21, v42, v43
	;;#ASMSTART
	v_cvt_f32_f16 v1, v1;
	;;#ASMEND
	v_add_u32_e32 v32, 2, v32
	v_add_f32_e32 v13, v13, v21
	v_add_f32_e32 v21, v40, v41
	;;#ASMSTART
	v_cvt_f32_f16 v2, v2;
	;;#ASMEND
	v_cmp_le_i32_e32 vcc, s12, v32
	v_add_f32_e32 v1, v1, v2
	v_add_f32_e32 v12, v12, v21
	;; [unrolled: 1-line block ×3, first 2 shown]
	v_add_u32_e32 v26, 64, v26
	v_add_u32_e32 v27, 0x100, v27
	s_or_b64 s[6:7], vcc, s[6:7]
	v_lshl_add_u64 v[18:19], v[18:19], 0, 8
	s_andn2_b64 exec, exec, s[6:7]
	s_cbranch_execz .LBB105_56
.LBB105_40:                             ; =>This Inner Loop Header: Depth=1
	global_load_dword v1, v[18:19], off
	ds_read2_b64 v[2:5], v27 offset1:1
	ds_read2_b64 v[28:31], v27 offset0:2 offset1:3
	v_add_u32_e32 v33, 2, v26
	v_or_b32_e32 v34, 3, v26
	s_waitcnt lgkmcnt(1)
	;;#ASMSTART
	v_cvt_f16_f32 v35, v2;

	;;#ASMEND
	;;#ASMSTART
	v_cvt_f16_f32 v36, v3;

	;;#ASMEND
	;; [unrolled: 4-line block ×4, first 2 shown]
	s_waitcnt lgkmcnt(0)
	;;#ASMSTART
	v_cvt_f16_f32 v40, v28;

	;;#ASMEND
	;;#ASMSTART
	v_cvt_f16_f32 v41, v29;

	;;#ASMEND
	;; [unrolled: 4-line block ×4, first 2 shown]
	v_add_u32_e32 v31, 4, v26
	v_add_u32_e32 v30, 5, v26
	;; [unrolled: 1-line block ×4, first 2 shown]
	v_or_b32_e32 v39, 1, v26
	s_waitcnt vmcnt(0)
	v_mad_i64_i32 v[2:3], s[0:1], v1, s13, 0
	v_lshl_add_u64 v[20:21], v[2:3], 1, v[16:17]
	global_load_dwordx4 v[2:5], v[20:21], off
	v_cmp_eq_u32_e64 s[0:1], s14, v32
	s_waitcnt vmcnt(0)
	v_lshrrev_b32_e32 v1, 16, v3
	v_lshrrev_b32_e32 v14, 16, v2
	;; [unrolled: 1-line block ×3, first 2 shown]
	s_and_saveexec_b64 s[8:9], s[0:1]
	s_cbranch_execz .LBB105_42
; %bb.41:                               ;   in Loop: Header=BB105_40 Depth=1
	v_cmp_gt_i32_e32 vcc, s33, v26
	s_nop 1
	v_cndmask_b32_e32 v2, 0, v2, vcc
	v_cmp_gt_i32_e32 vcc, s33, v33
	s_nop 1
	v_cndmask_b32_e32 v3, 0, v3, vcc
	;; [unrolled: 3-line block ×6, first 2 shown]
	v_cmp_gt_i32_e32 vcc, s33, v29
	s_nop 1
	v_cndmask_b32_sdwa v45, v15, v5, vcc dst_sel:DWORD dst_unused:UNUSED_PAD src0_sel:DWORD src1_sel:WORD_0
	v_and_b32_e32 v5, 0xffff0000, v5
	v_cmp_gt_i32_e32 vcc, s33, v28
	s_nop 1
	v_cndmask_b32_e32 v5, 0, v5, vcc
	v_or_b32_e32 v5, v45, v5
.LBB105_42:                             ;   in Loop: Header=BB105_40 Depth=1
	s_or_b64 exec, exec, s[8:9]
	v_and_b32_e32 v35, 0xffff, v35
	v_lshlrev_b32_e32 v14, 16, v14
	v_lshlrev_b32_e32 v1, 16, v1
	v_lshl_or_b32 v35, v36, 16, v35
	v_and_b32_e32 v36, 0xffff, v37
	v_and_or_b32 v2, v2, s17, v14
	v_and_or_b32 v1, v3, s17, v1
	v_lshlrev_b32_e32 v3, 16, v44
	v_lshl_or_b32 v36, v38, 16, v36
	v_and_b32_e32 v37, 0xffff, v40
	v_and_b32_e32 v38, 0xffff, v42
	v_and_or_b32 v3, v4, s17, v3
	;;#ASMSTART
	v_pk_mul_f16 v2, v35, v2;

	;;#ASMEND
	;;#ASMSTART
	v_pk_mul_f16 v1, v36, v1;

	;;#ASMEND
	v_lshl_or_b32 v37, v41, 16, v37
	v_lshl_or_b32 v38, v43, 16, v38
	;;#ASMSTART
	v_pk_mul_f16 v3, v37, v3;

	;;#ASMEND
	;;#ASMSTART
	v_pk_mul_f16 v4, v38, v5;

	;;#ASMEND
	;;#ASMSTART
	v_pk_add_f16 v1, v2, v1;

	;;#ASMEND
	s_nop 0
	;;#ASMSTART
	v_pk_add_f16 v1, v1, v3;

	;;#ASMEND
	s_nop 0
	;; [unrolled: 5-line block ×3, first 2 shown]
	v_lshrrev_b32_e32 v2, 16, v1
	v_and_b32_e32 v1, 0xffff, v1
	;;#ASMSTART
	v_cvt_f32_f16 v40, v1;
	;;#ASMEND
	;;#ASMSTART
	v_cvt_f32_f16 v41, v2;
	;;#ASMEND
	global_load_dwordx4 v[2:5], v[20:21], off offset:1024
	s_waitcnt vmcnt(0)
	v_lshrrev_b32_e32 v1, 16, v3
	v_lshrrev_b32_e32 v14, 16, v2
	;; [unrolled: 1-line block ×3, first 2 shown]
	s_and_saveexec_b64 s[8:9], s[0:1]
	s_cbranch_execz .LBB105_44
; %bb.43:                               ;   in Loop: Header=BB105_40 Depth=1
	v_cmp_gt_i32_e32 vcc, s33, v26
	s_nop 1
	v_cndmask_b32_e32 v2, 0, v2, vcc
	v_cmp_gt_i32_e32 vcc, s33, v33
	s_nop 1
	v_cndmask_b32_e32 v3, 0, v3, vcc
	;; [unrolled: 3-line block ×6, first 2 shown]
	v_cmp_gt_i32_e32 vcc, s33, v29
	s_nop 1
	v_cndmask_b32_sdwa v43, v15, v5, vcc dst_sel:DWORD dst_unused:UNUSED_PAD src0_sel:DWORD src1_sel:WORD_0
	v_and_b32_e32 v5, 0xffff0000, v5
	v_cmp_gt_i32_e32 vcc, s33, v28
	s_nop 1
	v_cndmask_b32_e32 v5, 0, v5, vcc
	v_or_b32_e32 v5, v43, v5
.LBB105_44:                             ;   in Loop: Header=BB105_40 Depth=1
	s_or_b64 exec, exec, s[8:9]
	v_lshlrev_b32_e32 v14, 16, v14
	v_lshlrev_b32_e32 v1, 16, v1
	v_and_or_b32 v2, v2, s17, v14
	v_and_or_b32 v1, v3, s17, v1
	v_lshlrev_b32_e32 v3, 16, v42
	v_and_or_b32 v3, v4, s17, v3
	;;#ASMSTART
	v_pk_mul_f16 v2, v35, v2;

	;;#ASMEND
	;;#ASMSTART
	v_pk_mul_f16 v1, v36, v1;

	;;#ASMEND
	;; [unrolled: 4-line block ×4, first 2 shown]
	s_nop 0
	;;#ASMSTART
	v_pk_add_f16 v1, v2, v1;

	;;#ASMEND
	s_nop 0
	;;#ASMSTART
	v_pk_add_f16 v1, v1, v3;

	;;#ASMEND
	;; [unrolled: 5-line block ×3, first 2 shown]
	s_nop 0
	v_lshrrev_b32_e32 v2, 16, v1
	v_and_b32_e32 v1, 0xffff, v1
	;;#ASMSTART
	v_cvt_f32_f16 v42, v1;
	;;#ASMEND
	;;#ASMSTART
	v_cvt_f32_f16 v43, v2;
	;;#ASMEND
	global_load_dwordx4 v[2:5], v[20:21], off offset:2048
	s_waitcnt vmcnt(0)
	v_lshrrev_b32_e32 v1, 16, v3
	v_lshrrev_b32_e32 v14, 16, v2
	;; [unrolled: 1-line block ×3, first 2 shown]
	s_and_saveexec_b64 s[8:9], s[0:1]
	s_cbranch_execz .LBB105_46
; %bb.45:                               ;   in Loop: Header=BB105_40 Depth=1
	v_cmp_gt_i32_e32 vcc, s33, v26
	s_nop 1
	v_cndmask_b32_e32 v2, 0, v2, vcc
	v_cmp_gt_i32_e32 vcc, s33, v33
	s_nop 1
	v_cndmask_b32_e32 v3, 0, v3, vcc
	;; [unrolled: 3-line block ×6, first 2 shown]
	v_cmp_gt_i32_e32 vcc, s33, v29
	s_nop 1
	v_cndmask_b32_sdwa v45, v15, v5, vcc dst_sel:DWORD dst_unused:UNUSED_PAD src0_sel:DWORD src1_sel:WORD_0
	v_and_b32_e32 v5, 0xffff0000, v5
	v_cmp_gt_i32_e32 vcc, s33, v28
	s_nop 1
	v_cndmask_b32_e32 v5, 0, v5, vcc
	v_or_b32_e32 v5, v45, v5
.LBB105_46:                             ;   in Loop: Header=BB105_40 Depth=1
	s_or_b64 exec, exec, s[8:9]
	v_lshlrev_b32_e32 v14, 16, v14
	v_lshlrev_b32_e32 v1, 16, v1
	v_and_or_b32 v2, v2, s17, v14
	v_and_or_b32 v1, v3, s17, v1
	v_lshlrev_b32_e32 v3, 16, v44
	v_and_or_b32 v3, v4, s17, v3
	;;#ASMSTART
	v_pk_mul_f16 v2, v35, v2;

	;;#ASMEND
	;;#ASMSTART
	v_pk_mul_f16 v1, v36, v1;

	;;#ASMEND
	;; [unrolled: 4-line block ×4, first 2 shown]
	s_nop 0
	;;#ASMSTART
	v_pk_add_f16 v1, v2, v1;

	;;#ASMEND
	s_nop 0
	;;#ASMSTART
	v_pk_add_f16 v1, v1, v3;

	;;#ASMEND
	;; [unrolled: 5-line block ×3, first 2 shown]
	s_nop 0
	v_lshrrev_b32_e32 v2, 16, v1
	v_and_b32_e32 v1, 0xffff, v1
	;;#ASMSTART
	v_cvt_f32_f16 v44, v1;
	;;#ASMEND
	;;#ASMSTART
	v_cvt_f32_f16 v45, v2;
	;;#ASMEND
	global_load_dwordx4 v[2:5], v[20:21], off offset:3072
	s_waitcnt vmcnt(0)
	v_lshrrev_b32_e32 v1, 16, v3
	v_lshrrev_b32_e32 v14, 16, v2
	;; [unrolled: 1-line block ×3, first 2 shown]
	s_and_saveexec_b64 s[8:9], s[0:1]
	s_cbranch_execz .LBB105_48
; %bb.47:                               ;   in Loop: Header=BB105_40 Depth=1
	v_cmp_gt_i32_e32 vcc, s33, v26
	s_nop 1
	v_cndmask_b32_e32 v2, 0, v2, vcc
	v_cmp_gt_i32_e32 vcc, s33, v33
	s_nop 1
	v_cndmask_b32_e32 v3, 0, v3, vcc
	;; [unrolled: 3-line block ×6, first 2 shown]
	v_cmp_gt_i32_e32 vcc, s33, v29
	s_nop 1
	v_cndmask_b32_sdwa v47, v15, v5, vcc dst_sel:DWORD dst_unused:UNUSED_PAD src0_sel:DWORD src1_sel:WORD_0
	v_and_b32_e32 v5, 0xffff0000, v5
	v_cmp_gt_i32_e32 vcc, s33, v28
	s_nop 1
	v_cndmask_b32_e32 v5, 0, v5, vcc
	v_or_b32_e32 v5, v47, v5
.LBB105_48:                             ;   in Loop: Header=BB105_40 Depth=1
	s_or_b64 exec, exec, s[8:9]
	v_lshlrev_b32_e32 v14, 16, v14
	v_lshlrev_b32_e32 v1, 16, v1
	v_and_or_b32 v2, v2, s17, v14
	v_and_or_b32 v1, v3, s17, v1
	v_lshlrev_b32_e32 v3, 16, v46
	v_and_or_b32 v3, v4, s17, v3
	;;#ASMSTART
	v_pk_mul_f16 v2, v35, v2;

	;;#ASMEND
	;;#ASMSTART
	v_pk_mul_f16 v1, v36, v1;

	;;#ASMEND
	;; [unrolled: 4-line block ×4, first 2 shown]
	v_add_co_u32_e32 v20, vcc, s20, v20
	;;#ASMSTART
	v_pk_add_f16 v1, v2, v1;

	;;#ASMEND
	s_nop 0
	;;#ASMSTART
	v_pk_add_f16 v1, v1, v3;

	;;#ASMEND
	s_nop 0
	v_addc_co_u32_e32 v21, vcc, 0, v21, vcc
	;;#ASMSTART
	v_pk_add_f16 v1, v1, v4;

	;;#ASMEND
	s_nop 0
	v_lshrrev_b32_e32 v2, 16, v1
	v_and_b32_e32 v1, 0xffff, v1
	;;#ASMSTART
	v_cvt_f32_f16 v46, v1;
	;;#ASMEND
	;;#ASMSTART
	v_cvt_f32_f16 v47, v2;
	;;#ASMEND
	global_load_dwordx4 v[2:5], v[20:21], off
	s_waitcnt vmcnt(0)
	v_lshrrev_b32_e32 v1, 16, v3
	v_lshrrev_b32_e32 v14, 16, v2
	;; [unrolled: 1-line block ×3, first 2 shown]
	s_and_saveexec_b64 s[8:9], s[0:1]
	s_cbranch_execz .LBB105_50
; %bb.49:                               ;   in Loop: Header=BB105_40 Depth=1
	v_cmp_gt_i32_e32 vcc, s33, v26
	s_nop 1
	v_cndmask_b32_e32 v2, 0, v2, vcc
	v_cmp_gt_i32_e32 vcc, s33, v33
	s_nop 1
	v_cndmask_b32_e32 v3, 0, v3, vcc
	;; [unrolled: 3-line block ×6, first 2 shown]
	v_cmp_gt_i32_e32 vcc, s33, v29
	s_nop 1
	v_cndmask_b32_sdwa v49, v15, v5, vcc dst_sel:DWORD dst_unused:UNUSED_PAD src0_sel:DWORD src1_sel:WORD_0
	v_and_b32_e32 v5, 0xffff0000, v5
	v_cmp_gt_i32_e32 vcc, s33, v28
	s_nop 1
	v_cndmask_b32_e32 v5, 0, v5, vcc
	v_or_b32_e32 v5, v49, v5
.LBB105_50:                             ;   in Loop: Header=BB105_40 Depth=1
	s_or_b64 exec, exec, s[8:9]
	v_lshlrev_b32_e32 v14, 16, v14
	v_lshlrev_b32_e32 v1, 16, v1
	v_and_or_b32 v2, v2, s17, v14
	v_and_or_b32 v1, v3, s17, v1
	v_lshlrev_b32_e32 v3, 16, v48
	v_and_or_b32 v3, v4, s17, v3
	;;#ASMSTART
	v_pk_mul_f16 v2, v35, v2;

	;;#ASMEND
	;;#ASMSTART
	v_pk_mul_f16 v1, v36, v1;

	;;#ASMEND
	;; [unrolled: 4-line block ×4, first 2 shown]
	s_nop 0
	;;#ASMSTART
	v_pk_add_f16 v1, v2, v1;

	;;#ASMEND
	s_nop 0
	;;#ASMSTART
	v_pk_add_f16 v1, v1, v3;

	;;#ASMEND
	;; [unrolled: 5-line block ×3, first 2 shown]
	s_nop 0
	v_lshrrev_b32_e32 v2, 16, v1
	v_and_b32_e32 v1, 0xffff, v1
	;;#ASMSTART
	v_cvt_f32_f16 v48, v1;
	;;#ASMEND
	;;#ASMSTART
	v_cvt_f32_f16 v49, v2;
	;;#ASMEND
	global_load_dwordx4 v[2:5], v[20:21], off offset:1024
	s_waitcnt vmcnt(0)
	v_lshrrev_b32_e32 v1, 16, v3
	v_lshrrev_b32_e32 v14, 16, v2
	;; [unrolled: 1-line block ×3, first 2 shown]
	s_and_saveexec_b64 s[8:9], s[0:1]
	s_cbranch_execz .LBB105_52
; %bb.51:                               ;   in Loop: Header=BB105_40 Depth=1
	v_cmp_gt_i32_e32 vcc, s33, v26
	s_nop 1
	v_cndmask_b32_e32 v2, 0, v2, vcc
	v_cmp_gt_i32_e32 vcc, s33, v33
	s_nop 1
	v_cndmask_b32_e32 v3, 0, v3, vcc
	;; [unrolled: 3-line block ×6, first 2 shown]
	v_cmp_gt_i32_e32 vcc, s33, v29
	s_nop 1
	v_cndmask_b32_sdwa v51, v15, v5, vcc dst_sel:DWORD dst_unused:UNUSED_PAD src0_sel:DWORD src1_sel:WORD_0
	v_and_b32_e32 v5, 0xffff0000, v5
	v_cmp_gt_i32_e32 vcc, s33, v28
	s_nop 1
	v_cndmask_b32_e32 v5, 0, v5, vcc
	v_or_b32_e32 v5, v51, v5
.LBB105_52:                             ;   in Loop: Header=BB105_40 Depth=1
	s_or_b64 exec, exec, s[8:9]
	v_lshlrev_b32_e32 v14, 16, v14
	v_lshlrev_b32_e32 v1, 16, v1
	v_and_or_b32 v2, v2, s17, v14
	v_and_or_b32 v1, v3, s17, v1
	v_lshlrev_b32_e32 v3, 16, v50
	v_and_or_b32 v3, v4, s17, v3
	;;#ASMSTART
	v_pk_mul_f16 v2, v35, v2;

	;;#ASMEND
	;;#ASMSTART
	v_pk_mul_f16 v1, v36, v1;

	;;#ASMEND
	;; [unrolled: 4-line block ×4, first 2 shown]
	s_nop 0
	;;#ASMSTART
	v_pk_add_f16 v1, v2, v1;

	;;#ASMEND
	s_nop 0
	;;#ASMSTART
	v_pk_add_f16 v1, v1, v3;

	;;#ASMEND
	;; [unrolled: 5-line block ×3, first 2 shown]
	s_nop 0
	v_lshrrev_b32_e32 v2, 16, v1
	v_and_b32_e32 v1, 0xffff, v1
	;;#ASMSTART
	v_cvt_f32_f16 v50, v1;
	;;#ASMEND
	;;#ASMSTART
	v_cvt_f32_f16 v51, v2;
	;;#ASMEND
	global_load_dwordx4 v[2:5], v[20:21], off offset:2048
	s_waitcnt vmcnt(0)
	v_lshrrev_b32_e32 v1, 16, v3
	v_lshrrev_b32_e32 v14, 16, v2
	;; [unrolled: 1-line block ×3, first 2 shown]
	s_and_saveexec_b64 s[8:9], s[0:1]
	s_cbranch_execz .LBB105_54
; %bb.53:                               ;   in Loop: Header=BB105_40 Depth=1
	v_cmp_gt_i32_e32 vcc, s33, v26
	s_nop 1
	v_cndmask_b32_e32 v2, 0, v2, vcc
	v_cmp_gt_i32_e32 vcc, s33, v33
	s_nop 1
	v_cndmask_b32_e32 v3, 0, v3, vcc
	;; [unrolled: 3-line block ×6, first 2 shown]
	v_cmp_gt_i32_e32 vcc, s33, v29
	s_nop 1
	v_cndmask_b32_sdwa v53, v15, v5, vcc dst_sel:DWORD dst_unused:UNUSED_PAD src0_sel:DWORD src1_sel:WORD_0
	v_and_b32_e32 v5, 0xffff0000, v5
	v_cmp_gt_i32_e32 vcc, s33, v28
	s_nop 1
	v_cndmask_b32_e32 v5, 0, v5, vcc
	v_or_b32_e32 v5, v53, v5
.LBB105_54:                             ;   in Loop: Header=BB105_40 Depth=1
	s_or_b64 exec, exec, s[8:9]
	v_lshlrev_b32_e32 v14, 16, v14
	v_lshlrev_b32_e32 v1, 16, v1
	v_and_or_b32 v2, v2, s17, v14
	v_and_or_b32 v1, v3, s17, v1
	v_lshlrev_b32_e32 v3, 16, v52
	v_and_or_b32 v3, v4, s17, v3
	;;#ASMSTART
	v_pk_mul_f16 v2, v35, v2;

	;;#ASMEND
	;;#ASMSTART
	v_pk_mul_f16 v1, v36, v1;

	;;#ASMEND
	;; [unrolled: 4-line block ×4, first 2 shown]
	s_nop 0
	;;#ASMSTART
	v_pk_add_f16 v1, v2, v1;

	;;#ASMEND
	s_nop 0
	;;#ASMSTART
	v_pk_add_f16 v1, v1, v3;

	;;#ASMEND
	;; [unrolled: 5-line block ×3, first 2 shown]
	s_nop 0
	v_lshrrev_b32_e32 v2, 16, v1
	v_and_b32_e32 v1, 0xffff, v1
	;;#ASMSTART
	v_cvt_f32_f16 v52, v1;
	;;#ASMEND
	;;#ASMSTART
	v_cvt_f32_f16 v53, v2;
	;;#ASMEND
	global_load_dwordx4 v[2:5], v[20:21], off offset:3072
	s_waitcnt vmcnt(0)
	v_lshrrev_b32_e32 v1, 16, v3
	v_lshrrev_b32_e32 v14, 16, v2
	;; [unrolled: 1-line block ×3, first 2 shown]
	s_and_saveexec_b64 s[8:9], s[0:1]
	s_cbranch_execz .LBB105_39
; %bb.55:                               ;   in Loop: Header=BB105_40 Depth=1
	v_cmp_gt_i32_e32 vcc, s33, v26
	s_nop 1
	v_cndmask_b32_e32 v2, 0, v2, vcc
	v_cmp_gt_i32_e32 vcc, s33, v33
	s_nop 1
	v_cndmask_b32_e32 v3, 0, v3, vcc
	;; [unrolled: 3-line block ×6, first 2 shown]
	v_cmp_gt_i32_e32 vcc, s33, v29
	s_nop 1
	v_cndmask_b32_sdwa v21, v15, v5, vcc dst_sel:DWORD dst_unused:UNUSED_PAD src0_sel:DWORD src1_sel:WORD_0
	v_and_b32_e32 v5, 0xffff0000, v5
	v_cmp_gt_i32_e32 vcc, s33, v28
	s_nop 1
	v_cndmask_b32_e32 v5, 0, v5, vcc
	v_or_b32_e32 v5, v21, v5
	s_branch .LBB105_39
.LBB105_56:
	s_or_b64 exec, exec, s[6:7]
.LBB105_57:
	s_or_b64 exec, exec, s[2:3]
	ds_bpermute_b32 v4, v23, v10
	ds_bpermute_b32 v5, v23, v11
	;; [unrolled: 1-line block ×6, first 2 shown]
	s_waitcnt lgkmcnt(4)
	v_pk_add_f32 v[4:5], v[10:11], v[4:5]
	ds_bpermute_b32 v18, v23, v6
	ds_bpermute_b32 v19, v23, v7
	;; [unrolled: 1-line block ×4, first 2 shown]
	s_waitcnt lgkmcnt(6)
	v_pk_add_f32 v[2:3], v[12:13], v[2:3]
	s_waitcnt lgkmcnt(4)
	v_pk_add_f32 v[14:15], v[8:9], v[14:15]
	ds_bpermute_b32 v12, v24, v2
	ds_bpermute_b32 v13, v24, v3
	;; [unrolled: 1-line block ×4, first 2 shown]
	s_waitcnt lgkmcnt(6)
	v_pk_add_f32 v[6:7], v[6:7], v[18:19]
	s_waitcnt lgkmcnt(4)
	v_pk_add_f32 v[4:5], v[4:5], v[10:11]
	ds_bpermute_b32 v10, v24, v6
	ds_bpermute_b32 v11, v24, v7
	v_and_b32_e32 v1, 0x3c3, v0
	s_waitcnt lgkmcnt(4)
	v_pk_add_f32 v[8:9], v[2:3], v[12:13]
	s_waitcnt lgkmcnt(2)
	v_pk_add_f32 v[2:3], v[14:15], v[16:17]
	v_cmp_ne_u32_e32 vcc, 64, v1
	s_waitcnt lgkmcnt(0)
	s_barrier
	s_and_saveexec_b64 s[0:1], vcc
	s_xor_b64 s[0:1], exec, s[0:1]
; %bb.58:
                                        ; implicit-def: $vgpr22
; %bb.59:
	s_or_saveexec_b64 s[0:1], s[0:1]
	v_pk_add_f32 v[6:7], v[6:7], v[10:11]
	s_xor_b64 exec, exec, s[0:1]
	s_cbranch_execz .LBB105_61
; %bb.60:
	v_add_u32_e32 v10, 0x110, v22
	ds_write2_b32 v10, v8, v9 offset1:16
	ds_write2_b32 v10, v4, v5 offset0:32 offset1:48
	ds_write2_b32 v10, v2, v3 offset0:64 offset1:80
	;; [unrolled: 1-line block ×3, first 2 shown]
.LBB105_61:
	s_or_b64 exec, exec, s[0:1]
	v_cmp_gt_u32_e32 vcc, 64, v0
	v_lshrrev_b32_e32 v0, 2, v0
	s_waitcnt lgkmcnt(0)
	s_barrier
	s_and_saveexec_b64 s[0:1], vcc
	s_cbranch_execz .LBB105_72
; %bb.62:
	v_mov_b32_e32 v10, 0x110
	v_cmp_eq_u32_e32 vcc, 0, v25
	v_lshl_add_u32 v10, v0, 2, v10
	s_and_saveexec_b64 s[2:3], vcc
	s_cbranch_execnz .LBB105_75
; %bb.63:
	s_or_b64 exec, exec, s[2:3]
	s_and_saveexec_b64 s[2:3], vcc
	s_cbranch_execnz .LBB105_76
.LBB105_64:
	s_or_b64 exec, exec, s[2:3]
	s_and_saveexec_b64 s[2:3], vcc
	s_cbranch_execnz .LBB105_77
.LBB105_65:
	s_or_b64 exec, exec, s[2:3]
	s_and_saveexec_b64 s[2:3], vcc
	s_cbranch_execnz .LBB105_78
.LBB105_66:
	s_or_b64 exec, exec, s[2:3]
	s_and_saveexec_b64 s[2:3], vcc
	s_cbranch_execnz .LBB105_79
.LBB105_67:
	s_or_b64 exec, exec, s[2:3]
	s_and_saveexec_b64 s[2:3], vcc
	s_cbranch_execnz .LBB105_80
.LBB105_68:
	s_or_b64 exec, exec, s[2:3]
	s_and_saveexec_b64 s[2:3], vcc
	s_cbranch_execnz .LBB105_81
.LBB105_69:
	s_or_b64 exec, exec, s[2:3]
	s_and_saveexec_b64 s[2:3], vcc
	s_cbranch_execz .LBB105_71
.LBB105_70:
	ds_read_b32 v10, v10 offset:448
	s_waitcnt lgkmcnt(0)
	v_add_f32_e32 v7, v7, v10
.LBB105_71:
	s_or_b64 exec, exec, s[2:3]
.LBB105_72:
	s_or_b64 exec, exec, s[0:1]
	v_cmp_eq_u32_e32 vcc, 0, v1
	s_barrier
	s_and_saveexec_b64 s[0:1], vcc
	s_cbranch_execz .LBB105_74
; %bb.73:
	s_mul_i32 s0, s10, s11
	s_mul_i32 s0, s0, s5
	s_lshl_b32 s0, s0, 7
	s_ashr_i32 s1, s0, 31
	s_lshl_b64 s[0:1], s[0:1], 1
	s_add_u32 s2, s18, s0
	s_mul_i32 s0, s11, s16
	s_addc_u32 s3, s19, s1
	s_ashr_i32 s1, s0, 31
	s_lshl_b64 s[0:1], s[0:1], 1
	s_add_u32 s2, s2, s0
	s_addc_u32 s3, s3, s1
	s_lshl_b32 s0, s4, 7
	s_ashr_i32 s1, s0, 31
	s_lshl_b64 s[0:1], s[0:1], 1
	s_add_u32 s0, s2, s0
	s_addc_u32 s1, s3, s1
	v_lshlrev_b32_e32 v0, 1, v0
	;;#ASMSTART
	v_cvt_f16_f32 v1, v8;

	;;#ASMEND
	global_store_short v0, v1, s[0:1]
	;;#ASMSTART
	v_cvt_f16_f32 v1, v9;

	;;#ASMEND
	global_store_short v0, v1, s[0:1] offset:32
	;;#ASMSTART
	v_cvt_f16_f32 v1, v4;

	;;#ASMEND
	global_store_short v0, v1, s[0:1] offset:64
	;; [unrolled: 5-line block ×7, first 2 shown]
.LBB105_74:
	s_endpgm
.LBB105_75:
	ds_read_b32 v11, v10
	s_waitcnt lgkmcnt(0)
	v_add_f32_e32 v8, v8, v11
	s_or_b64 exec, exec, s[2:3]
	s_and_saveexec_b64 s[2:3], vcc
	s_cbranch_execz .LBB105_64
.LBB105_76:
	ds_read_b32 v11, v10 offset:64
	s_waitcnt lgkmcnt(0)
	v_add_f32_e32 v9, v9, v11
	s_or_b64 exec, exec, s[2:3]
	s_and_saveexec_b64 s[2:3], vcc
	s_cbranch_execz .LBB105_65
.LBB105_77:
	ds_read_b32 v11, v10 offset:128
	s_waitcnt lgkmcnt(0)
	v_add_f32_e32 v4, v4, v11
	s_or_b64 exec, exec, s[2:3]
	s_and_saveexec_b64 s[2:3], vcc
	s_cbranch_execz .LBB105_66
.LBB105_78:
	ds_read_b32 v11, v10 offset:192
	s_waitcnt lgkmcnt(0)
	v_add_f32_e32 v5, v5, v11
	s_or_b64 exec, exec, s[2:3]
	s_and_saveexec_b64 s[2:3], vcc
	s_cbranch_execz .LBB105_67
.LBB105_79:
	ds_read_b32 v11, v10 offset:256
	s_waitcnt lgkmcnt(0)
	v_add_f32_e32 v2, v2, v11
	s_or_b64 exec, exec, s[2:3]
	s_and_saveexec_b64 s[2:3], vcc
	s_cbranch_execz .LBB105_68
.LBB105_80:
	ds_read_b32 v11, v10 offset:320
	s_waitcnt lgkmcnt(0)
	v_add_f32_e32 v3, v3, v11
	s_or_b64 exec, exec, s[2:3]
	s_and_saveexec_b64 s[2:3], vcc
	s_cbranch_execz .LBB105_69
.LBB105_81:
	ds_read_b32 v11, v10 offset:384
	s_waitcnt lgkmcnt(0)
	v_add_f32_e32 v6, v6, v11
	s_or_b64 exec, exec, s[2:3]
	s_and_saveexec_b64 s[2:3], vcc
	s_cbranch_execnz .LBB105_70
	s_branch .LBB105_71
	.section	.rodata,"a",@progbits
	.p2align	6, 0x0
	.amdhsa_kernel _ZN4vllm25paged_attention_v1_kernelIttLi128ELi32ELi128ELNS_18Fp8KVCacheDataTypeE0ELb0EEEvPT_PKS2_PKT0_S8_ifPKiSA_iPKfiiiSC_SC_iiiii
		.amdhsa_group_segment_fixed_size 272
		.amdhsa_private_segment_fixed_size 0
		.amdhsa_kernarg_size 384
		.amdhsa_user_sgpr_count 2
		.amdhsa_user_sgpr_dispatch_ptr 0
		.amdhsa_user_sgpr_queue_ptr 0
		.amdhsa_user_sgpr_kernarg_segment_ptr 1
		.amdhsa_user_sgpr_dispatch_id 0
		.amdhsa_user_sgpr_kernarg_preload_length 0
		.amdhsa_user_sgpr_kernarg_preload_offset 0
		.amdhsa_user_sgpr_private_segment_size 0
		.amdhsa_uses_dynamic_stack 0
		.amdhsa_enable_private_segment 0
		.amdhsa_system_sgpr_workgroup_id_x 1
		.amdhsa_system_sgpr_workgroup_id_y 1
		.amdhsa_system_sgpr_workgroup_id_z 1
		.amdhsa_system_sgpr_workgroup_info 0
		.amdhsa_system_vgpr_workitem_id 0
		.amdhsa_next_free_vgpr 78
		.amdhsa_next_free_sgpr 35
		.amdhsa_accum_offset 80
		.amdhsa_reserve_vcc 1
		.amdhsa_float_round_mode_32 0
		.amdhsa_float_round_mode_16_64 0
		.amdhsa_float_denorm_mode_32 3
		.amdhsa_float_denorm_mode_16_64 3
		.amdhsa_dx10_clamp 1
		.amdhsa_ieee_mode 1
		.amdhsa_fp16_overflow 0
		.amdhsa_tg_split 0
		.amdhsa_exception_fp_ieee_invalid_op 0
		.amdhsa_exception_fp_denorm_src 0
		.amdhsa_exception_fp_ieee_div_zero 0
		.amdhsa_exception_fp_ieee_overflow 0
		.amdhsa_exception_fp_ieee_underflow 0
		.amdhsa_exception_fp_ieee_inexact 0
		.amdhsa_exception_int_div_zero 0
	.end_amdhsa_kernel
	.section	.text._ZN4vllm25paged_attention_v1_kernelIttLi128ELi32ELi128ELNS_18Fp8KVCacheDataTypeE0ELb0EEEvPT_PKS2_PKT0_S8_ifPKiSA_iPKfiiiSC_SC_iiiii,"axG",@progbits,_ZN4vllm25paged_attention_v1_kernelIttLi128ELi32ELi128ELNS_18Fp8KVCacheDataTypeE0ELb0EEEvPT_PKS2_PKT0_S8_ifPKiSA_iPKfiiiSC_SC_iiiii,comdat
.Lfunc_end105:
	.size	_ZN4vllm25paged_attention_v1_kernelIttLi128ELi32ELi128ELNS_18Fp8KVCacheDataTypeE0ELb0EEEvPT_PKS2_PKT0_S8_ifPKiSA_iPKfiiiSC_SC_iiiii, .Lfunc_end105-_ZN4vllm25paged_attention_v1_kernelIttLi128ELi32ELi128ELNS_18Fp8KVCacheDataTypeE0ELb0EEEvPT_PKS2_PKT0_S8_ifPKiSA_iPKfiiiSC_SC_iiiii
                                        ; -- End function
	.set _ZN4vllm25paged_attention_v1_kernelIttLi128ELi32ELi128ELNS_18Fp8KVCacheDataTypeE0ELb0EEEvPT_PKS2_PKT0_S8_ifPKiSA_iPKfiiiSC_SC_iiiii.num_vgpr, 78
	.set _ZN4vllm25paged_attention_v1_kernelIttLi128ELi32ELi128ELNS_18Fp8KVCacheDataTypeE0ELb0EEEvPT_PKS2_PKT0_S8_ifPKiSA_iPKfiiiSC_SC_iiiii.num_agpr, 0
	.set _ZN4vllm25paged_attention_v1_kernelIttLi128ELi32ELi128ELNS_18Fp8KVCacheDataTypeE0ELb0EEEvPT_PKS2_PKT0_S8_ifPKiSA_iPKfiiiSC_SC_iiiii.numbered_sgpr, 35
	.set _ZN4vllm25paged_attention_v1_kernelIttLi128ELi32ELi128ELNS_18Fp8KVCacheDataTypeE0ELb0EEEvPT_PKS2_PKT0_S8_ifPKiSA_iPKfiiiSC_SC_iiiii.num_named_barrier, 0
	.set _ZN4vllm25paged_attention_v1_kernelIttLi128ELi32ELi128ELNS_18Fp8KVCacheDataTypeE0ELb0EEEvPT_PKS2_PKT0_S8_ifPKiSA_iPKfiiiSC_SC_iiiii.private_seg_size, 0
	.set _ZN4vllm25paged_attention_v1_kernelIttLi128ELi32ELi128ELNS_18Fp8KVCacheDataTypeE0ELb0EEEvPT_PKS2_PKT0_S8_ifPKiSA_iPKfiiiSC_SC_iiiii.uses_vcc, 1
	.set _ZN4vllm25paged_attention_v1_kernelIttLi128ELi32ELi128ELNS_18Fp8KVCacheDataTypeE0ELb0EEEvPT_PKS2_PKT0_S8_ifPKiSA_iPKfiiiSC_SC_iiiii.uses_flat_scratch, 0
	.set _ZN4vllm25paged_attention_v1_kernelIttLi128ELi32ELi128ELNS_18Fp8KVCacheDataTypeE0ELb0EEEvPT_PKS2_PKT0_S8_ifPKiSA_iPKfiiiSC_SC_iiiii.has_dyn_sized_stack, 0
	.set _ZN4vllm25paged_attention_v1_kernelIttLi128ELi32ELi128ELNS_18Fp8KVCacheDataTypeE0ELb0EEEvPT_PKS2_PKT0_S8_ifPKiSA_iPKfiiiSC_SC_iiiii.has_recursion, 0
	.set _ZN4vllm25paged_attention_v1_kernelIttLi128ELi32ELi128ELNS_18Fp8KVCacheDataTypeE0ELb0EEEvPT_PKS2_PKT0_S8_ifPKiSA_iPKfiiiSC_SC_iiiii.has_indirect_call, 0
	.section	.AMDGPU.csdata,"",@progbits
; Kernel info:
; codeLenInByte = 10184
; TotalNumSgprs: 41
; NumVgprs: 78
; NumAgprs: 0
; TotalNumVgprs: 78
; ScratchSize: 0
; MemoryBound: 0
; FloatMode: 240
; IeeeMode: 1
; LDSByteSize: 272 bytes/workgroup (compile time only)
; SGPRBlocks: 5
; VGPRBlocks: 9
; NumSGPRsForWavesPerEU: 41
; NumVGPRsForWavesPerEU: 78
; AccumOffset: 80
; Occupancy: 6
; WaveLimiterHint : 1
; COMPUTE_PGM_RSRC2:SCRATCH_EN: 0
; COMPUTE_PGM_RSRC2:USER_SGPR: 2
; COMPUTE_PGM_RSRC2:TRAP_HANDLER: 0
; COMPUTE_PGM_RSRC2:TGID_X_EN: 1
; COMPUTE_PGM_RSRC2:TGID_Y_EN: 1
; COMPUTE_PGM_RSRC2:TGID_Z_EN: 1
; COMPUTE_PGM_RSRC2:TIDIG_COMP_CNT: 0
; COMPUTE_PGM_RSRC3_GFX90A:ACCUM_OFFSET: 19
; COMPUTE_PGM_RSRC3_GFX90A:TG_SPLIT: 0
	.section	.text._ZN4vllm25paged_attention_v1_kernelIttLi192ELi32ELi128ELNS_18Fp8KVCacheDataTypeE0ELb0EEEvPT_PKS2_PKT0_S8_ifPKiSA_iPKfiiiSC_SC_iiiii,"axG",@progbits,_ZN4vllm25paged_attention_v1_kernelIttLi192ELi32ELi128ELNS_18Fp8KVCacheDataTypeE0ELb0EEEvPT_PKS2_PKT0_S8_ifPKiSA_iPKfiiiSC_SC_iiiii,comdat
	.protected	_ZN4vllm25paged_attention_v1_kernelIttLi192ELi32ELi128ELNS_18Fp8KVCacheDataTypeE0ELb0EEEvPT_PKS2_PKT0_S8_ifPKiSA_iPKfiiiSC_SC_iiiii ; -- Begin function _ZN4vllm25paged_attention_v1_kernelIttLi192ELi32ELi128ELNS_18Fp8KVCacheDataTypeE0ELb0EEEvPT_PKS2_PKT0_S8_ifPKiSA_iPKfiiiSC_SC_iiiii
	.globl	_ZN4vllm25paged_attention_v1_kernelIttLi192ELi32ELi128ELNS_18Fp8KVCacheDataTypeE0ELb0EEEvPT_PKS2_PKT0_S8_ifPKiSA_iPKfiiiSC_SC_iiiii
	.p2align	8
	.type	_ZN4vllm25paged_attention_v1_kernelIttLi192ELi32ELi128ELNS_18Fp8KVCacheDataTypeE0ELb0EEEvPT_PKS2_PKT0_S8_ifPKiSA_iPKfiiiSC_SC_iiiii,@function
_ZN4vllm25paged_attention_v1_kernelIttLi192ELi32ELi128ELNS_18Fp8KVCacheDataTypeE0ELb0EEEvPT_PKS2_PKT0_S8_ifPKiSA_iPKfiiiSC_SC_iiiii: ; @_ZN4vllm25paged_attention_v1_kernelIttLi192ELi32ELi128ELNS_18Fp8KVCacheDataTypeE0ELb0EEEvPT_PKS2_PKT0_S8_ifPKiSA_iPKfiiiSC_SC_iiiii
; %bb.0:
	s_load_dword s5, s[0:1], 0x80
	s_load_dwordx2 s[6:7], s[0:1], 0x30
	s_load_dwordx2 s[8:9], s[0:1], 0x20
	s_mov_b32 s10, s3
	s_ashr_i32 s11, s3, 31
	s_lshl_b64 s[12:13], s[10:11], 2
	s_waitcnt lgkmcnt(0)
	s_add_u32 s6, s6, s12
	s_addc_u32 s7, s7, s13
	s_abs_i32 s3, s8
	v_cvt_f32_u32_e32 v1, s3
	s_sub_i32 s12, 0, s3
	s_abs_i32 s11, s5
	s_xor_b32 s8, s5, s8
	v_rcp_iflag_f32_e32 v1, v1
	s_ashr_i32 s8, s8, 31
	v_mul_f32_e32 v1, 0x4f7ffffe, v1
	v_cvt_u32_f32_e32 v1, v1
	s_nop 0
	v_readfirstlane_b32 s13, v1
	s_mul_i32 s12, s12, s13
	s_mul_hi_u32 s12, s13, s12
	s_add_i32 s13, s13, s12
	s_mul_hi_u32 s12, s11, s13
	s_mul_i32 s13, s12, s3
	s_sub_i32 s11, s11, s13
	s_add_i32 s13, s12, 1
	s_sub_i32 s14, s11, s3
	s_cmp_ge_u32 s11, s3
	s_cselect_b32 s12, s13, s12
	s_cselect_b32 s11, s14, s11
	s_add_i32 s13, s12, 1
	s_cmp_ge_u32 s11, s3
	s_cselect_b32 s3, s13, s12
	s_xor_b32 s3, s3, s8
	s_sub_i32 s14, s3, s8
	s_abs_i32 s11, s14
	v_cvt_f32_u32_e32 v1, s11
	s_load_dwordx2 s[12:13], s[0:1], 0x40
	s_sub_i32 s3, 0, s11
	s_abs_i32 s18, s2
	v_rcp_iflag_f32_e32 v1, v1
	s_mov_b32 s8, 0
	v_mul_f32_e32 v1, 0x4f7ffffe, v1
	v_cvt_u32_f32_e32 v1, v1
	s_nop 0
	v_readfirstlane_b32 s15, v1
	s_mul_i32 s3, s3, s15
	s_mul_hi_u32 s3, s15, s3
	s_add_i32 s15, s15, s3
	s_waitcnt lgkmcnt(0)
	s_cmp_eq_u64 s[12:13], 0
	s_mul_hi_u32 s19, s18, s15
	s_cbranch_scc1 .LBB106_2
; %bb.1:
	s_ashr_i32 s3, s2, 31
	s_lshl_b64 s[16:17], s[2:3], 2
	s_add_u32 s12, s12, s16
	s_addc_u32 s13, s13, s17
	s_load_dword s8, s[12:13], 0x0
.LBB106_2:
	s_load_dword s33, s[6:7], 0x0
	s_ashr_i32 s7, s14, 31
	s_load_dwordx4 s[12:15], s[0:1], 0x48
	s_ashr_i32 s6, s2, 31
	v_and_b32_e32 v4, 1, v0
	s_waitcnt lgkmcnt(0)
	s_movk_i32 s15, 0xc0
	s_mul_i32 s16, s2, 0xc0
	v_cmp_gt_u32_e32 vcc, 48, v0
	v_lshlrev_b32_e32 v1, 3, v0
	s_and_saveexec_b64 s[2:3], vcc
	s_cbranch_execz .LBB106_4
; %bb.3:
	s_load_dwordx2 s[20:21], s[0:1], 0x8
	s_mul_i32 s22, s12, s10
	s_ashr_i32 s23, s22, 31
	s_lshl_b64 s[22:23], s[22:23], 1
	v_lshlrev_b32_e32 v5, 2, v0
	s_waitcnt lgkmcnt(0)
	s_add_u32 s12, s20, s22
	s_addc_u32 s22, s21, s23
	s_ashr_i32 s17, s16, 31
	s_lshl_b64 s[20:21], s[16:17], 1
	s_add_u32 s20, s12, s20
	s_addc_u32 s21, s22, s21
	global_load_dwordx2 v[2:3], v1, s[20:21]
	v_and_b32_e32 v5, 0xff8, v5
	v_mad_u32_u24 v5, v4, s15, v5
	s_waitcnt vmcnt(0)
	ds_write_b64 v5, v[2:3]
.LBB106_4:
	s_or_b64 exec, exec, s[2:3]
	s_add_i32 s3, s33, 31
	s_ashr_i32 s12, s3, 31
	s_lshr_b32 s12, s12, 27
	s_add_i32 s3, s3, s12
	s_ashr_i32 s12, s3, 5
	s_xor_b32 s3, s6, s7
	s_mul_i32 s6, s19, s11
	s_sub_i32 s6, s18, s6
	s_add_i32 s7, s19, 1
	s_sub_i32 s15, s6, s11
	s_load_dwordx2 s[20:21], s[0:1], 0x28
	s_load_dword s2, s[0:1], 0x38
	s_cmp_ge_u32 s6, s11
	s_cselect_b32 s7, s7, s19
	s_cselect_b32 s6, s15, s6
	s_add_i32 s15, s7, 1
	s_cmp_ge_u32 s6, s11
	s_cselect_b32 s6, s15, s7
	v_lshrrev_b32_e32 v52, 6, v0
	s_xor_b32 s6, s6, s3
	s_waitcnt lgkmcnt(0)
	s_mul_i32 s22, s2, s10
	s_sub_i32 s15, s6, s3
	s_ashr_i32 s23, s22, 31
	v_cmp_gt_i32_e64 s[6:7], s12, v52
	v_cmp_le_i32_e32 vcc, s12, v52
	v_mbcnt_lo_u32_b32 v6, -1, 0
	s_barrier
                                        ; implicit-def: $vgpr54
                                        ; implicit-def: $vgpr55
                                        ; implicit-def: $vgpr56
	s_and_saveexec_b64 s[2:3], vcc
	s_xor_b64 s[2:3], exec, s[2:3]
; %bb.5:
	v_mbcnt_hi_u32_b32 v54, -1, v6
	v_and_b32_e32 v55, 64, v54
	v_add_u32_e32 v56, 64, v55
                                        ; implicit-def: $vgpr4
                                        ; implicit-def: $vgpr6
; %bb.6:
	s_or_saveexec_b64 s[26:27], s[2:3]
	s_load_dwordx2 s[18:19], s[0:1], 0x0
	s_load_dwordx2 s[24:25], s[0:1], 0x18
	s_load_dword s11, s[0:1], 0x88
	v_mov_b32_e32 v57, 0xff7fffff
	s_mul_i32 s14, s15, s14
	v_lshrrev_b32_e32 v53, 4, v0
	s_xor_b64 exec, exec, s[26:27]
	s_cbranch_execz .LBB106_12
; %bb.7:
	s_load_dwordx2 s[0:1], s[0:1], 0x10
	s_ashr_i32 s15, s14, 31
	s_lshl_b64 s[2:3], s[14:15], 1
	v_bfe_u32 v5, v0, 1, 5
	v_lshlrev_b32_e32 v8, 4, v5
	s_waitcnt lgkmcnt(0)
	s_add_u32 s0, s0, s2
	s_addc_u32 s1, s1, s3
	v_mov_b32_e32 v9, 0
	v_lshl_add_u64 v[2:3], s[0:1], 0, v[8:9]
	s_sub_i32 s15, 1, s33
	s_lshl_b64 s[0:1], s[22:23], 2
	v_and_b32_e32 v8, 8, v1
	v_mul_u32_u24_e32 v58, 0xc0, v4
	v_cmp_eq_u32_e32 vcc, 0, v4
	v_lshlrev_b32_e32 v4, 2, v5
	s_add_u32 s0, s20, s0
	v_mbcnt_hi_u32_b32 v54, -1, v6
	v_lshl_add_u64 v[2:3], v[2:3], 0, v[8:9]
	v_lshl_or_b32 v4, v52, 7, v4
	v_and_b32_e32 v8, 60, v53
	s_addc_u32 s1, s21, s1
	v_and_b32_e32 v55, 64, v54
	s_mov_b32 s17, s13
	v_cmp_neq_f32_e64 s[2:3], s8, 0
	v_lshl_or_b32 v59, v52, 5, v5
	v_add_u32_e32 v60, 0x190, v4
	v_lshl_add_u64 v[4:5], s[0:1], 0, v[8:9]
	v_mov_b32_e32 v57, 0xff7fffff
	s_mov_b64 s[28:29], 0
	s_movk_i32 s34, 0x1000
	s_movk_i32 s35, 0x2000
	v_xor_b32_e32 v61, 1, v54
	v_add_u32_e32 v56, 64, v55
	v_mov_b32_e32 v62, v52
	s_branch .LBB106_9
.LBB106_8:                              ;   in Loop: Header=BB106_9 Depth=1
	s_or_b64 exec, exec, s[30:31]
	v_add_u32_e32 v62, 2, v62
	v_cmp_le_i32_e64 s[0:1], s12, v62
	v_add_u32_e32 v59, 64, v59
	v_add_u32_e32 v60, 0x100, v60
	s_or_b64 s[28:29], s[0:1], s[28:29]
	v_lshl_add_u64 v[4:5], v[4:5], 0, 8
	s_andn2_b64 exec, exec, s[28:29]
	s_cbranch_execz .LBB106_11
.LBB106_9:                              ; =>This Inner Loop Header: Depth=1
	global_load_dword v6, v[4:5], off
	s_waitcnt vmcnt(0) lgkmcnt(0)
	v_mad_i64_i32 v[6:7], s[0:1], v6, s17, 0
	v_lshl_add_u64 v[6:7], v[6:7], 1, v[2:3]
	global_load_dwordx2 v[66:67], v[6:7], off
	global_load_dwordx2 v[50:51], v[6:7], off offset:512
	global_load_dwordx2 v[48:49], v[6:7], off offset:1024
	;; [unrolled: 1-line block ×7, first 2 shown]
	v_add_co_u32_e64 v64, s[0:1], s35, v6
	ds_read_b64 v[8:9], v58
	s_nop 0
	v_addc_co_u32_e64 v65, s[0:1], 0, v7, s[0:1]
	global_load_dwordx2 v[36:37], v[64:65], off offset:-4096
	v_add_co_u32_e64 v6, s[0:1], s34, v6
	s_waitcnt lgkmcnt(0)
	v_lshrrev_b32_e32 v63, 16, v8
	v_addc_co_u32_e64 v7, s[0:1], 0, v7, s[0:1]
	v_and_b32_e32 v68, 0xffff, v8
	v_lshrrev_b32_e32 v77, 16, v9
	v_and_b32_e32 v76, 0xffff, v9
	global_load_dwordx2 v[34:35], v[6:7], off offset:512
	global_load_dwordx2 v[32:33], v[6:7], off offset:1024
	;; [unrolled: 1-line block ×7, first 2 shown]
	global_load_dwordx2 v[20:21], v[64:65], off
	global_load_dwordx2 v[18:19], v[64:65], off offset:512
	global_load_dwordx2 v[16:17], v[64:65], off offset:1024
                                        ; kill: killed $vgpr6 killed $vgpr7
	global_load_dwordx2 v[14:15], v[64:65], off offset:1536
	global_load_dwordx2 v[12:13], v[64:65], off offset:2048
	;; [unrolled: 1-line block ×5, first 2 shown]
	;;#ASMSTART
	v_cvt_f32_f16 v64, v68;
	;;#ASMEND
	;;#ASMSTART
	v_cvt_f32_f16 v63, v63;
	;;#ASMEND
	v_cmp_lt_i32_e64 s[0:1], v61, v56
	s_waitcnt vmcnt(23)
	v_lshrrev_b32_e32 v75, 16, v66
	v_and_b32_e32 v74, 0xffff, v66
	v_lshrrev_b32_e32 v79, 16, v67
	v_and_b32_e32 v78, 0xffff, v67
	s_waitcnt vmcnt(19)
	v_lshrrev_b32_e32 v70, 16, v44
	v_and_b32_e32 v71, 0xffff, v44
	v_lshrrev_b32_e32 v72, 16, v45
	v_and_b32_e32 v73, 0xffff, v45
	;;#ASMSTART
	v_cvt_f32_f16 v74, v74;
	;;#ASMEND
	;;#ASMSTART
	v_cvt_f32_f16 v75, v75;
	;;#ASMEND
	;; [unrolled: 3-line block ×6, first 2 shown]
	ds_read_b64 v[44:45], v58 offset:8
	s_waitcnt vmcnt(18)
	v_lshrrev_b32_e32 v81, 16, v42
	v_and_b32_e32 v82, 0xffff, v42
	v_lshrrev_b32_e32 v83, 16, v43
	v_and_b32_e32 v84, 0xffff, v43
	s_waitcnt lgkmcnt(0)
	v_and_b32_e32 v42, 0xffff, v44
	v_lshrrev_b32_e32 v43, 16, v44
	;;#ASMSTART
	v_cvt_f32_f16 v42, v42;
	;;#ASMEND
	v_and_b32_e32 v80, 0xffff, v50
	;;#ASMSTART
	v_cvt_f32_f16 v43, v43;
	;;#ASMEND
	;;#ASMSTART
	v_cvt_f32_f16 v44, v80;
	;;#ASMEND
	s_waitcnt vmcnt(17)
	v_lshrrev_b32_e32 v80, 16, v40
	v_mul_f32_e32 v42, v42, v44
	v_fmac_f32_e32 v42, v64, v74
	v_and_b32_e32 v64, 0xffff, v40
	s_waitcnt vmcnt(16)
	v_lshrrev_b32_e32 v88, 16, v39
	v_and_b32_e32 v89, 0xffff, v39
	v_lshrrev_b32_e32 v40, 16, v45
	v_and_b32_e32 v39, 0xffff, v45
	;; [unrolled: 2-line block ×5, first 2 shown]
	;;#ASMSTART
	v_cvt_f32_f16 v38, v67;
	;;#ASMEND
	;;#ASMSTART
	v_cvt_f32_f16 v39, v39;
	;;#ASMEND
	;; [unrolled: 3-line block ×4, first 2 shown]
	v_lshrrev_b32_e32 v50, 16, v51
	v_mul_f32_e32 v39, v39, v41
	;;#ASMSTART
	v_cvt_f32_f16 v41, v50;
	;;#ASMEND
	ds_read_b64 v[44:45], v58 offset:16
	v_and_b32_e32 v51, 0xffff, v48
	v_lshrrev_b32_e32 v48, 16, v48
	v_lshrrev_b32_e32 v65, 16, v49
	v_and_b32_e32 v49, 0xffff, v49
	v_mul_f32_e32 v38, v43, v38
	s_waitcnt vmcnt(15)
	v_lshrrev_b32_e32 v67, 16, v36
	v_mul_f32_e32 v40, v40, v41
	v_and_b32_e32 v68, 0xffff, v36
	s_waitcnt lgkmcnt(0)
	v_lshrrev_b32_e32 v41, 16, v44
	v_and_b32_e32 v36, 0xffff, v44
	v_lshrrev_b32_e32 v44, 16, v45
	v_and_b32_e32 v45, 0xffff, v45
	v_fmac_f32_e32 v38, v63, v75
	;;#ASMSTART
	v_cvt_f32_f16 v36, v36;
	;;#ASMEND
	;;#ASMSTART
	v_cvt_f32_f16 v41, v41;
	;;#ASMEND
	;; [unrolled: 3-line block ×8, first 2 shown]
	ds_read_b64 v[44:45], v58 offset:24
	v_lshrrev_b32_e32 v66, 16, v46
	v_and_b32_e32 v46, 0xffff, v46
	v_lshrrev_b32_e32 v69, 16, v47
	v_and_b32_e32 v47, 0xffff, v47
	v_fmac_f32_e32 v39, v76, v78
	v_fmac_f32_e32 v42, v36, v43
	;; [unrolled: 1-line block ×3, first 2 shown]
	s_waitcnt lgkmcnt(0)
	v_lshrrev_b32_e32 v41, 16, v44
	v_and_b32_e32 v36, 0xffff, v44
	v_lshrrev_b32_e32 v44, 16, v45
	v_and_b32_e32 v45, 0xffff, v45
	v_fmac_f32_e32 v39, v50, v49
	;;#ASMSTART
	v_cvt_f32_f16 v36, v36;
	;;#ASMEND
	;;#ASMSTART
	v_cvt_f32_f16 v41, v41;
	;;#ASMEND
	;; [unrolled: 3-line block ×8, first 2 shown]
	ds_read_b64 v[44:45], v58 offset:32
	v_fmac_f32_e32 v40, v77, v79
	v_fmac_f32_e32 v40, v51, v63
	;; [unrolled: 1-line block ×4, first 2 shown]
	s_waitcnt lgkmcnt(0)
	v_lshrrev_b32_e32 v41, 16, v44
	v_and_b32_e32 v36, 0xffff, v44
	v_lshrrev_b32_e32 v44, 16, v45
	v_and_b32_e32 v45, 0xffff, v45
	v_fmac_f32_e32 v39, v48, v47
	v_fmac_f32_e32 v40, v49, v50
	;;#ASMSTART
	v_cvt_f32_f16 v36, v36;
	;;#ASMEND
	;;#ASMSTART
	v_cvt_f32_f16 v41, v41;
	;;#ASMEND
	;;#ASMSTART
	v_cvt_f32_f16 v43, v71;
	;;#ASMEND
	;;#ASMSTART
	v_cvt_f32_f16 v46, v70;
	;;#ASMEND
	;;#ASMSTART
	v_cvt_f32_f16 v47, v45;
	;;#ASMEND
	;;#ASMSTART
	v_cvt_f32_f16 v48, v44;
	;;#ASMEND
	;;#ASMSTART
	v_cvt_f32_f16 v49, v73;
	;;#ASMEND
	;;#ASMSTART
	v_cvt_f32_f16 v50, v72;
	;;#ASMEND
	ds_read_b64 v[44:45], v58 offset:40
	v_fmac_f32_e32 v42, v36, v43
	v_fmac_f32_e32 v38, v41, v46
	v_fmac_f32_e32 v39, v47, v49
	v_fmac_f32_e32 v40, v48, v50
	s_waitcnt lgkmcnt(0)
	v_lshrrev_b32_e32 v41, 16, v44
	v_and_b32_e32 v36, 0xffff, v44
	v_lshrrev_b32_e32 v44, 16, v45
	v_and_b32_e32 v45, 0xffff, v45
	;;#ASMSTART
	v_cvt_f32_f16 v36, v36;
	;;#ASMEND
	;;#ASMSTART
	v_cvt_f32_f16 v41, v41;
	;;#ASMEND
	;;#ASMSTART
	v_cvt_f32_f16 v43, v82;
	;;#ASMEND
	;;#ASMSTART
	v_cvt_f32_f16 v46, v81;
	;;#ASMEND
	;;#ASMSTART
	v_cvt_f32_f16 v47, v45;
	;;#ASMEND
	;;#ASMSTART
	v_cvt_f32_f16 v48, v44;
	;;#ASMEND
	;;#ASMSTART
	v_cvt_f32_f16 v49, v84;
	;;#ASMEND
	;;#ASMSTART
	v_cvt_f32_f16 v50, v83;
	;;#ASMEND
	ds_read_b64 v[44:45], v58 offset:48
	v_fmac_f32_e32 v42, v36, v43
	v_fmac_f32_e32 v38, v41, v46
	v_fmac_f32_e32 v39, v47, v49
	v_fmac_f32_e32 v40, v48, v50
	s_waitcnt lgkmcnt(0)
	v_lshrrev_b32_e32 v41, 16, v44
	v_and_b32_e32 v36, 0xffff, v44
	v_lshrrev_b32_e32 v44, 16, v45
	v_and_b32_e32 v45, 0xffff, v45
	;; [unrolled: 34-line block ×3, first 2 shown]
	;;#ASMSTART
	v_cvt_f32_f16 v36, v36;
	;;#ASMEND
	;;#ASMSTART
	v_cvt_f32_f16 v41, v41;
	;;#ASMEND
	;; [unrolled: 3-line block ×8, first 2 shown]
	ds_read_b64 v[44:45], v58 offset:64
	v_fmac_f32_e32 v42, v36, v43
	v_fmac_f32_e32 v38, v41, v46
	;; [unrolled: 1-line block ×4, first 2 shown]
	s_waitcnt lgkmcnt(0)
	v_lshrrev_b32_e32 v36, 16, v44
	v_and_b32_e32 v41, 0xffff, v44
	;;#ASMSTART
	v_cvt_f32_f16 v41, v41;
	;;#ASMEND
	;;#ASMSTART
	v_cvt_f32_f16 v43, v36;
	;;#ASMEND
	v_lshrrev_b32_e32 v36, 16, v45
	v_and_b32_e32 v45, 0xffff, v45
	;;#ASMSTART
	v_cvt_f32_f16 v44, v68;
	;;#ASMEND
	;;#ASMSTART
	v_cvt_f32_f16 v46, v67;
	;;#ASMEND
	;; [unrolled: 3-line block ×4, first 2 shown]
	v_lshrrev_b32_e32 v36, 16, v37
	v_and_b32_e32 v37, 0xffff, v37
	;;#ASMSTART
	v_cvt_f32_f16 v48, v37;
	;;#ASMEND
	;;#ASMSTART
	v_cvt_f32_f16 v49, v36;
	;;#ASMEND
	ds_read_b64 v[36:37], v58 offset:72
	v_fmac_f32_e32 v42, v41, v44
	s_waitcnt vmcnt(14)
	v_lshrrev_b32_e32 v44, 16, v34
	v_and_b32_e32 v34, 0xffff, v34
	v_fmac_f32_e32 v38, v43, v46
	s_waitcnt lgkmcnt(0)
	v_lshrrev_b32_e32 v41, 16, v36
	v_and_b32_e32 v36, 0xffff, v36
	;;#ASMSTART
	v_cvt_f32_f16 v36, v36;
	;;#ASMEND
	;;#ASMSTART
	v_cvt_f32_f16 v41, v41;
	;;#ASMEND
	;; [unrolled: 3-line block ×3, first 2 shown]
	v_lshrrev_b32_e32 v34, 16, v37
	v_and_b32_e32 v37, 0xffff, v37
	v_fmac_f32_e32 v39, v45, v48
	;;#ASMSTART
	v_cvt_f32_f16 v44, v44;
	;;#ASMEND
	;;#ASMSTART
	v_cvt_f32_f16 v37, v37;
	;;#ASMEND
	;;#ASMSTART
	v_cvt_f32_f16 v45, v34;
	;;#ASMEND
	v_lshrrev_b32_e32 v34, 16, v35
	v_and_b32_e32 v35, 0xffff, v35
	v_fmac_f32_e32 v40, v47, v49
	;;#ASMSTART
	v_cvt_f32_f16 v46, v35;
	;;#ASMEND
	;;#ASMSTART
	v_cvt_f32_f16 v47, v34;
	;;#ASMEND
	ds_read_b64 v[34:35], v58 offset:80
	v_fmac_f32_e32 v42, v36, v43
	v_fmac_f32_e32 v38, v41, v44
	s_waitcnt vmcnt(13)
	v_lshrrev_b32_e32 v41, 16, v32
	v_and_b32_e32 v32, 0xffff, v32
	s_waitcnt lgkmcnt(0)
	v_lshrrev_b32_e32 v36, 16, v34
	v_and_b32_e32 v34, 0xffff, v34
	v_fmac_f32_e32 v39, v37, v46
	;;#ASMSTART
	v_cvt_f32_f16 v34, v34;
	;;#ASMEND
	;;#ASMSTART
	v_cvt_f32_f16 v36, v36;
	;;#ASMEND
	;;#ASMSTART
	v_cvt_f32_f16 v37, v32;
	;;#ASMEND
	v_lshrrev_b32_e32 v32, 16, v35
	v_and_b32_e32 v35, 0xffff, v35
	;;#ASMSTART
	v_cvt_f32_f16 v41, v41;
	;;#ASMEND
	;;#ASMSTART
	v_cvt_f32_f16 v35, v35;
	;;#ASMEND
	;;#ASMSTART
	v_cvt_f32_f16 v43, v32;
	;;#ASMEND
	v_lshrrev_b32_e32 v32, 16, v33
	v_and_b32_e32 v33, 0xffff, v33
	v_fmac_f32_e32 v40, v45, v47
	;;#ASMSTART
	v_cvt_f32_f16 v44, v33;
	;;#ASMEND
	;;#ASMSTART
	v_cvt_f32_f16 v45, v32;
	;;#ASMEND
	ds_read_b64 v[32:33], v58 offset:88
	v_fmac_f32_e32 v42, v34, v37
	v_fmac_f32_e32 v38, v36, v41
	s_waitcnt vmcnt(12)
	v_lshrrev_b32_e32 v36, 16, v30
	v_and_b32_e32 v30, 0xffff, v30
	s_waitcnt lgkmcnt(0)
	v_lshrrev_b32_e32 v34, 16, v32
	v_and_b32_e32 v32, 0xffff, v32
	v_fmac_f32_e32 v39, v35, v44
	;;#ASMSTART
	v_cvt_f32_f16 v32, v32;
	;;#ASMEND
	;;#ASMSTART
	v_cvt_f32_f16 v34, v34;
	;;#ASMEND
	;;#ASMSTART
	v_cvt_f32_f16 v35, v30;
	;;#ASMEND
	v_lshrrev_b32_e32 v30, 16, v33
	v_and_b32_e32 v33, 0xffff, v33
	;; [unrolled: 39-line block ×13, first 2 shown]
	;;#ASMSTART
	v_cvt_f32_f16 v14, v14;
	;;#ASMEND
	;;#ASMSTART
	v_cvt_f32_f16 v11, v11;
	;;#ASMEND
	;;#ASMSTART
	v_cvt_f32_f16 v15, v8;
	;;#ASMEND
	v_lshrrev_b32_e32 v8, 16, v9
	v_and_b32_e32 v9, 0xffff, v9
	v_fmac_f32_e32 v40, v17, v19
	;;#ASMSTART
	v_cvt_f32_f16 v16, v9;
	;;#ASMEND
	;;#ASMSTART
	v_cvt_f32_f16 v17, v8;
	;;#ASMEND
	ds_read_b64 v[8:9], v58 offset:184
	v_fmac_f32_e32 v42, v10, v13
	v_fmac_f32_e32 v39, v11, v16
	s_waitcnt vmcnt(0)
	v_lshrrev_b32_e32 v11, 16, v6
	v_and_b32_e32 v6, 0xffff, v6
	s_waitcnt lgkmcnt(0)
	v_lshrrev_b32_e32 v10, 16, v8
	v_and_b32_e32 v8, 0xffff, v8
	;;#ASMSTART
	v_cvt_f32_f16 v8, v8;
	;;#ASMEND
	;;#ASMSTART
	v_cvt_f32_f16 v10, v10;
	;;#ASMEND
	;; [unrolled: 3-line block ×3, first 2 shown]
	v_fmac_f32_e32 v38, v12, v14
	v_fmac_f32_e32 v42, v8, v6
	v_and_b32_e32 v6, 0xffff, v9
	;;#ASMSTART
	v_cvt_f32_f16 v11, v11;
	;;#ASMEND
	v_lshrrev_b32_e32 v8, 16, v9
	v_fmac_f32_e32 v38, v10, v11
	;;#ASMSTART
	v_cvt_f32_f16 v6, v6;
	;;#ASMEND
	v_lshrrev_b32_e32 v9, 16, v7
	v_and_b32_e32 v7, 0xffff, v7
	v_fmac_f32_e32 v40, v15, v17
	;;#ASMSTART
	v_cvt_f32_f16 v8, v8;
	;;#ASMEND
	;;#ASMSTART
	v_cvt_f32_f16 v7, v7;
	;;#ASMEND
	;; [unrolled: 3-line block ×3, first 2 shown]
	s_nop 0
	v_fmac_f32_e32 v39, v6, v7
	v_add_f32_e32 v6, v42, v38
	v_fmac_f32_e32 v40, v8, v9
	v_add_f32_e32 v6, v6, v39
	v_cndmask_b32_e64 v7, v54, v61, s[0:1]
	v_add_f32_e32 v6, v40, v6
	v_lshlrev_b32_e32 v7, 2, v7
	ds_bpermute_b32 v7, v7, v6
	s_and_saveexec_b64 s[30:31], vcc
	s_cbranch_execz .LBB106_8
; %bb.10:                               ;   in Loop: Header=BB106_9 Depth=1
	v_add_u32_e32 v8, s15, v59
	v_cvt_f32_i32_e32 v8, v8
	s_waitcnt lgkmcnt(0)
	v_add_f32_e32 v6, v6, v7
	v_cmp_gt_i32_e64 s[0:1], s33, v59
	v_max_f32_e32 v7, v57, v57
	v_mul_f32_e32 v8, s8, v8
	v_cndmask_b32_e64 v8, 0, v8, s[2:3]
	v_fmac_f32_e32 v8, s9, v6
	v_cndmask_b32_e64 v6, 0, v8, s[0:1]
	ds_write_b32 v60, v6
	v_max_f32_e32 v6, v7, v8
	v_cndmask_b32_e64 v57, v57, v6, s[0:1]
	s_branch .LBB106_8
.LBB106_11:
	s_or_b64 exec, exec, s[28:29]
.LBB106_12:
	s_or_b64 exec, exec, s[26:27]
	v_xor_b32_e32 v2, 32, v54
	v_cmp_lt_i32_e32 vcc, v2, v56
	v_xor_b32_e32 v5, 16, v54
	v_max_f32_e32 v4, v57, v57
	v_cndmask_b32_e32 v2, v54, v2, vcc
	v_lshlrev_b32_e32 v2, 2, v2
	ds_bpermute_b32 v3, v2, v57
	v_cmp_lt_i32_e32 vcc, v5, v56
	v_xor_b32_e32 v6, 8, v54
	s_waitcnt lgkmcnt(0)
	v_xor_b32_e32 v7, 4, v54
	v_xor_b32_e32 v8, 2, v54
	v_max_f32_e32 v3, v3, v3
	v_max_f32_e32 v4, v4, v3
	v_cndmask_b32_e32 v3, v54, v5, vcc
	v_lshlrev_b32_e32 v3, 2, v3
	ds_bpermute_b32 v5, v3, v4
	v_cmp_lt_i32_e32 vcc, v6, v56
	v_and_b32_e32 v28, 63, v0
	s_waitcnt lgkmcnt(0)
	v_max_f32_e32 v5, v5, v5
	v_max_f32_e32 v5, v4, v5
	v_cndmask_b32_e32 v4, v54, v6, vcc
	v_lshlrev_b32_e32 v4, 2, v4
	ds_bpermute_b32 v6, v4, v5
	v_cmp_lt_i32_e32 vcc, v7, v56
	s_waitcnt lgkmcnt(0)
	v_max_f32_e32 v6, v6, v6
	v_max_f32_e32 v6, v5, v6
	v_cndmask_b32_e32 v5, v54, v7, vcc
	v_lshlrev_b32_e32 v5, 2, v5
	ds_bpermute_b32 v7, v5, v6
	v_cmp_lt_i32_e32 vcc, v8, v56
	s_waitcnt lgkmcnt(0)
	v_max_f32_e32 v7, v7, v7
	v_max_f32_e32 v7, v6, v7
	v_cndmask_b32_e32 v6, v54, v8, vcc
	v_lshlrev_b32_e32 v29, 2, v6
	ds_bpermute_b32 v8, v29, v7
	v_cmp_eq_u32_e32 vcc, 0, v28
	v_lshlrev_b32_e32 v6, 2, v52
	s_and_saveexec_b64 s[0:1], vcc
	s_cbranch_execz .LBB106_14
; %bb.13:
	s_waitcnt lgkmcnt(0)
	v_max_f32_e32 v8, v8, v8
	v_max_f32_e32 v7, v7, v7
	;; [unrolled: 1-line block ×3, first 2 shown]
	ds_write_b32 v6, v7 offset:384
.LBB106_14:
	s_or_b64 exec, exec, s[0:1]
	v_cmp_gt_u32_e64 s[0:1], 2, v28
	s_waitcnt lgkmcnt(0)
	v_mov_b32_e32 v8, 0xff7fffff
	v_lshlrev_b32_e32 v7, 2, v28
	s_barrier
	s_and_saveexec_b64 s[2:3], s[0:1]
; %bb.15:
	ds_read_b32 v8, v7 offset:384
; %bb.16:
	s_or_b64 exec, exec, s[2:3]
	v_xor_b32_e32 v9, 1, v54
	v_cmp_lt_i32_e64 s[2:3], v9, v56
	s_nop 1
	v_cndmask_b32_e64 v9, v54, v9, s[2:3]
	v_lshlrev_b32_e32 v30, 2, v9
	s_waitcnt lgkmcnt(0)
	ds_bpermute_b32 v9, v30, v8
	v_max_f32_e32 v8, v8, v8
	s_lshl_b32 s2, s12, 5
	s_min_i32 s15, s2, s33
	v_cmp_gt_i32_e64 s[2:3], s15, v0
	s_waitcnt lgkmcnt(0)
	v_max_f32_e32 v9, v9, v9
	v_max_f32_e32 v8, v8, v9
	v_lshlrev_b32_e32 v9, 2, v55
	ds_bpermute_b32 v9, v9, v8
	v_mov_b32_e32 v8, 0
	s_and_saveexec_b64 s[26:27], s[2:3]
	s_cbranch_execz .LBB106_20
; %bb.17:
	v_mov_b32_e32 v8, 0x190
	v_lshl_add_u32 v10, v0, 2, v8
	v_mov_b32_e32 v8, 0
	s_mov_b64 s[28:29], 0
	v_mov_b32_e32 v11, v0
.LBB106_18:                             ; =>This Inner Loop Header: Depth=1
	ds_read_b32 v12, v10
	v_add_u32_e32 v11, 0x80, v11
	v_cmp_le_i32_e64 s[8:9], s15, v11
	s_or_b64 s[28:29], s[8:9], s[28:29]
	s_waitcnt lgkmcnt(0)
	v_sub_f32_e32 v12, v12, v9
	v_mul_f32_e32 v12, 0x3fb8aa3b, v12
	v_exp_f32_e32 v12, v12
	ds_write_b32 v10, v12
	v_add_f32_e32 v8, v8, v12
	v_add_u32_e32 v10, 0x200, v10
	s_andn2_b64 exec, exec, s[28:29]
	s_cbranch_execnz .LBB106_18
; %bb.19:
	s_or_b64 exec, exec, s[28:29]
.LBB106_20:
	s_or_b64 exec, exec, s[26:27]
	ds_bpermute_b32 v2, v2, v8
	s_waitcnt lgkmcnt(0)
	v_add_f32_e32 v2, v8, v2
	ds_bpermute_b32 v3, v3, v2
	s_waitcnt lgkmcnt(0)
	v_add_f32_e32 v2, v2, v3
	;; [unrolled: 3-line block ×6, first 2 shown]
	s_and_saveexec_b64 s[8:9], vcc
; %bb.21:
	ds_write_b32 v6, v2 offset:392
; %bb.22:
	s_or_b64 exec, exec, s[8:9]
	s_waitcnt lgkmcnt(0)
	s_barrier
	s_and_saveexec_b64 s[8:9], s[0:1]
; %bb.23:
	ds_read_b32 v2, v7 offset:392
; %bb.24:
	s_or_b64 exec, exec, s[8:9]
	s_waitcnt lgkmcnt(0)
	ds_bpermute_b32 v3, v30, v2
	v_lshlrev_b32_e32 v4, 2, v54
	s_waitcnt lgkmcnt(0)
	v_add_f32_e32 v2, v2, v3
	v_and_b32_e32 v3, 0xffffff00, v4
	ds_bpermute_b32 v2, v3, v2
	s_and_saveexec_b64 s[0:1], s[2:3]
	s_cbranch_execz .LBB106_37
; %bb.25:
	s_waitcnt lgkmcnt(0)
	v_add_f32_e32 v2, 0x358637bd, v2
	v_div_scale_f32 v3, s[2:3], v2, v2, 1.0
	v_rcp_f32_e32 v4, v3
	v_div_scale_f32 v5, vcc, 1.0, v2, 1.0
	s_movk_i32 s2, 0x7f
	v_fma_f32 v6, -v3, v4, 1.0
	v_fmac_f32_e32 v4, v6, v4
	v_mul_f32_e32 v6, v5, v4
	v_fma_f32 v7, -v3, v6, v5
	v_fmac_f32_e32 v6, v7, v4
	v_fma_f32 v3, -v3, v6, v5
	v_div_fmas_f32 v3, v3, v4, v6
	v_xad_u32 v4, v0, -1, s15
	v_div_fixup_f32 v2, v3, v2, 1.0
	v_cmp_lt_u32_e32 vcc, s2, v4
	s_mov_b64 s[8:9], -1
	v_mov_b32_e32 v3, v0
	s_and_saveexec_b64 s[2:3], vcc
	s_cbranch_execz .LBB106_34
; %bb.26:
	v_lshrrev_b32_e32 v4, 7, v4
	v_add_u32_e32 v6, -1, v4
	v_lshrrev_b32_e32 v5, 1, v6
	v_mov_b32_e32 v3, v2
	v_add_u32_e32 v5, 1, v5
	v_cmp_lt_u32_e32 vcc, 13, v6
	v_mov_b32_e32 v8, 0
	s_and_saveexec_b64 s[8:9], vcc
	s_cbranch_execz .LBB106_30
; %bb.27:
	v_mov_b32_e32 v7, 0x190
	v_and_b32_e32 v6, -8, v5
	v_lshl_add_u32 v7, v0, 2, v7
	s_mov_b32 s17, 0
	s_mov_b64 s[26:27], 0
.LBB106_28:                             ; =>This Inner Loop Header: Depth=1
	ds_read2st64_b32 v[8:9], v7 offset1:2
	ds_read2st64_b32 v[10:11], v7 offset0:4 offset1:6
	ds_read2st64_b32 v[12:13], v7 offset0:8 offset1:10
	;; [unrolled: 1-line block ×3, first 2 shown]
	v_add_u32_e32 v6, -8, v6
	s_waitcnt lgkmcnt(3)
	v_pk_mul_f32 v[8:9], v[2:3], v[8:9]
	s_waitcnt lgkmcnt(2)
	v_pk_mul_f32 v[10:11], v[2:3], v[10:11]
	ds_write2st64_b32 v7, v8, v9 offset1:2
	ds_write2st64_b32 v7, v10, v11 offset0:4 offset1:6
	ds_read2st64_b32 v[10:11], v7 offset0:16 offset1:18
	s_waitcnt lgkmcnt(4)
	v_pk_mul_f32 v[8:9], v[2:3], v[12:13]
	ds_write2st64_b32 v7, v8, v9 offset0:8 offset1:10
	s_waitcnt lgkmcnt(4)
	v_pk_mul_f32 v[8:9], v[2:3], v[14:15]
	ds_write2st64_b32 v7, v8, v9 offset0:12 offset1:14
	ds_read2st64_b32 v[8:9], v7 offset0:20 offset1:22
	s_waitcnt lgkmcnt(3)
	v_pk_mul_f32 v[10:11], v[2:3], v[10:11]
	ds_read2st64_b32 v[12:13], v7 offset0:24 offset1:26
	ds_write2st64_b32 v7, v10, v11 offset0:16 offset1:18
	ds_read2st64_b32 v[10:11], v7 offset0:28 offset1:30
	s_waitcnt lgkmcnt(3)
	v_pk_mul_f32 v[8:9], v[2:3], v[8:9]
	ds_write2st64_b32 v7, v8, v9 offset0:20 offset1:22
	s_waitcnt lgkmcnt(3)
	v_pk_mul_f32 v[8:9], v[2:3], v[12:13]
	ds_write2st64_b32 v7, v8, v9 offset0:24 offset1:26
	s_waitcnt lgkmcnt(2)
	v_pk_mul_f32 v[8:9], v[2:3], v[10:11]
	s_add_i32 s17, s17, 16
	v_cmp_eq_u32_e32 vcc, 0, v6
	ds_write2st64_b32 v7, v8, v9 offset0:28 offset1:30
	v_add_u32_e32 v7, 0x2000, v7
	s_or_b64 s[26:27], vcc, s[26:27]
	v_mov_b32_e32 v8, s17
	s_andn2_b64 exec, exec, s[26:27]
	s_cbranch_execnz .LBB106_28
; %bb.29:
	s_or_b64 exec, exec, s[26:27]
.LBB106_30:
	s_or_b64 exec, exec, s[8:9]
	v_and_b32_e32 v5, 7, v5
	v_cmp_ne_u32_e32 vcc, 0, v5
	s_and_saveexec_b64 s[8:9], vcc
	s_cbranch_execz .LBB106_33
; %bb.31:
	v_lshlrev_b32_e32 v6, 9, v8
	v_lshlrev_b32_e32 v7, 2, v0
	s_movk_i32 s17, 0x190
	v_add3_u32 v6, v6, v7, s17
	s_mov_b64 s[26:27], 0
.LBB106_32:                             ; =>This Inner Loop Header: Depth=1
	ds_read2st64_b32 v[8:9], v6 offset1:2
	v_add_u32_e32 v5, -1, v5
	v_cmp_eq_u32_e32 vcc, 0, v5
	s_or_b64 s[26:27], vcc, s[26:27]
	s_waitcnt lgkmcnt(0)
	v_pk_mul_f32 v[8:9], v[2:3], v[8:9]
	ds_write2st64_b32 v6, v8, v9 offset1:2
	v_add_u32_e32 v6, 0x400, v6
	s_andn2_b64 exec, exec, s[26:27]
	s_cbranch_execnz .LBB106_32
.LBB106_33:
	s_or_b64 exec, exec, s[8:9]
	v_add_u32_e32 v4, 1, v4
	v_and_b32_e32 v5, 0x3fffffe, v4
	v_cmp_ne_u32_e32 vcc, v4, v5
	v_lshl_add_u32 v3, v5, 7, v0
	s_orn2_b64 s[8:9], vcc, exec
.LBB106_34:
	s_or_b64 exec, exec, s[2:3]
	s_and_b64 exec, exec, s[8:9]
	s_cbranch_execz .LBB106_37
; %bb.35:
	v_mov_b32_e32 v4, 0x190
	v_lshl_add_u32 v4, v3, 2, v4
	s_mov_b64 s[2:3], 0
.LBB106_36:                             ; =>This Inner Loop Header: Depth=1
	ds_read_b32 v5, v4
	v_add_u32_e32 v3, 0x80, v3
	v_cmp_le_i32_e32 vcc, s15, v3
	s_or_b64 s[2:3], vcc, s[2:3]
	s_waitcnt lgkmcnt(0)
	v_mul_f32_e32 v5, v2, v5
	ds_write_b32 v4, v5
	v_add_u32_e32 v4, 0x200, v4
	s_andn2_b64 exec, exec, s[2:3]
	s_cbranch_execnz .LBB106_36
.LBB106_37:
	s_or_b64 exec, exec, s[0:1]
	v_mov_b32_e32 v7, 0
	v_and_b32_e32 v31, 3, v0
	v_mov_b32_e32 v6, 0
	v_mov_b32_e32 v9, 0
	;; [unrolled: 1-line block ×11, first 2 shown]
	s_waitcnt lgkmcnt(0)
	s_barrier
	s_and_saveexec_b64 s[2:3], s[6:7]
	s_cbranch_execz .LBB106_65
; %bb.38:
	s_ashr_i32 s15, s14, 31
	s_lshl_b64 s[0:1], s[14:15], 1
	s_add_u32 s0, s24, s0
	v_lshlrev_b32_e32 v2, 4, v0
	s_addc_u32 s1, s25, s1
	v_and_b32_e32 v18, 0x3f0, v2
	v_mov_b32_e32 v19, 0
	v_and_b32_e32 v1, 24, v1
	s_add_i32 s14, s12, -1
	v_lshl_add_u64 v[20:21], s[0:1], 0, v[18:19]
	s_lshl_b64 s[0:1], s[22:23], 2
	v_lshl_or_b32 v32, v52, 5, v1
	v_lshlrev_b32_e32 v1, 5, v31
	s_add_u32 s0, s20, s0
	v_lshl_or_b32 v1, v52, 7, v1
	v_and_b32_e32 v18, 60, v53
	s_addc_u32 s1, s21, s1
	s_mov_b32 s15, s33
	v_add_u32_e32 v33, 0x190, v1
	v_lshl_add_u64 v[22:23], s[0:1], 0, v[18:19]
	s_mov_b64 s[6:7], 0
	s_mov_b32 s17, 0xffff
	s_movk_i32 s20, 0x1000
	s_movk_i32 s21, 0x2000
	v_mov_b32_e32 v7, 0
	v_mov_b32_e32 v6, 0
	;; [unrolled: 1-line block ×12, first 2 shown]
	s_branch .LBB106_40
.LBB106_39:                             ;   in Loop: Header=BB106_40 Depth=1
	s_or_b64 exec, exec, s[8:9]
	v_add_f32_e32 v25, v64, v65
	v_add_f32_e32 v6, v6, v25
	;; [unrolled: 1-line block ×5, first 2 shown]
	v_lshlrev_b32_e32 v18, 16, v18
	v_lshlrev_b32_e32 v1, 16, v1
	v_add_f32_e32 v8, v8, v25
	v_add_f32_e32 v25, v26, v27
	v_and_or_b32 v2, v2, s17, v18
	v_and_or_b32 v1, v3, s17, v1
	v_lshlrev_b32_e32 v3, 16, v24
	v_add_f32_e32 v11, v11, v25
	v_add_f32_e32 v25, v58, v59
	v_and_or_b32 v3, v4, s17, v3
	;;#ASMSTART
	v_pk_mul_f16 v2, v38, v2;

	;;#ASMEND
	;;#ASMSTART
	v_pk_mul_f16 v1, v39, v1;

	;;#ASMEND
	v_add_f32_e32 v10, v10, v25
	v_add_f32_e32 v25, v56, v57
	;;#ASMSTART
	v_pk_mul_f16 v3, v40, v3;

	;;#ASMEND
	;;#ASMSTART
	v_pk_mul_f16 v4, v41, v5;

	;;#ASMEND
	;;#ASMSTART
	v_pk_add_f16 v1, v2, v1;

	;;#ASMEND
	v_add_f32_e32 v13, v13, v25
	v_add_f32_e32 v25, v54, v55
	;;#ASMSTART
	v_pk_add_f16 v1, v1, v3;

	;;#ASMEND
	v_add_f32_e32 v12, v12, v25
	v_add_f32_e32 v25, v51, v53
	;; [unrolled: 6-line block ×3, first 2 shown]
	v_lshrrev_b32_e32 v2, 16, v1
	v_and_b32_e32 v1, 0xffff, v1
	v_add_f32_e32 v14, v14, v25
	v_add_f32_e32 v25, v47, v48
	;;#ASMSTART
	v_cvt_f32_f16 v1, v1;
	;;#ASMEND
	v_add_u32_e32 v52, 2, v52
	v_add_f32_e32 v17, v17, v25
	v_add_f32_e32 v25, v45, v46
	;;#ASMSTART
	v_cvt_f32_f16 v2, v2;
	;;#ASMEND
	v_cmp_le_i32_e32 vcc, s12, v52
	v_add_f32_e32 v1, v1, v2
	v_add_f32_e32 v16, v16, v25
	;; [unrolled: 1-line block ×3, first 2 shown]
	v_add_u32_e32 v32, 64, v32
	v_add_u32_e32 v33, 0x100, v33
	s_or_b64 s[6:7], vcc, s[6:7]
	v_lshl_add_u64 v[22:23], v[22:23], 0, 8
	s_andn2_b64 exec, exec, s[6:7]
	s_cbranch_execz .LBB106_64
.LBB106_40:                             ; =>This Inner Loop Header: Depth=1
	global_load_dword v1, v[22:23], off
	ds_read2_b64 v[2:5], v33 offset1:1
	ds_read2_b64 v[34:37], v33 offset0:2 offset1:3
	v_add_u32_e32 v42, 2, v32
	v_or_b32_e32 v43, 3, v32
	s_waitcnt lgkmcnt(1)
	;;#ASMSTART
	v_cvt_f16_f32 v26, v2;

	;;#ASMEND
	;;#ASMSTART
	v_cvt_f16_f32 v27, v3;

	;;#ASMEND
	;; [unrolled: 4-line block ×4, first 2 shown]
	s_waitcnt lgkmcnt(0)
	;;#ASMSTART
	v_cvt_f16_f32 v41, v34;

	;;#ASMEND
	;;#ASMSTART
	v_cvt_f16_f32 v45, v35;

	;;#ASMEND
	;; [unrolled: 4-line block ×4, first 2 shown]
	v_add_u32_e32 v37, 4, v32
	v_add_u32_e32 v36, 5, v32
	v_add_u32_e32 v35, 6, v32
	v_add_u32_e32 v34, 7, v32
	v_or_b32_e32 v44, 1, v32
	s_waitcnt vmcnt(0)
	v_mad_i64_i32 v[2:3], s[0:1], v1, s13, 0
	v_lshl_add_u64 v[24:25], v[2:3], 1, v[20:21]
	global_load_dwordx4 v[2:5], v[24:25], off
	v_cmp_eq_u32_e64 s[0:1], s14, v52
	s_waitcnt vmcnt(0)
	v_lshrrev_b32_e32 v1, 16, v3
	v_lshrrev_b32_e32 v18, 16, v2
	;; [unrolled: 1-line block ×3, first 2 shown]
	s_and_saveexec_b64 s[8:9], s[0:1]
	s_cbranch_execz .LBB106_42
; %bb.41:                               ;   in Loop: Header=BB106_40 Depth=1
	v_cmp_gt_i32_e32 vcc, s33, v32
	s_nop 1
	v_cndmask_b32_e32 v2, 0, v2, vcc
	v_cmp_gt_i32_e32 vcc, s33, v42
	s_nop 1
	v_cndmask_b32_e32 v3, 0, v3, vcc
	;; [unrolled: 3-line block ×6, first 2 shown]
	v_cmp_gt_i32_e32 vcc, s33, v35
	s_nop 1
	v_cndmask_b32_sdwa v38, v19, v5, vcc dst_sel:DWORD dst_unused:UNUSED_PAD src0_sel:DWORD src1_sel:WORD_0
	v_and_b32_e32 v5, 0xffff0000, v5
	v_cmp_gt_i32_e32 vcc, s33, v34
	s_nop 1
	v_cndmask_b32_e32 v5, 0, v5, vcc
	v_or_b32_e32 v5, v38, v5
.LBB106_42:                             ;   in Loop: Header=BB106_40 Depth=1
	s_or_b64 exec, exec, s[8:9]
	v_and_b32_e32 v26, 0xffff, v26
	v_lshl_or_b32 v38, v27, 16, v26
	v_and_b32_e32 v26, 0xffff, v39
	v_lshlrev_b32_e32 v18, 16, v18
	v_lshlrev_b32_e32 v1, 16, v1
	v_lshl_or_b32 v39, v40, 16, v26
	v_and_b32_e32 v26, 0xffff, v41
	v_and_or_b32 v2, v2, s17, v18
	v_and_or_b32 v1, v3, s17, v1
	v_lshlrev_b32_e32 v3, 16, v48
	v_lshl_or_b32 v40, v45, 16, v26
	v_and_b32_e32 v26, 0xffff, v46
	v_and_or_b32 v3, v4, s17, v3
	;;#ASMSTART
	v_pk_mul_f16 v2, v38, v2;

	;;#ASMEND
	;;#ASMSTART
	v_pk_mul_f16 v1, v39, v1;

	;;#ASMEND
	v_lshl_or_b32 v41, v47, 16, v26
	;;#ASMSTART
	v_pk_mul_f16 v3, v40, v3;

	;;#ASMEND
	;;#ASMSTART
	v_pk_mul_f16 v4, v41, v5;

	;;#ASMEND
	;;#ASMSTART
	v_pk_add_f16 v1, v2, v1;

	;;#ASMEND
	s_nop 0
	;;#ASMSTART
	v_pk_add_f16 v1, v1, v3;

	;;#ASMEND
	s_nop 0
	;; [unrolled: 5-line block ×3, first 2 shown]
	v_lshrrev_b32_e32 v2, 16, v1
	v_and_b32_e32 v1, 0xffff, v1
	;;#ASMSTART
	v_cvt_f32_f16 v45, v1;
	;;#ASMEND
	;;#ASMSTART
	v_cvt_f32_f16 v46, v2;
	;;#ASMEND
	global_load_dwordx4 v[2:5], v[24:25], off offset:1024
	s_waitcnt vmcnt(0)
	v_lshrrev_b32_e32 v1, 16, v3
	v_lshrrev_b32_e32 v18, 16, v2
	;; [unrolled: 1-line block ×3, first 2 shown]
	s_and_saveexec_b64 s[8:9], s[0:1]
	s_cbranch_execz .LBB106_44
; %bb.43:                               ;   in Loop: Header=BB106_40 Depth=1
	v_cmp_gt_i32_e32 vcc, s33, v32
	s_nop 1
	v_cndmask_b32_e32 v2, 0, v2, vcc
	v_cmp_gt_i32_e32 vcc, s33, v42
	s_nop 1
	v_cndmask_b32_e32 v3, 0, v3, vcc
	;; [unrolled: 3-line block ×6, first 2 shown]
	v_cmp_gt_i32_e32 vcc, s33, v35
	s_nop 1
	v_cndmask_b32_sdwa v27, v19, v5, vcc dst_sel:DWORD dst_unused:UNUSED_PAD src0_sel:DWORD src1_sel:WORD_0
	v_and_b32_e32 v5, 0xffff0000, v5
	v_cmp_gt_i32_e32 vcc, s33, v34
	s_nop 1
	v_cndmask_b32_e32 v5, 0, v5, vcc
	v_or_b32_e32 v5, v27, v5
.LBB106_44:                             ;   in Loop: Header=BB106_40 Depth=1
	s_or_b64 exec, exec, s[8:9]
	v_lshlrev_b32_e32 v18, 16, v18
	v_lshlrev_b32_e32 v1, 16, v1
	v_and_or_b32 v2, v2, s17, v18
	v_and_or_b32 v1, v3, s17, v1
	v_lshlrev_b32_e32 v3, 16, v26
	v_and_or_b32 v3, v4, s17, v3
	;;#ASMSTART
	v_pk_mul_f16 v2, v38, v2;

	;;#ASMEND
	;;#ASMSTART
	v_pk_mul_f16 v1, v39, v1;

	;;#ASMEND
	;; [unrolled: 4-line block ×4, first 2 shown]
	s_nop 0
	;;#ASMSTART
	v_pk_add_f16 v1, v2, v1;

	;;#ASMEND
	s_nop 0
	;;#ASMSTART
	v_pk_add_f16 v1, v1, v3;

	;;#ASMEND
	;; [unrolled: 5-line block ×3, first 2 shown]
	s_nop 0
	v_lshrrev_b32_e32 v2, 16, v1
	v_and_b32_e32 v1, 0xffff, v1
	;;#ASMSTART
	v_cvt_f32_f16 v47, v1;
	;;#ASMEND
	;;#ASMSTART
	v_cvt_f32_f16 v48, v2;
	;;#ASMEND
	global_load_dwordx4 v[2:5], v[24:25], off offset:2048
	s_waitcnt vmcnt(0)
	v_lshrrev_b32_e32 v1, 16, v3
	v_lshrrev_b32_e32 v18, 16, v2
	;; [unrolled: 1-line block ×3, first 2 shown]
	s_and_saveexec_b64 s[8:9], s[0:1]
	s_cbranch_execz .LBB106_46
; %bb.45:                               ;   in Loop: Header=BB106_40 Depth=1
	v_cmp_gt_i32_e32 vcc, s33, v32
	s_nop 1
	v_cndmask_b32_e32 v2, 0, v2, vcc
	v_cmp_gt_i32_e32 vcc, s33, v42
	s_nop 1
	v_cndmask_b32_e32 v3, 0, v3, vcc
	;; [unrolled: 3-line block ×6, first 2 shown]
	v_cmp_gt_i32_e32 vcc, s33, v35
	s_nop 1
	v_cndmask_b32_sdwa v27, v19, v5, vcc dst_sel:DWORD dst_unused:UNUSED_PAD src0_sel:DWORD src1_sel:WORD_0
	v_and_b32_e32 v5, 0xffff0000, v5
	v_cmp_gt_i32_e32 vcc, s33, v34
	s_nop 1
	v_cndmask_b32_e32 v5, 0, v5, vcc
	v_or_b32_e32 v5, v27, v5
.LBB106_46:                             ;   in Loop: Header=BB106_40 Depth=1
	s_or_b64 exec, exec, s[8:9]
	v_lshlrev_b32_e32 v18, 16, v18
	v_lshlrev_b32_e32 v1, 16, v1
	v_and_or_b32 v2, v2, s17, v18
	v_and_or_b32 v1, v3, s17, v1
	v_lshlrev_b32_e32 v3, 16, v26
	v_and_or_b32 v3, v4, s17, v3
	;;#ASMSTART
	v_pk_mul_f16 v2, v38, v2;

	;;#ASMEND
	;;#ASMSTART
	v_pk_mul_f16 v1, v39, v1;

	;;#ASMEND
	;; [unrolled: 4-line block ×4, first 2 shown]
	s_nop 0
	;;#ASMSTART
	v_pk_add_f16 v1, v2, v1;

	;;#ASMEND
	s_nop 0
	;;#ASMSTART
	v_pk_add_f16 v1, v1, v3;

	;;#ASMEND
	;; [unrolled: 5-line block ×3, first 2 shown]
	s_nop 0
	v_lshrrev_b32_e32 v2, 16, v1
	v_and_b32_e32 v1, 0xffff, v1
	;;#ASMSTART
	v_cvt_f32_f16 v49, v1;
	;;#ASMEND
	;;#ASMSTART
	v_cvt_f32_f16 v50, v2;
	;;#ASMEND
	global_load_dwordx4 v[2:5], v[24:25], off offset:3072
	s_waitcnt vmcnt(0)
	v_lshrrev_b32_e32 v1, 16, v3
	v_lshrrev_b32_e32 v18, 16, v2
	;; [unrolled: 1-line block ×3, first 2 shown]
	s_and_saveexec_b64 s[8:9], s[0:1]
	s_cbranch_execz .LBB106_48
; %bb.47:                               ;   in Loop: Header=BB106_40 Depth=1
	v_cmp_gt_i32_e32 vcc, s33, v32
	s_nop 1
	v_cndmask_b32_e32 v2, 0, v2, vcc
	v_cmp_gt_i32_e32 vcc, s33, v42
	s_nop 1
	v_cndmask_b32_e32 v3, 0, v3, vcc
	;; [unrolled: 3-line block ×6, first 2 shown]
	v_cmp_gt_i32_e32 vcc, s33, v35
	s_nop 1
	v_cndmask_b32_sdwa v27, v19, v5, vcc dst_sel:DWORD dst_unused:UNUSED_PAD src0_sel:DWORD src1_sel:WORD_0
	v_and_b32_e32 v5, 0xffff0000, v5
	v_cmp_gt_i32_e32 vcc, s33, v34
	s_nop 1
	v_cndmask_b32_e32 v5, 0, v5, vcc
	v_or_b32_e32 v5, v27, v5
.LBB106_48:                             ;   in Loop: Header=BB106_40 Depth=1
	s_or_b64 exec, exec, s[8:9]
	v_lshlrev_b32_e32 v18, 16, v18
	v_lshlrev_b32_e32 v1, 16, v1
	v_and_or_b32 v2, v2, s17, v18
	v_and_or_b32 v1, v3, s17, v1
	v_lshlrev_b32_e32 v3, 16, v26
	v_and_or_b32 v3, v4, s17, v3
	;;#ASMSTART
	v_pk_mul_f16 v2, v38, v2;

	;;#ASMEND
	;;#ASMSTART
	v_pk_mul_f16 v1, v39, v1;

	;;#ASMEND
	;; [unrolled: 4-line block ×4, first 2 shown]
	v_add_co_u32_e32 v26, vcc, s20, v24
	;;#ASMSTART
	v_pk_add_f16 v1, v2, v1;

	;;#ASMEND
	s_nop 0
	;;#ASMSTART
	v_pk_add_f16 v1, v1, v3;

	;;#ASMEND
	s_nop 0
	v_addc_co_u32_e32 v27, vcc, 0, v25, vcc
	;;#ASMSTART
	v_pk_add_f16 v1, v1, v4;

	;;#ASMEND
	s_nop 0
	v_lshrrev_b32_e32 v2, 16, v1
	v_and_b32_e32 v1, 0xffff, v1
	;;#ASMSTART
	v_cvt_f32_f16 v51, v1;
	;;#ASMEND
	;;#ASMSTART
	v_cvt_f32_f16 v53, v2;
	;;#ASMEND
	global_load_dwordx4 v[2:5], v[26:27], off
	s_waitcnt vmcnt(0)
	v_lshrrev_b32_e32 v1, 16, v3
	v_lshrrev_b32_e32 v18, 16, v2
	;; [unrolled: 1-line block ×3, first 2 shown]
	s_and_saveexec_b64 s[8:9], s[0:1]
	s_cbranch_execz .LBB106_50
; %bb.49:                               ;   in Loop: Header=BB106_40 Depth=1
	v_cmp_gt_i32_e32 vcc, s33, v32
	s_nop 1
	v_cndmask_b32_e32 v2, 0, v2, vcc
	v_cmp_gt_i32_e32 vcc, s33, v42
	s_nop 1
	v_cndmask_b32_e32 v3, 0, v3, vcc
	;; [unrolled: 3-line block ×6, first 2 shown]
	v_cmp_gt_i32_e32 vcc, s33, v35
	s_nop 1
	v_cndmask_b32_sdwa v55, v19, v5, vcc dst_sel:DWORD dst_unused:UNUSED_PAD src0_sel:DWORD src1_sel:WORD_0
	v_and_b32_e32 v5, 0xffff0000, v5
	v_cmp_gt_i32_e32 vcc, s33, v34
	s_nop 1
	v_cndmask_b32_e32 v5, 0, v5, vcc
	v_or_b32_e32 v5, v55, v5
.LBB106_50:                             ;   in Loop: Header=BB106_40 Depth=1
	s_or_b64 exec, exec, s[8:9]
	v_lshlrev_b32_e32 v18, 16, v18
	v_lshlrev_b32_e32 v1, 16, v1
	v_and_or_b32 v2, v2, s17, v18
	v_and_or_b32 v1, v3, s17, v1
	v_lshlrev_b32_e32 v3, 16, v54
	v_and_or_b32 v3, v4, s17, v3
	;;#ASMSTART
	v_pk_mul_f16 v2, v38, v2;

	;;#ASMEND
	;;#ASMSTART
	v_pk_mul_f16 v1, v39, v1;

	;;#ASMEND
	;; [unrolled: 4-line block ×4, first 2 shown]
	s_nop 0
	;;#ASMSTART
	v_pk_add_f16 v1, v2, v1;

	;;#ASMEND
	s_nop 0
	;;#ASMSTART
	v_pk_add_f16 v1, v1, v3;

	;;#ASMEND
	;; [unrolled: 5-line block ×3, first 2 shown]
	s_nop 0
	v_lshrrev_b32_e32 v2, 16, v1
	v_and_b32_e32 v1, 0xffff, v1
	;;#ASMSTART
	v_cvt_f32_f16 v54, v1;
	;;#ASMEND
	;;#ASMSTART
	v_cvt_f32_f16 v55, v2;
	;;#ASMEND
	global_load_dwordx4 v[2:5], v[26:27], off offset:1024
	s_waitcnt vmcnt(0)
	v_lshrrev_b32_e32 v1, 16, v3
	v_lshrrev_b32_e32 v18, 16, v2
	;; [unrolled: 1-line block ×3, first 2 shown]
	s_and_saveexec_b64 s[8:9], s[0:1]
	s_cbranch_execz .LBB106_52
; %bb.51:                               ;   in Loop: Header=BB106_40 Depth=1
	v_cmp_gt_i32_e32 vcc, s33, v32
	s_nop 1
	v_cndmask_b32_e32 v2, 0, v2, vcc
	v_cmp_gt_i32_e32 vcc, s33, v42
	s_nop 1
	v_cndmask_b32_e32 v3, 0, v3, vcc
	v_cmp_gt_i32_e32 vcc, s15, v43
	s_nop 1
	v_cndmask_b32_e32 v1, 0, v1, vcc
	v_cmp_gt_i32_e32 vcc, s33, v44
	s_nop 1
	v_cndmask_b32_e32 v18, 0, v18, vcc
	v_cmp_gt_i32_e32 vcc, s33, v37
	s_nop 1
	v_cndmask_b32_e32 v4, 0, v4, vcc
	v_cmp_gt_i32_e32 vcc, s33, v36
	s_nop 1
	v_cndmask_b32_e32 v56, 0, v56, vcc
	v_cmp_gt_i32_e32 vcc, s33, v35
	s_nop 1
	v_cndmask_b32_sdwa v57, v19, v5, vcc dst_sel:DWORD dst_unused:UNUSED_PAD src0_sel:DWORD src1_sel:WORD_0
	v_and_b32_e32 v5, 0xffff0000, v5
	v_cmp_gt_i32_e32 vcc, s33, v34
	s_nop 1
	v_cndmask_b32_e32 v5, 0, v5, vcc
	v_or_b32_e32 v5, v57, v5
.LBB106_52:                             ;   in Loop: Header=BB106_40 Depth=1
	s_or_b64 exec, exec, s[8:9]
	v_lshlrev_b32_e32 v18, 16, v18
	v_lshlrev_b32_e32 v1, 16, v1
	v_and_or_b32 v2, v2, s17, v18
	v_and_or_b32 v1, v3, s17, v1
	v_lshlrev_b32_e32 v3, 16, v56
	v_and_or_b32 v3, v4, s17, v3
	;;#ASMSTART
	v_pk_mul_f16 v2, v38, v2;

	;;#ASMEND
	;;#ASMSTART
	v_pk_mul_f16 v1, v39, v1;

	;;#ASMEND
	;; [unrolled: 4-line block ×4, first 2 shown]
	s_nop 0
	;;#ASMSTART
	v_pk_add_f16 v1, v2, v1;

	;;#ASMEND
	s_nop 0
	;;#ASMSTART
	v_pk_add_f16 v1, v1, v3;

	;;#ASMEND
	;; [unrolled: 5-line block ×3, first 2 shown]
	s_nop 0
	v_lshrrev_b32_e32 v2, 16, v1
	v_and_b32_e32 v1, 0xffff, v1
	;;#ASMSTART
	v_cvt_f32_f16 v56, v1;
	;;#ASMEND
	;;#ASMSTART
	v_cvt_f32_f16 v57, v2;
	;;#ASMEND
	global_load_dwordx4 v[2:5], v[26:27], off offset:2048
	s_waitcnt vmcnt(0)
	v_lshrrev_b32_e32 v1, 16, v3
	v_lshrrev_b32_e32 v18, 16, v2
	;; [unrolled: 1-line block ×3, first 2 shown]
	s_and_saveexec_b64 s[8:9], s[0:1]
	s_cbranch_execz .LBB106_54
; %bb.53:                               ;   in Loop: Header=BB106_40 Depth=1
	v_cmp_gt_i32_e32 vcc, s33, v32
	s_nop 1
	v_cndmask_b32_e32 v2, 0, v2, vcc
	v_cmp_gt_i32_e32 vcc, s33, v42
	s_nop 1
	v_cndmask_b32_e32 v3, 0, v3, vcc
	;; [unrolled: 3-line block ×6, first 2 shown]
	v_cmp_gt_i32_e32 vcc, s33, v35
	s_nop 1
	v_cndmask_b32_sdwa v59, v19, v5, vcc dst_sel:DWORD dst_unused:UNUSED_PAD src0_sel:DWORD src1_sel:WORD_0
	v_and_b32_e32 v5, 0xffff0000, v5
	v_cmp_gt_i32_e32 vcc, s33, v34
	s_nop 1
	v_cndmask_b32_e32 v5, 0, v5, vcc
	v_or_b32_e32 v5, v59, v5
.LBB106_54:                             ;   in Loop: Header=BB106_40 Depth=1
	s_or_b64 exec, exec, s[8:9]
	v_lshlrev_b32_e32 v18, 16, v18
	v_lshlrev_b32_e32 v1, 16, v1
	v_and_or_b32 v2, v2, s17, v18
	v_and_or_b32 v1, v3, s17, v1
	v_lshlrev_b32_e32 v3, 16, v58
	v_and_or_b32 v3, v4, s17, v3
	;;#ASMSTART
	v_pk_mul_f16 v2, v38, v2;

	;;#ASMEND
	;;#ASMSTART
	v_pk_mul_f16 v1, v39, v1;

	;;#ASMEND
	;; [unrolled: 4-line block ×4, first 2 shown]
	s_nop 0
	;;#ASMSTART
	v_pk_add_f16 v1, v2, v1;

	;;#ASMEND
	s_nop 0
	;;#ASMSTART
	v_pk_add_f16 v1, v1, v3;

	;;#ASMEND
	;; [unrolled: 5-line block ×3, first 2 shown]
	s_nop 0
	v_lshrrev_b32_e32 v2, 16, v1
	v_and_b32_e32 v1, 0xffff, v1
	;;#ASMSTART
	v_cvt_f32_f16 v58, v1;
	;;#ASMEND
	;;#ASMSTART
	v_cvt_f32_f16 v59, v2;
	;;#ASMEND
	global_load_dwordx4 v[2:5], v[26:27], off offset:3072
	s_waitcnt vmcnt(0)
	v_lshrrev_b32_e32 v1, 16, v3
	v_lshrrev_b32_e32 v18, 16, v2
	;; [unrolled: 1-line block ×3, first 2 shown]
	s_and_saveexec_b64 s[8:9], s[0:1]
	s_cbranch_execz .LBB106_56
; %bb.55:                               ;   in Loop: Header=BB106_40 Depth=1
	v_cmp_gt_i32_e32 vcc, s33, v32
	s_nop 1
	v_cndmask_b32_e32 v2, 0, v2, vcc
	v_cmp_gt_i32_e32 vcc, s33, v42
	s_nop 1
	v_cndmask_b32_e32 v3, 0, v3, vcc
	;; [unrolled: 3-line block ×6, first 2 shown]
	v_cmp_gt_i32_e32 vcc, s33, v35
	s_nop 1
	v_cndmask_b32_sdwa v27, v19, v5, vcc dst_sel:DWORD dst_unused:UNUSED_PAD src0_sel:DWORD src1_sel:WORD_0
	v_and_b32_e32 v5, 0xffff0000, v5
	v_cmp_gt_i32_e32 vcc, s33, v34
	s_nop 1
	v_cndmask_b32_e32 v5, 0, v5, vcc
	v_or_b32_e32 v5, v27, v5
.LBB106_56:                             ;   in Loop: Header=BB106_40 Depth=1
	s_or_b64 exec, exec, s[8:9]
	v_lshlrev_b32_e32 v18, 16, v18
	v_lshlrev_b32_e32 v1, 16, v1
	v_and_or_b32 v2, v2, s17, v18
	v_and_or_b32 v1, v3, s17, v1
	v_lshlrev_b32_e32 v3, 16, v26
	v_and_or_b32 v3, v4, s17, v3
	;;#ASMSTART
	v_pk_mul_f16 v2, v38, v2;

	;;#ASMEND
	;;#ASMSTART
	v_pk_mul_f16 v1, v39, v1;

	;;#ASMEND
	;; [unrolled: 4-line block ×4, first 2 shown]
	v_add_co_u32_e32 v24, vcc, s21, v24
	;;#ASMSTART
	v_pk_add_f16 v1, v2, v1;

	;;#ASMEND
	s_nop 0
	;;#ASMSTART
	v_pk_add_f16 v1, v1, v3;

	;;#ASMEND
	s_nop 0
	v_addc_co_u32_e32 v25, vcc, 0, v25, vcc
	;;#ASMSTART
	v_pk_add_f16 v1, v1, v4;

	;;#ASMEND
	s_nop 0
	v_lshrrev_b32_e32 v2, 16, v1
	v_and_b32_e32 v1, 0xffff, v1
	;;#ASMSTART
	v_cvt_f32_f16 v26, v1;
	;;#ASMEND
	;;#ASMSTART
	v_cvt_f32_f16 v27, v2;
	;;#ASMEND
	global_load_dwordx4 v[2:5], v[24:25], off
	s_waitcnt vmcnt(0)
	v_lshrrev_b32_e32 v1, 16, v3
	v_lshrrev_b32_e32 v18, 16, v2
	v_lshrrev_b32_e32 v60, 16, v4
	s_and_saveexec_b64 s[8:9], s[0:1]
	s_cbranch_execz .LBB106_58
; %bb.57:                               ;   in Loop: Header=BB106_40 Depth=1
	v_cmp_gt_i32_e32 vcc, s33, v32
	s_nop 1
	v_cndmask_b32_e32 v2, 0, v2, vcc
	v_cmp_gt_i32_e32 vcc, s33, v42
	s_nop 1
	v_cndmask_b32_e32 v3, 0, v3, vcc
	;; [unrolled: 3-line block ×6, first 2 shown]
	v_cmp_gt_i32_e32 vcc, s33, v35
	s_nop 1
	v_cndmask_b32_sdwa v61, v19, v5, vcc dst_sel:DWORD dst_unused:UNUSED_PAD src0_sel:DWORD src1_sel:WORD_0
	v_and_b32_e32 v5, 0xffff0000, v5
	v_cmp_gt_i32_e32 vcc, s33, v34
	s_nop 1
	v_cndmask_b32_e32 v5, 0, v5, vcc
	v_or_b32_e32 v5, v61, v5
.LBB106_58:                             ;   in Loop: Header=BB106_40 Depth=1
	s_or_b64 exec, exec, s[8:9]
	v_lshlrev_b32_e32 v18, 16, v18
	v_lshlrev_b32_e32 v1, 16, v1
	v_and_or_b32 v2, v2, s17, v18
	v_and_or_b32 v1, v3, s17, v1
	v_lshlrev_b32_e32 v3, 16, v60
	v_and_or_b32 v3, v4, s17, v3
	;;#ASMSTART
	v_pk_mul_f16 v2, v38, v2;

	;;#ASMEND
	;;#ASMSTART
	v_pk_mul_f16 v1, v39, v1;

	;;#ASMEND
	;; [unrolled: 4-line block ×4, first 2 shown]
	s_nop 0
	;;#ASMSTART
	v_pk_add_f16 v1, v2, v1;

	;;#ASMEND
	s_nop 0
	;;#ASMSTART
	v_pk_add_f16 v1, v1, v3;

	;;#ASMEND
	;; [unrolled: 5-line block ×3, first 2 shown]
	s_nop 0
	v_lshrrev_b32_e32 v2, 16, v1
	v_and_b32_e32 v1, 0xffff, v1
	;;#ASMSTART
	v_cvt_f32_f16 v60, v1;
	;;#ASMEND
	;;#ASMSTART
	v_cvt_f32_f16 v61, v2;
	;;#ASMEND
	global_load_dwordx4 v[2:5], v[24:25], off offset:1024
	s_waitcnt vmcnt(0)
	v_lshrrev_b32_e32 v1, 16, v3
	v_lshrrev_b32_e32 v18, 16, v2
	v_lshrrev_b32_e32 v62, 16, v4
	s_and_saveexec_b64 s[8:9], s[0:1]
	s_cbranch_execz .LBB106_60
; %bb.59:                               ;   in Loop: Header=BB106_40 Depth=1
	v_cmp_gt_i32_e32 vcc, s33, v32
	s_nop 1
	v_cndmask_b32_e32 v2, 0, v2, vcc
	v_cmp_gt_i32_e32 vcc, s33, v42
	s_nop 1
	v_cndmask_b32_e32 v3, 0, v3, vcc
	v_cmp_gt_i32_e32 vcc, s15, v43
	s_nop 1
	v_cndmask_b32_e32 v1, 0, v1, vcc
	v_cmp_gt_i32_e32 vcc, s33, v44
	s_nop 1
	v_cndmask_b32_e32 v18, 0, v18, vcc
	v_cmp_gt_i32_e32 vcc, s33, v37
	s_nop 1
	v_cndmask_b32_e32 v4, 0, v4, vcc
	v_cmp_gt_i32_e32 vcc, s33, v36
	s_nop 1
	v_cndmask_b32_e32 v62, 0, v62, vcc
	v_cmp_gt_i32_e32 vcc, s33, v35
	s_nop 1
	v_cndmask_b32_sdwa v63, v19, v5, vcc dst_sel:DWORD dst_unused:UNUSED_PAD src0_sel:DWORD src1_sel:WORD_0
	v_and_b32_e32 v5, 0xffff0000, v5
	v_cmp_gt_i32_e32 vcc, s33, v34
	s_nop 1
	v_cndmask_b32_e32 v5, 0, v5, vcc
	v_or_b32_e32 v5, v63, v5
.LBB106_60:                             ;   in Loop: Header=BB106_40 Depth=1
	s_or_b64 exec, exec, s[8:9]
	v_lshlrev_b32_e32 v18, 16, v18
	v_lshlrev_b32_e32 v1, 16, v1
	v_and_or_b32 v2, v2, s17, v18
	v_and_or_b32 v1, v3, s17, v1
	v_lshlrev_b32_e32 v3, 16, v62
	v_and_or_b32 v3, v4, s17, v3
	;;#ASMSTART
	v_pk_mul_f16 v2, v38, v2;

	;;#ASMEND
	;;#ASMSTART
	v_pk_mul_f16 v1, v39, v1;

	;;#ASMEND
	;; [unrolled: 4-line block ×4, first 2 shown]
	s_nop 0
	;;#ASMSTART
	v_pk_add_f16 v1, v2, v1;

	;;#ASMEND
	s_nop 0
	;;#ASMSTART
	v_pk_add_f16 v1, v1, v3;

	;;#ASMEND
	;; [unrolled: 5-line block ×3, first 2 shown]
	s_nop 0
	v_lshrrev_b32_e32 v2, 16, v1
	v_and_b32_e32 v1, 0xffff, v1
	;;#ASMSTART
	v_cvt_f32_f16 v62, v1;
	;;#ASMEND
	;;#ASMSTART
	v_cvt_f32_f16 v63, v2;
	;;#ASMEND
	global_load_dwordx4 v[2:5], v[24:25], off offset:2048
	s_waitcnt vmcnt(0)
	v_lshrrev_b32_e32 v1, 16, v3
	v_lshrrev_b32_e32 v18, 16, v2
	;; [unrolled: 1-line block ×3, first 2 shown]
	s_and_saveexec_b64 s[8:9], s[0:1]
	s_cbranch_execz .LBB106_62
; %bb.61:                               ;   in Loop: Header=BB106_40 Depth=1
	v_cmp_gt_i32_e32 vcc, s33, v32
	s_nop 1
	v_cndmask_b32_e32 v2, 0, v2, vcc
	v_cmp_gt_i32_e32 vcc, s33, v42
	s_nop 1
	v_cndmask_b32_e32 v3, 0, v3, vcc
	;; [unrolled: 3-line block ×6, first 2 shown]
	v_cmp_gt_i32_e32 vcc, s33, v35
	s_nop 1
	v_cndmask_b32_sdwa v65, v19, v5, vcc dst_sel:DWORD dst_unused:UNUSED_PAD src0_sel:DWORD src1_sel:WORD_0
	v_and_b32_e32 v5, 0xffff0000, v5
	v_cmp_gt_i32_e32 vcc, s33, v34
	s_nop 1
	v_cndmask_b32_e32 v5, 0, v5, vcc
	v_or_b32_e32 v5, v65, v5
.LBB106_62:                             ;   in Loop: Header=BB106_40 Depth=1
	s_or_b64 exec, exec, s[8:9]
	v_lshlrev_b32_e32 v18, 16, v18
	v_lshlrev_b32_e32 v1, 16, v1
	v_and_or_b32 v2, v2, s17, v18
	v_and_or_b32 v1, v3, s17, v1
	v_lshlrev_b32_e32 v3, 16, v64
	v_and_or_b32 v3, v4, s17, v3
	;;#ASMSTART
	v_pk_mul_f16 v2, v38, v2;

	;;#ASMEND
	;;#ASMSTART
	v_pk_mul_f16 v1, v39, v1;

	;;#ASMEND
	;;#ASMSTART
	v_pk_mul_f16 v3, v40, v3;

	;;#ASMEND
	;;#ASMSTART
	v_pk_mul_f16 v4, v41, v5;

	;;#ASMEND
	s_nop 0
	;;#ASMSTART
	v_pk_add_f16 v1, v2, v1;

	;;#ASMEND
	s_nop 0
	;;#ASMSTART
	v_pk_add_f16 v1, v1, v3;

	;;#ASMEND
	;; [unrolled: 5-line block ×3, first 2 shown]
	s_nop 0
	v_lshrrev_b32_e32 v2, 16, v1
	v_and_b32_e32 v1, 0xffff, v1
	;;#ASMSTART
	v_cvt_f32_f16 v64, v1;
	;;#ASMEND
	;;#ASMSTART
	v_cvt_f32_f16 v65, v2;
	;;#ASMEND
	global_load_dwordx4 v[2:5], v[24:25], off offset:3072
	s_waitcnt vmcnt(0)
	v_lshrrev_b32_e32 v1, 16, v3
	v_lshrrev_b32_e32 v18, 16, v2
	;; [unrolled: 1-line block ×3, first 2 shown]
	s_and_saveexec_b64 s[8:9], s[0:1]
	s_cbranch_execz .LBB106_39
; %bb.63:                               ;   in Loop: Header=BB106_40 Depth=1
	v_cmp_gt_i32_e32 vcc, s33, v32
	s_nop 1
	v_cndmask_b32_e32 v2, 0, v2, vcc
	v_cmp_gt_i32_e32 vcc, s33, v42
	s_nop 1
	v_cndmask_b32_e32 v3, 0, v3, vcc
	v_cmp_gt_i32_e32 vcc, s15, v43
	s_nop 1
	v_cndmask_b32_e32 v1, 0, v1, vcc
	v_cmp_gt_i32_e32 vcc, s33, v44
	s_nop 1
	v_cndmask_b32_e32 v18, 0, v18, vcc
	v_cmp_gt_i32_e32 vcc, s33, v37
	s_nop 1
	v_cndmask_b32_e32 v4, 0, v4, vcc
	v_cmp_gt_i32_e32 vcc, s33, v36
	s_nop 1
	v_cndmask_b32_e32 v24, 0, v24, vcc
	v_cmp_gt_i32_e32 vcc, s33, v35
	s_nop 1
	v_cndmask_b32_sdwa v25, v19, v5, vcc dst_sel:DWORD dst_unused:UNUSED_PAD src0_sel:DWORD src1_sel:WORD_0
	v_and_b32_e32 v5, 0xffff0000, v5
	v_cmp_gt_i32_e32 vcc, s33, v34
	s_nop 1
	v_cndmask_b32_e32 v5, 0, v5, vcc
	v_or_b32_e32 v5, v25, v5
	s_branch .LBB106_39
.LBB106_64:
	s_or_b64 exec, exec, s[6:7]
.LBB106_65:
	s_or_b64 exec, exec, s[2:3]
	ds_bpermute_b32 v2, v29, v16
	ds_bpermute_b32 v3, v29, v17
	;; [unrolled: 1-line block ×6, first 2 shown]
	s_waitcnt lgkmcnt(4)
	v_pk_add_f32 v[2:3], v[16:17], v[2:3]
	ds_bpermute_b32 v16, v30, v2
	ds_bpermute_b32 v17, v30, v3
	;; [unrolled: 1-line block ×4, first 2 shown]
	s_waitcnt lgkmcnt(4)
	v_pk_add_f32 v[4:5], v[14:15], v[4:5]
	ds_bpermute_b32 v32, v29, v6
	s_waitcnt lgkmcnt(3)
	v_pk_add_f32 v[2:3], v[2:3], v[16:17]
	v_pk_add_f32 v[16:17], v[12:13], v[18:19]
	ds_bpermute_b32 v12, v29, v10
	ds_bpermute_b32 v13, v29, v11
	;; [unrolled: 1-line block ×5, first 2 shown]
	s_waitcnt lgkmcnt(6)
	v_pk_add_f32 v[20:21], v[8:9], v[20:21]
	s_waitcnt lgkmcnt(3)
	v_pk_add_f32 v[22:23], v[10:11], v[12:13]
	ds_bpermute_b32 v18, v30, v16
	ds_bpermute_b32 v19, v30, v17
	;; [unrolled: 1-line block ×6, first 2 shown]
	s_waitcnt lgkmcnt(8)
	v_pk_add_f32 v[6:7], v[6:7], v[32:33]
	s_waitcnt lgkmcnt(6)
	v_pk_add_f32 v[12:13], v[4:5], v[14:15]
	ds_bpermute_b32 v14, v30, v6
	ds_bpermute_b32 v15, v30, v7
	v_and_b32_e32 v1, 0x3c3, v0
	s_waitcnt lgkmcnt(6)
	v_pk_add_f32 v[10:11], v[16:17], v[18:19]
	s_waitcnt lgkmcnt(4)
	v_pk_add_f32 v[8:9], v[22:23], v[24:25]
	;; [unrolled: 2-line block ×3, first 2 shown]
	v_cmp_ne_u32_e32 vcc, 64, v1
	s_waitcnt lgkmcnt(0)
	s_barrier
	s_and_saveexec_b64 s[0:1], vcc
	s_xor_b64 s[0:1], exec, s[0:1]
; %bb.66:
                                        ; implicit-def: $vgpr28
; %bb.67:
	s_or_saveexec_b64 s[0:1], s[0:1]
	v_pk_add_f32 v[6:7], v[6:7], v[14:15]
	s_xor_b64 exec, exec, s[0:1]
	s_cbranch_execz .LBB106_69
; %bb.68:
	v_add_u32_e32 v14, 0x190, v28
	ds_write2_b32 v14, v2, v3 offset1:16
	ds_write2_b32 v14, v12, v13 offset0:32 offset1:48
	ds_write2_b32 v14, v10, v11 offset0:64 offset1:80
	;; [unrolled: 1-line block ×5, first 2 shown]
.LBB106_69:
	s_or_b64 exec, exec, s[0:1]
	v_cmp_gt_u32_e32 vcc, 64, v0
	v_lshrrev_b32_e32 v0, 2, v0
	s_waitcnt lgkmcnt(0)
	s_barrier
	s_and_saveexec_b64 s[0:1], vcc
	s_cbranch_execz .LBB106_84
; %bb.70:
	v_mov_b32_e32 v14, 0x190
	v_cmp_eq_u32_e32 vcc, 0, v31
	v_lshl_add_u32 v14, v0, 2, v14
	s_and_saveexec_b64 s[2:3], vcc
	s_cbranch_execnz .LBB106_87
; %bb.71:
	s_or_b64 exec, exec, s[2:3]
	s_and_saveexec_b64 s[2:3], vcc
	s_cbranch_execnz .LBB106_88
.LBB106_72:
	s_or_b64 exec, exec, s[2:3]
	s_and_saveexec_b64 s[2:3], vcc
	s_cbranch_execnz .LBB106_89
.LBB106_73:
	s_or_b64 exec, exec, s[2:3]
	s_and_saveexec_b64 s[2:3], vcc
	s_cbranch_execnz .LBB106_90
.LBB106_74:
	s_or_b64 exec, exec, s[2:3]
	s_and_saveexec_b64 s[2:3], vcc
	s_cbranch_execnz .LBB106_91
.LBB106_75:
	s_or_b64 exec, exec, s[2:3]
	s_and_saveexec_b64 s[2:3], vcc
	s_cbranch_execnz .LBB106_92
.LBB106_76:
	s_or_b64 exec, exec, s[2:3]
	s_and_saveexec_b64 s[2:3], vcc
	s_cbranch_execnz .LBB106_93
.LBB106_77:
	s_or_b64 exec, exec, s[2:3]
	s_and_saveexec_b64 s[2:3], vcc
	s_cbranch_execnz .LBB106_94
.LBB106_78:
	s_or_b64 exec, exec, s[2:3]
	s_and_saveexec_b64 s[2:3], vcc
	s_cbranch_execnz .LBB106_95
.LBB106_79:
	s_or_b64 exec, exec, s[2:3]
	s_and_saveexec_b64 s[2:3], vcc
	s_cbranch_execnz .LBB106_96
.LBB106_80:
	s_or_b64 exec, exec, s[2:3]
	s_and_saveexec_b64 s[2:3], vcc
	s_cbranch_execnz .LBB106_97
.LBB106_81:
	s_or_b64 exec, exec, s[2:3]
	s_and_saveexec_b64 s[2:3], vcc
	s_cbranch_execz .LBB106_83
.LBB106_82:
	ds_read_b32 v14, v14 offset:704
	s_waitcnt lgkmcnt(0)
	v_add_f32_e32 v7, v7, v14
.LBB106_83:
	s_or_b64 exec, exec, s[2:3]
.LBB106_84:
	s_or_b64 exec, exec, s[0:1]
	v_cmp_eq_u32_e32 vcc, 0, v1
	s_barrier
	s_and_saveexec_b64 s[0:1], vcc
	s_cbranch_execz .LBB106_86
; %bb.85:
	s_mul_i32 s0, s10, s11
	s_mul_i32 s0, s0, s5
	s_mulk_i32 s0, 0xc0
	s_ashr_i32 s1, s0, 31
	s_lshl_b64 s[0:1], s[0:1], 1
	s_add_u32 s2, s18, s0
	s_mul_i32 s0, s11, s16
	s_addc_u32 s3, s19, s1
	s_ashr_i32 s1, s0, 31
	s_lshl_b64 s[0:1], s[0:1], 1
	s_add_u32 s2, s2, s0
	s_mul_i32 s0, s4, 0xc0
	s_addc_u32 s3, s3, s1
	s_ashr_i32 s1, s0, 31
	s_lshl_b64 s[0:1], s[0:1], 1
	s_add_u32 s0, s2, s0
	s_addc_u32 s1, s3, s1
	v_lshlrev_b32_e32 v0, 1, v0
	;;#ASMSTART
	v_cvt_f16_f32 v1, v2;

	;;#ASMEND
	global_store_short v0, v1, s[0:1]
	;;#ASMSTART
	v_cvt_f16_f32 v1, v3;

	;;#ASMEND
	global_store_short v0, v1, s[0:1] offset:32
	;;#ASMSTART
	v_cvt_f16_f32 v1, v12;

	;;#ASMEND
	global_store_short v0, v1, s[0:1] offset:64
	;; [unrolled: 5-line block ×11, first 2 shown]
.LBB106_86:
	s_endpgm
.LBB106_87:
	ds_read_b32 v15, v14
	s_waitcnt lgkmcnt(0)
	v_add_f32_e32 v2, v2, v15
	s_or_b64 exec, exec, s[2:3]
	s_and_saveexec_b64 s[2:3], vcc
	s_cbranch_execz .LBB106_72
.LBB106_88:
	ds_read_b32 v15, v14 offset:64
	s_waitcnt lgkmcnt(0)
	v_add_f32_e32 v3, v3, v15
	s_or_b64 exec, exec, s[2:3]
	s_and_saveexec_b64 s[2:3], vcc
	s_cbranch_execz .LBB106_73
.LBB106_89:
	ds_read_b32 v15, v14 offset:128
	s_waitcnt lgkmcnt(0)
	v_add_f32_e32 v12, v12, v15
	s_or_b64 exec, exec, s[2:3]
	s_and_saveexec_b64 s[2:3], vcc
	s_cbranch_execz .LBB106_74
.LBB106_90:
	ds_read_b32 v15, v14 offset:192
	s_waitcnt lgkmcnt(0)
	v_add_f32_e32 v13, v13, v15
	s_or_b64 exec, exec, s[2:3]
	s_and_saveexec_b64 s[2:3], vcc
	s_cbranch_execz .LBB106_75
.LBB106_91:
	ds_read_b32 v15, v14 offset:256
	s_waitcnt lgkmcnt(0)
	v_add_f32_e32 v10, v10, v15
	s_or_b64 exec, exec, s[2:3]
	s_and_saveexec_b64 s[2:3], vcc
	s_cbranch_execz .LBB106_76
.LBB106_92:
	ds_read_b32 v15, v14 offset:320
	s_waitcnt lgkmcnt(0)
	v_add_f32_e32 v11, v11, v15
	s_or_b64 exec, exec, s[2:3]
	s_and_saveexec_b64 s[2:3], vcc
	s_cbranch_execz .LBB106_77
.LBB106_93:
	ds_read_b32 v15, v14 offset:384
	s_waitcnt lgkmcnt(0)
	v_add_f32_e32 v8, v8, v15
	s_or_b64 exec, exec, s[2:3]
	s_and_saveexec_b64 s[2:3], vcc
	s_cbranch_execz .LBB106_78
.LBB106_94:
	ds_read_b32 v15, v14 offset:448
	s_waitcnt lgkmcnt(0)
	v_add_f32_e32 v9, v9, v15
	s_or_b64 exec, exec, s[2:3]
	s_and_saveexec_b64 s[2:3], vcc
	s_cbranch_execz .LBB106_79
.LBB106_95:
	ds_read_b32 v15, v14 offset:512
	s_waitcnt lgkmcnt(0)
	v_add_f32_e32 v4, v4, v15
	s_or_b64 exec, exec, s[2:3]
	s_and_saveexec_b64 s[2:3], vcc
	s_cbranch_execz .LBB106_80
.LBB106_96:
	ds_read_b32 v15, v14 offset:576
	s_waitcnt lgkmcnt(0)
	v_add_f32_e32 v5, v5, v15
	s_or_b64 exec, exec, s[2:3]
	s_and_saveexec_b64 s[2:3], vcc
	s_cbranch_execz .LBB106_81
.LBB106_97:
	ds_read_b32 v15, v14 offset:640
	s_waitcnt lgkmcnt(0)
	v_add_f32_e32 v6, v6, v15
	s_or_b64 exec, exec, s[2:3]
	s_and_saveexec_b64 s[2:3], vcc
	s_cbranch_execnz .LBB106_82
	s_branch .LBB106_83
	.section	.rodata,"a",@progbits
	.p2align	6, 0x0
	.amdhsa_kernel _ZN4vllm25paged_attention_v1_kernelIttLi192ELi32ELi128ELNS_18Fp8KVCacheDataTypeE0ELb0EEEvPT_PKS2_PKT0_S8_ifPKiSA_iPKfiiiSC_SC_iiiii
		.amdhsa_group_segment_fixed_size 400
		.amdhsa_private_segment_fixed_size 0
		.amdhsa_kernarg_size 384
		.amdhsa_user_sgpr_count 2
		.amdhsa_user_sgpr_dispatch_ptr 0
		.amdhsa_user_sgpr_queue_ptr 0
		.amdhsa_user_sgpr_kernarg_segment_ptr 1
		.amdhsa_user_sgpr_dispatch_id 0
		.amdhsa_user_sgpr_kernarg_preload_length 0
		.amdhsa_user_sgpr_kernarg_preload_offset 0
		.amdhsa_user_sgpr_private_segment_size 0
		.amdhsa_uses_dynamic_stack 0
		.amdhsa_enable_private_segment 0
		.amdhsa_system_sgpr_workgroup_id_x 1
		.amdhsa_system_sgpr_workgroup_id_y 1
		.amdhsa_system_sgpr_workgroup_id_z 1
		.amdhsa_system_sgpr_workgroup_info 0
		.amdhsa_system_vgpr_workitem_id 0
		.amdhsa_next_free_vgpr 90
		.amdhsa_next_free_sgpr 36
		.amdhsa_accum_offset 92
		.amdhsa_reserve_vcc 1
		.amdhsa_float_round_mode_32 0
		.amdhsa_float_round_mode_16_64 0
		.amdhsa_float_denorm_mode_32 3
		.amdhsa_float_denorm_mode_16_64 3
		.amdhsa_dx10_clamp 1
		.amdhsa_ieee_mode 1
		.amdhsa_fp16_overflow 0
		.amdhsa_tg_split 0
		.amdhsa_exception_fp_ieee_invalid_op 0
		.amdhsa_exception_fp_denorm_src 0
		.amdhsa_exception_fp_ieee_div_zero 0
		.amdhsa_exception_fp_ieee_overflow 0
		.amdhsa_exception_fp_ieee_underflow 0
		.amdhsa_exception_fp_ieee_inexact 0
		.amdhsa_exception_int_div_zero 0
	.end_amdhsa_kernel
	.section	.text._ZN4vllm25paged_attention_v1_kernelIttLi192ELi32ELi128ELNS_18Fp8KVCacheDataTypeE0ELb0EEEvPT_PKS2_PKT0_S8_ifPKiSA_iPKfiiiSC_SC_iiiii,"axG",@progbits,_ZN4vllm25paged_attention_v1_kernelIttLi192ELi32ELi128ELNS_18Fp8KVCacheDataTypeE0ELb0EEEvPT_PKS2_PKT0_S8_ifPKiSA_iPKfiiiSC_SC_iiiii,comdat
.Lfunc_end106:
	.size	_ZN4vllm25paged_attention_v1_kernelIttLi192ELi32ELi128ELNS_18Fp8KVCacheDataTypeE0ELb0EEEvPT_PKS2_PKT0_S8_ifPKiSA_iPKfiiiSC_SC_iiiii, .Lfunc_end106-_ZN4vllm25paged_attention_v1_kernelIttLi192ELi32ELi128ELNS_18Fp8KVCacheDataTypeE0ELb0EEEvPT_PKS2_PKT0_S8_ifPKiSA_iPKfiiiSC_SC_iiiii
                                        ; -- End function
	.set _ZN4vllm25paged_attention_v1_kernelIttLi192ELi32ELi128ELNS_18Fp8KVCacheDataTypeE0ELb0EEEvPT_PKS2_PKT0_S8_ifPKiSA_iPKfiiiSC_SC_iiiii.num_vgpr, 90
	.set _ZN4vllm25paged_attention_v1_kernelIttLi192ELi32ELi128ELNS_18Fp8KVCacheDataTypeE0ELb0EEEvPT_PKS2_PKT0_S8_ifPKiSA_iPKfiiiSC_SC_iiiii.num_agpr, 0
	.set _ZN4vllm25paged_attention_v1_kernelIttLi192ELi32ELi128ELNS_18Fp8KVCacheDataTypeE0ELb0EEEvPT_PKS2_PKT0_S8_ifPKiSA_iPKfiiiSC_SC_iiiii.numbered_sgpr, 36
	.set _ZN4vllm25paged_attention_v1_kernelIttLi192ELi32ELi128ELNS_18Fp8KVCacheDataTypeE0ELb0EEEvPT_PKS2_PKT0_S8_ifPKiSA_iPKfiiiSC_SC_iiiii.num_named_barrier, 0
	.set _ZN4vllm25paged_attention_v1_kernelIttLi192ELi32ELi128ELNS_18Fp8KVCacheDataTypeE0ELb0EEEvPT_PKS2_PKT0_S8_ifPKiSA_iPKfiiiSC_SC_iiiii.private_seg_size, 0
	.set _ZN4vllm25paged_attention_v1_kernelIttLi192ELi32ELi128ELNS_18Fp8KVCacheDataTypeE0ELb0EEEvPT_PKS2_PKT0_S8_ifPKiSA_iPKfiiiSC_SC_iiiii.uses_vcc, 1
	.set _ZN4vllm25paged_attention_v1_kernelIttLi192ELi32ELi128ELNS_18Fp8KVCacheDataTypeE0ELb0EEEvPT_PKS2_PKT0_S8_ifPKiSA_iPKfiiiSC_SC_iiiii.uses_flat_scratch, 0
	.set _ZN4vllm25paged_attention_v1_kernelIttLi192ELi32ELi128ELNS_18Fp8KVCacheDataTypeE0ELb0EEEvPT_PKS2_PKT0_S8_ifPKiSA_iPKfiiiSC_SC_iiiii.has_dyn_sized_stack, 0
	.set _ZN4vllm25paged_attention_v1_kernelIttLi192ELi32ELi128ELNS_18Fp8KVCacheDataTypeE0ELb0EEEvPT_PKS2_PKT0_S8_ifPKiSA_iPKfiiiSC_SC_iiiii.has_recursion, 0
	.set _ZN4vllm25paged_attention_v1_kernelIttLi192ELi32ELi128ELNS_18Fp8KVCacheDataTypeE0ELb0EEEvPT_PKS2_PKT0_S8_ifPKiSA_iPKfiiiSC_SC_iiiii.has_indirect_call, 0
	.section	.AMDGPU.csdata,"",@progbits
; Kernel info:
; codeLenInByte = 13820
; TotalNumSgprs: 42
; NumVgprs: 90
; NumAgprs: 0
; TotalNumVgprs: 90
; ScratchSize: 0
; MemoryBound: 0
; FloatMode: 240
; IeeeMode: 1
; LDSByteSize: 400 bytes/workgroup (compile time only)
; SGPRBlocks: 5
; VGPRBlocks: 11
; NumSGPRsForWavesPerEU: 42
; NumVGPRsForWavesPerEU: 90
; AccumOffset: 92
; Occupancy: 5
; WaveLimiterHint : 1
; COMPUTE_PGM_RSRC2:SCRATCH_EN: 0
; COMPUTE_PGM_RSRC2:USER_SGPR: 2
; COMPUTE_PGM_RSRC2:TRAP_HANDLER: 0
; COMPUTE_PGM_RSRC2:TGID_X_EN: 1
; COMPUTE_PGM_RSRC2:TGID_Y_EN: 1
; COMPUTE_PGM_RSRC2:TGID_Z_EN: 1
; COMPUTE_PGM_RSRC2:TIDIG_COMP_CNT: 0
; COMPUTE_PGM_RSRC3_GFX90A:ACCUM_OFFSET: 22
; COMPUTE_PGM_RSRC3_GFX90A:TG_SPLIT: 0
	.section	.text._ZN4vllm25paged_attention_v1_kernelIttLi256ELi32ELi128ELNS_18Fp8KVCacheDataTypeE0ELb0EEEvPT_PKS2_PKT0_S8_ifPKiSA_iPKfiiiSC_SC_iiiii,"axG",@progbits,_ZN4vllm25paged_attention_v1_kernelIttLi256ELi32ELi128ELNS_18Fp8KVCacheDataTypeE0ELb0EEEvPT_PKS2_PKT0_S8_ifPKiSA_iPKfiiiSC_SC_iiiii,comdat
	.protected	_ZN4vllm25paged_attention_v1_kernelIttLi256ELi32ELi128ELNS_18Fp8KVCacheDataTypeE0ELb0EEEvPT_PKS2_PKT0_S8_ifPKiSA_iPKfiiiSC_SC_iiiii ; -- Begin function _ZN4vllm25paged_attention_v1_kernelIttLi256ELi32ELi128ELNS_18Fp8KVCacheDataTypeE0ELb0EEEvPT_PKS2_PKT0_S8_ifPKiSA_iPKfiiiSC_SC_iiiii
	.globl	_ZN4vllm25paged_attention_v1_kernelIttLi256ELi32ELi128ELNS_18Fp8KVCacheDataTypeE0ELb0EEEvPT_PKS2_PKT0_S8_ifPKiSA_iPKfiiiSC_SC_iiiii
	.p2align	8
	.type	_ZN4vllm25paged_attention_v1_kernelIttLi256ELi32ELi128ELNS_18Fp8KVCacheDataTypeE0ELb0EEEvPT_PKS2_PKT0_S8_ifPKiSA_iPKfiiiSC_SC_iiiii,@function
_ZN4vllm25paged_attention_v1_kernelIttLi256ELi32ELi128ELNS_18Fp8KVCacheDataTypeE0ELb0EEEvPT_PKS2_PKT0_S8_ifPKiSA_iPKfiiiSC_SC_iiiii: ; @_ZN4vllm25paged_attention_v1_kernelIttLi256ELi32ELi128ELNS_18Fp8KVCacheDataTypeE0ELb0EEEvPT_PKS2_PKT0_S8_ifPKiSA_iPKfiiiSC_SC_iiiii
; %bb.0:
	s_load_dword s5, s[0:1], 0x80
	s_load_dwordx2 s[6:7], s[0:1], 0x30
	s_load_dwordx2 s[10:11], s[0:1], 0x20
	s_mov_b32 s16, s3
	s_ashr_i32 s17, s3, 31
	s_lshl_b64 s[8:9], s[16:17], 2
	s_waitcnt lgkmcnt(0)
	s_add_u32 s6, s6, s8
	s_addc_u32 s7, s7, s9
	s_abs_i32 s3, s10
	v_cvt_f32_u32_e32 v1, s3
	s_xor_b32 s8, s5, s10
	s_sub_i32 s10, 0, s3
	s_abs_i32 s9, s5
	v_rcp_iflag_f32_e32 v1, v1
	s_ashr_i32 s8, s8, 31
	v_mul_f32_e32 v1, 0x4f7ffffe, v1
	v_cvt_u32_f32_e32 v1, v1
	s_nop 0
	v_readfirstlane_b32 s12, v1
	s_mul_i32 s10, s10, s12
	s_mul_hi_u32 s10, s12, s10
	s_add_i32 s12, s12, s10
	s_mul_hi_u32 s10, s9, s12
	s_mul_i32 s12, s10, s3
	s_sub_i32 s9, s9, s12
	s_add_i32 s12, s10, 1
	s_sub_i32 s13, s9, s3
	s_cmp_ge_u32 s9, s3
	s_cselect_b32 s10, s12, s10
	s_cselect_b32 s9, s13, s9
	s_add_i32 s12, s10, 1
	s_cmp_ge_u32 s9, s3
	s_cselect_b32 s3, s12, s10
	s_xor_b32 s3, s3, s8
	s_sub_i32 s12, s3, s8
	s_abs_i32 s17, s12
	v_cvt_f32_u32_e32 v1, s17
	s_load_dwordx2 s[8:9], s[0:1], 0x40
	s_sub_i32 s3, 0, s17
	s_abs_i32 s20, s2
	v_rcp_iflag_f32_e32 v1, v1
	s_mov_b32 s10, 0
	v_mul_f32_e32 v1, 0x4f7ffffe, v1
	v_cvt_u32_f32_e32 v1, v1
	s_nop 0
	v_readfirstlane_b32 s13, v1
	s_mul_i32 s3, s3, s13
	s_mul_hi_u32 s3, s13, s3
	s_add_i32 s13, s13, s3
	s_waitcnt lgkmcnt(0)
	s_cmp_eq_u64 s[8:9], 0
	s_mul_hi_u32 s21, s20, s13
	s_cbranch_scc1 .LBB107_2
; %bb.1:
	s_ashr_i32 s3, s2, 31
	s_lshl_b64 s[14:15], s[2:3], 2
	s_add_u32 s8, s8, s14
	s_addc_u32 s9, s9, s15
	s_load_dword s10, s[8:9], 0x0
.LBB107_2:
	s_load_dword s33, s[6:7], 0x0
	s_ashr_i32 s9, s12, 31
	s_load_dwordx4 s[12:15], s[0:1], 0x48
	s_ashr_i32 s8, s2, 31
	v_and_b32_e32 v4, 1, v0
	s_lshl_b32 s18, s2, 8
	v_cmp_gt_u32_e64 s[6:7], 64, v0
	v_lshlrev_b32_e32 v1, 3, v0
	s_and_saveexec_b64 s[2:3], s[6:7]
	s_cbranch_execz .LBB107_4
; %bb.3:
	s_load_dwordx2 s[22:23], s[0:1], 0x8
	s_waitcnt lgkmcnt(0)
	s_mul_i32 s24, s12, s16
	s_ashr_i32 s25, s24, 31
	s_lshl_b64 s[24:25], s[24:25], 1
	v_lshlrev_b32_e32 v5, 2, v0
	s_add_u32 s12, s22, s24
	s_addc_u32 s15, s23, s25
	s_ashr_i32 s19, s18, 31
	s_lshl_b64 s[22:23], s[18:19], 1
	s_add_u32 s22, s12, s22
	s_addc_u32 s23, s15, s23
	global_load_dwordx2 v[2:3], v1, s[22:23]
	v_and_b32_e32 v5, 0xff8, v5
	v_lshl_add_u32 v5, v4, 8, v5
	s_waitcnt vmcnt(0)
	ds_write_b64 v5, v[2:3]
.LBB107_4:
	s_or_b64 exec, exec, s[2:3]
	s_waitcnt lgkmcnt(0)
	s_add_i32 s3, s33, 31
	s_ashr_i32 s12, s3, 31
	s_lshr_b32 s12, s12, 27
	s_add_i32 s3, s3, s12
	s_ashr_i32 s19, s3, 5
	s_xor_b32 s3, s8, s9
	s_mul_i32 s8, s21, s17
	s_sub_i32 s8, s20, s8
	s_add_i32 s9, s21, 1
	s_sub_i32 s12, s8, s17
	s_load_dwordx2 s[22:23], s[0:1], 0x28
	s_load_dword s2, s[0:1], 0x38
	s_cmp_ge_u32 s8, s17
	s_cselect_b32 s9, s9, s21
	s_cselect_b32 s8, s12, s8
	s_add_i32 s12, s9, 1
	s_cmp_ge_u32 s8, s17
	s_cselect_b32 s8, s12, s9
	v_lshrrev_b32_e32 v68, 6, v0
	s_xor_b32 s8, s8, s3
	s_waitcnt lgkmcnt(0)
	s_mul_i32 s24, s2, s16
	s_sub_i32 s12, s8, s3
	s_ashr_i32 s25, s24, 31
	v_cmp_gt_i32_e64 s[2:3], s19, v68
	v_cmp_le_i32_e32 vcc, s19, v68
	v_mbcnt_lo_u32_b32 v6, -1, 0
	s_barrier
                                        ; implicit-def: $vgpr70
                                        ; implicit-def: $vgpr71
                                        ; implicit-def: $vgpr72
	s_and_saveexec_b64 s[8:9], vcc
	s_xor_b64 s[8:9], exec, s[8:9]
; %bb.5:
	v_mbcnt_hi_u32_b32 v70, -1, v6
	v_and_b32_e32 v71, 64, v70
	v_add_u32_e32 v72, 64, v71
                                        ; implicit-def: $vgpr4
                                        ; implicit-def: $vgpr6
; %bb.6:
	s_or_saveexec_b64 s[28:29], s[8:9]
	s_load_dwordx2 s[20:21], s[0:1], 0x0
	s_load_dwordx2 s[26:27], s[0:1], 0x18
	s_load_dword s17, s[0:1], 0x88
	v_mov_b32_e32 v73, 0xff7fffff
	s_mul_i32 s14, s12, s14
	v_lshrrev_b32_e32 v69, 4, v0
	s_xor_b64 exec, exec, s[28:29]
	s_cbranch_execz .LBB107_12
; %bb.7:
	s_load_dwordx2 s[0:1], s[0:1], 0x10
	s_ashr_i32 s15, s14, 31
	s_lshl_b64 s[8:9], s[14:15], 1
	v_bfe_u32 v5, v0, 1, 5
	v_lshlrev_b32_e32 v8, 4, v5
	s_waitcnt lgkmcnt(0)
	s_add_u32 s0, s0, s8
	s_addc_u32 s1, s1, s9
	v_mov_b32_e32 v9, 0
	s_sub_i32 s15, 1, s33
	s_lshl_b64 s[8:9], s[24:25], 2
	v_lshl_add_u64 v[2:3], s[0:1], 0, v[8:9]
	v_and_b32_e32 v8, 8, v1
	v_lshlrev_b32_e32 v74, 8, v4
	v_cmp_eq_u32_e32 vcc, 0, v4
	v_lshlrev_b32_e32 v4, 2, v5
	s_add_u32 s8, s22, s8
	v_mbcnt_hi_u32_b32 v70, -1, v6
	v_lshl_add_u64 v[2:3], v[2:3], 0, v[8:9]
	v_lshl_or_b32 v4, v68, 7, v4
	v_and_b32_e32 v8, 60, v69
	s_addc_u32 s9, s23, s9
	v_and_b32_e32 v71, 64, v70
	s_mov_b32 s12, s13
	v_cmp_neq_f32_e64 s[0:1], s10, 0
	v_lshl_or_b32 v75, v68, 5, v5
	v_add_u32_e32 v76, 0x210, v4
	v_lshl_add_u64 v[4:5], s[8:9], 0, v[8:9]
	v_mov_b32_e32 v73, 0xff7fffff
	s_mov_b64 s[30:31], 0
	s_movk_i32 s36, 0x1000
	s_movk_i32 s37, 0x2000
	;; [unrolled: 1-line block ×3, first 2 shown]
	v_xor_b32_e32 v77, 1, v70
	v_add_u32_e32 v72, 64, v71
	v_mov_b32_e32 v78, v68
	s_branch .LBB107_9
.LBB107_8:                              ;   in Loop: Header=BB107_9 Depth=1
	s_or_b64 exec, exec, s[34:35]
	v_add_u32_e32 v78, 2, v78
	v_cmp_le_i32_e64 s[8:9], s19, v78
	v_add_u32_e32 v75, 64, v75
	v_add_u32_e32 v76, 0x100, v76
	s_or_b64 s[30:31], s[8:9], s[30:31]
	v_lshl_add_u64 v[4:5], v[4:5], 0, 8
	s_andn2_b64 exec, exec, s[30:31]
	s_cbranch_execz .LBB107_11
.LBB107_9:                              ; =>This Inner Loop Header: Depth=1
	global_load_dword v6, v[4:5], off
	s_waitcnt vmcnt(0) lgkmcnt(0)
	v_mad_i64_i32 v[6:7], s[8:9], v6, s12, 0
	v_lshl_add_u64 v[6:7], v[6:7], 1, v[2:3]
	global_load_dwordx2 v[84:85], v[6:7], off
	global_load_dwordx2 v[64:65], v[6:7], off offset:512
	global_load_dwordx2 v[66:67], v[6:7], off offset:1024
	;; [unrolled: 1-line block ×7, first 2 shown]
	ds_read_b64 v[8:9], v74
	s_waitcnt lgkmcnt(0)
	v_lshrrev_b32_e32 v79, 16, v8
	v_and_b32_e32 v80, 0xffff, v8
	v_add_co_u32_e64 v8, s[8:9], s36, v6
	v_lshrrev_b32_e32 v81, 16, v9
	v_and_b32_e32 v82, 0xffff, v9
	v_addc_co_u32_e64 v9, s[8:9], 0, v7, s[8:9]
	v_add_co_u32_e64 v10, s[8:9], s37, v6
	s_waitcnt vmcnt(7)
	v_lshrrev_b32_e32 v83, 16, v84
	v_addc_co_u32_e64 v11, s[8:9], 0, v7, s[8:9]
	v_add_co_u32_e64 v6, s[8:9], s38, v6
	v_and_b32_e32 v84, 0xffff, v84
	s_nop 0
	v_addc_co_u32_e64 v7, s[8:9], 0, v7, s[8:9]
	global_load_dwordx2 v[50:51], v[8:9], off offset:512
	global_load_dwordx2 v[48:49], v[8:9], off offset:1024
	;; [unrolled: 1-line block ×4, first 2 shown]
	global_load_dwordx2 v[36:37], v[10:11], off
	global_load_dwordx2 v[34:35], v[10:11], off offset:512
	global_load_dwordx2 v[32:33], v[10:11], off offset:1024
	global_load_dwordx2 v[30:31], v[10:11], off offset:1536
	global_load_dwordx2 v[28:29], v[10:11], off offset:2048
	global_load_dwordx2 v[26:27], v[10:11], off offset:2560
	global_load_dwordx2 v[24:25], v[10:11], off offset:3072
	global_load_dwordx2 v[22:23], v[10:11], off offset:3584
	global_load_dwordx2 v[42:43], v[8:9], off offset:2560
	global_load_dwordx2 v[40:41], v[8:9], off offset:3072
	global_load_dwordx2 v[38:39], v[8:9], off offset:3584
	global_load_dwordx2 v[20:21], v[6:7], off
	global_load_dwordx2 v[18:19], v[6:7], off offset:512
	global_load_dwordx2 v[16:17], v[6:7], off offset:1024
	;; [unrolled: 1-line block ×4, first 2 shown]
	global_load_dwordx2 v[54:55], v[10:11], off offset:-4096
	s_nop 0
	global_load_dwordx2 v[10:11], v[6:7], off offset:2560
	global_load_dwordx2 v[8:9], v[6:7], off offset:3072
	s_nop 0
	global_load_dwordx2 v[6:7], v[6:7], off offset:3584
	;;#ASMSTART
	v_cvt_f32_f16 v80, v80;
	;;#ASMEND
	;;#ASMSTART
	v_cvt_f32_f16 v79, v79;
	;;#ASMEND
	v_lshrrev_b32_e32 v86, 16, v85
	v_and_b32_e32 v85, 0xffff, v85
	s_waitcnt vmcnt(30)
	v_and_b32_e32 v87, 0xffff, v64
	v_lshrrev_b32_e32 v88, 16, v64
	v_and_b32_e32 v89, 0xffff, v65
	v_lshrrev_b32_e32 v90, 16, v65
	s_waitcnt vmcnt(29)
	v_and_b32_e32 v91, 0xffff, v66
	v_lshrrev_b32_e32 v92, 16, v66
	s_waitcnt vmcnt(28)
	v_and_b32_e32 v95, 0xffff, v62
	v_lshrrev_b32_e32 v96, 16, v62
	v_and_b32_e32 v97, 0xffff, v63
	v_lshrrev_b32_e32 v98, 16, v63
	s_waitcnt vmcnt(26)
	v_and_b32_e32 v105, 0xffff, v59
	v_lshrrev_b32_e32 v106, 16, v59
	s_waitcnt vmcnt(25)
	v_and_b32_e32 v107, 0xffff, v56
	v_lshrrev_b32_e32 v108, 16, v56
	v_and_b32_e32 v109, 0xffff, v57
	v_lshrrev_b32_e32 v110, 16, v57
	;;#ASMSTART
	v_cvt_f32_f16 v59, v84;
	;;#ASMEND
	;;#ASMSTART
	v_cvt_f32_f16 v62, v83;
	;;#ASMEND
	;; [unrolled: 3-line block ×6, first 2 shown]
	ds_read_b64 v[56:57], v74 offset:8
	v_and_b32_e32 v103, 0xffff, v58
	v_lshrrev_b32_e32 v104, 16, v58
	v_and_b32_e32 v93, 0xffff, v67
	v_lshrrev_b32_e32 v94, 16, v67
	s_waitcnt lgkmcnt(0)
	v_and_b32_e32 v58, 0xffff, v56
	v_and_b32_e32 v99, 0xffff, v60
	v_lshrrev_b32_e32 v100, 16, v60
	v_and_b32_e32 v101, 0xffff, v61
	v_lshrrev_b32_e32 v102, 16, v61
	v_lshrrev_b32_e32 v60, 16, v56
	;; [unrolled: 1-line block ×3, first 2 shown]
	v_and_b32_e32 v67, 0xffff, v57
	;;#ASMSTART
	v_cvt_f32_f16 v56, v58;
	;;#ASMEND
	;;#ASMSTART
	v_cvt_f32_f16 v57, v60;
	;;#ASMEND
	;; [unrolled: 3-line block ×3, first 2 shown]
	s_waitcnt vmcnt(24)
	v_and_b32_e32 v82, 0xffff, v52
	v_mul_f32_e32 v56, v56, v58
	;;#ASMSTART
	v_cvt_f32_f16 v58, v88;
	;;#ASMEND
	v_fmac_f32_e32 v56, v80, v59
	v_mul_f32_e32 v57, v57, v58
	;;#ASMSTART
	v_cvt_f32_f16 v58, v67;
	;;#ASMEND
	;;#ASMSTART
	v_cvt_f32_f16 v67, v61;
	;;#ASMEND
	;; [unrolled: 3-line block ×4, first 2 shown]
	v_lshrrev_b32_e32 v80, 16, v52
	v_mul_f32_e32 v58, v58, v60
	ds_read_b64 v[60:61], v74 offset:16
	v_mul_f32_e32 v59, v67, v81
	v_fmac_f32_e32 v59, v64, v66
	v_fmac_f32_e32 v57, v79, v62
	v_fmac_f32_e32 v58, v63, v65
	s_waitcnt lgkmcnt(0)
	v_and_b32_e32 v52, 0xffff, v60
	v_lshrrev_b32_e32 v60, 16, v60
	v_lshrrev_b32_e32 v66, 16, v61
	v_and_b32_e32 v61, 0xffff, v61
	;;#ASMSTART
	v_cvt_f32_f16 v52, v52;
	;;#ASMEND
	;;#ASMSTART
	v_cvt_f32_f16 v62, v60;
	;;#ASMEND
	;;#ASMSTART
	v_cvt_f32_f16 v63, v91;
	;;#ASMEND
	;;#ASMSTART
	v_cvt_f32_f16 v64, v92;
	;;#ASMEND
	;;#ASMSTART
	v_cvt_f32_f16 v65, v61;
	;;#ASMEND
	;;#ASMSTART
	v_cvt_f32_f16 v66, v66;
	;;#ASMEND
	;;#ASMSTART
	v_cvt_f32_f16 v67, v93;
	;;#ASMEND
	;;#ASMSTART
	v_cvt_f32_f16 v79, v94;
	;;#ASMEND
	ds_read_b64 v[60:61], v74 offset:24
	v_fmac_f32_e32 v56, v52, v63
	v_fmac_f32_e32 v59, v66, v79
	v_fmac_f32_e32 v57, v62, v64
	v_fmac_f32_e32 v58, v65, v67
	s_waitcnt lgkmcnt(0)
	v_and_b32_e32 v52, 0xffff, v60
	v_lshrrev_b32_e32 v60, 16, v60
	v_lshrrev_b32_e32 v66, 16, v61
	v_and_b32_e32 v61, 0xffff, v61
	;;#ASMSTART
	v_cvt_f32_f16 v52, v52;
	;;#ASMEND
	;;#ASMSTART
	v_cvt_f32_f16 v62, v60;
	;;#ASMEND
	;;#ASMSTART
	v_cvt_f32_f16 v63, v95;
	;;#ASMEND
	;;#ASMSTART
	v_cvt_f32_f16 v64, v96;
	;;#ASMEND
	;;#ASMSTART
	v_cvt_f32_f16 v65, v61;
	;;#ASMEND
	;;#ASMSTART
	v_cvt_f32_f16 v66, v66;
	;;#ASMEND
	;;#ASMSTART
	v_cvt_f32_f16 v67, v97;
	;;#ASMEND
	;;#ASMSTART
	v_cvt_f32_f16 v79, v98;
	;;#ASMEND
	ds_read_b64 v[60:61], v74 offset:32
	v_fmac_f32_e32 v56, v52, v63
	;; [unrolled: 34-line block ×5, first 2 shown]
	v_fmac_f32_e32 v57, v62, v64
	v_fmac_f32_e32 v58, v65, v67
	;; [unrolled: 1-line block ×3, first 2 shown]
	s_waitcnt lgkmcnt(0)
	v_and_b32_e32 v52, 0xffff, v60
	v_lshrrev_b32_e32 v62, 16, v60
	v_lshrrev_b32_e32 v65, 16, v61
	v_and_b32_e32 v64, 0xffff, v61
	;;#ASMSTART
	v_cvt_f32_f16 v60, v52;
	;;#ASMEND
	v_and_b32_e32 v52, 0xffff, v53
	;;#ASMSTART
	v_cvt_f32_f16 v61, v62;
	;;#ASMEND
	;;#ASMSTART
	v_cvt_f32_f16 v62, v82;
	;;#ASMEND
	;; [unrolled: 3-line block ×6, first 2 shown]
	v_lshrrev_b32_e32 v52, 16, v53
	;;#ASMSTART
	v_cvt_f32_f16 v67, v52;
	;;#ASMEND
	ds_read_b64 v[52:53], v74 offset:64
	v_fmac_f32_e32 v56, v60, v62
	v_fmac_f32_e32 v57, v61, v63
	;; [unrolled: 1-line block ×4, first 2 shown]
	s_waitcnt lgkmcnt(0)
	v_and_b32_e32 v60, 0xffff, v52
	v_lshrrev_b32_e32 v52, 16, v52
	;;#ASMSTART
	v_cvt_f32_f16 v60, v60;
	;;#ASMEND
	;;#ASMSTART
	v_cvt_f32_f16 v61, v52;
	;;#ASMEND
	s_waitcnt vmcnt(3)
	v_and_b32_e32 v52, 0xffff, v54
	;;#ASMSTART
	v_cvt_f32_f16 v62, v52;
	;;#ASMEND
	v_lshrrev_b32_e32 v52, 16, v54
	;;#ASMSTART
	v_cvt_f32_f16 v54, v52;
	;;#ASMEND
	v_lshrrev_b32_e32 v52, 16, v53
	v_and_b32_e32 v53, 0xffff, v53
	;;#ASMSTART
	v_cvt_f32_f16 v63, v53;
	;;#ASMEND
	;;#ASMSTART
	v_cvt_f32_f16 v64, v52;
	;;#ASMEND
	v_and_b32_e32 v52, 0xffff, v55
	;;#ASMSTART
	v_cvt_f32_f16 v65, v52;
	;;#ASMEND
	v_lshrrev_b32_e32 v52, 16, v55
	;;#ASMSTART
	v_cvt_f32_f16 v55, v52;
	;;#ASMEND
	ds_read_b64 v[52:53], v74 offset:72
	v_fmac_f32_e32 v57, v61, v54
	v_fmac_f32_e32 v59, v64, v55
	v_and_b32_e32 v55, 0xffff, v50
	v_lshrrev_b32_e32 v50, 16, v50
	s_waitcnt lgkmcnt(0)
	v_and_b32_e32 v54, 0xffff, v52
	v_lshrrev_b32_e32 v52, 16, v52
	v_fmac_f32_e32 v56, v60, v62
	v_fmac_f32_e32 v58, v63, v65
	;;#ASMSTART
	v_cvt_f32_f16 v54, v54;
	;;#ASMEND
	;;#ASMSTART
	v_cvt_f32_f16 v52, v52;
	;;#ASMEND
	;; [unrolled: 3-line block ×4, first 2 shown]
	v_lshrrev_b32_e32 v50, 16, v53
	v_and_b32_e32 v53, 0xffff, v53
	v_lshrrev_b32_e32 v63, 16, v51
	v_and_b32_e32 v51, 0xffff, v51
	;;#ASMSTART
	v_cvt_f32_f16 v53, v53;
	;;#ASMEND
	;;#ASMSTART
	v_cvt_f32_f16 v61, v50;
	;;#ASMEND
	;;#ASMSTART
	v_cvt_f32_f16 v62, v51;
	;;#ASMEND
	;;#ASMSTART
	v_cvt_f32_f16 v63, v63;
	;;#ASMEND
	ds_read_b64 v[50:51], v74 offset:80
	v_fmac_f32_e32 v57, v52, v60
	v_fmac_f32_e32 v58, v53, v62
	v_and_b32_e32 v53, 0xffff, v48
	v_lshrrev_b32_e32 v48, 16, v48
	s_waitcnt lgkmcnt(0)
	v_lshrrev_b32_e32 v52, 16, v50
	v_and_b32_e32 v50, 0xffff, v50
	v_fmac_f32_e32 v56, v54, v55
	;;#ASMSTART
	v_cvt_f32_f16 v50, v50;
	;;#ASMEND
	;;#ASMSTART
	v_cvt_f32_f16 v52, v52;
	;;#ASMEND
	;; [unrolled: 3-line block ×4, first 2 shown]
	v_lshrrev_b32_e32 v48, 16, v51
	v_and_b32_e32 v51, 0xffff, v51
	;;#ASMSTART
	v_cvt_f32_f16 v51, v51;
	;;#ASMEND
	;;#ASMSTART
	v_cvt_f32_f16 v55, v48;
	;;#ASMEND
	v_lshrrev_b32_e32 v48, 16, v49
	v_and_b32_e32 v49, 0xffff, v49
	v_fmac_f32_e32 v59, v61, v63
	;;#ASMSTART
	v_cvt_f32_f16 v60, v49;
	;;#ASMEND
	;;#ASMSTART
	v_cvt_f32_f16 v61, v48;
	;;#ASMEND
	ds_read_b64 v[48:49], v74 offset:88
	v_fmac_f32_e32 v56, v50, v53
	v_fmac_f32_e32 v57, v52, v54
	v_lshrrev_b32_e32 v52, 16, v46
	v_and_b32_e32 v46, 0xffff, v46
	s_waitcnt lgkmcnt(0)
	v_lshrrev_b32_e32 v50, 16, v48
	v_and_b32_e32 v48, 0xffff, v48
	v_fmac_f32_e32 v58, v51, v60
	;;#ASMSTART
	v_cvt_f32_f16 v48, v48;
	;;#ASMEND
	;;#ASMSTART
	v_cvt_f32_f16 v50, v50;
	;;#ASMEND
	;;#ASMSTART
	v_cvt_f32_f16 v51, v46;
	;;#ASMEND
	v_lshrrev_b32_e32 v46, 16, v49
	v_and_b32_e32 v49, 0xffff, v49
	;;#ASMSTART
	v_cvt_f32_f16 v52, v52;
	;;#ASMEND
	;;#ASMSTART
	v_cvt_f32_f16 v49, v49;
	;;#ASMEND
	;;#ASMSTART
	v_cvt_f32_f16 v53, v46;
	;;#ASMEND
	v_lshrrev_b32_e32 v46, 16, v47
	v_and_b32_e32 v47, 0xffff, v47
	v_fmac_f32_e32 v59, v55, v61
	;;#ASMSTART
	v_cvt_f32_f16 v54, v47;
	;;#ASMEND
	;;#ASMSTART
	v_cvt_f32_f16 v55, v46;
	;;#ASMEND
	ds_read_b64 v[46:47], v74 offset:96
	v_fmac_f32_e32 v56, v48, v51
	v_fmac_f32_e32 v57, v50, v52
	v_lshrrev_b32_e32 v50, 16, v44
	v_and_b32_e32 v44, 0xffff, v44
	s_waitcnt lgkmcnt(0)
	v_lshrrev_b32_e32 v48, 16, v46
	v_and_b32_e32 v46, 0xffff, v46
	v_fmac_f32_e32 v58, v49, v54
	;;#ASMSTART
	v_cvt_f32_f16 v46, v46;
	;;#ASMEND
	;;#ASMSTART
	v_cvt_f32_f16 v48, v48;
	;;#ASMEND
	;;#ASMSTART
	v_cvt_f32_f16 v49, v44;
	;;#ASMEND
	v_lshrrev_b32_e32 v44, 16, v47
	v_and_b32_e32 v47, 0xffff, v47
	;;#ASMSTART
	v_cvt_f32_f16 v50, v50;
	;;#ASMEND
	;; [unrolled: 38-line block ×18, first 2 shown]
	;;#ASMSTART
	v_cvt_f32_f16 v15, v15;
	;;#ASMEND
	;;#ASMSTART
	v_cvt_f32_f16 v19, v12;
	;;#ASMEND
	v_lshrrev_b32_e32 v12, 16, v13
	v_and_b32_e32 v13, 0xffff, v13
	v_fmac_f32_e32 v59, v21, v23
	;;#ASMSTART
	v_cvt_f32_f16 v20, v13;
	;;#ASMEND
	;;#ASMSTART
	v_cvt_f32_f16 v21, v12;
	;;#ASMEND
	ds_read_b64 v[12:13], v74 offset:232
	v_fmac_f32_e32 v56, v14, v17
	v_fmac_f32_e32 v57, v16, v18
	s_waitcnt vmcnt(2)
	v_lshrrev_b32_e32 v16, 16, v10
	v_and_b32_e32 v10, 0xffff, v10
	s_waitcnt lgkmcnt(0)
	v_lshrrev_b32_e32 v14, 16, v12
	v_and_b32_e32 v12, 0xffff, v12
	v_fmac_f32_e32 v58, v15, v20
	;;#ASMSTART
	v_cvt_f32_f16 v12, v12;
	;;#ASMEND
	;;#ASMSTART
	v_cvt_f32_f16 v14, v14;
	;;#ASMEND
	;; [unrolled: 3-line block ×3, first 2 shown]
	v_lshrrev_b32_e32 v10, 16, v13
	v_and_b32_e32 v13, 0xffff, v13
	;;#ASMSTART
	v_cvt_f32_f16 v16, v16;
	;;#ASMEND
	;;#ASMSTART
	v_cvt_f32_f16 v13, v13;
	;;#ASMEND
	;; [unrolled: 3-line block ×3, first 2 shown]
	v_lshrrev_b32_e32 v10, 16, v11
	v_and_b32_e32 v11, 0xffff, v11
	v_fmac_f32_e32 v59, v19, v21
	;;#ASMSTART
	v_cvt_f32_f16 v18, v11;
	;;#ASMEND
	;;#ASMSTART
	v_cvt_f32_f16 v19, v10;
	;;#ASMEND
	ds_read_b64 v[10:11], v74 offset:240
	v_fmac_f32_e32 v56, v12, v15
	v_fmac_f32_e32 v57, v14, v16
	s_waitcnt vmcnt(1)
	v_lshrrev_b32_e32 v14, 16, v8
	v_and_b32_e32 v8, 0xffff, v8
	s_waitcnt lgkmcnt(0)
	v_lshrrev_b32_e32 v12, 16, v10
	v_and_b32_e32 v10, 0xffff, v10
	v_fmac_f32_e32 v58, v13, v18
	;;#ASMSTART
	v_cvt_f32_f16 v10, v10;
	;;#ASMEND
	;;#ASMSTART
	v_cvt_f32_f16 v12, v12;
	;;#ASMEND
	;; [unrolled: 3-line block ×3, first 2 shown]
	v_lshrrev_b32_e32 v8, 16, v11
	v_and_b32_e32 v11, 0xffff, v11
	;;#ASMSTART
	v_cvt_f32_f16 v14, v14;
	;;#ASMEND
	;;#ASMSTART
	v_cvt_f32_f16 v11, v11;
	;;#ASMEND
	;; [unrolled: 3-line block ×3, first 2 shown]
	v_lshrrev_b32_e32 v8, 16, v9
	v_and_b32_e32 v9, 0xffff, v9
	v_fmac_f32_e32 v59, v17, v19
	;;#ASMSTART
	v_cvt_f32_f16 v16, v9;
	;;#ASMEND
	;;#ASMSTART
	v_cvt_f32_f16 v17, v8;
	;;#ASMEND
	ds_read_b64 v[8:9], v74 offset:248
	v_fmac_f32_e32 v56, v10, v13
	v_fmac_f32_e32 v58, v11, v16
	s_waitcnt vmcnt(0)
	v_lshrrev_b32_e32 v11, 16, v6
	v_and_b32_e32 v6, 0xffff, v6
	s_waitcnt lgkmcnt(0)
	v_lshrrev_b32_e32 v10, 16, v8
	v_and_b32_e32 v8, 0xffff, v8
	;;#ASMSTART
	v_cvt_f32_f16 v8, v8;
	;;#ASMEND
	;;#ASMSTART
	v_cvt_f32_f16 v10, v10;
	;;#ASMEND
	;; [unrolled: 3-line block ×3, first 2 shown]
	v_fmac_f32_e32 v57, v12, v14
	v_fmac_f32_e32 v56, v8, v6
	v_and_b32_e32 v6, 0xffff, v9
	;;#ASMSTART
	v_cvt_f32_f16 v11, v11;
	;;#ASMEND
	v_lshrrev_b32_e32 v8, 16, v9
	v_fmac_f32_e32 v57, v10, v11
	;;#ASMSTART
	v_cvt_f32_f16 v6, v6;
	;;#ASMEND
	v_lshrrev_b32_e32 v9, 16, v7
	v_and_b32_e32 v7, 0xffff, v7
	v_fmac_f32_e32 v59, v15, v17
	;;#ASMSTART
	v_cvt_f32_f16 v8, v8;
	;;#ASMEND
	;;#ASMSTART
	v_cvt_f32_f16 v7, v7;
	;;#ASMEND
	v_cmp_lt_i32_e64 s[8:9], v77, v72
	v_fmac_f32_e32 v58, v6, v7
	v_add_f32_e32 v6, v56, v57
	;;#ASMSTART
	v_cvt_f32_f16 v9, v9;
	;;#ASMEND
	v_add_f32_e32 v6, v6, v58
	v_fmac_f32_e32 v59, v8, v9
	v_cndmask_b32_e64 v7, v70, v77, s[8:9]
	v_add_f32_e32 v6, v59, v6
	v_lshlrev_b32_e32 v7, 2, v7
	ds_bpermute_b32 v7, v7, v6
	s_and_saveexec_b64 s[34:35], vcc
	s_cbranch_execz .LBB107_8
; %bb.10:                               ;   in Loop: Header=BB107_9 Depth=1
	v_add_u32_e32 v8, s15, v75
	v_cvt_f32_i32_e32 v8, v8
	s_waitcnt lgkmcnt(0)
	v_add_f32_e32 v6, v6, v7
	v_cmp_gt_i32_e64 s[8:9], s33, v75
	v_max_f32_e32 v7, v73, v73
	v_mul_f32_e32 v8, s10, v8
	v_cndmask_b32_e64 v8, 0, v8, s[0:1]
	v_fmac_f32_e32 v8, s11, v6
	v_cndmask_b32_e64 v6, 0, v8, s[8:9]
	ds_write_b32 v76, v6
	v_max_f32_e32 v6, v7, v8
	v_cndmask_b32_e64 v73, v73, v6, s[8:9]
	s_branch .LBB107_8
.LBB107_11:
	s_or_b64 exec, exec, s[30:31]
.LBB107_12:
	s_or_b64 exec, exec, s[28:29]
	v_xor_b32_e32 v2, 32, v70
	v_cmp_lt_i32_e32 vcc, v2, v72
	v_xor_b32_e32 v5, 16, v70
	v_max_f32_e32 v4, v73, v73
	v_cndmask_b32_e32 v2, v70, v2, vcc
	v_lshlrev_b32_e32 v2, 2, v2
	ds_bpermute_b32 v3, v2, v73
	v_cmp_lt_i32_e32 vcc, v5, v72
	v_xor_b32_e32 v6, 8, v70
	s_waitcnt lgkmcnt(0)
	v_xor_b32_e32 v7, 4, v70
	v_xor_b32_e32 v8, 2, v70
	v_max_f32_e32 v3, v3, v3
	v_max_f32_e32 v4, v4, v3
	v_cndmask_b32_e32 v3, v70, v5, vcc
	v_lshlrev_b32_e32 v3, 2, v3
	ds_bpermute_b32 v5, v3, v4
	v_cmp_lt_i32_e32 vcc, v6, v72
	v_and_b32_e32 v35, 63, v0
	s_waitcnt lgkmcnt(0)
	v_max_f32_e32 v5, v5, v5
	v_max_f32_e32 v5, v4, v5
	v_cndmask_b32_e32 v4, v70, v6, vcc
	v_lshlrev_b32_e32 v4, 2, v4
	ds_bpermute_b32 v6, v4, v5
	v_cmp_lt_i32_e32 vcc, v7, v72
	s_waitcnt lgkmcnt(0)
	v_max_f32_e32 v6, v6, v6
	v_max_f32_e32 v6, v5, v6
	v_cndmask_b32_e32 v5, v70, v7, vcc
	v_lshlrev_b32_e32 v5, 2, v5
	ds_bpermute_b32 v7, v5, v6
	v_cmp_lt_i32_e32 vcc, v8, v72
	s_waitcnt lgkmcnt(0)
	v_max_f32_e32 v7, v7, v7
	v_max_f32_e32 v7, v6, v7
	v_cndmask_b32_e32 v6, v70, v8, vcc
	v_lshlrev_b32_e32 v36, 2, v6
	ds_bpermute_b32 v8, v36, v7
	v_cmp_eq_u32_e32 vcc, 0, v35
	v_lshlrev_b32_e32 v6, 2, v68
	s_and_saveexec_b64 s[0:1], vcc
	s_cbranch_execz .LBB107_14
; %bb.13:
	s_waitcnt lgkmcnt(0)
	v_max_f32_e32 v8, v8, v8
	v_max_f32_e32 v7, v7, v7
	;; [unrolled: 1-line block ×3, first 2 shown]
	ds_write_b32 v6, v7 offset:512
.LBB107_14:
	s_or_b64 exec, exec, s[0:1]
	v_cmp_gt_u32_e64 s[0:1], 2, v35
	s_waitcnt lgkmcnt(0)
	v_mov_b32_e32 v8, 0xff7fffff
	v_lshlrev_b32_e32 v7, 2, v35
	s_barrier
	s_and_saveexec_b64 s[8:9], s[0:1]
; %bb.15:
	ds_read_b32 v8, v7 offset:512
; %bb.16:
	s_or_b64 exec, exec, s[8:9]
	v_xor_b32_e32 v9, 1, v70
	v_cmp_lt_i32_e64 s[8:9], v9, v72
	s_nop 1
	v_cndmask_b32_e64 v9, v70, v9, s[8:9]
	v_lshlrev_b32_e32 v37, 2, v9
	s_waitcnt lgkmcnt(0)
	ds_bpermute_b32 v9, v37, v8
	v_max_f32_e32 v8, v8, v8
	s_lshl_b32 s8, s19, 5
	s_min_i32 s12, s8, s33
	v_cmp_gt_i32_e64 s[8:9], s12, v0
	s_waitcnt lgkmcnt(0)
	v_max_f32_e32 v9, v9, v9
	v_max_f32_e32 v8, v8, v9
	v_lshlrev_b32_e32 v9, 2, v71
	ds_bpermute_b32 v9, v9, v8
	v_mov_b32_e32 v8, 0
	s_and_saveexec_b64 s[28:29], s[8:9]
	s_cbranch_execz .LBB107_20
; %bb.17:
	v_mov_b32_e32 v8, 0x210
	v_lshl_add_u32 v10, v0, 2, v8
	v_mov_b32_e32 v8, 0
	s_mov_b64 s[30:31], 0
	v_mov_b32_e32 v11, v0
.LBB107_18:                             ; =>This Inner Loop Header: Depth=1
	ds_read_b32 v12, v10
	v_add_u32_e32 v11, 0x80, v11
	v_cmp_le_i32_e64 s[10:11], s12, v11
	s_or_b64 s[30:31], s[10:11], s[30:31]
	s_waitcnt lgkmcnt(0)
	v_sub_f32_e32 v12, v12, v9
	v_mul_f32_e32 v12, 0x3fb8aa3b, v12
	v_exp_f32_e32 v12, v12
	ds_write_b32 v10, v12
	v_add_f32_e32 v8, v8, v12
	v_add_u32_e32 v10, 0x200, v10
	s_andn2_b64 exec, exec, s[30:31]
	s_cbranch_execnz .LBB107_18
; %bb.19:
	s_or_b64 exec, exec, s[30:31]
.LBB107_20:
	s_or_b64 exec, exec, s[28:29]
	ds_bpermute_b32 v2, v2, v8
	s_waitcnt lgkmcnt(0)
	v_add_f32_e32 v2, v8, v2
	ds_bpermute_b32 v3, v3, v2
	s_waitcnt lgkmcnt(0)
	v_add_f32_e32 v2, v2, v3
	;; [unrolled: 3-line block ×6, first 2 shown]
	s_and_saveexec_b64 s[10:11], vcc
; %bb.21:
	ds_write_b32 v6, v2 offset:520
; %bb.22:
	s_or_b64 exec, exec, s[10:11]
	s_waitcnt lgkmcnt(0)
	s_barrier
	s_and_saveexec_b64 s[10:11], s[0:1]
; %bb.23:
	ds_read_b32 v2, v7 offset:520
; %bb.24:
	s_or_b64 exec, exec, s[10:11]
	s_waitcnt lgkmcnt(0)
	ds_bpermute_b32 v3, v37, v2
	v_lshlrev_b32_e32 v4, 2, v70
	s_waitcnt lgkmcnt(0)
	v_add_f32_e32 v2, v2, v3
	v_and_b32_e32 v3, 0xffffff00, v4
	ds_bpermute_b32 v2, v3, v2
	s_and_saveexec_b64 s[0:1], s[8:9]
	s_cbranch_execz .LBB107_37
; %bb.25:
	s_waitcnt lgkmcnt(0)
	v_add_f32_e32 v2, 0x358637bd, v2
	v_div_scale_f32 v3, s[8:9], v2, v2, 1.0
	v_rcp_f32_e32 v4, v3
	v_div_scale_f32 v5, vcc, 1.0, v2, 1.0
	s_movk_i32 s8, 0x7f
	v_fma_f32 v6, -v3, v4, 1.0
	v_fmac_f32_e32 v4, v6, v4
	v_mul_f32_e32 v6, v5, v4
	v_fma_f32 v7, -v3, v6, v5
	v_fmac_f32_e32 v6, v7, v4
	v_fma_f32 v3, -v3, v6, v5
	v_div_fmas_f32 v3, v3, v4, v6
	v_xad_u32 v4, v0, -1, s12
	v_div_fixup_f32 v2, v3, v2, 1.0
	v_cmp_lt_u32_e32 vcc, s8, v4
	s_mov_b64 s[10:11], -1
	v_mov_b32_e32 v3, v0
	s_and_saveexec_b64 s[8:9], vcc
	s_cbranch_execz .LBB107_34
; %bb.26:
	v_lshrrev_b32_e32 v4, 7, v4
	v_add_u32_e32 v6, -1, v4
	v_lshrrev_b32_e32 v5, 1, v6
	v_mov_b32_e32 v3, v2
	v_add_u32_e32 v5, 1, v5
	v_cmp_lt_u32_e32 vcc, 13, v6
	v_mov_b32_e32 v8, 0
	s_and_saveexec_b64 s[10:11], vcc
	s_cbranch_execz .LBB107_30
; %bb.27:
	v_mov_b32_e32 v7, 0x210
	v_and_b32_e32 v6, -8, v5
	v_lshl_add_u32 v7, v0, 2, v7
	s_mov_b32 s15, 0
	s_mov_b64 s[28:29], 0
.LBB107_28:                             ; =>This Inner Loop Header: Depth=1
	ds_read2st64_b32 v[8:9], v7 offset1:2
	ds_read2st64_b32 v[10:11], v7 offset0:4 offset1:6
	ds_read2st64_b32 v[12:13], v7 offset0:8 offset1:10
	;; [unrolled: 1-line block ×3, first 2 shown]
	v_add_u32_e32 v6, -8, v6
	s_waitcnt lgkmcnt(3)
	v_pk_mul_f32 v[8:9], v[2:3], v[8:9]
	s_waitcnt lgkmcnt(2)
	v_pk_mul_f32 v[10:11], v[2:3], v[10:11]
	ds_write2st64_b32 v7, v8, v9 offset1:2
	ds_write2st64_b32 v7, v10, v11 offset0:4 offset1:6
	ds_read2st64_b32 v[10:11], v7 offset0:16 offset1:18
	s_waitcnt lgkmcnt(4)
	v_pk_mul_f32 v[8:9], v[2:3], v[12:13]
	ds_write2st64_b32 v7, v8, v9 offset0:8 offset1:10
	s_waitcnt lgkmcnt(4)
	v_pk_mul_f32 v[8:9], v[2:3], v[14:15]
	ds_write2st64_b32 v7, v8, v9 offset0:12 offset1:14
	ds_read2st64_b32 v[8:9], v7 offset0:20 offset1:22
	s_waitcnt lgkmcnt(3)
	v_pk_mul_f32 v[10:11], v[2:3], v[10:11]
	ds_read2st64_b32 v[12:13], v7 offset0:24 offset1:26
	ds_write2st64_b32 v7, v10, v11 offset0:16 offset1:18
	ds_read2st64_b32 v[10:11], v7 offset0:28 offset1:30
	s_waitcnt lgkmcnt(3)
	v_pk_mul_f32 v[8:9], v[2:3], v[8:9]
	ds_write2st64_b32 v7, v8, v9 offset0:20 offset1:22
	s_waitcnt lgkmcnt(3)
	v_pk_mul_f32 v[8:9], v[2:3], v[12:13]
	ds_write2st64_b32 v7, v8, v9 offset0:24 offset1:26
	s_waitcnt lgkmcnt(2)
	v_pk_mul_f32 v[8:9], v[2:3], v[10:11]
	s_add_i32 s15, s15, 16
	v_cmp_eq_u32_e32 vcc, 0, v6
	ds_write2st64_b32 v7, v8, v9 offset0:28 offset1:30
	v_add_u32_e32 v7, 0x2000, v7
	s_or_b64 s[28:29], vcc, s[28:29]
	v_mov_b32_e32 v8, s15
	s_andn2_b64 exec, exec, s[28:29]
	s_cbranch_execnz .LBB107_28
; %bb.29:
	s_or_b64 exec, exec, s[28:29]
.LBB107_30:
	s_or_b64 exec, exec, s[10:11]
	v_and_b32_e32 v5, 7, v5
	v_cmp_ne_u32_e32 vcc, 0, v5
	s_and_saveexec_b64 s[10:11], vcc
	s_cbranch_execz .LBB107_33
; %bb.31:
	v_lshlrev_b32_e32 v6, 9, v8
	v_lshlrev_b32_e32 v7, 2, v0
	s_movk_i32 s15, 0x210
	v_add3_u32 v6, v6, v7, s15
	s_mov_b64 s[28:29], 0
.LBB107_32:                             ; =>This Inner Loop Header: Depth=1
	ds_read2st64_b32 v[8:9], v6 offset1:2
	v_add_u32_e32 v5, -1, v5
	v_cmp_eq_u32_e32 vcc, 0, v5
	s_or_b64 s[28:29], vcc, s[28:29]
	s_waitcnt lgkmcnt(0)
	v_pk_mul_f32 v[8:9], v[2:3], v[8:9]
	ds_write2st64_b32 v6, v8, v9 offset1:2
	v_add_u32_e32 v6, 0x400, v6
	s_andn2_b64 exec, exec, s[28:29]
	s_cbranch_execnz .LBB107_32
.LBB107_33:
	s_or_b64 exec, exec, s[10:11]
	v_add_u32_e32 v4, 1, v4
	v_and_b32_e32 v5, 0x3fffffe, v4
	v_cmp_ne_u32_e32 vcc, v4, v5
	v_lshl_add_u32 v3, v5, 7, v0
	s_orn2_b64 s[10:11], vcc, exec
.LBB107_34:
	s_or_b64 exec, exec, s[8:9]
	s_and_b64 exec, exec, s[10:11]
	s_cbranch_execz .LBB107_37
; %bb.35:
	v_mov_b32_e32 v4, 0x210
	v_lshl_add_u32 v4, v3, 2, v4
	s_mov_b64 s[8:9], 0
.LBB107_36:                             ; =>This Inner Loop Header: Depth=1
	ds_read_b32 v5, v4
	v_add_u32_e32 v3, 0x80, v3
	v_cmp_le_i32_e32 vcc, s12, v3
	s_or_b64 s[8:9], vcc, s[8:9]
	s_waitcnt lgkmcnt(0)
	v_mul_f32_e32 v5, v2, v5
	ds_write_b32 v4, v5
	v_add_u32_e32 v4, 0x200, v4
	s_andn2_b64 exec, exec, s[8:9]
	s_cbranch_execnz .LBB107_36
.LBB107_37:
	s_or_b64 exec, exec, s[0:1]
	v_mov_b32_e32 v7, 0
	v_and_b32_e32 v38, 3, v0
	v_mov_b32_e32 v6, 0
	v_mov_b32_e32 v9, 0
	;; [unrolled: 1-line block ×15, first 2 shown]
	s_waitcnt lgkmcnt(0)
	s_barrier
	s_and_saveexec_b64 s[0:1], s[2:3]
	s_cbranch_execz .LBB107_73
; %bb.38:
	s_ashr_i32 s15, s14, 31
	s_lshl_b64 s[2:3], s[14:15], 1
	s_add_u32 s8, s26, s2
	s_addc_u32 s9, s27, s3
	s_add_i32 s14, s19, -1
	s_lshl_b64 s[2:3], s[24:25], 2
	v_and_b32_e32 v3, 24, v1
	v_and_b32_e32 v2, 0x1f8, v1
	v_or_b32_e32 v4, 0x1e00, v1
	v_lshlrev_b32_e32 v1, 5, v38
	s_add_u32 s2, s22, s2
	v_mov_b32_e32 v23, 0
	v_lshl_or_b32 v1, v68, 7, v1
	v_and_b32_e32 v22, 60, v69
	s_addc_u32 s3, s23, s3
	s_mov_b32 s28, s13
	s_mov_b32 s15, s33
	v_lshl_or_b32 v39, v68, 5, v3
	v_add_u32_e32 v40, 0x210, v1
	v_lshl_add_u64 v[24:25], s[2:3], 0, v[22:23]
	s_mov_b64 s[10:11], 0
	v_lshlrev_b32_e32 v26, 1, v2
	v_mov_b32_e32 v27, v23
	s_mov_b32 s22, 0xffff
	s_movk_i32 s23, 0x1000
	s_movk_i32 s24, 0x2000
	;; [unrolled: 1-line block ×3, first 2 shown]
	v_lshlrev_b32_e32 v22, 1, v4
	v_mov_b32_e32 v7, v23
	v_mov_b32_e32 v6, v23
	;; [unrolled: 1-line block ×16, first 2 shown]
	s_branch .LBB107_40
.LBB107_39:                             ;   in Loop: Header=BB107_40 Depth=1
	s_or_b64 exec, exec, s[12:13]
	v_add_f32_e32 v30, v30, v31
	v_add_f32_e32 v6, v6, v30
	;; [unrolled: 1-line block ×13, first 2 shown]
	v_lshlrev_b32_e32 v28, 16, v28
	v_lshlrev_b32_e32 v1, 16, v1
	v_add_f32_e32 v12, v12, v30
	v_add_f32_e32 v30, v66, v67
	v_and_or_b32 v2, v2, s22, v28
	v_and_or_b32 v1, v3, s22, v1
	v_lshlrev_b32_e32 v3, 16, v29
	v_add_f32_e32 v15, v15, v30
	v_add_f32_e32 v30, v64, v65
	v_and_or_b32 v3, v4, s22, v3
	;;#ASMSTART
	v_pk_mul_f16 v2, v42, v2;

	;;#ASMEND
	;;#ASMSTART
	v_pk_mul_f16 v1, v43, v1;

	;;#ASMEND
	v_add_f32_e32 v14, v14, v30
	v_add_f32_e32 v30, v62, v63
	;;#ASMSTART
	v_pk_mul_f16 v3, v44, v3;

	;;#ASMEND
	;;#ASMSTART
	v_pk_mul_f16 v4, v45, v5;

	;;#ASMEND
	;;#ASMSTART
	v_pk_add_f16 v1, v2, v1;

	;;#ASMEND
	v_add_f32_e32 v17, v17, v30
	v_add_f32_e32 v30, v60, v61
	;;#ASMSTART
	v_pk_add_f16 v1, v1, v3;

	;;#ASMEND
	v_add_f32_e32 v16, v16, v30
	v_add_f32_e32 v30, v58, v59
	;; [unrolled: 6-line block ×3, first 2 shown]
	v_lshrrev_b32_e32 v2, 16, v1
	v_and_b32_e32 v1, 0xffff, v1
	v_add_f32_e32 v18, v18, v30
	v_add_f32_e32 v30, v54, v55
	;;#ASMSTART
	v_cvt_f32_f16 v1, v1;
	;;#ASMEND
	v_add_u32_e32 v68, 2, v68
	v_add_f32_e32 v21, v21, v30
	v_add_f32_e32 v30, v52, v53
	;;#ASMSTART
	v_cvt_f32_f16 v2, v2;
	;;#ASMEND
	v_cmp_le_i32_e32 vcc, s19, v68
	v_add_f32_e32 v1, v1, v2
	v_add_f32_e32 v20, v20, v30
	v_add_f32_e32 v7, v7, v1
	v_add_u32_e32 v39, 64, v39
	v_add_u32_e32 v40, 0x100, v40
	s_or_b64 s[10:11], vcc, s[10:11]
	v_lshl_add_u64 v[24:25], v[24:25], 0, 8
	s_andn2_b64 exec, exec, s[10:11]
	s_cbranch_execz .LBB107_72
.LBB107_40:                             ; =>This Inner Loop Header: Depth=1
	global_load_dword v1, v[24:25], off
	ds_read2_b64 v[2:5], v40 offset1:1
	ds_read2_b64 v[28:31], v40 offset0:2 offset1:3
	v_add_u32_e32 v49, 2, v39
	v_add_u32_e32 v48, 4, v39
	s_waitcnt lgkmcnt(1)
	;;#ASMSTART
	v_cvt_f16_f32 v33, v2;

	;;#ASMEND
	;;#ASMSTART
	v_cvt_f16_f32 v34, v3;

	;;#ASMEND
	;; [unrolled: 4-line block ×4, first 2 shown]
	s_waitcnt lgkmcnt(0)
	;;#ASMSTART
	v_cvt_f16_f32 v45, v28;

	;;#ASMEND
	;;#ASMSTART
	v_cvt_f16_f32 v52, v29;

	;;#ASMEND
	;;#ASMSTART
	v_cvt_f16_f32 v53, v30;

	;;#ASMEND
	;;#ASMSTART
	v_cvt_f16_f32 v54, v31;

	;;#ASMEND
	v_add_u32_e32 v47, 5, v39
	v_add_u32_e32 v46, 6, v39
	;; [unrolled: 1-line block ×3, first 2 shown]
	v_or_b32_e32 v50, 3, v39
	v_or_b32_e32 v51, 1, v39
	s_waitcnt vmcnt(0)
	v_mad_i64_i32 v[2:3], s[2:3], v1, s28, 0
	v_lshl_add_u64 v[28:29], v[2:3], 1, s[8:9]
	v_lshl_add_u64 v[30:31], v[28:29], 0, v[26:27]
	global_load_dwordx4 v[2:5], v[30:31], off
	v_cmp_eq_u32_e64 s[2:3], s14, v68
	s_waitcnt vmcnt(0)
	v_lshrrev_b32_e32 v1, 16, v3
	v_lshrrev_b32_e32 v32, 16, v2
	;; [unrolled: 1-line block ×3, first 2 shown]
	s_and_saveexec_b64 s[12:13], s[2:3]
	s_cbranch_execz .LBB107_42
; %bb.41:                               ;   in Loop: Header=BB107_40 Depth=1
	v_cmp_gt_i32_e32 vcc, s33, v39
	s_nop 1
	v_cndmask_b32_e32 v2, 0, v2, vcc
	v_cmp_gt_i32_e32 vcc, s33, v49
	s_nop 1
	v_cndmask_b32_e32 v3, 0, v3, vcc
	;; [unrolled: 3-line block ×6, first 2 shown]
	v_cmp_gt_i32_e32 vcc, s33, v46
	s_nop 1
	v_cndmask_b32_sdwa v42, v23, v5, vcc dst_sel:DWORD dst_unused:UNUSED_PAD src0_sel:DWORD src1_sel:WORD_0
	v_and_b32_e32 v5, 0xffff0000, v5
	v_cmp_gt_i32_e32 vcc, s33, v41
	s_nop 1
	v_cndmask_b32_e32 v5, 0, v5, vcc
	v_or_b32_e32 v5, v42, v5
.LBB107_42:                             ;   in Loop: Header=BB107_40 Depth=1
	s_or_b64 exec, exec, s[12:13]
	v_and_b32_e32 v33, 0xffff, v33
	v_lshl_or_b32 v42, v34, 16, v33
	v_and_b32_e32 v33, 0xffff, v43
	v_lshlrev_b32_e32 v32, 16, v32
	v_lshlrev_b32_e32 v1, 16, v1
	v_lshl_or_b32 v43, v44, 16, v33
	v_and_b32_e32 v33, 0xffff, v45
	v_and_or_b32 v2, v2, s22, v32
	v_and_or_b32 v1, v3, s22, v1
	v_lshlrev_b32_e32 v3, 16, v55
	v_lshl_or_b32 v44, v52, 16, v33
	v_and_b32_e32 v33, 0xffff, v53
	v_and_or_b32 v3, v4, s22, v3
	;;#ASMSTART
	v_pk_mul_f16 v2, v42, v2;

	;;#ASMEND
	;;#ASMSTART
	v_pk_mul_f16 v1, v43, v1;

	;;#ASMEND
	v_lshl_or_b32 v45, v54, 16, v33
	;;#ASMSTART
	v_pk_mul_f16 v3, v44, v3;

	;;#ASMEND
	;;#ASMSTART
	v_pk_mul_f16 v4, v45, v5;

	;;#ASMEND
	;;#ASMSTART
	v_pk_add_f16 v1, v2, v1;

	;;#ASMEND
	s_nop 0
	;;#ASMSTART
	v_pk_add_f16 v1, v1, v3;

	;;#ASMEND
	s_nop 0
	;; [unrolled: 5-line block ×3, first 2 shown]
	v_lshrrev_b32_e32 v2, 16, v1
	v_and_b32_e32 v1, 0xffff, v1
	;;#ASMSTART
	v_cvt_f32_f16 v52, v1;
	;;#ASMEND
	;;#ASMSTART
	v_cvt_f32_f16 v53, v2;
	;;#ASMEND
	global_load_dwordx4 v[2:5], v[30:31], off offset:1024
	s_waitcnt vmcnt(0)
	v_lshrrev_b32_e32 v1, 16, v3
	v_lshrrev_b32_e32 v32, 16, v2
	v_lshrrev_b32_e32 v33, 16, v4
	s_and_saveexec_b64 s[12:13], s[2:3]
	s_cbranch_execz .LBB107_44
; %bb.43:                               ;   in Loop: Header=BB107_40 Depth=1
	v_cmp_gt_i32_e32 vcc, s33, v39
	s_nop 1
	v_cndmask_b32_e32 v2, 0, v2, vcc
	v_cmp_gt_i32_e32 vcc, s33, v49
	s_nop 1
	v_cndmask_b32_e32 v3, 0, v3, vcc
	;; [unrolled: 3-line block ×6, first 2 shown]
	v_cmp_gt_i32_e32 vcc, s33, v46
	s_nop 1
	v_cndmask_b32_sdwa v34, v23, v5, vcc dst_sel:DWORD dst_unused:UNUSED_PAD src0_sel:DWORD src1_sel:WORD_0
	v_and_b32_e32 v5, 0xffff0000, v5
	v_cmp_gt_i32_e32 vcc, s33, v41
	s_nop 1
	v_cndmask_b32_e32 v5, 0, v5, vcc
	v_or_b32_e32 v5, v34, v5
.LBB107_44:                             ;   in Loop: Header=BB107_40 Depth=1
	s_or_b64 exec, exec, s[12:13]
	v_lshlrev_b32_e32 v32, 16, v32
	v_lshlrev_b32_e32 v1, 16, v1
	v_and_or_b32 v2, v2, s22, v32
	v_and_or_b32 v1, v3, s22, v1
	v_lshlrev_b32_e32 v3, 16, v33
	v_and_or_b32 v3, v4, s22, v3
	;;#ASMSTART
	v_pk_mul_f16 v2, v42, v2;

	;;#ASMEND
	;;#ASMSTART
	v_pk_mul_f16 v1, v43, v1;

	;;#ASMEND
	;; [unrolled: 4-line block ×4, first 2 shown]
	s_nop 0
	;;#ASMSTART
	v_pk_add_f16 v1, v2, v1;

	;;#ASMEND
	s_nop 0
	;;#ASMSTART
	v_pk_add_f16 v1, v1, v3;

	;;#ASMEND
	;; [unrolled: 5-line block ×3, first 2 shown]
	s_nop 0
	v_lshrrev_b32_e32 v2, 16, v1
	v_and_b32_e32 v1, 0xffff, v1
	;;#ASMSTART
	v_cvt_f32_f16 v54, v1;
	;;#ASMEND
	;;#ASMSTART
	v_cvt_f32_f16 v55, v2;
	;;#ASMEND
	global_load_dwordx4 v[2:5], v[30:31], off offset:2048
	s_waitcnt vmcnt(0)
	v_lshrrev_b32_e32 v1, 16, v3
	v_lshrrev_b32_e32 v32, 16, v2
	;; [unrolled: 1-line block ×3, first 2 shown]
	s_and_saveexec_b64 s[12:13], s[2:3]
	s_cbranch_execz .LBB107_46
; %bb.45:                               ;   in Loop: Header=BB107_40 Depth=1
	v_cmp_gt_i32_e32 vcc, s33, v39
	s_nop 1
	v_cndmask_b32_e32 v2, 0, v2, vcc
	v_cmp_gt_i32_e32 vcc, s33, v49
	s_nop 1
	v_cndmask_b32_e32 v3, 0, v3, vcc
	;; [unrolled: 3-line block ×6, first 2 shown]
	v_cmp_gt_i32_e32 vcc, s33, v46
	s_nop 1
	v_cndmask_b32_sdwa v34, v23, v5, vcc dst_sel:DWORD dst_unused:UNUSED_PAD src0_sel:DWORD src1_sel:WORD_0
	v_and_b32_e32 v5, 0xffff0000, v5
	v_cmp_gt_i32_e32 vcc, s33, v41
	s_nop 1
	v_cndmask_b32_e32 v5, 0, v5, vcc
	v_or_b32_e32 v5, v34, v5
.LBB107_46:                             ;   in Loop: Header=BB107_40 Depth=1
	s_or_b64 exec, exec, s[12:13]
	v_lshlrev_b32_e32 v32, 16, v32
	v_lshlrev_b32_e32 v1, 16, v1
	v_and_or_b32 v2, v2, s22, v32
	v_and_or_b32 v1, v3, s22, v1
	v_lshlrev_b32_e32 v3, 16, v33
	v_and_or_b32 v3, v4, s22, v3
	;;#ASMSTART
	v_pk_mul_f16 v2, v42, v2;

	;;#ASMEND
	;;#ASMSTART
	v_pk_mul_f16 v1, v43, v1;

	;;#ASMEND
	;; [unrolled: 4-line block ×4, first 2 shown]
	s_nop 0
	;;#ASMSTART
	v_pk_add_f16 v1, v2, v1;

	;;#ASMEND
	s_nop 0
	;;#ASMSTART
	v_pk_add_f16 v1, v1, v3;

	;;#ASMEND
	;; [unrolled: 5-line block ×3, first 2 shown]
	s_nop 0
	v_lshrrev_b32_e32 v2, 16, v1
	v_and_b32_e32 v1, 0xffff, v1
	;;#ASMSTART
	v_cvt_f32_f16 v56, v1;
	;;#ASMEND
	;;#ASMSTART
	v_cvt_f32_f16 v57, v2;
	;;#ASMEND
	global_load_dwordx4 v[2:5], v[30:31], off offset:3072
	s_waitcnt vmcnt(0)
	v_lshrrev_b32_e32 v1, 16, v3
	v_lshrrev_b32_e32 v32, 16, v2
	;; [unrolled: 1-line block ×3, first 2 shown]
	s_and_saveexec_b64 s[12:13], s[2:3]
	s_cbranch_execz .LBB107_48
; %bb.47:                               ;   in Loop: Header=BB107_40 Depth=1
	v_cmp_gt_i32_e32 vcc, s33, v39
	s_nop 1
	v_cndmask_b32_e32 v2, 0, v2, vcc
	v_cmp_gt_i32_e32 vcc, s33, v49
	s_nop 1
	v_cndmask_b32_e32 v3, 0, v3, vcc
	;; [unrolled: 3-line block ×6, first 2 shown]
	v_cmp_gt_i32_e32 vcc, s33, v46
	s_nop 1
	v_cndmask_b32_sdwa v34, v23, v5, vcc dst_sel:DWORD dst_unused:UNUSED_PAD src0_sel:DWORD src1_sel:WORD_0
	v_and_b32_e32 v5, 0xffff0000, v5
	v_cmp_gt_i32_e32 vcc, s33, v41
	s_nop 1
	v_cndmask_b32_e32 v5, 0, v5, vcc
	v_or_b32_e32 v5, v34, v5
.LBB107_48:                             ;   in Loop: Header=BB107_40 Depth=1
	s_or_b64 exec, exec, s[12:13]
	v_lshlrev_b32_e32 v32, 16, v32
	v_lshlrev_b32_e32 v1, 16, v1
	v_and_or_b32 v2, v2, s22, v32
	v_and_or_b32 v1, v3, s22, v1
	v_lshlrev_b32_e32 v3, 16, v33
	v_and_or_b32 v3, v4, s22, v3
	;;#ASMSTART
	v_pk_mul_f16 v2, v42, v2;

	;;#ASMEND
	;;#ASMSTART
	v_pk_mul_f16 v1, v43, v1;

	;;#ASMEND
	;; [unrolled: 4-line block ×4, first 2 shown]
	v_add_co_u32_e32 v32, vcc, s23, v30
	;;#ASMSTART
	v_pk_add_f16 v1, v2, v1;

	;;#ASMEND
	s_nop 0
	;;#ASMSTART
	v_pk_add_f16 v1, v1, v3;

	;;#ASMEND
	s_nop 0
	v_addc_co_u32_e32 v33, vcc, 0, v31, vcc
	;;#ASMSTART
	v_pk_add_f16 v1, v1, v4;

	;;#ASMEND
	s_nop 0
	v_lshrrev_b32_e32 v2, 16, v1
	v_and_b32_e32 v1, 0xffff, v1
	;;#ASMSTART
	v_cvt_f32_f16 v58, v1;
	;;#ASMEND
	;;#ASMSTART
	v_cvt_f32_f16 v59, v2;
	;;#ASMEND
	global_load_dwordx4 v[2:5], v[32:33], off
	s_waitcnt vmcnt(0)
	v_lshrrev_b32_e32 v1, 16, v3
	v_lshrrev_b32_e32 v34, 16, v2
	;; [unrolled: 1-line block ×3, first 2 shown]
	s_and_saveexec_b64 s[12:13], s[2:3]
	s_cbranch_execz .LBB107_50
; %bb.49:                               ;   in Loop: Header=BB107_40 Depth=1
	v_cmp_gt_i32_e32 vcc, s33, v39
	s_nop 1
	v_cndmask_b32_e32 v2, 0, v2, vcc
	v_cmp_gt_i32_e32 vcc, s33, v49
	s_nop 1
	v_cndmask_b32_e32 v3, 0, v3, vcc
	;; [unrolled: 3-line block ×6, first 2 shown]
	v_cmp_gt_i32_e32 vcc, s33, v46
	s_nop 1
	v_cndmask_b32_sdwa v61, v23, v5, vcc dst_sel:DWORD dst_unused:UNUSED_PAD src0_sel:DWORD src1_sel:WORD_0
	v_and_b32_e32 v5, 0xffff0000, v5
	v_cmp_gt_i32_e32 vcc, s33, v41
	s_nop 1
	v_cndmask_b32_e32 v5, 0, v5, vcc
	v_or_b32_e32 v5, v61, v5
.LBB107_50:                             ;   in Loop: Header=BB107_40 Depth=1
	s_or_b64 exec, exec, s[12:13]
	v_lshlrev_b32_e32 v34, 16, v34
	v_lshlrev_b32_e32 v1, 16, v1
	v_and_or_b32 v2, v2, s22, v34
	v_and_or_b32 v1, v3, s22, v1
	v_lshlrev_b32_e32 v3, 16, v60
	v_and_or_b32 v3, v4, s22, v3
	;;#ASMSTART
	v_pk_mul_f16 v2, v42, v2;

	;;#ASMEND
	;;#ASMSTART
	v_pk_mul_f16 v1, v43, v1;

	;;#ASMEND
	;; [unrolled: 4-line block ×4, first 2 shown]
	s_nop 0
	;;#ASMSTART
	v_pk_add_f16 v1, v2, v1;

	;;#ASMEND
	s_nop 0
	;;#ASMSTART
	v_pk_add_f16 v1, v1, v3;

	;;#ASMEND
	;; [unrolled: 5-line block ×3, first 2 shown]
	s_nop 0
	v_lshrrev_b32_e32 v2, 16, v1
	v_and_b32_e32 v1, 0xffff, v1
	;;#ASMSTART
	v_cvt_f32_f16 v60, v1;
	;;#ASMEND
	;;#ASMSTART
	v_cvt_f32_f16 v61, v2;
	;;#ASMEND
	global_load_dwordx4 v[2:5], v[32:33], off offset:1024
	s_waitcnt vmcnt(0)
	v_lshrrev_b32_e32 v1, 16, v3
	v_lshrrev_b32_e32 v34, 16, v2
	;; [unrolled: 1-line block ×3, first 2 shown]
	s_and_saveexec_b64 s[12:13], s[2:3]
	s_cbranch_execz .LBB107_52
; %bb.51:                               ;   in Loop: Header=BB107_40 Depth=1
	v_cmp_gt_i32_e32 vcc, s33, v39
	s_nop 1
	v_cndmask_b32_e32 v2, 0, v2, vcc
	v_cmp_gt_i32_e32 vcc, s33, v49
	s_nop 1
	v_cndmask_b32_e32 v3, 0, v3, vcc
	v_cmp_gt_i32_e32 vcc, s15, v50
	s_nop 1
	v_cndmask_b32_e32 v1, 0, v1, vcc
	v_cmp_gt_i32_e32 vcc, s33, v51
	s_nop 1
	v_cndmask_b32_e32 v34, 0, v34, vcc
	v_cmp_gt_i32_e32 vcc, s33, v48
	s_nop 1
	v_cndmask_b32_e32 v4, 0, v4, vcc
	v_cmp_gt_i32_e32 vcc, s33, v47
	s_nop 1
	v_cndmask_b32_e32 v62, 0, v62, vcc
	v_cmp_gt_i32_e32 vcc, s33, v46
	s_nop 1
	v_cndmask_b32_sdwa v63, v23, v5, vcc dst_sel:DWORD dst_unused:UNUSED_PAD src0_sel:DWORD src1_sel:WORD_0
	v_and_b32_e32 v5, 0xffff0000, v5
	v_cmp_gt_i32_e32 vcc, s33, v41
	s_nop 1
	v_cndmask_b32_e32 v5, 0, v5, vcc
	v_or_b32_e32 v5, v63, v5
.LBB107_52:                             ;   in Loop: Header=BB107_40 Depth=1
	s_or_b64 exec, exec, s[12:13]
	v_lshlrev_b32_e32 v34, 16, v34
	v_lshlrev_b32_e32 v1, 16, v1
	v_and_or_b32 v2, v2, s22, v34
	v_and_or_b32 v1, v3, s22, v1
	v_lshlrev_b32_e32 v3, 16, v62
	v_and_or_b32 v3, v4, s22, v3
	;;#ASMSTART
	v_pk_mul_f16 v2, v42, v2;

	;;#ASMEND
	;;#ASMSTART
	v_pk_mul_f16 v1, v43, v1;

	;;#ASMEND
	;; [unrolled: 4-line block ×4, first 2 shown]
	s_nop 0
	;;#ASMSTART
	v_pk_add_f16 v1, v2, v1;

	;;#ASMEND
	s_nop 0
	;;#ASMSTART
	v_pk_add_f16 v1, v1, v3;

	;;#ASMEND
	;; [unrolled: 5-line block ×3, first 2 shown]
	s_nop 0
	v_lshrrev_b32_e32 v2, 16, v1
	v_and_b32_e32 v1, 0xffff, v1
	;;#ASMSTART
	v_cvt_f32_f16 v62, v1;
	;;#ASMEND
	;;#ASMSTART
	v_cvt_f32_f16 v63, v2;
	;;#ASMEND
	global_load_dwordx4 v[2:5], v[32:33], off offset:2048
	s_waitcnt vmcnt(0)
	v_lshrrev_b32_e32 v1, 16, v3
	v_lshrrev_b32_e32 v34, 16, v2
	;; [unrolled: 1-line block ×3, first 2 shown]
	s_and_saveexec_b64 s[12:13], s[2:3]
	s_cbranch_execz .LBB107_54
; %bb.53:                               ;   in Loop: Header=BB107_40 Depth=1
	v_cmp_gt_i32_e32 vcc, s33, v39
	s_nop 1
	v_cndmask_b32_e32 v2, 0, v2, vcc
	v_cmp_gt_i32_e32 vcc, s33, v49
	s_nop 1
	v_cndmask_b32_e32 v3, 0, v3, vcc
	;; [unrolled: 3-line block ×6, first 2 shown]
	v_cmp_gt_i32_e32 vcc, s33, v46
	s_nop 1
	v_cndmask_b32_sdwa v65, v23, v5, vcc dst_sel:DWORD dst_unused:UNUSED_PAD src0_sel:DWORD src1_sel:WORD_0
	v_and_b32_e32 v5, 0xffff0000, v5
	v_cmp_gt_i32_e32 vcc, s33, v41
	s_nop 1
	v_cndmask_b32_e32 v5, 0, v5, vcc
	v_or_b32_e32 v5, v65, v5
.LBB107_54:                             ;   in Loop: Header=BB107_40 Depth=1
	s_or_b64 exec, exec, s[12:13]
	v_lshlrev_b32_e32 v34, 16, v34
	v_lshlrev_b32_e32 v1, 16, v1
	v_and_or_b32 v2, v2, s22, v34
	v_and_or_b32 v1, v3, s22, v1
	v_lshlrev_b32_e32 v3, 16, v64
	v_and_or_b32 v3, v4, s22, v3
	;;#ASMSTART
	v_pk_mul_f16 v2, v42, v2;

	;;#ASMEND
	;;#ASMSTART
	v_pk_mul_f16 v1, v43, v1;

	;;#ASMEND
	;; [unrolled: 4-line block ×4, first 2 shown]
	s_nop 0
	;;#ASMSTART
	v_pk_add_f16 v1, v2, v1;

	;;#ASMEND
	s_nop 0
	;;#ASMSTART
	v_pk_add_f16 v1, v1, v3;

	;;#ASMEND
	;; [unrolled: 5-line block ×3, first 2 shown]
	s_nop 0
	v_lshrrev_b32_e32 v2, 16, v1
	v_and_b32_e32 v1, 0xffff, v1
	;;#ASMSTART
	v_cvt_f32_f16 v64, v1;
	;;#ASMEND
	;;#ASMSTART
	v_cvt_f32_f16 v65, v2;
	;;#ASMEND
	global_load_dwordx4 v[2:5], v[32:33], off offset:3072
	s_waitcnt vmcnt(0)
	v_lshrrev_b32_e32 v1, 16, v3
	v_lshrrev_b32_e32 v32, 16, v2
	;; [unrolled: 1-line block ×3, first 2 shown]
	s_and_saveexec_b64 s[12:13], s[2:3]
	s_cbranch_execz .LBB107_56
; %bb.55:                               ;   in Loop: Header=BB107_40 Depth=1
	v_cmp_gt_i32_e32 vcc, s33, v39
	s_nop 1
	v_cndmask_b32_e32 v2, 0, v2, vcc
	v_cmp_gt_i32_e32 vcc, s33, v49
	s_nop 1
	v_cndmask_b32_e32 v3, 0, v3, vcc
	;; [unrolled: 3-line block ×6, first 2 shown]
	v_cmp_gt_i32_e32 vcc, s33, v46
	s_nop 1
	v_cndmask_b32_sdwa v34, v23, v5, vcc dst_sel:DWORD dst_unused:UNUSED_PAD src0_sel:DWORD src1_sel:WORD_0
	v_and_b32_e32 v5, 0xffff0000, v5
	v_cmp_gt_i32_e32 vcc, s33, v41
	s_nop 1
	v_cndmask_b32_e32 v5, 0, v5, vcc
	v_or_b32_e32 v5, v34, v5
.LBB107_56:                             ;   in Loop: Header=BB107_40 Depth=1
	s_or_b64 exec, exec, s[12:13]
	v_lshlrev_b32_e32 v32, 16, v32
	v_lshlrev_b32_e32 v1, 16, v1
	v_and_or_b32 v2, v2, s22, v32
	v_and_or_b32 v1, v3, s22, v1
	v_lshlrev_b32_e32 v3, 16, v33
	v_and_or_b32 v3, v4, s22, v3
	;;#ASMSTART
	v_pk_mul_f16 v2, v42, v2;

	;;#ASMEND
	;;#ASMSTART
	v_pk_mul_f16 v1, v43, v1;

	;;#ASMEND
	;; [unrolled: 4-line block ×4, first 2 shown]
	v_add_co_u32_e32 v32, vcc, s24, v30
	;;#ASMSTART
	v_pk_add_f16 v1, v2, v1;

	;;#ASMEND
	s_nop 0
	;;#ASMSTART
	v_pk_add_f16 v1, v1, v3;

	;;#ASMEND
	s_nop 0
	v_addc_co_u32_e32 v33, vcc, 0, v31, vcc
	;;#ASMSTART
	v_pk_add_f16 v1, v1, v4;

	;;#ASMEND
	s_nop 0
	v_lshrrev_b32_e32 v2, 16, v1
	v_and_b32_e32 v1, 0xffff, v1
	;;#ASMSTART
	v_cvt_f32_f16 v66, v1;
	;;#ASMEND
	;;#ASMSTART
	v_cvt_f32_f16 v67, v2;
	;;#ASMEND
	global_load_dwordx4 v[2:5], v[32:33], off
	s_waitcnt vmcnt(0)
	v_lshrrev_b32_e32 v1, 16, v3
	v_lshrrev_b32_e32 v34, 16, v2
	;; [unrolled: 1-line block ×3, first 2 shown]
	s_and_saveexec_b64 s[12:13], s[2:3]
	s_cbranch_execz .LBB107_58
; %bb.57:                               ;   in Loop: Header=BB107_40 Depth=1
	v_cmp_gt_i32_e32 vcc, s33, v39
	s_nop 1
	v_cndmask_b32_e32 v2, 0, v2, vcc
	v_cmp_gt_i32_e32 vcc, s33, v49
	s_nop 1
	v_cndmask_b32_e32 v3, 0, v3, vcc
	;; [unrolled: 3-line block ×6, first 2 shown]
	v_cmp_gt_i32_e32 vcc, s33, v46
	s_nop 1
	v_cndmask_b32_sdwa v70, v23, v5, vcc dst_sel:DWORD dst_unused:UNUSED_PAD src0_sel:DWORD src1_sel:WORD_0
	v_and_b32_e32 v5, 0xffff0000, v5
	v_cmp_gt_i32_e32 vcc, s33, v41
	s_nop 1
	v_cndmask_b32_e32 v5, 0, v5, vcc
	v_or_b32_e32 v5, v70, v5
.LBB107_58:                             ;   in Loop: Header=BB107_40 Depth=1
	s_or_b64 exec, exec, s[12:13]
	v_lshlrev_b32_e32 v34, 16, v34
	v_lshlrev_b32_e32 v1, 16, v1
	v_and_or_b32 v2, v2, s22, v34
	v_and_or_b32 v1, v3, s22, v1
	v_lshlrev_b32_e32 v3, 16, v69
	v_and_or_b32 v3, v4, s22, v3
	;;#ASMSTART
	v_pk_mul_f16 v2, v42, v2;

	;;#ASMEND
	;;#ASMSTART
	v_pk_mul_f16 v1, v43, v1;

	;;#ASMEND
	;; [unrolled: 4-line block ×4, first 2 shown]
	s_nop 0
	;;#ASMSTART
	v_pk_add_f16 v1, v2, v1;

	;;#ASMEND
	s_nop 0
	;;#ASMSTART
	v_pk_add_f16 v1, v1, v3;

	;;#ASMEND
	;; [unrolled: 5-line block ×3, first 2 shown]
	s_nop 0
	v_lshrrev_b32_e32 v2, 16, v1
	v_and_b32_e32 v1, 0xffff, v1
	;;#ASMSTART
	v_cvt_f32_f16 v69, v1;
	;;#ASMEND
	;;#ASMSTART
	v_cvt_f32_f16 v70, v2;
	;;#ASMEND
	global_load_dwordx4 v[2:5], v[32:33], off offset:1024
	s_waitcnt vmcnt(0)
	v_lshrrev_b32_e32 v1, 16, v3
	v_lshrrev_b32_e32 v34, 16, v2
	;; [unrolled: 1-line block ×3, first 2 shown]
	s_and_saveexec_b64 s[12:13], s[2:3]
	s_cbranch_execz .LBB107_60
; %bb.59:                               ;   in Loop: Header=BB107_40 Depth=1
	v_cmp_gt_i32_e32 vcc, s33, v39
	s_nop 1
	v_cndmask_b32_e32 v2, 0, v2, vcc
	v_cmp_gt_i32_e32 vcc, s33, v49
	s_nop 1
	v_cndmask_b32_e32 v3, 0, v3, vcc
	;; [unrolled: 3-line block ×6, first 2 shown]
	v_cmp_gt_i32_e32 vcc, s33, v46
	s_nop 1
	v_cndmask_b32_sdwa v72, v23, v5, vcc dst_sel:DWORD dst_unused:UNUSED_PAD src0_sel:DWORD src1_sel:WORD_0
	v_and_b32_e32 v5, 0xffff0000, v5
	v_cmp_gt_i32_e32 vcc, s33, v41
	s_nop 1
	v_cndmask_b32_e32 v5, 0, v5, vcc
	v_or_b32_e32 v5, v72, v5
.LBB107_60:                             ;   in Loop: Header=BB107_40 Depth=1
	s_or_b64 exec, exec, s[12:13]
	v_lshlrev_b32_e32 v34, 16, v34
	v_lshlrev_b32_e32 v1, 16, v1
	v_and_or_b32 v2, v2, s22, v34
	v_and_or_b32 v1, v3, s22, v1
	v_lshlrev_b32_e32 v3, 16, v71
	v_and_or_b32 v3, v4, s22, v3
	;;#ASMSTART
	v_pk_mul_f16 v2, v42, v2;

	;;#ASMEND
	;;#ASMSTART
	v_pk_mul_f16 v1, v43, v1;

	;;#ASMEND
	;; [unrolled: 4-line block ×4, first 2 shown]
	s_nop 0
	;;#ASMSTART
	v_pk_add_f16 v1, v2, v1;

	;;#ASMEND
	s_nop 0
	;;#ASMSTART
	v_pk_add_f16 v1, v1, v3;

	;;#ASMEND
	;; [unrolled: 5-line block ×3, first 2 shown]
	s_nop 0
	v_lshrrev_b32_e32 v2, 16, v1
	v_and_b32_e32 v1, 0xffff, v1
	;;#ASMSTART
	v_cvt_f32_f16 v71, v1;
	;;#ASMEND
	;;#ASMSTART
	v_cvt_f32_f16 v72, v2;
	;;#ASMEND
	global_load_dwordx4 v[2:5], v[32:33], off offset:2048
	s_waitcnt vmcnt(0)
	v_lshrrev_b32_e32 v1, 16, v3
	v_lshrrev_b32_e32 v34, 16, v2
	;; [unrolled: 1-line block ×3, first 2 shown]
	s_and_saveexec_b64 s[12:13], s[2:3]
	s_cbranch_execz .LBB107_62
; %bb.61:                               ;   in Loop: Header=BB107_40 Depth=1
	v_cmp_gt_i32_e32 vcc, s33, v39
	s_nop 1
	v_cndmask_b32_e32 v2, 0, v2, vcc
	v_cmp_gt_i32_e32 vcc, s33, v49
	s_nop 1
	v_cndmask_b32_e32 v3, 0, v3, vcc
	;; [unrolled: 3-line block ×6, first 2 shown]
	v_cmp_gt_i32_e32 vcc, s33, v46
	s_nop 1
	v_cndmask_b32_sdwa v74, v23, v5, vcc dst_sel:DWORD dst_unused:UNUSED_PAD src0_sel:DWORD src1_sel:WORD_0
	v_and_b32_e32 v5, 0xffff0000, v5
	v_cmp_gt_i32_e32 vcc, s33, v41
	s_nop 1
	v_cndmask_b32_e32 v5, 0, v5, vcc
	v_or_b32_e32 v5, v74, v5
.LBB107_62:                             ;   in Loop: Header=BB107_40 Depth=1
	s_or_b64 exec, exec, s[12:13]
	v_lshlrev_b32_e32 v34, 16, v34
	v_lshlrev_b32_e32 v1, 16, v1
	v_and_or_b32 v2, v2, s22, v34
	v_and_or_b32 v1, v3, s22, v1
	v_lshlrev_b32_e32 v3, 16, v73
	v_and_or_b32 v3, v4, s22, v3
	;;#ASMSTART
	v_pk_mul_f16 v2, v42, v2;

	;;#ASMEND
	;;#ASMSTART
	v_pk_mul_f16 v1, v43, v1;

	;;#ASMEND
	;; [unrolled: 4-line block ×4, first 2 shown]
	s_nop 0
	;;#ASMSTART
	v_pk_add_f16 v1, v2, v1;

	;;#ASMEND
	s_nop 0
	;;#ASMSTART
	v_pk_add_f16 v1, v1, v3;

	;;#ASMEND
	;; [unrolled: 5-line block ×3, first 2 shown]
	s_nop 0
	v_lshrrev_b32_e32 v2, 16, v1
	v_and_b32_e32 v1, 0xffff, v1
	;;#ASMSTART
	v_cvt_f32_f16 v34, v1;
	;;#ASMEND
	;;#ASMSTART
	v_cvt_f32_f16 v73, v2;
	;;#ASMEND
	global_load_dwordx4 v[2:5], v[32:33], off offset:3072
	s_waitcnt vmcnt(0)
	v_lshrrev_b32_e32 v1, 16, v3
	v_lshrrev_b32_e32 v32, 16, v2
	;; [unrolled: 1-line block ×3, first 2 shown]
	s_and_saveexec_b64 s[12:13], s[2:3]
	s_cbranch_execz .LBB107_64
; %bb.63:                               ;   in Loop: Header=BB107_40 Depth=1
	v_cmp_gt_i32_e32 vcc, s33, v39
	s_nop 1
	v_cndmask_b32_e32 v2, 0, v2, vcc
	v_cmp_gt_i32_e32 vcc, s33, v49
	s_nop 1
	v_cndmask_b32_e32 v3, 0, v3, vcc
	;; [unrolled: 3-line block ×6, first 2 shown]
	v_cmp_gt_i32_e32 vcc, s33, v46
	s_nop 1
	v_cndmask_b32_sdwa v74, v23, v5, vcc dst_sel:DWORD dst_unused:UNUSED_PAD src0_sel:DWORD src1_sel:WORD_0
	v_and_b32_e32 v5, 0xffff0000, v5
	v_cmp_gt_i32_e32 vcc, s33, v41
	s_nop 1
	v_cndmask_b32_e32 v5, 0, v5, vcc
	v_or_b32_e32 v5, v74, v5
.LBB107_64:                             ;   in Loop: Header=BB107_40 Depth=1
	s_or_b64 exec, exec, s[12:13]
	v_lshlrev_b32_e32 v32, 16, v32
	v_lshlrev_b32_e32 v1, 16, v1
	v_and_or_b32 v2, v2, s22, v32
	v_and_or_b32 v1, v3, s22, v1
	v_lshlrev_b32_e32 v3, 16, v33
	v_and_or_b32 v3, v4, s22, v3
	;;#ASMSTART
	v_pk_mul_f16 v2, v42, v2;

	;;#ASMEND
	;;#ASMSTART
	v_pk_mul_f16 v1, v43, v1;

	;;#ASMEND
	;; [unrolled: 4-line block ×4, first 2 shown]
	v_add_co_u32_e32 v30, vcc, s25, v30
	;;#ASMSTART
	v_pk_add_f16 v1, v2, v1;

	;;#ASMEND
	s_nop 0
	;;#ASMSTART
	v_pk_add_f16 v1, v1, v3;

	;;#ASMEND
	s_nop 0
	v_addc_co_u32_e32 v31, vcc, 0, v31, vcc
	;;#ASMSTART
	v_pk_add_f16 v1, v1, v4;

	;;#ASMEND
	s_nop 0
	v_lshrrev_b32_e32 v2, 16, v1
	v_and_b32_e32 v1, 0xffff, v1
	;;#ASMSTART
	v_cvt_f32_f16 v33, v1;
	;;#ASMEND
	;;#ASMSTART
	v_cvt_f32_f16 v74, v2;
	;;#ASMEND
	global_load_dwordx4 v[2:5], v[30:31], off
	s_waitcnt vmcnt(0)
	v_lshrrev_b32_e32 v1, 16, v3
	v_lshrrev_b32_e32 v32, 16, v2
	;; [unrolled: 1-line block ×3, first 2 shown]
	s_and_saveexec_b64 s[12:13], s[2:3]
	s_cbranch_execz .LBB107_66
; %bb.65:                               ;   in Loop: Header=BB107_40 Depth=1
	v_cmp_gt_i32_e32 vcc, s33, v39
	s_nop 1
	v_cndmask_b32_e32 v2, 0, v2, vcc
	v_cmp_gt_i32_e32 vcc, s33, v49
	s_nop 1
	v_cndmask_b32_e32 v3, 0, v3, vcc
	;; [unrolled: 3-line block ×6, first 2 shown]
	v_cmp_gt_i32_e32 vcc, s33, v46
	s_nop 1
	v_cndmask_b32_sdwa v76, v23, v5, vcc dst_sel:DWORD dst_unused:UNUSED_PAD src0_sel:DWORD src1_sel:WORD_0
	v_and_b32_e32 v5, 0xffff0000, v5
	v_cmp_gt_i32_e32 vcc, s33, v41
	s_nop 1
	v_cndmask_b32_e32 v5, 0, v5, vcc
	v_or_b32_e32 v5, v76, v5
.LBB107_66:                             ;   in Loop: Header=BB107_40 Depth=1
	s_or_b64 exec, exec, s[12:13]
	v_lshlrev_b32_e32 v32, 16, v32
	v_lshlrev_b32_e32 v1, 16, v1
	v_and_or_b32 v2, v2, s22, v32
	v_and_or_b32 v1, v3, s22, v1
	v_lshlrev_b32_e32 v3, 16, v75
	v_and_or_b32 v3, v4, s22, v3
	;;#ASMSTART
	v_pk_mul_f16 v2, v42, v2;

	;;#ASMEND
	;;#ASMSTART
	v_pk_mul_f16 v1, v43, v1;

	;;#ASMEND
	;; [unrolled: 4-line block ×4, first 2 shown]
	s_nop 0
	;;#ASMSTART
	v_pk_add_f16 v1, v2, v1;

	;;#ASMEND
	s_nop 0
	;;#ASMSTART
	v_pk_add_f16 v1, v1, v3;

	;;#ASMEND
	s_nop 0
	;;#ASMSTART
	v_pk_add_f16 v1, v1, v4;

	;;#ASMEND
	s_nop 0
	v_lshrrev_b32_e32 v2, 16, v1
	v_and_b32_e32 v1, 0xffff, v1
	;;#ASMSTART
	v_cvt_f32_f16 v75, v1;
	;;#ASMEND
	;;#ASMSTART
	v_cvt_f32_f16 v76, v2;
	;;#ASMEND
	global_load_dwordx4 v[2:5], v[30:31], off offset:1024
	s_waitcnt vmcnt(0)
	v_lshrrev_b32_e32 v1, 16, v3
	v_lshrrev_b32_e32 v32, 16, v2
	;; [unrolled: 1-line block ×3, first 2 shown]
	s_and_saveexec_b64 s[12:13], s[2:3]
	s_cbranch_execz .LBB107_68
; %bb.67:                               ;   in Loop: Header=BB107_40 Depth=1
	v_cmp_gt_i32_e32 vcc, s33, v39
	s_nop 1
	v_cndmask_b32_e32 v2, 0, v2, vcc
	v_cmp_gt_i32_e32 vcc, s33, v49
	s_nop 1
	v_cndmask_b32_e32 v3, 0, v3, vcc
	;; [unrolled: 3-line block ×6, first 2 shown]
	v_cmp_gt_i32_e32 vcc, s33, v46
	s_nop 1
	v_cndmask_b32_sdwa v78, v23, v5, vcc dst_sel:DWORD dst_unused:UNUSED_PAD src0_sel:DWORD src1_sel:WORD_0
	v_and_b32_e32 v5, 0xffff0000, v5
	v_cmp_gt_i32_e32 vcc, s33, v41
	s_nop 1
	v_cndmask_b32_e32 v5, 0, v5, vcc
	v_or_b32_e32 v5, v78, v5
.LBB107_68:                             ;   in Loop: Header=BB107_40 Depth=1
	s_or_b64 exec, exec, s[12:13]
	v_lshlrev_b32_e32 v32, 16, v32
	v_lshlrev_b32_e32 v1, 16, v1
	v_and_or_b32 v2, v2, s22, v32
	v_and_or_b32 v1, v3, s22, v1
	v_lshlrev_b32_e32 v3, 16, v77
	v_and_or_b32 v3, v4, s22, v3
	;;#ASMSTART
	v_pk_mul_f16 v2, v42, v2;

	;;#ASMEND
	;;#ASMSTART
	v_pk_mul_f16 v1, v43, v1;

	;;#ASMEND
	;; [unrolled: 4-line block ×4, first 2 shown]
	s_nop 0
	;;#ASMSTART
	v_pk_add_f16 v1, v2, v1;

	;;#ASMEND
	s_nop 0
	;;#ASMSTART
	v_pk_add_f16 v1, v1, v3;

	;;#ASMEND
	;; [unrolled: 5-line block ×3, first 2 shown]
	s_nop 0
	v_lshrrev_b32_e32 v2, 16, v1
	v_and_b32_e32 v1, 0xffff, v1
	;;#ASMSTART
	v_cvt_f32_f16 v32, v1;
	;;#ASMEND
	;;#ASMSTART
	v_cvt_f32_f16 v77, v2;
	;;#ASMEND
	global_load_dwordx4 v[2:5], v[30:31], off offset:2048
	s_waitcnt vmcnt(0)
	v_lshrrev_b32_e32 v1, 16, v3
	v_lshrrev_b32_e32 v30, 16, v2
	;; [unrolled: 1-line block ×3, first 2 shown]
	s_and_saveexec_b64 s[12:13], s[2:3]
	s_cbranch_execz .LBB107_70
; %bb.69:                               ;   in Loop: Header=BB107_40 Depth=1
	v_cmp_gt_i32_e32 vcc, s33, v39
	s_nop 1
	v_cndmask_b32_e32 v2, 0, v2, vcc
	v_cmp_gt_i32_e32 vcc, s33, v49
	s_nop 1
	v_cndmask_b32_e32 v3, 0, v3, vcc
	;; [unrolled: 3-line block ×6, first 2 shown]
	v_cmp_gt_i32_e32 vcc, s33, v46
	s_nop 1
	v_cndmask_b32_sdwa v78, v23, v5, vcc dst_sel:DWORD dst_unused:UNUSED_PAD src0_sel:DWORD src1_sel:WORD_0
	v_and_b32_e32 v5, 0xffff0000, v5
	v_cmp_gt_i32_e32 vcc, s33, v41
	s_nop 1
	v_cndmask_b32_e32 v5, 0, v5, vcc
	v_or_b32_e32 v5, v78, v5
.LBB107_70:                             ;   in Loop: Header=BB107_40 Depth=1
	s_or_b64 exec, exec, s[12:13]
	v_lshlrev_b32_e32 v30, 16, v30
	v_lshlrev_b32_e32 v1, 16, v1
	v_and_or_b32 v2, v2, s22, v30
	v_and_or_b32 v1, v3, s22, v1
	v_lshlrev_b32_e32 v3, 16, v31
	v_and_or_b32 v3, v4, s22, v3
	;;#ASMSTART
	v_pk_mul_f16 v2, v42, v2;

	;;#ASMEND
	;;#ASMSTART
	v_pk_mul_f16 v1, v43, v1;

	;;#ASMEND
	;; [unrolled: 4-line block ×4, first 2 shown]
	s_nop 0
	;;#ASMSTART
	v_pk_add_f16 v1, v2, v1;

	;;#ASMEND
	s_nop 0
	;;#ASMSTART
	v_pk_add_f16 v1, v1, v3;

	;;#ASMEND
	;; [unrolled: 5-line block ×3, first 2 shown]
	s_nop 0
	v_lshrrev_b32_e32 v2, 16, v1
	v_and_b32_e32 v1, 0xffff, v1
	;;#ASMSTART
	v_cvt_f32_f16 v30, v1;
	;;#ASMEND
	;;#ASMSTART
	v_cvt_f32_f16 v31, v2;
	;;#ASMEND
	v_lshl_add_u64 v[2:3], v[28:29], 0, v[22:23]
	global_load_dwordx4 v[2:5], v[2:3], off
	s_waitcnt vmcnt(0)
	v_lshrrev_b32_e32 v1, 16, v3
	v_lshrrev_b32_e32 v28, 16, v2
	;; [unrolled: 1-line block ×3, first 2 shown]
	s_and_saveexec_b64 s[12:13], s[2:3]
	s_cbranch_execz .LBB107_39
; %bb.71:                               ;   in Loop: Header=BB107_40 Depth=1
	v_cmp_gt_i32_e32 vcc, s33, v39
	s_nop 1
	v_cndmask_b32_e32 v2, 0, v2, vcc
	v_cmp_gt_i32_e32 vcc, s33, v49
	s_nop 1
	v_cndmask_b32_e32 v3, 0, v3, vcc
	;; [unrolled: 3-line block ×6, first 2 shown]
	v_cmp_gt_i32_e32 vcc, s33, v46
	s_nop 1
	v_cndmask_b32_sdwa v46, v23, v5, vcc dst_sel:DWORD dst_unused:UNUSED_PAD src0_sel:DWORD src1_sel:WORD_0
	v_and_b32_e32 v5, 0xffff0000, v5
	v_cmp_gt_i32_e32 vcc, s33, v41
	s_nop 1
	v_cndmask_b32_e32 v5, 0, v5, vcc
	v_or_b32_e32 v5, v46, v5
	s_branch .LBB107_39
.LBB107_72:
	s_or_b64 exec, exec, s[10:11]
.LBB107_73:
	s_or_b64 exec, exec, s[0:1]
	ds_bpermute_b32 v4, v36, v18
	ds_bpermute_b32 v5, v36, v19
	;; [unrolled: 1-line block ×6, first 2 shown]
	s_waitcnt lgkmcnt(4)
	v_pk_add_f32 v[4:5], v[18:19], v[4:5]
	ds_bpermute_b32 v18, v37, v4
	ds_bpermute_b32 v19, v37, v5
	s_waitcnt lgkmcnt(4)
	v_pk_add_f32 v[2:3], v[20:21], v[2:3]
	ds_bpermute_b32 v20, v37, v2
	ds_bpermute_b32 v21, v37, v3
	s_waitcnt lgkmcnt(4)
	v_pk_add_f32 v[16:17], v[16:17], v[22:23]
	s_waitcnt lgkmcnt(2)
	v_pk_add_f32 v[4:5], v[4:5], v[18:19]
	ds_bpermute_b32 v18, v36, v12
	ds_bpermute_b32 v19, v36, v13
	;; [unrolled: 1-line block ×6, first 2 shown]
	s_waitcnt lgkmcnt(4)
	v_pk_add_f32 v[12:13], v[12:13], v[18:19]
	ds_bpermute_b32 v18, v36, v10
	ds_bpermute_b32 v19, v36, v11
	v_pk_add_f32 v[2:3], v[2:3], v[20:21]
	ds_bpermute_b32 v20, v37, v16
	ds_bpermute_b32 v21, v37, v17
	;; [unrolled: 1-line block ×3, first 2 shown]
	s_waitcnt lgkmcnt(3)
	v_pk_add_f32 v[10:11], v[10:11], v[18:19]
	ds_bpermute_b32 v27, v36, v7
	ds_bpermute_b32 v18, v37, v10
	;; [unrolled: 1-line block ×3, first 2 shown]
	v_pk_add_f32 v[14:15], v[14:15], v[22:23]
	v_pk_add_f32 v[8:9], v[8:9], v[24:25]
	s_waitcnt lgkmcnt(4)
	v_pk_add_f32 v[16:17], v[16:17], v[20:21]
	ds_bpermute_b32 v20, v37, v14
	ds_bpermute_b32 v21, v37, v15
	;; [unrolled: 1-line block ×6, first 2 shown]
	s_waitcnt lgkmcnt(8)
	v_pk_add_f32 v[6:7], v[6:7], v[26:27]
	s_waitcnt lgkmcnt(6)
	v_pk_add_f32 v[10:11], v[10:11], v[18:19]
	ds_bpermute_b32 v18, v37, v6
	ds_bpermute_b32 v19, v37, v7
	v_and_b32_e32 v1, 0x3c3, v0
	s_waitcnt lgkmcnt(6)
	v_pk_add_f32 v[14:15], v[14:15], v[20:21]
	s_waitcnt lgkmcnt(4)
	v_pk_add_f32 v[12:13], v[12:13], v[22:23]
	;; [unrolled: 2-line block ×3, first 2 shown]
	v_cmp_ne_u32_e32 vcc, 64, v1
	s_waitcnt lgkmcnt(0)
	s_barrier
	s_and_saveexec_b64 s[0:1], vcc
	s_xor_b64 s[0:1], exec, s[0:1]
; %bb.74:
                                        ; implicit-def: $vgpr35
; %bb.75:
	s_or_saveexec_b64 s[0:1], s[0:1]
	v_pk_add_f32 v[6:7], v[6:7], v[18:19]
	s_xor_b64 exec, exec, s[0:1]
	s_cbranch_execz .LBB107_77
; %bb.76:
	v_add_u32_e32 v18, 0x210, v35
	ds_write2_b32 v18, v2, v3 offset1:16
	ds_write2_b32 v18, v4, v5 offset0:32 offset1:48
	ds_write2_b32 v18, v16, v17 offset0:64 offset1:80
	;; [unrolled: 1-line block ×7, first 2 shown]
.LBB107_77:
	s_or_b64 exec, exec, s[0:1]
	v_lshrrev_b32_e32 v0, 2, v0
	s_waitcnt lgkmcnt(0)
	s_barrier
	s_and_saveexec_b64 s[0:1], s[6:7]
	s_cbranch_execz .LBB107_96
; %bb.78:
	v_mov_b32_e32 v18, 0x210
	v_cmp_eq_u32_e32 vcc, 0, v38
	v_lshl_add_u32 v18, v0, 2, v18
	s_and_saveexec_b64 s[2:3], vcc
	s_cbranch_execnz .LBB107_99
; %bb.79:
	s_or_b64 exec, exec, s[2:3]
	s_and_saveexec_b64 s[2:3], vcc
	s_cbranch_execnz .LBB107_100
.LBB107_80:
	s_or_b64 exec, exec, s[2:3]
	s_and_saveexec_b64 s[2:3], vcc
	s_cbranch_execnz .LBB107_101
.LBB107_81:
	s_or_b64 exec, exec, s[2:3]
	s_and_saveexec_b64 s[2:3], vcc
	s_cbranch_execnz .LBB107_102
.LBB107_82:
	s_or_b64 exec, exec, s[2:3]
	s_and_saveexec_b64 s[2:3], vcc
	s_cbranch_execnz .LBB107_103
.LBB107_83:
	s_or_b64 exec, exec, s[2:3]
	s_and_saveexec_b64 s[2:3], vcc
	s_cbranch_execnz .LBB107_104
.LBB107_84:
	s_or_b64 exec, exec, s[2:3]
	s_and_saveexec_b64 s[2:3], vcc
	s_cbranch_execnz .LBB107_105
.LBB107_85:
	s_or_b64 exec, exec, s[2:3]
	s_and_saveexec_b64 s[2:3], vcc
	s_cbranch_execnz .LBB107_106
.LBB107_86:
	s_or_b64 exec, exec, s[2:3]
	s_and_saveexec_b64 s[2:3], vcc
	s_cbranch_execnz .LBB107_107
.LBB107_87:
	s_or_b64 exec, exec, s[2:3]
	s_and_saveexec_b64 s[2:3], vcc
	s_cbranch_execnz .LBB107_108
.LBB107_88:
	s_or_b64 exec, exec, s[2:3]
	s_and_saveexec_b64 s[2:3], vcc
	s_cbranch_execnz .LBB107_109
.LBB107_89:
	s_or_b64 exec, exec, s[2:3]
	s_and_saveexec_b64 s[2:3], vcc
	s_cbranch_execnz .LBB107_110
.LBB107_90:
	s_or_b64 exec, exec, s[2:3]
	s_and_saveexec_b64 s[2:3], vcc
	s_cbranch_execnz .LBB107_111
.LBB107_91:
	s_or_b64 exec, exec, s[2:3]
	s_and_saveexec_b64 s[2:3], vcc
	s_cbranch_execnz .LBB107_112
.LBB107_92:
	s_or_b64 exec, exec, s[2:3]
	s_and_saveexec_b64 s[2:3], vcc
	s_cbranch_execnz .LBB107_113
.LBB107_93:
	s_or_b64 exec, exec, s[2:3]
	s_and_saveexec_b64 s[2:3], vcc
	s_cbranch_execz .LBB107_95
.LBB107_94:
	ds_read_b32 v18, v18 offset:960
	s_waitcnt lgkmcnt(0)
	v_add_f32_e32 v7, v7, v18
.LBB107_95:
	s_or_b64 exec, exec, s[2:3]
.LBB107_96:
	s_or_b64 exec, exec, s[0:1]
	v_cmp_eq_u32_e32 vcc, 0, v1
	s_barrier
	s_and_saveexec_b64 s[0:1], vcc
	s_cbranch_execz .LBB107_98
; %bb.97:
	s_mul_i32 s0, s16, s17
	s_mul_i32 s0, s0, s5
	s_lshl_b32 s0, s0, 8
	s_ashr_i32 s1, s0, 31
	s_lshl_b64 s[0:1], s[0:1], 1
	s_add_u32 s2, s20, s0
	s_mul_i32 s0, s17, s18
	s_addc_u32 s3, s21, s1
	s_ashr_i32 s1, s0, 31
	s_lshl_b64 s[0:1], s[0:1], 1
	s_add_u32 s2, s2, s0
	s_addc_u32 s3, s3, s1
	s_lshl_b32 s0, s4, 8
	s_ashr_i32 s1, s0, 31
	s_lshl_b64 s[0:1], s[0:1], 1
	s_add_u32 s0, s2, s0
	s_addc_u32 s1, s3, s1
	v_lshlrev_b32_e32 v0, 1, v0
	;;#ASMSTART
	v_cvt_f16_f32 v1, v2;

	;;#ASMEND
	global_store_short v0, v1, s[0:1]
	;;#ASMSTART
	v_cvt_f16_f32 v1, v3;

	;;#ASMEND
	global_store_short v0, v1, s[0:1] offset:32
	;;#ASMSTART
	v_cvt_f16_f32 v1, v4;

	;;#ASMEND
	global_store_short v0, v1, s[0:1] offset:64
	;; [unrolled: 5-line block ×15, first 2 shown]
.LBB107_98:
	s_endpgm
.LBB107_99:
	ds_read_b32 v19, v18
	s_waitcnt lgkmcnt(0)
	v_add_f32_e32 v2, v2, v19
	s_or_b64 exec, exec, s[2:3]
	s_and_saveexec_b64 s[2:3], vcc
	s_cbranch_execz .LBB107_80
.LBB107_100:
	ds_read_b32 v19, v18 offset:64
	s_waitcnt lgkmcnt(0)
	v_add_f32_e32 v3, v3, v19
	s_or_b64 exec, exec, s[2:3]
	s_and_saveexec_b64 s[2:3], vcc
	s_cbranch_execz .LBB107_81
.LBB107_101:
	ds_read_b32 v19, v18 offset:128
	s_waitcnt lgkmcnt(0)
	v_add_f32_e32 v4, v4, v19
	s_or_b64 exec, exec, s[2:3]
	s_and_saveexec_b64 s[2:3], vcc
	s_cbranch_execz .LBB107_82
.LBB107_102:
	ds_read_b32 v19, v18 offset:192
	s_waitcnt lgkmcnt(0)
	v_add_f32_e32 v5, v5, v19
	s_or_b64 exec, exec, s[2:3]
	s_and_saveexec_b64 s[2:3], vcc
	s_cbranch_execz .LBB107_83
.LBB107_103:
	ds_read_b32 v19, v18 offset:256
	s_waitcnt lgkmcnt(0)
	v_add_f32_e32 v16, v16, v19
	s_or_b64 exec, exec, s[2:3]
	s_and_saveexec_b64 s[2:3], vcc
	s_cbranch_execz .LBB107_84
.LBB107_104:
	ds_read_b32 v19, v18 offset:320
	s_waitcnt lgkmcnt(0)
	v_add_f32_e32 v17, v17, v19
	s_or_b64 exec, exec, s[2:3]
	s_and_saveexec_b64 s[2:3], vcc
	s_cbranch_execz .LBB107_85
.LBB107_105:
	ds_read_b32 v19, v18 offset:384
	s_waitcnt lgkmcnt(0)
	v_add_f32_e32 v14, v14, v19
	s_or_b64 exec, exec, s[2:3]
	s_and_saveexec_b64 s[2:3], vcc
	s_cbranch_execz .LBB107_86
.LBB107_106:
	ds_read_b32 v19, v18 offset:448
	s_waitcnt lgkmcnt(0)
	v_add_f32_e32 v15, v15, v19
	s_or_b64 exec, exec, s[2:3]
	s_and_saveexec_b64 s[2:3], vcc
	s_cbranch_execz .LBB107_87
.LBB107_107:
	ds_read_b32 v19, v18 offset:512
	s_waitcnt lgkmcnt(0)
	v_add_f32_e32 v12, v12, v19
	s_or_b64 exec, exec, s[2:3]
	s_and_saveexec_b64 s[2:3], vcc
	s_cbranch_execz .LBB107_88
.LBB107_108:
	ds_read_b32 v19, v18 offset:576
	s_waitcnt lgkmcnt(0)
	v_add_f32_e32 v13, v13, v19
	s_or_b64 exec, exec, s[2:3]
	s_and_saveexec_b64 s[2:3], vcc
	s_cbranch_execz .LBB107_89
.LBB107_109:
	ds_read_b32 v19, v18 offset:640
	s_waitcnt lgkmcnt(0)
	v_add_f32_e32 v10, v10, v19
	s_or_b64 exec, exec, s[2:3]
	s_and_saveexec_b64 s[2:3], vcc
	s_cbranch_execz .LBB107_90
.LBB107_110:
	ds_read_b32 v19, v18 offset:704
	s_waitcnt lgkmcnt(0)
	v_add_f32_e32 v11, v11, v19
	s_or_b64 exec, exec, s[2:3]
	s_and_saveexec_b64 s[2:3], vcc
	s_cbranch_execz .LBB107_91
.LBB107_111:
	ds_read_b32 v19, v18 offset:768
	s_waitcnt lgkmcnt(0)
	v_add_f32_e32 v8, v8, v19
	s_or_b64 exec, exec, s[2:3]
	s_and_saveexec_b64 s[2:3], vcc
	s_cbranch_execz .LBB107_92
.LBB107_112:
	ds_read_b32 v19, v18 offset:832
	s_waitcnt lgkmcnt(0)
	v_add_f32_e32 v9, v9, v19
	s_or_b64 exec, exec, s[2:3]
	s_and_saveexec_b64 s[2:3], vcc
	s_cbranch_execz .LBB107_93
.LBB107_113:
	ds_read_b32 v19, v18 offset:896
	s_waitcnt lgkmcnt(0)
	v_add_f32_e32 v6, v6, v19
	s_or_b64 exec, exec, s[2:3]
	s_and_saveexec_b64 s[2:3], vcc
	s_cbranch_execnz .LBB107_94
	s_branch .LBB107_95
	.section	.rodata,"a",@progbits
	.p2align	6, 0x0
	.amdhsa_kernel _ZN4vllm25paged_attention_v1_kernelIttLi256ELi32ELi128ELNS_18Fp8KVCacheDataTypeE0ELb0EEEvPT_PKS2_PKT0_S8_ifPKiSA_iPKfiiiSC_SC_iiiii
		.amdhsa_group_segment_fixed_size 528
		.amdhsa_private_segment_fixed_size 0
		.amdhsa_kernarg_size 384
		.amdhsa_user_sgpr_count 2
		.amdhsa_user_sgpr_dispatch_ptr 0
		.amdhsa_user_sgpr_queue_ptr 0
		.amdhsa_user_sgpr_kernarg_segment_ptr 1
		.amdhsa_user_sgpr_dispatch_id 0
		.amdhsa_user_sgpr_kernarg_preload_length 0
		.amdhsa_user_sgpr_kernarg_preload_offset 0
		.amdhsa_user_sgpr_private_segment_size 0
		.amdhsa_uses_dynamic_stack 0
		.amdhsa_enable_private_segment 0
		.amdhsa_system_sgpr_workgroup_id_x 1
		.amdhsa_system_sgpr_workgroup_id_y 1
		.amdhsa_system_sgpr_workgroup_id_z 1
		.amdhsa_system_sgpr_workgroup_info 0
		.amdhsa_system_vgpr_workitem_id 0
		.amdhsa_next_free_vgpr 111
		.amdhsa_next_free_sgpr 39
		.amdhsa_accum_offset 112
		.amdhsa_reserve_vcc 1
		.amdhsa_float_round_mode_32 0
		.amdhsa_float_round_mode_16_64 0
		.amdhsa_float_denorm_mode_32 3
		.amdhsa_float_denorm_mode_16_64 3
		.amdhsa_dx10_clamp 1
		.amdhsa_ieee_mode 1
		.amdhsa_fp16_overflow 0
		.amdhsa_tg_split 0
		.amdhsa_exception_fp_ieee_invalid_op 0
		.amdhsa_exception_fp_denorm_src 0
		.amdhsa_exception_fp_ieee_div_zero 0
		.amdhsa_exception_fp_ieee_overflow 0
		.amdhsa_exception_fp_ieee_underflow 0
		.amdhsa_exception_fp_ieee_inexact 0
		.amdhsa_exception_int_div_zero 0
	.end_amdhsa_kernel
	.section	.text._ZN4vllm25paged_attention_v1_kernelIttLi256ELi32ELi128ELNS_18Fp8KVCacheDataTypeE0ELb0EEEvPT_PKS2_PKT0_S8_ifPKiSA_iPKfiiiSC_SC_iiiii,"axG",@progbits,_ZN4vllm25paged_attention_v1_kernelIttLi256ELi32ELi128ELNS_18Fp8KVCacheDataTypeE0ELb0EEEvPT_PKS2_PKT0_S8_ifPKiSA_iPKfiiiSC_SC_iiiii,comdat
.Lfunc_end107:
	.size	_ZN4vllm25paged_attention_v1_kernelIttLi256ELi32ELi128ELNS_18Fp8KVCacheDataTypeE0ELb0EEEvPT_PKS2_PKT0_S8_ifPKiSA_iPKfiiiSC_SC_iiiii, .Lfunc_end107-_ZN4vllm25paged_attention_v1_kernelIttLi256ELi32ELi128ELNS_18Fp8KVCacheDataTypeE0ELb0EEEvPT_PKS2_PKT0_S8_ifPKiSA_iPKfiiiSC_SC_iiiii
                                        ; -- End function
	.set _ZN4vllm25paged_attention_v1_kernelIttLi256ELi32ELi128ELNS_18Fp8KVCacheDataTypeE0ELb0EEEvPT_PKS2_PKT0_S8_ifPKiSA_iPKfiiiSC_SC_iiiii.num_vgpr, 111
	.set _ZN4vllm25paged_attention_v1_kernelIttLi256ELi32ELi128ELNS_18Fp8KVCacheDataTypeE0ELb0EEEvPT_PKS2_PKT0_S8_ifPKiSA_iPKfiiiSC_SC_iiiii.num_agpr, 0
	.set _ZN4vllm25paged_attention_v1_kernelIttLi256ELi32ELi128ELNS_18Fp8KVCacheDataTypeE0ELb0EEEvPT_PKS2_PKT0_S8_ifPKiSA_iPKfiiiSC_SC_iiiii.numbered_sgpr, 39
	.set _ZN4vllm25paged_attention_v1_kernelIttLi256ELi32ELi128ELNS_18Fp8KVCacheDataTypeE0ELb0EEEvPT_PKS2_PKT0_S8_ifPKiSA_iPKfiiiSC_SC_iiiii.num_named_barrier, 0
	.set _ZN4vllm25paged_attention_v1_kernelIttLi256ELi32ELi128ELNS_18Fp8KVCacheDataTypeE0ELb0EEEvPT_PKS2_PKT0_S8_ifPKiSA_iPKfiiiSC_SC_iiiii.private_seg_size, 0
	.set _ZN4vllm25paged_attention_v1_kernelIttLi256ELi32ELi128ELNS_18Fp8KVCacheDataTypeE0ELb0EEEvPT_PKS2_PKT0_S8_ifPKiSA_iPKfiiiSC_SC_iiiii.uses_vcc, 1
	.set _ZN4vllm25paged_attention_v1_kernelIttLi256ELi32ELi128ELNS_18Fp8KVCacheDataTypeE0ELb0EEEvPT_PKS2_PKT0_S8_ifPKiSA_iPKfiiiSC_SC_iiiii.uses_flat_scratch, 0
	.set _ZN4vllm25paged_attention_v1_kernelIttLi256ELi32ELi128ELNS_18Fp8KVCacheDataTypeE0ELb0EEEvPT_PKS2_PKT0_S8_ifPKiSA_iPKfiiiSC_SC_iiiii.has_dyn_sized_stack, 0
	.set _ZN4vllm25paged_attention_v1_kernelIttLi256ELi32ELi128ELNS_18Fp8KVCacheDataTypeE0ELb0EEEvPT_PKS2_PKT0_S8_ifPKiSA_iPKfiiiSC_SC_iiiii.has_recursion, 0
	.set _ZN4vllm25paged_attention_v1_kernelIttLi256ELi32ELi128ELNS_18Fp8KVCacheDataTypeE0ELb0EEEvPT_PKS2_PKT0_S8_ifPKiSA_iPKfiiiSC_SC_iiiii.has_indirect_call, 0
	.section	.AMDGPU.csdata,"",@progbits
; Kernel info:
; codeLenInByte = 17384
; TotalNumSgprs: 45
; NumVgprs: 111
; NumAgprs: 0
; TotalNumVgprs: 111
; ScratchSize: 0
; MemoryBound: 0
; FloatMode: 240
; IeeeMode: 1
; LDSByteSize: 528 bytes/workgroup (compile time only)
; SGPRBlocks: 5
; VGPRBlocks: 13
; NumSGPRsForWavesPerEU: 45
; NumVGPRsForWavesPerEU: 111
; AccumOffset: 112
; Occupancy: 4
; WaveLimiterHint : 1
; COMPUTE_PGM_RSRC2:SCRATCH_EN: 0
; COMPUTE_PGM_RSRC2:USER_SGPR: 2
; COMPUTE_PGM_RSRC2:TRAP_HANDLER: 0
; COMPUTE_PGM_RSRC2:TGID_X_EN: 1
; COMPUTE_PGM_RSRC2:TGID_Y_EN: 1
; COMPUTE_PGM_RSRC2:TGID_Z_EN: 1
; COMPUTE_PGM_RSRC2:TIDIG_COMP_CNT: 0
; COMPUTE_PGM_RSRC3_GFX90A:ACCUM_OFFSET: 27
; COMPUTE_PGM_RSRC3_GFX90A:TG_SPLIT: 0
	.section	.text._ZN4vllm25paged_attention_v1_kernelI14__hip_bfloat16S1_Li32ELi8ELi128ELNS_18Fp8KVCacheDataTypeE0ELb1EEEvPT_PKS3_PKT0_S9_ifPKiSB_iPKfiiiSD_SD_iiiii,"axG",@progbits,_ZN4vllm25paged_attention_v1_kernelI14__hip_bfloat16S1_Li32ELi8ELi128ELNS_18Fp8KVCacheDataTypeE0ELb1EEEvPT_PKS3_PKT0_S9_ifPKiSB_iPKfiiiSD_SD_iiiii,comdat
	.protected	_ZN4vllm25paged_attention_v1_kernelI14__hip_bfloat16S1_Li32ELi8ELi128ELNS_18Fp8KVCacheDataTypeE0ELb1EEEvPT_PKS3_PKT0_S9_ifPKiSB_iPKfiiiSD_SD_iiiii ; -- Begin function _ZN4vllm25paged_attention_v1_kernelI14__hip_bfloat16S1_Li32ELi8ELi128ELNS_18Fp8KVCacheDataTypeE0ELb1EEEvPT_PKS3_PKT0_S9_ifPKiSB_iPKfiiiSD_SD_iiiii
	.globl	_ZN4vllm25paged_attention_v1_kernelI14__hip_bfloat16S1_Li32ELi8ELi128ELNS_18Fp8KVCacheDataTypeE0ELb1EEEvPT_PKS3_PKT0_S9_ifPKiSB_iPKfiiiSD_SD_iiiii
	.p2align	8
	.type	_ZN4vllm25paged_attention_v1_kernelI14__hip_bfloat16S1_Li32ELi8ELi128ELNS_18Fp8KVCacheDataTypeE0ELb1EEEvPT_PKS3_PKT0_S9_ifPKiSB_iPKfiiiSD_SD_iiiii,@function
_ZN4vllm25paged_attention_v1_kernelI14__hip_bfloat16S1_Li32ELi8ELi128ELNS_18Fp8KVCacheDataTypeE0ELb1EEEvPT_PKS3_PKT0_S9_ifPKiSB_iPKfiiiSD_SD_iiiii: ; @_ZN4vllm25paged_attention_v1_kernelI14__hip_bfloat16S1_Li32ELi8ELi128ELNS_18Fp8KVCacheDataTypeE0ELb1EEEvPT_PKS3_PKT0_S9_ifPKiSB_iPKfiiiSD_SD_iiiii
; %bb.0:
	s_load_dword s5, s[0:1], 0x80
	s_load_dwordx2 s[6:7], s[0:1], 0x30
	s_load_dwordx2 s[30:31], s[0:1], 0x20
	s_mov_b32 s10, s3
	s_ashr_i32 s11, s3, 31
	s_lshl_b64 s[8:9], s[10:11], 2
	s_waitcnt lgkmcnt(0)
	s_add_u32 s6, s6, s8
	s_addc_u32 s7, s7, s9
	s_abs_i32 s3, s30
	v_cvt_f32_u32_e32 v1, s3
	s_sub_i32 s11, 0, s3
	s_abs_i32 s9, s5
	s_xor_b32 s8, s5, s30
	v_rcp_iflag_f32_e32 v1, v1
	s_ashr_i32 s8, s8, 31
	s_mov_b32 s43, 0
	v_mul_f32_e32 v1, 0x4f7ffffe, v1
	v_cvt_u32_f32_e32 v1, v1
	s_nop 0
	v_readfirstlane_b32 s12, v1
	s_mul_i32 s11, s11, s12
	s_mul_hi_u32 s11, s12, s11
	s_add_i32 s12, s12, s11
	s_mul_hi_u32 s11, s9, s12
	s_mul_i32 s12, s11, s3
	s_sub_i32 s9, s9, s12
	s_add_i32 s12, s11, 1
	s_sub_i32 s13, s9, s3
	s_cmp_ge_u32 s9, s3
	s_cselect_b32 s11, s12, s11
	s_cselect_b32 s9, s13, s9
	s_add_i32 s12, s11, 1
	s_cmp_ge_u32 s9, s3
	s_cselect_b32 s3, s12, s11
	s_xor_b32 s3, s3, s8
	s_sub_i32 s16, s3, s8
	s_abs_i32 s22, s16
	v_cvt_f32_u32_e32 v1, s22
	s_load_dwordx2 s[8:9], s[0:1], 0x40
	s_sub_i32 s3, 0, s22
	s_abs_i32 s23, s2
	v_rcp_iflag_f32_e32 v1, v1
	s_nop 0
	v_mul_f32_e32 v1, 0x4f7ffffe, v1
	v_cvt_u32_f32_e32 v1, v1
	s_nop 0
	v_readfirstlane_b32 s11, v1
	s_mul_i32 s3, s3, s11
	s_mul_hi_u32 s3, s11, s3
	s_add_i32 s11, s11, s3
	s_waitcnt lgkmcnt(0)
	s_cmp_eq_u64 s[8:9], 0
	s_mul_hi_u32 s24, s23, s11
	s_cbranch_scc1 .LBB108_2
; %bb.1:
	s_ashr_i32 s3, s2, 31
	s_lshl_b64 s[12:13], s[2:3], 2
	s_add_u32 s8, s8, s12
	s_addc_u32 s9, s9, s13
	s_load_dword s43, s[8:9], 0x0
.LBB108_2:
	s_load_dword s11, s[6:7], 0x0
	s_load_dwordx4 s[12:15], s[0:1], 0x48
	s_ashr_i32 s8, s2, 31
	s_ashr_i32 s9, s16, 31
	v_and_b32_e32 v4, 7, v0
	s_lshl_b32 s20, s2, 5
	v_cmp_gt_u32_e32 vcc, 32, v0
	s_and_saveexec_b64 s[6:7], vcc
	s_cbranch_execz .LBB108_4
; %bb.3:
	s_load_dwordx2 s[16:17], s[0:1], 0x8
	s_waitcnt lgkmcnt(0)
	s_mul_i32 s18, s12, s10
	s_ashr_i32 s19, s18, 31
	s_lshl_b64 s[18:19], s[18:19], 1
	v_lshlrev_b32_e32 v1, 1, v0
	s_add_u32 s3, s16, s18
	s_addc_u32 s12, s17, s19
	s_ashr_i32 s21, s20, 31
	s_lshl_b64 s[16:17], s[20:21], 1
	s_add_u32 s16, s3, s16
	s_addc_u32 s17, s12, s17
	global_load_ushort v1, v1, s[16:17]
	v_lshrrev_b32_e32 v2, 2, v0
	v_and_b32_e32 v2, 0xfe, v2
	v_lshl_add_u32 v2, v4, 3, v2
	s_waitcnt vmcnt(0)
	ds_write_b16 v2, v1
.LBB108_4:
	s_or_b64 exec, exec, s[6:7]
	s_mul_i32 s7, s24, s22
	s_sub_i32 s7, s23, s7
	s_xor_b32 s6, s8, s9
	s_add_i32 s8, s24, 1
	s_sub_i32 s9, s7, s22
	s_load_dwordx4 s[16:19], s[0:1], 0x68
	s_load_dword s3, s[0:1], 0x78
	s_cmp_ge_u32 s7, s22
	s_cselect_b32 s8, s8, s24
	s_cselect_b32 s7, s9, s7
	s_add_i32 s9, s8, 1
	s_cmp_ge_u32 s7, s22
	s_cselect_b32 s7, s9, s8
	s_waitcnt lgkmcnt(0)
	s_abs_i32 s21, s19
	v_cvt_f32_u32_e32 v1, s21
	s_xor_b32 s7, s7, s6
	s_sub_i32 s8, s7, s6
	s_sub_i32 s6, 0, s21
	v_rcp_iflag_f32_e32 v1, v1
	s_add_i32 s15, s11, -1
	s_abs_i32 s9, s15
	v_mul_f32_e32 v1, 0x4f7ffffe, v1
	v_cvt_u32_f32_e32 v1, v1
	s_barrier
	v_readfirstlane_b32 s33, v1
	s_mul_i32 s6, s6, s33
	s_mul_hi_u32 s6, s33, s6
	s_add_i32 s33, s33, s6
	s_cmp_lt_i32 s3, 0
	s_mul_hi_u32 s12, s9, s33
	s_cbranch_scc0 .LBB108_6
; %bb.5:
	s_mul_i32 s6, s16, s30
	s_add_i32 s6, s8, s6
	s_mul_i32 s6, s6, s3
	s_sub_i32 s40, 1, s6
	s_mov_b64 s[6:7], 0
	s_branch .LBB108_7
.LBB108_6:
	s_mov_b64 s[6:7], -1
                                        ; implicit-def: $sgpr40
.LBB108_7:
	s_load_dwordx2 s[24:25], s[0:1], 0x28
	s_ashr_i32 s15, s15, 31
	s_andn2_b64 vcc, exec, s[6:7]
	s_ashr_i32 s41, s19, 31
	s_cbranch_vccnz .LBB108_9
; %bb.8:
	s_mul_i32 s6, s5, s16
	s_add_i32 s2, s6, s2
	s_mul_i32 s2, s2, s3
	s_add_i32 s40, s2, 1
.LBB108_9:
	s_load_dword s2, s[0:1], 0x38
	s_load_dwordx2 s[22:23], s[0:1], 0x0
	s_load_dwordx2 s[28:29], s[0:1], 0x18
	s_load_dword s19, s[0:1], 0x88
	s_xor_b32 s3, s15, s41
	s_waitcnt lgkmcnt(0)
	s_mul_i32 s26, s2, s10
	s_mul_i32 s2, s12, s21
	s_sub_i32 s2, s9, s2
	s_ashr_i32 s27, s26, 31
	s_add_i32 s6, s12, 1
	s_sub_i32 s7, s2, s21
	s_cmp_ge_u32 s2, s21
	s_cselect_b32 s6, s6, s12
	s_cselect_b32 s2, s7, s2
	s_add_i32 s7, s6, 1
	s_cmp_ge_u32 s2, s21
	s_cselect_b32 s2, s7, s6
	s_xor_b32 s2, s2, s3
	s_sub_i32 s12, s2, s3
	s_add_i32 s2, s11, 7
	s_ashr_i32 s3, s2, 31
	s_lshr_b32 s3, s3, 29
	s_add_i32 s2, s2, s3
	s_ashr_i32 s42, s2, 3
	v_lshrrev_b32_e32 v1, 6, v0
	v_cmp_gt_i32_e64 s[2:3], s42, v1
	v_mov_b32_e32 v10, 0xff7fffff
	s_mul_i32 s14, s8, s14
	v_lshrrev_b32_e32 v6, 4, v0
	v_lshlrev_b32_e32 v20, 3, v1
	v_mbcnt_lo_u32_b32 v7, -1, 0
	s_and_saveexec_b64 s[34:35], s[2:3]
	s_cbranch_execz .LBB108_21
; %bb.10:
	s_load_dwordx2 s[0:1], s[0:1], 0x10
	s_ashr_i32 s15, s14, 31
	s_sub_i32 s16, s12, s17
	s_lshl_b64 s[6:7], s[14:15], 1
	v_bfe_u32 v8, v0, 3, 3
	s_waitcnt lgkmcnt(0)
	s_add_u32 s0, s0, s6
	s_addc_u32 s1, s1, s7
	s_abs_i32 s15, s18
	v_cvt_f32_u32_e32 v2, s15
	v_lshlrev_b32_e32 v12, 4, v8
	v_mov_b32_e32 v13, 0
	s_sub_i32 s6, 0, s15
	v_rcp_iflag_f32_e32 v5, v2
	v_cmp_eq_u32_e32 vcc, 0, v4
	v_lshl_add_u64 v[2:3], s[0:1], 0, v[12:13]
	v_lshlrev_b32_e32 v12, 1, v4
	v_mul_f32_e32 v5, 0x4f7ffffe, v5
	v_cvt_u32_f32_e32 v5, v5
	v_lshlrev_b32_e32 v9, 3, v4
	v_lshl_add_u64 v[2:3], v[2:3], 0, v[12:13]
	v_and_b32_e32 v12, 60, v6
	v_mul_lo_u32 v4, s6, v5
	s_lshl_b64 s[6:7], s[26:27], 2
	s_add_u32 s6, s24, s6
	v_mul_hi_u32 v4, v5, v4
	s_addc_u32 s7, s25, s7
	v_subrev_u32_e32 v10, s11, v8
	v_add_u32_e32 v11, v5, v4
	v_lshl_add_u64 v[4:5], s[6:7], 0, v[12:13]
	v_add_u32_e32 v13, 1, v10
	v_lshlrev_b32_e32 v10, 2, v8
	v_lshl_or_b32 v10, v1, 5, v10
	v_mbcnt_hi_u32_b32 v16, -1, v7
	v_add_u32_e32 v14, 0x50, v10
	v_and_b32_e32 v10, 64, v16
	s_mov_b32 s30, s13
	v_cmp_neq_f32_e64 s[0:1], s43, 0
	v_lshlrev_b32_e32 v12, 3, v1
	v_mov_b32_e32 v15, 0xff7fffff
	s_mov_b64 s[36:37], 0
	v_add_u32_e32 v17, 64, v10
	v_xor_b32_e32 v18, 4, v16
	v_xor_b32_e32 v19, 2, v16
	;; [unrolled: 1-line block ×3, first 2 shown]
	v_mov_b32_e32 v10, 0xff7fffff
	v_mov_b32_e32 v22, v1
	s_branch .LBB108_13
.LBB108_11:                             ;   in Loop: Header=BB108_13 Depth=1
	s_or_b64 exec, exec, s[38:39]
.LBB108_12:                             ;   in Loop: Header=BB108_13 Depth=1
	s_or_b64 exec, exec, s[8:9]
	v_add_u32_e32 v22, 2, v22
	v_cmp_le_i32_e64 s[6:7], s42, v22
	v_lshl_add_u64 v[4:5], v[4:5], 0, 8
	v_add_u32_e32 v12, 16, v12
	s_or_b64 s[36:37], s[6:7], s[36:37]
	v_add_u32_e32 v14, 64, v14
	s_andn2_b64 exec, exec, s[36:37]
	s_cbranch_execz .LBB108_20
.LBB108_13:                             ; =>This Inner Loop Header: Depth=1
	v_mul_hi_u32 v23, v12, s33
	s_waitcnt lgkmcnt(0)
	v_mul_lo_u32 v24, v23, s21
	v_sub_u32_e32 v24, v12, v24
	v_add_u32_e32 v25, 1, v23
	v_cmp_le_u32_e64 s[6:7], s21, v24
	s_nop 1
	v_cndmask_b32_e64 v23, v23, v25, s[6:7]
	v_subrev_u32_e32 v25, s21, v24
	v_cndmask_b32_e64 v24, v24, v25, s[6:7]
	v_add_u32_e32 v25, 1, v23
	v_cmp_le_u32_e64 s[6:7], s21, v24
	s_nop 1
	v_cndmask_b32_e64 v23, v23, v25, s[6:7]
	v_xor_b32_e32 v23, s41, v23
	v_subrev_u32_e32 v23, s41, v23
	v_add_u32_e32 v24, s40, v23
	v_sub_u32_e32 v26, 0, v24
	v_ashrrev_i32_e32 v25, 31, v24
	v_max_i32_e32 v24, v24, v26
	v_mul_hi_u32 v26, v24, v11
	v_mul_lo_u32 v26, v26, s15
	v_sub_u32_e32 v24, v24, v26
	v_subrev_u32_e32 v26, s15, v24
	v_cmp_le_u32_e64 s[6:7], s15, v24
	v_cmp_ge_i32_e64 s[8:9], s16, v23
	s_nop 0
	v_cndmask_b32_e64 v24, v24, v26, s[6:7]
	v_subrev_u32_e32 v26, s15, v24
	v_cmp_le_u32_e64 s[6:7], s15, v24
	s_nop 1
	v_cndmask_b32_e64 v24, v24, v26, s[6:7]
	v_xor_b32_e32 v24, v24, v25
	v_sub_u32_e32 v24, v24, v25
	v_cmp_ne_u32_e64 s[6:7], 0, v24
	s_and_b64 s[6:7], s[6:7], s[8:9]
	s_and_saveexec_b64 s[8:9], s[6:7]
	s_xor_b64 s[6:7], exec, s[8:9]
	s_cbranch_execz .LBB108_17
; %bb.14:                               ;   in Loop: Header=BB108_13 Depth=1
	s_and_saveexec_b64 s[8:9], vcc
; %bb.15:                               ;   in Loop: Header=BB108_13 Depth=1
	ds_write_b32 v14, v15
; %bb.16:                               ;   in Loop: Header=BB108_13 Depth=1
	s_or_b64 exec, exec, s[8:9]
.LBB108_17:                             ;   in Loop: Header=BB108_13 Depth=1
	s_andn2_saveexec_b64 s[8:9], s[6:7]
	s_cbranch_execz .LBB108_12
; %bb.18:                               ;   in Loop: Header=BB108_13 Depth=1
	global_load_dword v23, v[4:5], off
	s_waitcnt vmcnt(0)
	v_mad_i64_i32 v[24:25], s[6:7], v23, s30, 0
	v_lshl_add_u64 v[24:25], v[24:25], 1, v[2:3]
	global_load_ushort v23, v[24:25], off
	global_load_ushort v26, v[24:25], off offset:128
	global_load_ushort v27, v[24:25], off offset:256
	;; [unrolled: 1-line block ×3, first 2 shown]
	ds_read_b64 v[24:25], v9
	v_cmp_lt_i32_e64 s[6:7], v18, v17
	s_waitcnt lgkmcnt(0)
	v_lshlrev_b32_e32 v30, 16, v24
	v_and_b32_e32 v24, 0xffff0000, v24
	v_lshlrev_b32_e32 v31, 16, v25
	v_cndmask_b32_e64 v29, v16, v18, s[6:7]
	v_and_b32_e32 v25, 0xffff0000, v25
	v_lshlrev_b32_e32 v29, 2, v29
	v_cmp_lt_i32_e64 s[6:7], v19, v17
	s_waitcnt vmcnt(3)
	v_lshlrev_b32_e32 v23, 16, v23
	s_waitcnt vmcnt(2)
	v_lshlrev_b32_e32 v26, 16, v26
	v_mul_f32_e32 v24, v24, v26
	s_waitcnt vmcnt(1)
	v_lshlrev_b32_e32 v27, 16, v27
	v_fmac_f32_e32 v24, v30, v23
	v_fmac_f32_e32 v24, v31, v27
	s_waitcnt vmcnt(0)
	v_lshlrev_b32_e32 v23, 16, v28
	v_fmac_f32_e32 v24, v25, v23
	ds_bpermute_b32 v23, v29, v24
	v_cndmask_b32_e64 v25, v16, v19, s[6:7]
	v_lshlrev_b32_e32 v25, 2, v25
	v_cmp_lt_i32_e64 s[6:7], v21, v17
	s_waitcnt lgkmcnt(0)
	v_add_f32_e32 v23, v24, v23
	ds_bpermute_b32 v24, v25, v23
	v_cndmask_b32_e64 v25, v16, v21, s[6:7]
	v_lshlrev_b32_e32 v25, 2, v25
	s_waitcnt lgkmcnt(0)
	v_add_f32_e32 v23, v23, v24
	ds_bpermute_b32 v24, v25, v23
	s_and_saveexec_b64 s[38:39], vcc
	s_cbranch_execz .LBB108_11
; %bb.19:                               ;   in Loop: Header=BB108_13 Depth=1
	v_add_u32_e32 v25, v13, v12
	v_cvt_f32_i32_e32 v25, v25
	s_waitcnt lgkmcnt(0)
	v_add_f32_e32 v23, v23, v24
	v_add_u32_e32 v26, v8, v12
	v_cmp_gt_i32_e64 s[6:7], s11, v26
	v_mul_f32_e32 v24, s43, v25
	v_cndmask_b32_e64 v24, 0, v24, s[0:1]
	v_fmac_f32_e32 v24, s31, v23
	v_cndmask_b32_e64 v23, 0, v24, s[6:7]
	ds_write_b32 v14, v23
	v_max_f32_e32 v23, v10, v10
	v_max_f32_e32 v23, v23, v24
	v_cndmask_b32_e64 v10, v10, v23, s[6:7]
	s_branch .LBB108_11
.LBB108_20:
	s_or_b64 exec, exec, s[36:37]
.LBB108_21:
	s_or_b64 exec, exec, s[34:35]
	v_mbcnt_hi_u32_b32 v2, -1, v7
	v_and_b32_e32 v11, 64, v2
	v_add_u32_e32 v3, 64, v11
	v_xor_b32_e32 v4, 32, v2
	v_cmp_lt_i32_e32 vcc, v4, v3
	v_xor_b32_e32 v8, 16, v2
	v_max_f32_e32 v7, v10, v10
	v_cndmask_b32_e32 v4, v2, v4, vcc
	v_lshlrev_b32_e32 v5, 2, v4
	ds_bpermute_b32 v4, v5, v10
	v_cmp_lt_i32_e32 vcc, v8, v3
	v_xor_b32_e32 v9, 8, v2
	v_and_b32_e32 v21, 63, v0
	s_waitcnt lgkmcnt(0)
	v_max_f32_e32 v4, v4, v4
	v_max_f32_e32 v4, v7, v4
	v_cndmask_b32_e32 v7, v2, v8, vcc
	v_lshlrev_b32_e32 v8, 2, v7
	ds_bpermute_b32 v7, v8, v4
	v_cmp_lt_i32_e32 vcc, v9, v3
	s_waitcnt lgkmcnt(0)
	v_max_f32_e32 v7, v7, v7
	v_max_f32_e32 v7, v4, v7
	v_cndmask_b32_e32 v4, v2, v9, vcc
	v_lshlrev_b32_e32 v10, 2, v4
	ds_bpermute_b32 v9, v10, v7
	v_cmp_eq_u32_e32 vcc, 0, v21
	v_lshlrev_b32_e32 v4, 2, v1
	s_and_saveexec_b64 s[0:1], vcc
	s_cbranch_execz .LBB108_23
; %bb.22:
	s_waitcnt lgkmcnt(0)
	v_max_f32_e32 v9, v9, v9
	v_max_f32_e32 v7, v7, v7
	;; [unrolled: 1-line block ×3, first 2 shown]
	ds_write_b32 v4, v7 offset:64
.LBB108_23:
	s_or_b64 exec, exec, s[0:1]
	v_cmp_gt_u32_e64 s[0:1], 2, v21
	v_mov_b32_e32 v12, 0xff7fffff
	v_lshlrev_b32_e32 v7, 2, v21
	s_waitcnt lgkmcnt(0)
	s_barrier
	s_and_saveexec_b64 s[6:7], s[0:1]
; %bb.24:
	ds_read_b32 v12, v7 offset:64
; %bb.25:
	s_or_b64 exec, exec, s[6:7]
	v_xor_b32_e32 v9, 1, v2
	v_cmp_lt_i32_e64 s[6:7], v9, v3
	v_lshlrev_b32_e32 v11, 2, v11
	s_nop 0
	v_cndmask_b32_e64 v9, v2, v9, s[6:7]
	v_lshlrev_b32_e32 v9, 2, v9
	s_waitcnt lgkmcnt(0)
	ds_bpermute_b32 v13, v9, v12
	v_max_f32_e32 v12, v12, v12
	s_lshl_b32 s6, s42, 3
	s_min_i32 s15, s6, s11
	v_cmp_gt_i32_e64 s[6:7], s15, v0
	s_waitcnt lgkmcnt(0)
	v_max_f32_e32 v13, v13, v13
	v_max_f32_e32 v12, v12, v13
	ds_bpermute_b32 v12, v11, v12
	v_mov_b32_e32 v11, 0
	s_and_saveexec_b64 s[30:31], s[6:7]
	s_cbranch_execz .LBB108_29
; %bb.26:
	v_mov_b32_e32 v11, 0x50
	v_lshl_add_u32 v13, v0, 2, v11
	v_mov_b32_e32 v11, 0
	s_mov_b64 s[34:35], 0
	v_mov_b32_e32 v14, v0
.LBB108_27:                             ; =>This Inner Loop Header: Depth=1
	ds_read_b32 v15, v13
	v_add_u32_e32 v14, 0x80, v14
	v_cmp_le_i32_e64 s[8:9], s15, v14
	s_or_b64 s[34:35], s[8:9], s[34:35]
	s_waitcnt lgkmcnt(0)
	v_sub_f32_e32 v15, v15, v12
	v_mul_f32_e32 v15, 0x3fb8aa3b, v15
	v_exp_f32_e32 v15, v15
	ds_write_b32 v13, v15
	v_add_f32_e32 v11, v11, v15
	v_add_u32_e32 v13, 0x200, v13
	s_andn2_b64 exec, exec, s[34:35]
	s_cbranch_execnz .LBB108_27
; %bb.28:
	s_or_b64 exec, exec, s[34:35]
.LBB108_29:
	s_or_b64 exec, exec, s[30:31]
	ds_bpermute_b32 v5, v5, v11
	s_waitcnt lgkmcnt(0)
	v_add_f32_e32 v5, v11, v5
	ds_bpermute_b32 v8, v8, v5
	s_waitcnt lgkmcnt(0)
	v_add_f32_e32 v5, v5, v8
	ds_bpermute_b32 v8, v10, v5
	v_xor_b32_e32 v10, 4, v2
	v_cmp_lt_i32_e64 s[8:9], v10, v3
	s_waitcnt lgkmcnt(0)
	v_add_f32_e32 v5, v5, v8
	v_cndmask_b32_e64 v10, v2, v10, s[8:9]
	v_lshlrev_b32_e32 v10, 2, v10
	ds_bpermute_b32 v8, v10, v5
	v_xor_b32_e32 v10, 2, v2
	v_cmp_lt_i32_e64 s[8:9], v10, v3
	s_waitcnt lgkmcnt(0)
	v_add_f32_e32 v5, v5, v8
	v_cndmask_b32_e64 v3, v2, v10, s[8:9]
	v_lshlrev_b32_e32 v3, 2, v3
	ds_bpermute_b32 v3, v3, v5
	s_waitcnt lgkmcnt(0)
	v_add_f32_e32 v3, v5, v3
	ds_bpermute_b32 v5, v9, v3
	s_waitcnt lgkmcnt(0)
	v_add_f32_e32 v3, v3, v5
	s_and_saveexec_b64 s[8:9], vcc
; %bb.30:
	ds_write_b32 v4, v3 offset:72
; %bb.31:
	s_or_b64 exec, exec, s[8:9]
	s_waitcnt lgkmcnt(0)
	s_barrier
	s_and_saveexec_b64 s[8:9], s[0:1]
; %bb.32:
	ds_read_b32 v3, v7 offset:72
; %bb.33:
	s_or_b64 exec, exec, s[8:9]
	s_waitcnt lgkmcnt(0)
	ds_bpermute_b32 v4, v9, v3
	v_lshlrev_b32_e32 v2, 2, v2
	v_and_b32_e32 v2, 0x100, v2
	s_waitcnt lgkmcnt(0)
	v_add_f32_e32 v3, v3, v4
	ds_bpermute_b32 v2, v2, v3
	s_and_saveexec_b64 s[0:1], s[6:7]
	s_cbranch_execz .LBB108_46
; %bb.34:
	s_waitcnt lgkmcnt(0)
	v_add_f32_e32 v2, 0x358637bd, v2
	v_div_scale_f32 v3, s[6:7], v2, v2, 1.0
	v_rcp_f32_e32 v4, v3
	v_div_scale_f32 v5, vcc, 1.0, v2, 1.0
	s_movk_i32 s6, 0x7f
	v_fma_f32 v7, -v3, v4, 1.0
	v_fmac_f32_e32 v4, v7, v4
	v_mul_f32_e32 v7, v5, v4
	v_fma_f32 v8, -v3, v7, v5
	v_fmac_f32_e32 v7, v8, v4
	v_fma_f32 v3, -v3, v7, v5
	v_div_fmas_f32 v3, v3, v4, v7
	v_xad_u32 v4, v0, -1, s15
	v_div_fixup_f32 v2, v3, v2, 1.0
	v_cmp_lt_u32_e32 vcc, s6, v4
	s_mov_b64 s[8:9], -1
	v_mov_b32_e32 v3, v0
	s_and_saveexec_b64 s[6:7], vcc
	s_cbranch_execz .LBB108_43
; %bb.35:
	v_lshrrev_b32_e32 v4, 7, v4
	v_add_u32_e32 v7, -1, v4
	v_lshrrev_b32_e32 v5, 1, v7
	v_mov_b32_e32 v3, v2
	v_add_u32_e32 v5, 1, v5
	v_cmp_lt_u32_e32 vcc, 13, v7
	v_mov_b32_e32 v9, 0
	s_and_saveexec_b64 s[8:9], vcc
	s_cbranch_execz .LBB108_39
; %bb.36:
	v_mov_b32_e32 v8, 0x50
	v_and_b32_e32 v7, -8, v5
	v_lshl_add_u32 v8, v0, 2, v8
	s_mov_b32 s16, 0
	s_mov_b64 s[30:31], 0
.LBB108_37:                             ; =>This Inner Loop Header: Depth=1
	ds_read2st64_b32 v[10:11], v8 offset1:2
	ds_read2st64_b32 v[12:13], v8 offset0:4 offset1:6
	ds_read2st64_b32 v[14:15], v8 offset0:8 offset1:10
	;; [unrolled: 1-line block ×3, first 2 shown]
	v_add_u32_e32 v7, -8, v7
	s_waitcnt lgkmcnt(3)
	v_pk_mul_f32 v[10:11], v[2:3], v[10:11]
	s_waitcnt lgkmcnt(2)
	v_pk_mul_f32 v[12:13], v[2:3], v[12:13]
	ds_write2st64_b32 v8, v10, v11 offset1:2
	ds_write2st64_b32 v8, v12, v13 offset0:4 offset1:6
	ds_read2st64_b32 v[12:13], v8 offset0:16 offset1:18
	s_waitcnt lgkmcnt(4)
	v_pk_mul_f32 v[10:11], v[2:3], v[14:15]
	ds_write2st64_b32 v8, v10, v11 offset0:8 offset1:10
	s_waitcnt lgkmcnt(4)
	v_pk_mul_f32 v[10:11], v[2:3], v[16:17]
	ds_write2st64_b32 v8, v10, v11 offset0:12 offset1:14
	ds_read2st64_b32 v[10:11], v8 offset0:20 offset1:22
	s_waitcnt lgkmcnt(3)
	v_pk_mul_f32 v[12:13], v[2:3], v[12:13]
	ds_read2st64_b32 v[14:15], v8 offset0:24 offset1:26
	ds_write2st64_b32 v8, v12, v13 offset0:16 offset1:18
	ds_read2st64_b32 v[12:13], v8 offset0:28 offset1:30
	s_waitcnt lgkmcnt(3)
	v_pk_mul_f32 v[10:11], v[2:3], v[10:11]
	ds_write2st64_b32 v8, v10, v11 offset0:20 offset1:22
	s_waitcnt lgkmcnt(3)
	v_pk_mul_f32 v[10:11], v[2:3], v[14:15]
	ds_write2st64_b32 v8, v10, v11 offset0:24 offset1:26
	s_waitcnt lgkmcnt(2)
	v_pk_mul_f32 v[10:11], v[2:3], v[12:13]
	s_add_i32 s16, s16, 16
	v_cmp_eq_u32_e32 vcc, 0, v7
	ds_write2st64_b32 v8, v10, v11 offset0:28 offset1:30
	v_add_u32_e32 v8, 0x2000, v8
	s_or_b64 s[30:31], vcc, s[30:31]
	v_mov_b32_e32 v9, s16
	s_andn2_b64 exec, exec, s[30:31]
	s_cbranch_execnz .LBB108_37
; %bb.38:
	s_or_b64 exec, exec, s[30:31]
.LBB108_39:
	s_or_b64 exec, exec, s[8:9]
	v_and_b32_e32 v5, 7, v5
	v_cmp_ne_u32_e32 vcc, 0, v5
	s_and_saveexec_b64 s[8:9], vcc
	s_cbranch_execz .LBB108_42
; %bb.40:
	v_lshlrev_b32_e32 v7, 9, v9
	v_lshlrev_b32_e32 v8, 2, v0
	s_movk_i32 s16, 0x50
	v_add3_u32 v7, v7, v8, s16
	s_mov_b64 s[30:31], 0
.LBB108_41:                             ; =>This Inner Loop Header: Depth=1
	ds_read2st64_b32 v[8:9], v7 offset1:2
	v_add_u32_e32 v5, -1, v5
	v_cmp_eq_u32_e32 vcc, 0, v5
	s_or_b64 s[30:31], vcc, s[30:31]
	s_waitcnt lgkmcnt(0)
	v_pk_mul_f32 v[8:9], v[2:3], v[8:9]
	ds_write2st64_b32 v7, v8, v9 offset1:2
	v_add_u32_e32 v7, 0x400, v7
	s_andn2_b64 exec, exec, s[30:31]
	s_cbranch_execnz .LBB108_41
.LBB108_42:
	s_or_b64 exec, exec, s[8:9]
	v_add_u32_e32 v4, 1, v4
	v_and_b32_e32 v5, 0x3fffffe, v4
	v_cmp_ne_u32_e32 vcc, v4, v5
	v_lshl_add_u32 v3, v5, 7, v0
	s_orn2_b64 s[8:9], vcc, exec
.LBB108_43:
	s_or_b64 exec, exec, s[6:7]
	s_and_b64 exec, exec, s[8:9]
	s_cbranch_execz .LBB108_46
; %bb.44:
	v_mov_b32_e32 v4, 0x50
	v_lshl_add_u32 v4, v3, 2, v4
	s_mov_b64 s[6:7], 0
.LBB108_45:                             ; =>This Inner Loop Header: Depth=1
	ds_read_b32 v5, v4
	v_add_u32_e32 v3, 0x80, v3
	v_cmp_le_i32_e32 vcc, s15, v3
	s_or_b64 s[6:7], vcc, s[6:7]
	s_waitcnt lgkmcnt(0)
	v_mul_f32_e32 v5, v2, v5
	ds_write_b32 v4, v5
	v_add_u32_e32 v4, 0x200, v4
	s_andn2_b64 exec, exec, s[6:7]
	s_cbranch_execnz .LBB108_45
.LBB108_46:
	s_or_b64 exec, exec, s[0:1]
	v_mov_b32_e32 v14, 0
	s_waitcnt lgkmcnt(0)
	s_barrier
	s_and_saveexec_b64 s[6:7], s[2:3]
	s_cbranch_execz .LBB108_56
; %bb.47:
	s_ashr_i32 s15, s14, 31
	s_sub_i32 s30, s12, s17
	s_lshl_b64 s[0:1], s[14:15], 1
	s_add_u32 s2, s28, s0
	s_addc_u32 s3, s29, s1
	s_abs_i32 s18, s18
	v_cvt_f32_u32_e32 v2, s18
	v_lshlrev_b32_e32 v14, 4, v21
	v_mov_b32_e32 v15, 0
	v_lshl_add_u64 v[16:17], s[2:3], 0, v[14:15]
	v_rcp_iflag_f32_e32 v2, v2
	s_sub_i32 s2, 0, s18
	s_add_i32 s29, s42, -1
	v_and_b32_e32 v14, 60, v6
	v_mul_f32_e32 v2, 0x4f7ffffe, v2
	v_cvt_u32_f32_e32 v2, v2
	s_mov_b32 s28, s13
	v_cmp_gt_u32_e64 s[0:1], 32, v21
	s_mov_b32 s31, s11
	v_mul_lo_u32 v3, s2, v2
	s_lshl_b64 s[2:3], s[26:27], 2
	v_mul_hi_u32 v3, v2, v3
	s_add_u32 s2, s24, s2
	v_add_u32_e32 v22, v2, v3
	s_addc_u32 s3, s25, s3
	v_mov_b32_e32 v2, 0x50
	v_lshl_add_u64 v[18:19], s[2:3], 0, v[14:15]
	v_lshl_add_u32 v23, v1, 5, v2
	s_mov_b64 s[8:9], 0
	s_mov_b32 s24, 0x5040100
	v_mov_b32_e32 v14, 0
	s_branch .LBB108_51
.LBB108_48:                             ;   in Loop: Header=BB108_51 Depth=1
	s_or_b64 exec, exec, s[16:17]
	s_waitcnt lgkmcnt(1)
	v_cvt_pk_bf16_f32 v10, v10, s0
	v_cvt_pk_bf16_f32 v11, v11, s0
	;; [unrolled: 1-line block ×4, first 2 shown]
	s_waitcnt vmcnt(0)
	v_and_b32_e32 v24, 0xffff0000, v2
	v_lshlrev_b32_e32 v2, 16, v2
	v_lshlrev_b32_e32 v10, 16, v10
	s_waitcnt lgkmcnt(0)
	v_cvt_pk_bf16_f32 v6, v6, s0
	v_cvt_pk_bf16_f32 v7, v7, s0
	v_lshlrev_b32_e32 v11, 16, v11
	v_mul_f32_e32 v2, v10, v2
	v_and_b32_e32 v10, 0xffff0000, v3
	v_lshlrev_b32_e32 v13, 16, v13
	v_lshlrev_b32_e32 v3, 16, v3
	;; [unrolled: 1-line block ×3, first 2 shown]
	v_cvt_pk_bf16_f32 v8, v8, s0
	v_cvt_pk_bf16_f32 v9, v9, s0
	v_mul_f32_e32 v11, v11, v24
	v_mul_f32_e32 v10, v13, v10
	;; [unrolled: 1-line block ×3, first 2 shown]
	v_and_b32_e32 v12, 0xffff0000, v4
	v_lshlrev_b32_e32 v7, 16, v7
	v_lshlrev_b32_e32 v4, 16, v4
	v_lshlrev_b32_e32 v6, 16, v6
	v_cvt_pk_bf16_f32 v11, v11, s0
	v_cvt_pk_bf16_f32 v2, v2, s0
	;; [unrolled: 1-line block ×4, first 2 shown]
	v_mul_f32_e32 v7, v7, v12
	v_mul_f32_e32 v4, v6, v4
	v_and_b32_e32 v6, 0xffff0000, v5
	v_lshlrev_b32_e32 v9, 16, v9
	v_lshlrev_b32_e32 v5, 16, v5
	;; [unrolled: 1-line block ×3, first 2 shown]
	v_cvt_pk_bf16_f32 v7, v7, s0
	v_cvt_pk_bf16_f32 v4, v4, s0
	v_mul_f32_e32 v6, v9, v6
	v_mul_f32_e32 v5, v8, v5
	v_lshlrev_b32_e32 v2, 16, v2
	v_lshlrev_b32_e32 v8, 16, v11
	v_lshlrev_b32_e32 v3, 16, v3
	v_lshlrev_b32_e32 v9, 16, v10
	v_cvt_pk_bf16_f32 v6, v6, s0
	v_cvt_pk_bf16_f32 v5, v5, s0
	v_lshlrev_b32_e32 v4, 16, v4
	v_lshlrev_b32_e32 v7, 16, v7
	v_add_f32_e32 v2, v8, v2
	v_add_f32_e32 v3, v9, v3
	v_lshlrev_b32_e32 v5, 16, v5
	v_lshlrev_b32_e32 v6, 16, v6
	v_add_f32_e32 v2, v3, v2
	v_add_f32_e32 v3, v7, v4
	;; [unrolled: 1-line block ×6, first 2 shown]
.LBB108_49:                             ;   in Loop: Header=BB108_51 Depth=1
	s_or_b64 exec, exec, s[14:15]
.LBB108_50:                             ;   in Loop: Header=BB108_51 Depth=1
	s_or_b64 exec, exec, s[12:13]
	v_add_u32_e32 v1, 2, v1
	v_cmp_le_i32_e32 vcc, s42, v1
	v_lshl_add_u64 v[18:19], v[18:19], 0, 8
	v_add_u32_e32 v20, 16, v20
	s_or_b64 s[8:9], vcc, s[8:9]
	v_add_u32_e32 v23, 64, v23
	s_andn2_b64 exec, exec, s[8:9]
	s_cbranch_execz .LBB108_55
.LBB108_51:                             ; =>This Inner Loop Header: Depth=1
	v_mul_hi_u32 v2, v20, s33
	v_mul_lo_u32 v3, v2, s21
	v_sub_u32_e32 v3, v20, v3
	v_add_u32_e32 v4, 1, v2
	v_cmp_le_u32_e32 vcc, s21, v3
	s_nop 1
	v_cndmask_b32_e32 v2, v2, v4, vcc
	v_subrev_u32_e32 v4, s21, v3
	v_cndmask_b32_e32 v3, v3, v4, vcc
	v_add_u32_e32 v4, 1, v2
	v_cmp_le_u32_e32 vcc, s21, v3
	s_nop 1
	v_cndmask_b32_e32 v2, v2, v4, vcc
	v_xor_b32_e32 v2, s41, v2
	v_subrev_u32_e32 v2, s41, v2
	v_add_u32_e32 v3, s40, v2
	v_sub_u32_e32 v5, 0, v3
	v_ashrrev_i32_e32 v4, 31, v3
	v_max_i32_e32 v3, v3, v5
	v_mul_hi_u32 v5, v3, v22
	v_mul_lo_u32 v5, v5, s18
	v_sub_u32_e32 v3, v3, v5
	v_subrev_u32_e32 v5, s18, v3
	v_cmp_le_u32_e32 vcc, s18, v3
	v_cmp_lt_i32_e64 s[2:3], s30, v2
	s_nop 0
	v_cndmask_b32_e32 v3, v3, v5, vcc
	v_subrev_u32_e32 v5, s18, v3
	v_cmp_le_u32_e32 vcc, s18, v3
	s_nop 1
	v_cndmask_b32_e32 v3, v3, v5, vcc
	v_xor_b32_e32 v3, v3, v4
	v_sub_u32_e32 v3, v3, v4
	v_cmp_eq_u32_e32 vcc, 0, v3
	s_or_b64 s[2:3], vcc, s[2:3]
	s_and_saveexec_b64 s[12:13], s[2:3]
	s_cbranch_execz .LBB108_50
; %bb.52:                               ;   in Loop: Header=BB108_51 Depth=1
	s_and_saveexec_b64 s[14:15], s[0:1]
	s_cbranch_execz .LBB108_49
; %bb.53:                               ;   in Loop: Header=BB108_51 Depth=1
	global_load_dword v2, v[18:19], off
	v_cmp_eq_u32_e32 vcc, s29, v1
	s_waitcnt vmcnt(0)
	v_mad_i64_i32 v[2:3], s[2:3], v2, s28, 0
	v_lshl_add_u64 v[2:3], v[2:3], 1, v[16:17]
	global_load_dwordx4 v[2:5], v[2:3], off
	ds_read2_b64 v[10:13], v23 offset1:1
	ds_read2_b64 v[6:9], v23 offset0:2 offset1:3
	s_and_saveexec_b64 s[16:17], vcc
	s_cbranch_execz .LBB108_48
; %bb.54:                               ;   in Loop: Header=BB108_51 Depth=1
	v_add_u32_e32 v24, 1, v20
	v_cmp_gt_i32_e32 vcc, s31, v24
	v_or_b32_e32 v25, 2, v20
	v_cmp_gt_i32_e64 s[2:3], s11, v25
	s_waitcnt vmcnt(0)
	v_cndmask_b32_sdwa v24, v15, v2, vcc dst_sel:DWORD dst_unused:UNUSED_PAD src0_sel:DWORD src1_sel:WORD_1
	v_cmp_gt_i32_e32 vcc, s11, v20
	v_or_b32_e32 v25, 4, v20
	s_nop 0
	v_cndmask_b32_e32 v2, 0, v2, vcc
	v_perm_b32 v2, v24, v2, s24
	v_or_b32_e32 v24, 3, v20
	v_cmp_gt_i32_e32 vcc, s31, v24
	v_cndmask_b32_e64 v24, 0, v3, s[2:3]
	v_cmp_gt_i32_e64 s[2:3], s11, v25
	v_cndmask_b32_sdwa v3, v15, v3, vcc dst_sel:DWORD dst_unused:UNUSED_PAD src0_sel:DWORD src1_sel:WORD_1
	v_perm_b32 v3, v3, v24, s24
	v_or_b32_e32 v24, 5, v20
	v_cmp_gt_i32_e32 vcc, s31, v24
	v_cndmask_b32_e64 v24, 0, v4, s[2:3]
	v_or_b32_e32 v25, 6, v20
	v_cndmask_b32_sdwa v4, v15, v4, vcc dst_sel:DWORD dst_unused:UNUSED_PAD src0_sel:DWORD src1_sel:WORD_1
	v_perm_b32 v4, v4, v24, s24
	v_or_b32_e32 v24, 7, v20
	v_cmp_gt_i32_e32 vcc, s31, v24
	v_cmp_gt_i32_e64 s[2:3], s11, v25
	s_nop 1
	v_cndmask_b32_e64 v24, 0, v5, s[2:3]
	v_cndmask_b32_sdwa v5, v15, v5, vcc dst_sel:DWORD dst_unused:UNUSED_PAD src0_sel:DWORD src1_sel:WORD_1
	v_perm_b32 v5, v5, v24, s24
	s_branch .LBB108_48
.LBB108_55:
	s_or_b64 exec, exec, s[8:9]
.LBB108_56:
	s_or_b64 exec, exec, s[6:7]
	v_and_b32_e32 v1, 0x3c0, v0
	v_cmp_eq_u32_e64 s[0:1], 64, v1
	v_cmp_gt_u32_e64 s[2:3], 32, v21
	v_mov_b32_e32 v1, 0x50
	v_cmp_lt_u32_e32 vcc, 31, v21
	v_lshl_add_u32 v1, v21, 2, v1
	s_and_b64 s[2:3], s[0:1], s[2:3]
	s_barrier
	s_and_saveexec_b64 s[0:1], s[2:3]
; %bb.57:
	ds_write_b32 v1, v14
; %bb.58:
	s_or_b64 exec, exec, s[0:1]
	v_cmp_gt_u32_e64 s[0:1], 64, v0
	s_xor_b64 s[2:3], vcc, -1
	s_and_b64 s[2:3], s[0:1], s[2:3]
	s_waitcnt lgkmcnt(0)
	s_barrier
	s_and_saveexec_b64 s[0:1], s[2:3]
	s_cbranch_execz .LBB108_60
; %bb.59:
	ds_read_b32 v1, v1
	s_waitcnt lgkmcnt(0)
	v_add_f32_e32 v14, v14, v1
.LBB108_60:
	s_or_b64 exec, exec, s[0:1]
	v_cmp_gt_u32_e32 vcc, 64, v0
	v_cmp_gt_u32_e64 s[0:1], 32, v21
	s_and_b64 s[0:1], vcc, s[0:1]
	s_barrier
	s_and_saveexec_b64 s[2:3], s[0:1]
	s_cbranch_execz .LBB108_62
; %bb.61:
	s_mul_i32 s0, s10, s19
	s_mul_i32 s0, s0, s5
	s_lshl_b32 s0, s0, 5
	s_ashr_i32 s1, s0, 31
	s_lshl_b64 s[0:1], s[0:1], 1
	s_add_u32 s2, s22, s0
	s_mul_i32 s0, s19, s20
	s_addc_u32 s3, s23, s1
	s_ashr_i32 s1, s0, 31
	s_lshl_b64 s[0:1], s[0:1], 1
	s_add_u32 s2, s2, s0
	s_addc_u32 s3, s3, s1
	s_lshl_b32 s0, s4, 5
	s_ashr_i32 s1, s0, 31
	s_lshl_b64 s[0:1], s[0:1], 1
	s_add_u32 s0, s2, s0
	s_addc_u32 s1, s3, s1
	v_lshlrev_b32_e32 v0, 1, v21
	v_cvt_pk_bf16_f32 v1, v14, s0
	global_store_short v0, v1, s[0:1]
.LBB108_62:
	s_endpgm
	.section	.rodata,"a",@progbits
	.p2align	6, 0x0
	.amdhsa_kernel _ZN4vllm25paged_attention_v1_kernelI14__hip_bfloat16S1_Li32ELi8ELi128ELNS_18Fp8KVCacheDataTypeE0ELb1EEEvPT_PKS3_PKT0_S9_ifPKiSB_iPKfiiiSD_SD_iiiii
		.amdhsa_group_segment_fixed_size 80
		.amdhsa_private_segment_fixed_size 0
		.amdhsa_kernarg_size 384
		.amdhsa_user_sgpr_count 2
		.amdhsa_user_sgpr_dispatch_ptr 0
		.amdhsa_user_sgpr_queue_ptr 0
		.amdhsa_user_sgpr_kernarg_segment_ptr 1
		.amdhsa_user_sgpr_dispatch_id 0
		.amdhsa_user_sgpr_kernarg_preload_length 0
		.amdhsa_user_sgpr_kernarg_preload_offset 0
		.amdhsa_user_sgpr_private_segment_size 0
		.amdhsa_uses_dynamic_stack 0
		.amdhsa_enable_private_segment 0
		.amdhsa_system_sgpr_workgroup_id_x 1
		.amdhsa_system_sgpr_workgroup_id_y 1
		.amdhsa_system_sgpr_workgroup_id_z 1
		.amdhsa_system_sgpr_workgroup_info 0
		.amdhsa_system_vgpr_workitem_id 0
		.amdhsa_next_free_vgpr 32
		.amdhsa_next_free_sgpr 44
		.amdhsa_accum_offset 32
		.amdhsa_reserve_vcc 1
		.amdhsa_float_round_mode_32 0
		.amdhsa_float_round_mode_16_64 0
		.amdhsa_float_denorm_mode_32 3
		.amdhsa_float_denorm_mode_16_64 3
		.amdhsa_dx10_clamp 1
		.amdhsa_ieee_mode 1
		.amdhsa_fp16_overflow 0
		.amdhsa_tg_split 0
		.amdhsa_exception_fp_ieee_invalid_op 0
		.amdhsa_exception_fp_denorm_src 0
		.amdhsa_exception_fp_ieee_div_zero 0
		.amdhsa_exception_fp_ieee_overflow 0
		.amdhsa_exception_fp_ieee_underflow 0
		.amdhsa_exception_fp_ieee_inexact 0
		.amdhsa_exception_int_div_zero 0
	.end_amdhsa_kernel
	.section	.text._ZN4vllm25paged_attention_v1_kernelI14__hip_bfloat16S1_Li32ELi8ELi128ELNS_18Fp8KVCacheDataTypeE0ELb1EEEvPT_PKS3_PKT0_S9_ifPKiSB_iPKfiiiSD_SD_iiiii,"axG",@progbits,_ZN4vllm25paged_attention_v1_kernelI14__hip_bfloat16S1_Li32ELi8ELi128ELNS_18Fp8KVCacheDataTypeE0ELb1EEEvPT_PKS3_PKT0_S9_ifPKiSB_iPKfiiiSD_SD_iiiii,comdat
.Lfunc_end108:
	.size	_ZN4vllm25paged_attention_v1_kernelI14__hip_bfloat16S1_Li32ELi8ELi128ELNS_18Fp8KVCacheDataTypeE0ELb1EEEvPT_PKS3_PKT0_S9_ifPKiSB_iPKfiiiSD_SD_iiiii, .Lfunc_end108-_ZN4vllm25paged_attention_v1_kernelI14__hip_bfloat16S1_Li32ELi8ELi128ELNS_18Fp8KVCacheDataTypeE0ELb1EEEvPT_PKS3_PKT0_S9_ifPKiSB_iPKfiiiSD_SD_iiiii
                                        ; -- End function
	.set _ZN4vllm25paged_attention_v1_kernelI14__hip_bfloat16S1_Li32ELi8ELi128ELNS_18Fp8KVCacheDataTypeE0ELb1EEEvPT_PKS3_PKT0_S9_ifPKiSB_iPKfiiiSD_SD_iiiii.num_vgpr, 32
	.set _ZN4vllm25paged_attention_v1_kernelI14__hip_bfloat16S1_Li32ELi8ELi128ELNS_18Fp8KVCacheDataTypeE0ELb1EEEvPT_PKS3_PKT0_S9_ifPKiSB_iPKfiiiSD_SD_iiiii.num_agpr, 0
	.set _ZN4vllm25paged_attention_v1_kernelI14__hip_bfloat16S1_Li32ELi8ELi128ELNS_18Fp8KVCacheDataTypeE0ELb1EEEvPT_PKS3_PKT0_S9_ifPKiSB_iPKfiiiSD_SD_iiiii.numbered_sgpr, 44
	.set _ZN4vllm25paged_attention_v1_kernelI14__hip_bfloat16S1_Li32ELi8ELi128ELNS_18Fp8KVCacheDataTypeE0ELb1EEEvPT_PKS3_PKT0_S9_ifPKiSB_iPKfiiiSD_SD_iiiii.num_named_barrier, 0
	.set _ZN4vllm25paged_attention_v1_kernelI14__hip_bfloat16S1_Li32ELi8ELi128ELNS_18Fp8KVCacheDataTypeE0ELb1EEEvPT_PKS3_PKT0_S9_ifPKiSB_iPKfiiiSD_SD_iiiii.private_seg_size, 0
	.set _ZN4vllm25paged_attention_v1_kernelI14__hip_bfloat16S1_Li32ELi8ELi128ELNS_18Fp8KVCacheDataTypeE0ELb1EEEvPT_PKS3_PKT0_S9_ifPKiSB_iPKfiiiSD_SD_iiiii.uses_vcc, 1
	.set _ZN4vllm25paged_attention_v1_kernelI14__hip_bfloat16S1_Li32ELi8ELi128ELNS_18Fp8KVCacheDataTypeE0ELb1EEEvPT_PKS3_PKT0_S9_ifPKiSB_iPKfiiiSD_SD_iiiii.uses_flat_scratch, 0
	.set _ZN4vllm25paged_attention_v1_kernelI14__hip_bfloat16S1_Li32ELi8ELi128ELNS_18Fp8KVCacheDataTypeE0ELb1EEEvPT_PKS3_PKT0_S9_ifPKiSB_iPKfiiiSD_SD_iiiii.has_dyn_sized_stack, 0
	.set _ZN4vllm25paged_attention_v1_kernelI14__hip_bfloat16S1_Li32ELi8ELi128ELNS_18Fp8KVCacheDataTypeE0ELb1EEEvPT_PKS3_PKT0_S9_ifPKiSB_iPKfiiiSD_SD_iiiii.has_recursion, 0
	.set _ZN4vllm25paged_attention_v1_kernelI14__hip_bfloat16S1_Li32ELi8ELi128ELNS_18Fp8KVCacheDataTypeE0ELb1EEEvPT_PKS3_PKT0_S9_ifPKiSB_iPKfiiiSD_SD_iiiii.has_indirect_call, 0
	.section	.AMDGPU.csdata,"",@progbits
; Kernel info:
; codeLenInByte = 4188
; TotalNumSgprs: 50
; NumVgprs: 32
; NumAgprs: 0
; TotalNumVgprs: 32
; ScratchSize: 0
; MemoryBound: 0
; FloatMode: 240
; IeeeMode: 1
; LDSByteSize: 80 bytes/workgroup (compile time only)
; SGPRBlocks: 6
; VGPRBlocks: 3
; NumSGPRsForWavesPerEU: 50
; NumVGPRsForWavesPerEU: 32
; AccumOffset: 32
; Occupancy: 8
; WaveLimiterHint : 1
; COMPUTE_PGM_RSRC2:SCRATCH_EN: 0
; COMPUTE_PGM_RSRC2:USER_SGPR: 2
; COMPUTE_PGM_RSRC2:TRAP_HANDLER: 0
; COMPUTE_PGM_RSRC2:TGID_X_EN: 1
; COMPUTE_PGM_RSRC2:TGID_Y_EN: 1
; COMPUTE_PGM_RSRC2:TGID_Z_EN: 1
; COMPUTE_PGM_RSRC2:TIDIG_COMP_CNT: 0
; COMPUTE_PGM_RSRC3_GFX90A:ACCUM_OFFSET: 7
; COMPUTE_PGM_RSRC3_GFX90A:TG_SPLIT: 0
	.section	.text._ZN4vllm25paged_attention_v1_kernelI14__hip_bfloat16S1_Li64ELi8ELi128ELNS_18Fp8KVCacheDataTypeE0ELb1EEEvPT_PKS3_PKT0_S9_ifPKiSB_iPKfiiiSD_SD_iiiii,"axG",@progbits,_ZN4vllm25paged_attention_v1_kernelI14__hip_bfloat16S1_Li64ELi8ELi128ELNS_18Fp8KVCacheDataTypeE0ELb1EEEvPT_PKS3_PKT0_S9_ifPKiSB_iPKfiiiSD_SD_iiiii,comdat
	.protected	_ZN4vllm25paged_attention_v1_kernelI14__hip_bfloat16S1_Li64ELi8ELi128ELNS_18Fp8KVCacheDataTypeE0ELb1EEEvPT_PKS3_PKT0_S9_ifPKiSB_iPKfiiiSD_SD_iiiii ; -- Begin function _ZN4vllm25paged_attention_v1_kernelI14__hip_bfloat16S1_Li64ELi8ELi128ELNS_18Fp8KVCacheDataTypeE0ELb1EEEvPT_PKS3_PKT0_S9_ifPKiSB_iPKfiiiSD_SD_iiiii
	.globl	_ZN4vllm25paged_attention_v1_kernelI14__hip_bfloat16S1_Li64ELi8ELi128ELNS_18Fp8KVCacheDataTypeE0ELb1EEEvPT_PKS3_PKT0_S9_ifPKiSB_iPKfiiiSD_SD_iiiii
	.p2align	8
	.type	_ZN4vllm25paged_attention_v1_kernelI14__hip_bfloat16S1_Li64ELi8ELi128ELNS_18Fp8KVCacheDataTypeE0ELb1EEEvPT_PKS3_PKT0_S9_ifPKiSB_iPKfiiiSD_SD_iiiii,@function
_ZN4vllm25paged_attention_v1_kernelI14__hip_bfloat16S1_Li64ELi8ELi128ELNS_18Fp8KVCacheDataTypeE0ELb1EEEvPT_PKS3_PKT0_S9_ifPKiSB_iPKfiiiSD_SD_iiiii: ; @_ZN4vllm25paged_attention_v1_kernelI14__hip_bfloat16S1_Li64ELi8ELi128ELNS_18Fp8KVCacheDataTypeE0ELb1EEEvPT_PKS3_PKT0_S9_ifPKiSB_iPKfiiiSD_SD_iiiii
; %bb.0:
	s_load_dword s5, s[0:1], 0x80
	s_load_dwordx2 s[6:7], s[0:1], 0x30
	s_load_dwordx2 s[34:35], s[0:1], 0x20
	s_mov_b32 s20, s3
	s_ashr_i32 s21, s3, 31
	s_lshl_b64 s[8:9], s[20:21], 2
	s_waitcnt lgkmcnt(0)
	s_add_u32 s6, s6, s8
	s_addc_u32 s7, s7, s9
	s_abs_i32 s3, s34
	v_cvt_f32_u32_e32 v1, s3
	s_sub_i32 s10, 0, s3
	s_abs_i32 s9, s5
	s_xor_b32 s8, s5, s34
	v_rcp_iflag_f32_e32 v1, v1
	s_ashr_i32 s8, s8, 31
	s_mov_b32 s44, 0
	v_mul_f32_e32 v1, 0x4f7ffffe, v1
	v_cvt_u32_f32_e32 v1, v1
	s_nop 0
	v_readfirstlane_b32 s11, v1
	s_mul_i32 s10, s10, s11
	s_mul_hi_u32 s10, s11, s10
	s_add_i32 s11, s11, s10
	s_mul_hi_u32 s10, s9, s11
	s_mul_i32 s11, s10, s3
	s_sub_i32 s9, s9, s11
	s_add_i32 s11, s10, 1
	s_sub_i32 s12, s9, s3
	s_cmp_ge_u32 s9, s3
	s_cselect_b32 s10, s11, s10
	s_cselect_b32 s9, s12, s9
	s_add_i32 s11, s10, 1
	s_cmp_ge_u32 s9, s3
	s_cselect_b32 s3, s11, s10
	s_xor_b32 s3, s3, s8
	s_sub_i32 s16, s3, s8
	s_abs_i32 s10, s16
	v_cvt_f32_u32_e32 v1, s10
	s_load_dwordx2 s[8:9], s[0:1], 0x40
	s_sub_i32 s3, 0, s10
	s_abs_i32 s11, s2
	v_rcp_iflag_f32_e32 v1, v1
	s_nop 0
	v_mul_f32_e32 v1, 0x4f7ffffe, v1
	v_cvt_u32_f32_e32 v1, v1
	s_nop 0
	v_readfirstlane_b32 s12, v1
	s_mul_i32 s3, s3, s12
	s_mul_hi_u32 s3, s12, s3
	s_add_i32 s12, s12, s3
	s_waitcnt lgkmcnt(0)
	s_cmp_eq_u64 s[8:9], 0
	s_mul_hi_u32 s24, s11, s12
	s_cbranch_scc1 .LBB109_2
; %bb.1:
	s_ashr_i32 s3, s2, 31
	s_lshl_b64 s[12:13], s[2:3], 2
	s_add_u32 s8, s8, s12
	s_addc_u32 s9, s9, s13
	s_load_dword s44, s[8:9], 0x0
.LBB109_2:
	s_load_dword s21, s[6:7], 0x0
	s_load_dwordx4 s[12:15], s[0:1], 0x48
	s_ashr_i32 s25, s2, 31
	s_waitcnt lgkmcnt(0)
	s_ashr_i32 s15, s16, 31
	v_and_b32_e32 v4, 7, v0
	s_lshl_b32 s22, s2, 6
	v_cmp_gt_u32_e64 s[8:9], 64, v0
	s_and_saveexec_b64 s[6:7], s[8:9]
	s_cbranch_execz .LBB109_4
; %bb.3:
	s_load_dwordx2 s[16:17], s[0:1], 0x8
	s_mul_i32 s18, s12, s20
	s_ashr_i32 s19, s18, 31
	s_lshl_b64 s[18:19], s[18:19], 1
	v_lshlrev_b32_e32 v1, 1, v0
	s_waitcnt lgkmcnt(0)
	s_add_u32 s3, s16, s18
	s_addc_u32 s12, s17, s19
	s_ashr_i32 s23, s22, 31
	s_lshl_b64 s[16:17], s[22:23], 1
	s_add_u32 s16, s3, s16
	s_addc_u32 s17, s12, s17
	global_load_ushort v1, v1, s[16:17]
	v_lshrrev_b32_e32 v2, 2, v0
	v_and_b32_e32 v2, 0xfe, v2
	v_lshl_add_u32 v2, v4, 4, v2
	s_waitcnt vmcnt(0)
	ds_write_b16 v2, v1
.LBB109_4:
	s_or_b64 exec, exec, s[6:7]
	s_mul_i32 s7, s24, s10
	s_sub_i32 s7, s11, s7
	s_xor_b32 s6, s25, s15
	s_add_i32 s11, s24, 1
	s_sub_i32 s12, s7, s10
	s_load_dwordx4 s[16:19], s[0:1], 0x68
	s_load_dword s3, s[0:1], 0x78
	s_cmp_ge_u32 s7, s10
	s_cselect_b32 s11, s11, s24
	s_cselect_b32 s7, s12, s7
	s_add_i32 s12, s11, 1
	s_cmp_ge_u32 s7, s10
	s_cselect_b32 s7, s12, s11
	s_waitcnt lgkmcnt(0)
	s_abs_i32 s23, s19
	v_cvt_f32_u32_e32 v1, s23
	s_xor_b32 s7, s7, s6
	s_sub_i32 s10, s7, s6
	s_sub_i32 s6, 0, s23
	v_rcp_iflag_f32_e32 v1, v1
	s_add_i32 s15, s21, -1
	s_abs_i32 s11, s15
	v_mul_f32_e32 v1, 0x4f7ffffe, v1
	v_cvt_u32_f32_e32 v1, v1
	s_barrier
	v_readfirstlane_b32 s33, v1
	s_mul_i32 s6, s6, s33
	s_mul_hi_u32 s6, s33, s6
	s_add_i32 s33, s33, s6
	s_cmp_lt_i32 s3, 0
	s_mul_hi_u32 s12, s11, s33
	s_cbranch_scc0 .LBB109_6
; %bb.5:
	s_mul_i32 s6, s16, s34
	s_add_i32 s6, s10, s6
	s_mul_i32 s6, s6, s3
	s_sub_i32 s42, 1, s6
	s_mov_b64 s[6:7], 0
	s_branch .LBB109_7
.LBB109_6:
	s_mov_b64 s[6:7], -1
                                        ; implicit-def: $sgpr42
.LBB109_7:
	s_load_dwordx2 s[26:27], s[0:1], 0x28
	s_ashr_i32 s15, s15, 31
	s_andn2_b64 vcc, exec, s[6:7]
	s_ashr_i32 s19, s19, 31
	s_cbranch_vccnz .LBB109_9
; %bb.8:
	s_mul_i32 s6, s5, s16
	s_add_i32 s2, s6, s2
	s_mul_i32 s2, s2, s3
	s_add_i32 s42, s2, 1
.LBB109_9:
	s_load_dword s2, s[0:1], 0x38
	s_load_dwordx2 s[24:25], s[0:1], 0x0
	s_load_dwordx2 s[30:31], s[0:1], 0x18
	s_load_dword s16, s[0:1], 0x88
	s_xor_b32 s3, s15, s19
	s_waitcnt lgkmcnt(0)
	s_mul_i32 s28, s2, s20
	s_mul_i32 s2, s12, s23
	s_sub_i32 s2, s11, s2
	s_ashr_i32 s29, s28, 31
	s_add_i32 s6, s12, 1
	s_sub_i32 s7, s2, s23
	s_cmp_ge_u32 s2, s23
	s_cselect_b32 s6, s6, s12
	s_cselect_b32 s2, s7, s2
	s_add_i32 s7, s6, 1
	s_cmp_ge_u32 s2, s23
	s_cselect_b32 s2, s7, s6
	s_xor_b32 s2, s2, s3
	s_sub_i32 s12, s2, s3
	s_add_i32 s2, s21, 7
	s_ashr_i32 s3, s2, 31
	s_lshr_b32 s3, s3, 29
	s_add_i32 s2, s2, s3
	s_ashr_i32 s43, s2, 3
	v_lshrrev_b32_e32 v1, 6, v0
	v_cmp_gt_i32_e64 s[2:3], s43, v1
	v_mov_b32_e32 v10, 0xff7fffff
	s_mul_i32 s14, s10, s14
	v_lshrrev_b32_e32 v6, 4, v0
	v_lshlrev_b32_e32 v20, 3, v1
	v_mbcnt_lo_u32_b32 v7, -1, 0
	s_and_saveexec_b64 s[36:37], s[2:3]
	s_cbranch_execz .LBB109_21
; %bb.10:
	s_load_dwordx2 s[0:1], s[0:1], 0x10
	s_ashr_i32 s15, s14, 31
	s_sub_i32 s34, s12, s17
	s_lshl_b64 s[6:7], s[14:15], 1
	v_bfe_u32 v8, v0, 3, 3
	s_waitcnt lgkmcnt(0)
	s_add_u32 s0, s0, s6
	s_addc_u32 s1, s1, s7
	s_abs_i32 s15, s18
	v_cvt_f32_u32_e32 v2, s15
	v_lshlrev_b32_e32 v12, 4, v8
	v_mov_b32_e32 v13, 0
	s_sub_i32 s6, 0, s15
	v_rcp_iflag_f32_e32 v5, v2
	v_cmp_eq_u32_e32 vcc, 0, v4
	v_lshl_add_u64 v[2:3], s[0:1], 0, v[12:13]
	v_lshlrev_b32_e32 v12, 1, v4
	v_mul_f32_e32 v5, 0x4f7ffffe, v5
	v_cvt_u32_f32_e32 v5, v5
	v_lshlrev_b32_e32 v9, 4, v4
	v_lshl_add_u64 v[2:3], v[2:3], 0, v[12:13]
	v_and_b32_e32 v12, 60, v6
	v_mul_lo_u32 v4, s6, v5
	s_lshl_b64 s[6:7], s[28:29], 2
	s_add_u32 s6, s26, s6
	v_mul_hi_u32 v4, v5, v4
	s_addc_u32 s7, s27, s7
	v_subrev_u32_e32 v10, s21, v8
	v_add_u32_e32 v11, v5, v4
	v_lshl_add_u64 v[4:5], s[6:7], 0, v[12:13]
	v_add_u32_e32 v13, 1, v10
	v_lshlrev_b32_e32 v10, 2, v8
	v_lshl_or_b32 v10, v1, 5, v10
	v_mbcnt_hi_u32_b32 v16, -1, v7
	v_add_u32_e32 v14, 0x90, v10
	v_and_b32_e32 v10, 64, v16
	s_mov_b32 s45, s13
	v_cmp_neq_f32_e64 s[0:1], s44, 0
	v_lshlrev_b32_e32 v12, 3, v1
	v_mov_b32_e32 v15, 0xff7fffff
	s_mov_b64 s[38:39], 0
	v_add_u32_e32 v17, 64, v10
	v_xor_b32_e32 v18, 4, v16
	v_xor_b32_e32 v19, 2, v16
	;; [unrolled: 1-line block ×3, first 2 shown]
	v_mov_b32_e32 v10, 0xff7fffff
	v_mov_b32_e32 v22, v1
	s_branch .LBB109_13
.LBB109_11:                             ;   in Loop: Header=BB109_13 Depth=1
	s_or_b64 exec, exec, s[40:41]
.LBB109_12:                             ;   in Loop: Header=BB109_13 Depth=1
	s_or_b64 exec, exec, s[10:11]
	v_add_u32_e32 v22, 2, v22
	v_cmp_le_i32_e64 s[6:7], s43, v22
	v_lshl_add_u64 v[4:5], v[4:5], 0, 8
	v_add_u32_e32 v12, 16, v12
	s_or_b64 s[38:39], s[6:7], s[38:39]
	v_add_u32_e32 v14, 64, v14
	s_andn2_b64 exec, exec, s[38:39]
	s_cbranch_execz .LBB109_20
.LBB109_13:                             ; =>This Inner Loop Header: Depth=1
	v_mul_hi_u32 v23, v12, s33
	s_waitcnt lgkmcnt(0)
	v_mul_lo_u32 v24, v23, s23
	v_sub_u32_e32 v24, v12, v24
	v_add_u32_e32 v25, 1, v23
	v_cmp_le_u32_e64 s[6:7], s23, v24
	s_nop 1
	v_cndmask_b32_e64 v23, v23, v25, s[6:7]
	v_subrev_u32_e32 v25, s23, v24
	v_cndmask_b32_e64 v24, v24, v25, s[6:7]
	v_add_u32_e32 v25, 1, v23
	v_cmp_le_u32_e64 s[6:7], s23, v24
	s_nop 1
	v_cndmask_b32_e64 v23, v23, v25, s[6:7]
	v_xor_b32_e32 v23, s19, v23
	v_subrev_u32_e32 v23, s19, v23
	v_add_u32_e32 v24, s42, v23
	v_sub_u32_e32 v26, 0, v24
	v_ashrrev_i32_e32 v25, 31, v24
	v_max_i32_e32 v24, v24, v26
	v_mul_hi_u32 v26, v24, v11
	v_mul_lo_u32 v26, v26, s15
	v_sub_u32_e32 v24, v24, v26
	v_subrev_u32_e32 v26, s15, v24
	v_cmp_le_u32_e64 s[6:7], s15, v24
	v_cmp_ge_i32_e64 s[10:11], s34, v23
	s_nop 0
	v_cndmask_b32_e64 v24, v24, v26, s[6:7]
	v_subrev_u32_e32 v26, s15, v24
	v_cmp_le_u32_e64 s[6:7], s15, v24
	s_nop 1
	v_cndmask_b32_e64 v24, v24, v26, s[6:7]
	v_xor_b32_e32 v24, v24, v25
	v_sub_u32_e32 v24, v24, v25
	v_cmp_ne_u32_e64 s[6:7], 0, v24
	s_and_b64 s[6:7], s[6:7], s[10:11]
	s_and_saveexec_b64 s[10:11], s[6:7]
	s_xor_b64 s[6:7], exec, s[10:11]
	s_cbranch_execz .LBB109_17
; %bb.14:                               ;   in Loop: Header=BB109_13 Depth=1
	s_and_saveexec_b64 s[10:11], vcc
; %bb.15:                               ;   in Loop: Header=BB109_13 Depth=1
	ds_write_b32 v14, v15
; %bb.16:                               ;   in Loop: Header=BB109_13 Depth=1
	s_or_b64 exec, exec, s[10:11]
.LBB109_17:                             ;   in Loop: Header=BB109_13 Depth=1
	s_andn2_saveexec_b64 s[10:11], s[6:7]
	s_cbranch_execz .LBB109_12
; %bb.18:                               ;   in Loop: Header=BB109_13 Depth=1
	global_load_dword v23, v[4:5], off
	s_waitcnt vmcnt(0)
	v_mad_i64_i32 v[24:25], s[6:7], v23, s45, 0
	v_lshl_add_u64 v[24:25], v[24:25], 1, v[2:3]
	global_load_ushort v23, v[24:25], off
	global_load_ushort v28, v[24:25], off offset:128
	global_load_ushort v29, v[24:25], off offset:256
	;; [unrolled: 1-line block ×7, first 2 shown]
	ds_read_b128 v[24:27], v9
	v_cmp_lt_i32_e64 s[6:7], v18, v17
	s_waitcnt lgkmcnt(0)
	v_lshlrev_b32_e32 v36, 16, v24
	v_and_b32_e32 v24, 0xffff0000, v24
	v_lshlrev_b32_e32 v37, 16, v25
	v_and_b32_e32 v25, 0xffff0000, v25
	v_lshlrev_b32_e32 v38, 16, v26
	v_and_b32_e32 v26, 0xffff0000, v26
	v_lshlrev_b32_e32 v39, 16, v27
	v_cndmask_b32_e64 v35, v16, v18, s[6:7]
	v_and_b32_e32 v27, 0xffff0000, v27
	v_lshlrev_b32_e32 v35, 2, v35
	v_cmp_lt_i32_e64 s[6:7], v19, v17
	s_waitcnt vmcnt(7)
	v_lshlrev_b32_e32 v23, 16, v23
	s_waitcnt vmcnt(6)
	v_lshlrev_b32_e32 v28, 16, v28
	v_mul_f32_e32 v24, v24, v28
	s_waitcnt vmcnt(5)
	v_lshlrev_b32_e32 v29, 16, v29
	v_fmac_f32_e32 v24, v36, v23
	s_waitcnt vmcnt(4)
	v_lshlrev_b32_e32 v30, 16, v30
	v_fmac_f32_e32 v24, v37, v29
	;; [unrolled: 3-line block ×5, first 2 shown]
	v_fmac_f32_e32 v24, v39, v33
	s_waitcnt vmcnt(0)
	v_lshlrev_b32_e32 v23, 16, v34
	v_fmac_f32_e32 v24, v27, v23
	ds_bpermute_b32 v23, v35, v24
	v_cndmask_b32_e64 v25, v16, v19, s[6:7]
	v_lshlrev_b32_e32 v25, 2, v25
	v_cmp_lt_i32_e64 s[6:7], v21, v17
	s_waitcnt lgkmcnt(0)
	v_add_f32_e32 v23, v24, v23
	ds_bpermute_b32 v24, v25, v23
	v_cndmask_b32_e64 v25, v16, v21, s[6:7]
	v_lshlrev_b32_e32 v25, 2, v25
	s_waitcnt lgkmcnt(0)
	v_add_f32_e32 v23, v23, v24
	ds_bpermute_b32 v24, v25, v23
	s_and_saveexec_b64 s[40:41], vcc
	s_cbranch_execz .LBB109_11
; %bb.19:                               ;   in Loop: Header=BB109_13 Depth=1
	v_add_u32_e32 v25, v13, v12
	v_cvt_f32_i32_e32 v25, v25
	s_waitcnt lgkmcnt(0)
	v_add_f32_e32 v23, v23, v24
	v_add_u32_e32 v26, v8, v12
	v_cmp_gt_i32_e64 s[6:7], s21, v26
	v_mul_f32_e32 v24, s44, v25
	v_cndmask_b32_e64 v24, 0, v24, s[0:1]
	v_fmac_f32_e32 v24, s35, v23
	v_cndmask_b32_e64 v23, 0, v24, s[6:7]
	ds_write_b32 v14, v23
	v_max_f32_e32 v23, v10, v10
	v_max_f32_e32 v23, v23, v24
	v_cndmask_b32_e64 v10, v10, v23, s[6:7]
	s_branch .LBB109_11
.LBB109_20:
	s_or_b64 exec, exec, s[38:39]
.LBB109_21:
	s_or_b64 exec, exec, s[36:37]
	v_mbcnt_hi_u32_b32 v2, -1, v7
	v_and_b32_e32 v11, 64, v2
	v_add_u32_e32 v3, 64, v11
	v_xor_b32_e32 v4, 32, v2
	v_cmp_lt_i32_e32 vcc, v4, v3
	v_xor_b32_e32 v8, 16, v2
	v_max_f32_e32 v7, v10, v10
	v_cndmask_b32_e32 v4, v2, v4, vcc
	v_lshlrev_b32_e32 v5, 2, v4
	ds_bpermute_b32 v4, v5, v10
	v_cmp_lt_i32_e32 vcc, v8, v3
	v_xor_b32_e32 v9, 8, v2
	v_and_b32_e32 v21, 63, v0
	s_waitcnt lgkmcnt(0)
	v_max_f32_e32 v4, v4, v4
	v_max_f32_e32 v4, v7, v4
	v_cndmask_b32_e32 v7, v2, v8, vcc
	v_lshlrev_b32_e32 v8, 2, v7
	ds_bpermute_b32 v7, v8, v4
	v_cmp_lt_i32_e32 vcc, v9, v3
	s_waitcnt lgkmcnt(0)
	v_max_f32_e32 v7, v7, v7
	v_max_f32_e32 v7, v4, v7
	v_cndmask_b32_e32 v4, v2, v9, vcc
	v_lshlrev_b32_e32 v10, 2, v4
	ds_bpermute_b32 v9, v10, v7
	v_cmp_eq_u32_e32 vcc, 0, v21
	v_lshlrev_b32_e32 v4, 2, v1
	s_and_saveexec_b64 s[0:1], vcc
	s_cbranch_execz .LBB109_23
; %bb.22:
	s_waitcnt lgkmcnt(0)
	v_max_f32_e32 v9, v9, v9
	v_max_f32_e32 v7, v7, v7
	;; [unrolled: 1-line block ×3, first 2 shown]
	ds_write_b32 v4, v7 offset:128
.LBB109_23:
	s_or_b64 exec, exec, s[0:1]
	v_cmp_gt_u32_e64 s[0:1], 2, v21
	v_mov_b32_e32 v12, 0xff7fffff
	v_lshlrev_b32_e32 v7, 2, v21
	s_waitcnt lgkmcnt(0)
	s_barrier
	s_and_saveexec_b64 s[6:7], s[0:1]
; %bb.24:
	ds_read_b32 v12, v7 offset:128
; %bb.25:
	s_or_b64 exec, exec, s[6:7]
	v_xor_b32_e32 v9, 1, v2
	v_cmp_lt_i32_e64 s[6:7], v9, v3
	v_lshlrev_b32_e32 v11, 2, v11
	s_nop 0
	v_cndmask_b32_e64 v9, v2, v9, s[6:7]
	v_lshlrev_b32_e32 v9, 2, v9
	s_waitcnt lgkmcnt(0)
	ds_bpermute_b32 v13, v9, v12
	v_max_f32_e32 v12, v12, v12
	s_lshl_b32 s6, s43, 3
	s_min_i32 s15, s6, s21
	v_cmp_gt_i32_e64 s[6:7], s15, v0
	s_waitcnt lgkmcnt(0)
	v_max_f32_e32 v13, v13, v13
	v_max_f32_e32 v12, v12, v13
	ds_bpermute_b32 v12, v11, v12
	v_mov_b32_e32 v11, 0
	s_and_saveexec_b64 s[34:35], s[6:7]
	s_cbranch_execz .LBB109_29
; %bb.26:
	v_mov_b32_e32 v11, 0x90
	v_lshl_add_u32 v13, v0, 2, v11
	v_mov_b32_e32 v11, 0
	s_mov_b64 s[36:37], 0
	v_mov_b32_e32 v14, v0
.LBB109_27:                             ; =>This Inner Loop Header: Depth=1
	ds_read_b32 v15, v13
	v_add_u32_e32 v14, 0x80, v14
	v_cmp_le_i32_e64 s[10:11], s15, v14
	s_or_b64 s[36:37], s[10:11], s[36:37]
	s_waitcnt lgkmcnt(0)
	v_sub_f32_e32 v15, v15, v12
	v_mul_f32_e32 v15, 0x3fb8aa3b, v15
	v_exp_f32_e32 v15, v15
	ds_write_b32 v13, v15
	v_add_f32_e32 v11, v11, v15
	v_add_u32_e32 v13, 0x200, v13
	s_andn2_b64 exec, exec, s[36:37]
	s_cbranch_execnz .LBB109_27
; %bb.28:
	s_or_b64 exec, exec, s[36:37]
.LBB109_29:
	s_or_b64 exec, exec, s[34:35]
	ds_bpermute_b32 v5, v5, v11
	s_waitcnt lgkmcnt(0)
	v_add_f32_e32 v5, v11, v5
	ds_bpermute_b32 v8, v8, v5
	s_waitcnt lgkmcnt(0)
	v_add_f32_e32 v5, v5, v8
	ds_bpermute_b32 v8, v10, v5
	v_xor_b32_e32 v10, 4, v2
	v_cmp_lt_i32_e64 s[10:11], v10, v3
	s_waitcnt lgkmcnt(0)
	v_add_f32_e32 v5, v5, v8
	v_cndmask_b32_e64 v10, v2, v10, s[10:11]
	v_lshlrev_b32_e32 v10, 2, v10
	ds_bpermute_b32 v8, v10, v5
	v_xor_b32_e32 v10, 2, v2
	v_cmp_lt_i32_e64 s[10:11], v10, v3
	s_waitcnt lgkmcnt(0)
	v_add_f32_e32 v5, v5, v8
	v_cndmask_b32_e64 v3, v2, v10, s[10:11]
	v_lshlrev_b32_e32 v3, 2, v3
	ds_bpermute_b32 v3, v3, v5
	s_waitcnt lgkmcnt(0)
	v_add_f32_e32 v3, v5, v3
	ds_bpermute_b32 v5, v9, v3
	s_waitcnt lgkmcnt(0)
	v_add_f32_e32 v3, v3, v5
	s_and_saveexec_b64 s[10:11], vcc
; %bb.30:
	ds_write_b32 v4, v3 offset:136
; %bb.31:
	s_or_b64 exec, exec, s[10:11]
	s_waitcnt lgkmcnt(0)
	s_barrier
	s_and_saveexec_b64 s[10:11], s[0:1]
; %bb.32:
	ds_read_b32 v3, v7 offset:136
; %bb.33:
	s_or_b64 exec, exec, s[10:11]
	s_waitcnt lgkmcnt(0)
	ds_bpermute_b32 v4, v9, v3
	v_lshlrev_b32_e32 v2, 2, v2
	v_and_b32_e32 v2, 0x100, v2
	s_waitcnt lgkmcnt(0)
	v_add_f32_e32 v3, v3, v4
	ds_bpermute_b32 v2, v2, v3
	s_and_saveexec_b64 s[0:1], s[6:7]
	s_cbranch_execz .LBB109_46
; %bb.34:
	s_waitcnt lgkmcnt(0)
	v_add_f32_e32 v2, 0x358637bd, v2
	v_div_scale_f32 v3, s[6:7], v2, v2, 1.0
	v_rcp_f32_e32 v4, v3
	v_div_scale_f32 v5, vcc, 1.0, v2, 1.0
	s_movk_i32 s6, 0x7f
	v_fma_f32 v7, -v3, v4, 1.0
	v_fmac_f32_e32 v4, v7, v4
	v_mul_f32_e32 v7, v5, v4
	v_fma_f32 v8, -v3, v7, v5
	v_fmac_f32_e32 v7, v8, v4
	v_fma_f32 v3, -v3, v7, v5
	v_div_fmas_f32 v3, v3, v4, v7
	v_xad_u32 v4, v0, -1, s15
	v_div_fixup_f32 v2, v3, v2, 1.0
	v_cmp_lt_u32_e32 vcc, s6, v4
	s_mov_b64 s[10:11], -1
	v_mov_b32_e32 v3, v0
	s_and_saveexec_b64 s[6:7], vcc
	s_cbranch_execz .LBB109_43
; %bb.35:
	v_lshrrev_b32_e32 v4, 7, v4
	v_add_u32_e32 v7, -1, v4
	v_lshrrev_b32_e32 v5, 1, v7
	v_mov_b32_e32 v3, v2
	v_add_u32_e32 v5, 1, v5
	v_cmp_lt_u32_e32 vcc, 13, v7
	v_mov_b32_e32 v9, 0
	s_and_saveexec_b64 s[10:11], vcc
	s_cbranch_execz .LBB109_39
; %bb.36:
	v_mov_b32_e32 v8, 0x90
	v_and_b32_e32 v7, -8, v5
	v_lshl_add_u32 v8, v0, 2, v8
	s_mov_b32 s36, 0
	s_mov_b64 s[34:35], 0
.LBB109_37:                             ; =>This Inner Loop Header: Depth=1
	ds_read2st64_b32 v[10:11], v8 offset1:2
	ds_read2st64_b32 v[12:13], v8 offset0:4 offset1:6
	ds_read2st64_b32 v[14:15], v8 offset0:8 offset1:10
	;; [unrolled: 1-line block ×3, first 2 shown]
	v_add_u32_e32 v7, -8, v7
	s_waitcnt lgkmcnt(3)
	v_pk_mul_f32 v[10:11], v[2:3], v[10:11]
	s_waitcnt lgkmcnt(2)
	v_pk_mul_f32 v[12:13], v[2:3], v[12:13]
	ds_write2st64_b32 v8, v10, v11 offset1:2
	ds_write2st64_b32 v8, v12, v13 offset0:4 offset1:6
	ds_read2st64_b32 v[12:13], v8 offset0:16 offset1:18
	s_waitcnt lgkmcnt(4)
	v_pk_mul_f32 v[10:11], v[2:3], v[14:15]
	ds_write2st64_b32 v8, v10, v11 offset0:8 offset1:10
	s_waitcnt lgkmcnt(4)
	v_pk_mul_f32 v[10:11], v[2:3], v[16:17]
	ds_write2st64_b32 v8, v10, v11 offset0:12 offset1:14
	ds_read2st64_b32 v[10:11], v8 offset0:20 offset1:22
	s_waitcnt lgkmcnt(3)
	v_pk_mul_f32 v[12:13], v[2:3], v[12:13]
	ds_read2st64_b32 v[14:15], v8 offset0:24 offset1:26
	ds_write2st64_b32 v8, v12, v13 offset0:16 offset1:18
	ds_read2st64_b32 v[12:13], v8 offset0:28 offset1:30
	s_waitcnt lgkmcnt(3)
	v_pk_mul_f32 v[10:11], v[2:3], v[10:11]
	ds_write2st64_b32 v8, v10, v11 offset0:20 offset1:22
	s_waitcnt lgkmcnt(3)
	v_pk_mul_f32 v[10:11], v[2:3], v[14:15]
	ds_write2st64_b32 v8, v10, v11 offset0:24 offset1:26
	s_waitcnt lgkmcnt(2)
	v_pk_mul_f32 v[10:11], v[2:3], v[12:13]
	s_add_i32 s36, s36, 16
	v_cmp_eq_u32_e32 vcc, 0, v7
	ds_write2st64_b32 v8, v10, v11 offset0:28 offset1:30
	v_add_u32_e32 v8, 0x2000, v8
	s_or_b64 s[34:35], vcc, s[34:35]
	v_mov_b32_e32 v9, s36
	s_andn2_b64 exec, exec, s[34:35]
	s_cbranch_execnz .LBB109_37
; %bb.38:
	s_or_b64 exec, exec, s[34:35]
.LBB109_39:
	s_or_b64 exec, exec, s[10:11]
	v_and_b32_e32 v5, 7, v5
	v_cmp_ne_u32_e32 vcc, 0, v5
	s_and_saveexec_b64 s[10:11], vcc
	s_cbranch_execz .LBB109_42
; %bb.40:
	v_lshlrev_b32_e32 v7, 9, v9
	v_lshlrev_b32_e32 v8, 2, v0
	s_movk_i32 s34, 0x90
	v_add3_u32 v7, v7, v8, s34
	s_mov_b64 s[34:35], 0
.LBB109_41:                             ; =>This Inner Loop Header: Depth=1
	ds_read2st64_b32 v[8:9], v7 offset1:2
	v_add_u32_e32 v5, -1, v5
	v_cmp_eq_u32_e32 vcc, 0, v5
	s_or_b64 s[34:35], vcc, s[34:35]
	s_waitcnt lgkmcnt(0)
	v_pk_mul_f32 v[8:9], v[2:3], v[8:9]
	ds_write2st64_b32 v7, v8, v9 offset1:2
	v_add_u32_e32 v7, 0x400, v7
	s_andn2_b64 exec, exec, s[34:35]
	s_cbranch_execnz .LBB109_41
.LBB109_42:
	s_or_b64 exec, exec, s[10:11]
	v_add_u32_e32 v4, 1, v4
	v_and_b32_e32 v5, 0x3fffffe, v4
	v_cmp_ne_u32_e32 vcc, v4, v5
	v_lshl_add_u32 v3, v5, 7, v0
	s_orn2_b64 s[10:11], vcc, exec
.LBB109_43:
	s_or_b64 exec, exec, s[6:7]
	s_and_b64 exec, exec, s[10:11]
	s_cbranch_execz .LBB109_46
; %bb.44:
	v_mov_b32_e32 v4, 0x90
	v_lshl_add_u32 v4, v3, 2, v4
	s_mov_b64 s[6:7], 0
.LBB109_45:                             ; =>This Inner Loop Header: Depth=1
	ds_read_b32 v5, v4
	v_add_u32_e32 v3, 0x80, v3
	v_cmp_le_i32_e32 vcc, s15, v3
	s_or_b64 s[6:7], vcc, s[6:7]
	s_waitcnt lgkmcnt(0)
	v_mul_f32_e32 v5, v2, v5
	ds_write_b32 v4, v5
	v_add_u32_e32 v4, 0x200, v4
	s_andn2_b64 exec, exec, s[6:7]
	s_cbranch_execnz .LBB109_45
.LBB109_46:
	s_or_b64 exec, exec, s[0:1]
	v_mov_b32_e32 v14, 0
	s_waitcnt lgkmcnt(0)
	s_barrier
	s_and_saveexec_b64 s[6:7], s[2:3]
	s_cbranch_execz .LBB109_54
; %bb.47:
	s_ashr_i32 s15, s14, 31
	s_sub_i32 s17, s12, s17
	s_lshl_b64 s[0:1], s[14:15], 1
	s_add_u32 s0, s30, s0
	s_addc_u32 s1, s31, s1
	s_abs_i32 s14, s18
	v_cvt_f32_u32_e32 v2, s14
	v_lshlrev_b32_e32 v14, 4, v21
	v_mov_b32_e32 v15, 0
	v_lshl_add_u64 v[16:17], s[0:1], 0, v[14:15]
	v_rcp_iflag_f32_e32 v2, v2
	s_sub_i32 s0, 0, s14
	s_add_i32 s30, s43, -1
	v_and_b32_e32 v14, 60, v6
	v_mul_f32_e32 v2, 0x4f7ffffe, v2
	v_cvt_u32_f32_e32 v2, v2
	s_mov_b32 s15, s13
	s_mov_b32 s18, s21
	s_mov_b64 s[2:3], 0
	v_mul_lo_u32 v3, s0, v2
	s_lshl_b64 s[0:1], s[28:29], 2
	v_mul_hi_u32 v3, v2, v3
	s_add_u32 s0, s26, s0
	v_add_u32_e32 v22, v2, v3
	s_addc_u32 s1, s27, s1
	v_mov_b32_e32 v2, 0x90
	v_lshl_add_u64 v[18:19], s[0:1], 0, v[14:15]
	v_lshl_add_u32 v23, v1, 5, v2
	s_mov_b32 s26, 0x5040100
	v_mov_b32_e32 v14, 0
	s_branch .LBB109_50
.LBB109_48:                             ;   in Loop: Header=BB109_50 Depth=1
	s_or_b64 exec, exec, s[12:13]
	s_waitcnt lgkmcnt(1)
	v_cvt_pk_bf16_f32 v10, v10, s0
	v_cvt_pk_bf16_f32 v11, v11, s0
	;; [unrolled: 1-line block ×4, first 2 shown]
	s_waitcnt vmcnt(0)
	v_and_b32_e32 v24, 0xffff0000, v2
	v_lshlrev_b32_e32 v2, 16, v2
	v_lshlrev_b32_e32 v10, 16, v10
	s_waitcnt lgkmcnt(0)
	v_cvt_pk_bf16_f32 v6, v6, s0
	v_cvt_pk_bf16_f32 v7, v7, s0
	v_lshlrev_b32_e32 v11, 16, v11
	v_mul_f32_e32 v2, v10, v2
	v_and_b32_e32 v10, 0xffff0000, v3
	v_lshlrev_b32_e32 v13, 16, v13
	v_lshlrev_b32_e32 v3, 16, v3
	;; [unrolled: 1-line block ×3, first 2 shown]
	v_cvt_pk_bf16_f32 v8, v8, s0
	v_cvt_pk_bf16_f32 v9, v9, s0
	v_mul_f32_e32 v11, v11, v24
	v_mul_f32_e32 v10, v13, v10
	;; [unrolled: 1-line block ×3, first 2 shown]
	v_and_b32_e32 v12, 0xffff0000, v4
	v_lshlrev_b32_e32 v7, 16, v7
	v_lshlrev_b32_e32 v4, 16, v4
	;; [unrolled: 1-line block ×3, first 2 shown]
	v_cvt_pk_bf16_f32 v11, v11, s0
	v_cvt_pk_bf16_f32 v2, v2, s0
	;; [unrolled: 1-line block ×4, first 2 shown]
	v_mul_f32_e32 v7, v7, v12
	v_mul_f32_e32 v4, v6, v4
	v_and_b32_e32 v6, 0xffff0000, v5
	v_lshlrev_b32_e32 v9, 16, v9
	v_lshlrev_b32_e32 v5, 16, v5
	;; [unrolled: 1-line block ×3, first 2 shown]
	v_cvt_pk_bf16_f32 v7, v7, s0
	v_cvt_pk_bf16_f32 v4, v4, s0
	v_mul_f32_e32 v6, v9, v6
	v_mul_f32_e32 v5, v8, v5
	v_lshlrev_b32_e32 v2, 16, v2
	v_lshlrev_b32_e32 v8, 16, v11
	;; [unrolled: 1-line block ×4, first 2 shown]
	v_cvt_pk_bf16_f32 v6, v6, s0
	v_cvt_pk_bf16_f32 v5, v5, s0
	v_lshlrev_b32_e32 v4, 16, v4
	v_lshlrev_b32_e32 v7, 16, v7
	v_add_f32_e32 v2, v8, v2
	v_add_f32_e32 v3, v9, v3
	v_lshlrev_b32_e32 v5, 16, v5
	v_lshlrev_b32_e32 v6, 16, v6
	v_add_f32_e32 v2, v3, v2
	v_add_f32_e32 v3, v7, v4
	;; [unrolled: 1-line block ×6, first 2 shown]
.LBB109_49:                             ;   in Loop: Header=BB109_50 Depth=1
	s_or_b64 exec, exec, s[10:11]
	v_add_u32_e32 v1, 2, v1
	v_cmp_le_i32_e32 vcc, s43, v1
	v_lshl_add_u64 v[18:19], v[18:19], 0, 8
	v_add_u32_e32 v20, 16, v20
	s_or_b64 s[2:3], vcc, s[2:3]
	v_add_u32_e32 v23, 64, v23
	s_andn2_b64 exec, exec, s[2:3]
	s_cbranch_execz .LBB109_53
.LBB109_50:                             ; =>This Inner Loop Header: Depth=1
	v_mul_hi_u32 v2, v20, s33
	v_mul_lo_u32 v3, v2, s23
	v_sub_u32_e32 v3, v20, v3
	v_add_u32_e32 v4, 1, v2
	v_cmp_le_u32_e32 vcc, s23, v3
	s_nop 1
	v_cndmask_b32_e32 v2, v2, v4, vcc
	v_subrev_u32_e32 v4, s23, v3
	v_cndmask_b32_e32 v3, v3, v4, vcc
	v_add_u32_e32 v4, 1, v2
	v_cmp_le_u32_e32 vcc, s23, v3
	s_nop 1
	v_cndmask_b32_e32 v2, v2, v4, vcc
	v_xor_b32_e32 v2, s19, v2
	v_subrev_u32_e32 v2, s19, v2
	v_add_u32_e32 v3, s42, v2
	v_sub_u32_e32 v5, 0, v3
	v_ashrrev_i32_e32 v4, 31, v3
	v_max_i32_e32 v3, v3, v5
	v_mul_hi_u32 v5, v3, v22
	v_mul_lo_u32 v5, v5, s14
	v_sub_u32_e32 v3, v3, v5
	v_subrev_u32_e32 v5, s14, v3
	v_cmp_le_u32_e32 vcc, s14, v3
	v_cmp_lt_i32_e64 s[0:1], s17, v2
	s_nop 0
	v_cndmask_b32_e32 v3, v3, v5, vcc
	v_subrev_u32_e32 v5, s14, v3
	v_cmp_le_u32_e32 vcc, s14, v3
	s_nop 1
	v_cndmask_b32_e32 v3, v3, v5, vcc
	v_xor_b32_e32 v3, v3, v4
	v_sub_u32_e32 v3, v3, v4
	v_cmp_eq_u32_e32 vcc, 0, v3
	s_or_b64 s[0:1], vcc, s[0:1]
	s_and_saveexec_b64 s[10:11], s[0:1]
	s_cbranch_execz .LBB109_49
; %bb.51:                               ;   in Loop: Header=BB109_50 Depth=1
	global_load_dword v2, v[18:19], off
	v_cmp_eq_u32_e32 vcc, s30, v1
	s_waitcnt vmcnt(0)
	v_mad_i64_i32 v[2:3], s[0:1], v2, s15, 0
	v_lshl_add_u64 v[2:3], v[2:3], 1, v[16:17]
	global_load_dwordx4 v[2:5], v[2:3], off
	ds_read2_b64 v[10:13], v23 offset1:1
	ds_read2_b64 v[6:9], v23 offset0:2 offset1:3
	s_and_saveexec_b64 s[12:13], vcc
	s_cbranch_execz .LBB109_48
; %bb.52:                               ;   in Loop: Header=BB109_50 Depth=1
	v_add_u32_e32 v24, 1, v20
	v_cmp_gt_i32_e32 vcc, s18, v24
	v_or_b32_e32 v25, 2, v20
	v_cmp_gt_i32_e64 s[0:1], s21, v25
	s_waitcnt vmcnt(0)
	v_cndmask_b32_sdwa v24, v15, v2, vcc dst_sel:DWORD dst_unused:UNUSED_PAD src0_sel:DWORD src1_sel:WORD_1
	v_cmp_gt_i32_e32 vcc, s21, v20
	v_or_b32_e32 v25, 4, v20
	s_nop 0
	v_cndmask_b32_e32 v2, 0, v2, vcc
	v_perm_b32 v2, v24, v2, s26
	v_or_b32_e32 v24, 3, v20
	v_cmp_gt_i32_e32 vcc, s18, v24
	v_cndmask_b32_e64 v24, 0, v3, s[0:1]
	v_cmp_gt_i32_e64 s[0:1], s21, v25
	v_cndmask_b32_sdwa v3, v15, v3, vcc dst_sel:DWORD dst_unused:UNUSED_PAD src0_sel:DWORD src1_sel:WORD_1
	v_perm_b32 v3, v3, v24, s26
	v_or_b32_e32 v24, 5, v20
	v_cmp_gt_i32_e32 vcc, s18, v24
	v_cndmask_b32_e64 v24, 0, v4, s[0:1]
	v_or_b32_e32 v25, 6, v20
	v_cndmask_b32_sdwa v4, v15, v4, vcc dst_sel:DWORD dst_unused:UNUSED_PAD src0_sel:DWORD src1_sel:WORD_1
	v_perm_b32 v4, v4, v24, s26
	v_or_b32_e32 v24, 7, v20
	v_cmp_gt_i32_e32 vcc, s18, v24
	v_cmp_gt_i32_e64 s[0:1], s21, v25
	s_nop 1
	v_cndmask_b32_e64 v24, 0, v5, s[0:1]
	v_cndmask_b32_sdwa v5, v15, v5, vcc dst_sel:DWORD dst_unused:UNUSED_PAD src0_sel:DWORD src1_sel:WORD_1
	v_perm_b32 v5, v5, v24, s26
	s_branch .LBB109_48
.LBB109_53:
	s_or_b64 exec, exec, s[2:3]
.LBB109_54:
	s_or_b64 exec, exec, s[6:7]
	v_and_b32_e32 v0, 0x3c0, v0
	v_cmp_eq_u32_e32 vcc, 64, v0
	v_mov_b32_e32 v0, 0x90
	v_lshl_add_u32 v0, v21, 2, v0
	s_barrier
	s_and_saveexec_b64 s[0:1], vcc
; %bb.55:
	ds_write_b32 v0, v14
; %bb.56:
	s_or_b64 exec, exec, s[0:1]
	s_waitcnt lgkmcnt(0)
	s_barrier
	s_and_saveexec_b64 s[0:1], s[8:9]
	s_cbranch_execz .LBB109_58
; %bb.57:
	ds_read_b32 v0, v0
	s_waitcnt lgkmcnt(0)
	v_add_f32_e32 v14, v14, v0
.LBB109_58:
	s_or_b64 exec, exec, s[0:1]
	s_barrier
	s_and_saveexec_b64 s[0:1], s[8:9]
	s_cbranch_execz .LBB109_60
; %bb.59:
	s_mul_i32 s0, s20, s16
	s_mul_i32 s0, s0, s5
	s_lshl_b32 s0, s0, 6
	s_ashr_i32 s1, s0, 31
	s_lshl_b64 s[0:1], s[0:1], 1
	s_add_u32 s2, s24, s0
	s_mul_i32 s0, s16, s22
	s_addc_u32 s3, s25, s1
	s_ashr_i32 s1, s0, 31
	s_lshl_b64 s[0:1], s[0:1], 1
	s_add_u32 s2, s2, s0
	s_addc_u32 s3, s3, s1
	s_lshl_b32 s0, s4, 6
	s_ashr_i32 s1, s0, 31
	s_lshl_b64 s[0:1], s[0:1], 1
	s_add_u32 s0, s2, s0
	s_addc_u32 s1, s3, s1
	v_lshlrev_b32_e32 v0, 1, v21
	v_cvt_pk_bf16_f32 v1, v14, s0
	global_store_short v0, v1, s[0:1]
.LBB109_60:
	s_endpgm
	.section	.rodata,"a",@progbits
	.p2align	6, 0x0
	.amdhsa_kernel _ZN4vllm25paged_attention_v1_kernelI14__hip_bfloat16S1_Li64ELi8ELi128ELNS_18Fp8KVCacheDataTypeE0ELb1EEEvPT_PKS3_PKT0_S9_ifPKiSB_iPKfiiiSD_SD_iiiii
		.amdhsa_group_segment_fixed_size 144
		.amdhsa_private_segment_fixed_size 0
		.amdhsa_kernarg_size 384
		.amdhsa_user_sgpr_count 2
		.amdhsa_user_sgpr_dispatch_ptr 0
		.amdhsa_user_sgpr_queue_ptr 0
		.amdhsa_user_sgpr_kernarg_segment_ptr 1
		.amdhsa_user_sgpr_dispatch_id 0
		.amdhsa_user_sgpr_kernarg_preload_length 0
		.amdhsa_user_sgpr_kernarg_preload_offset 0
		.amdhsa_user_sgpr_private_segment_size 0
		.amdhsa_uses_dynamic_stack 0
		.amdhsa_enable_private_segment 0
		.amdhsa_system_sgpr_workgroup_id_x 1
		.amdhsa_system_sgpr_workgroup_id_y 1
		.amdhsa_system_sgpr_workgroup_id_z 1
		.amdhsa_system_sgpr_workgroup_info 0
		.amdhsa_system_vgpr_workitem_id 0
		.amdhsa_next_free_vgpr 40
		.amdhsa_next_free_sgpr 46
		.amdhsa_accum_offset 40
		.amdhsa_reserve_vcc 1
		.amdhsa_float_round_mode_32 0
		.amdhsa_float_round_mode_16_64 0
		.amdhsa_float_denorm_mode_32 3
		.amdhsa_float_denorm_mode_16_64 3
		.amdhsa_dx10_clamp 1
		.amdhsa_ieee_mode 1
		.amdhsa_fp16_overflow 0
		.amdhsa_tg_split 0
		.amdhsa_exception_fp_ieee_invalid_op 0
		.amdhsa_exception_fp_denorm_src 0
		.amdhsa_exception_fp_ieee_div_zero 0
		.amdhsa_exception_fp_ieee_overflow 0
		.amdhsa_exception_fp_ieee_underflow 0
		.amdhsa_exception_fp_ieee_inexact 0
		.amdhsa_exception_int_div_zero 0
	.end_amdhsa_kernel
	.section	.text._ZN4vllm25paged_attention_v1_kernelI14__hip_bfloat16S1_Li64ELi8ELi128ELNS_18Fp8KVCacheDataTypeE0ELb1EEEvPT_PKS3_PKT0_S9_ifPKiSB_iPKfiiiSD_SD_iiiii,"axG",@progbits,_ZN4vllm25paged_attention_v1_kernelI14__hip_bfloat16S1_Li64ELi8ELi128ELNS_18Fp8KVCacheDataTypeE0ELb1EEEvPT_PKS3_PKT0_S9_ifPKiSB_iPKfiiiSD_SD_iiiii,comdat
.Lfunc_end109:
	.size	_ZN4vllm25paged_attention_v1_kernelI14__hip_bfloat16S1_Li64ELi8ELi128ELNS_18Fp8KVCacheDataTypeE0ELb1EEEvPT_PKS3_PKT0_S9_ifPKiSB_iPKfiiiSD_SD_iiiii, .Lfunc_end109-_ZN4vllm25paged_attention_v1_kernelI14__hip_bfloat16S1_Li64ELi8ELi128ELNS_18Fp8KVCacheDataTypeE0ELb1EEEvPT_PKS3_PKT0_S9_ifPKiSB_iPKfiiiSD_SD_iiiii
                                        ; -- End function
	.set _ZN4vllm25paged_attention_v1_kernelI14__hip_bfloat16S1_Li64ELi8ELi128ELNS_18Fp8KVCacheDataTypeE0ELb1EEEvPT_PKS3_PKT0_S9_ifPKiSB_iPKfiiiSD_SD_iiiii.num_vgpr, 40
	.set _ZN4vllm25paged_attention_v1_kernelI14__hip_bfloat16S1_Li64ELi8ELi128ELNS_18Fp8KVCacheDataTypeE0ELb1EEEvPT_PKS3_PKT0_S9_ifPKiSB_iPKfiiiSD_SD_iiiii.num_agpr, 0
	.set _ZN4vllm25paged_attention_v1_kernelI14__hip_bfloat16S1_Li64ELi8ELi128ELNS_18Fp8KVCacheDataTypeE0ELb1EEEvPT_PKS3_PKT0_S9_ifPKiSB_iPKfiiiSD_SD_iiiii.numbered_sgpr, 46
	.set _ZN4vllm25paged_attention_v1_kernelI14__hip_bfloat16S1_Li64ELi8ELi128ELNS_18Fp8KVCacheDataTypeE0ELb1EEEvPT_PKS3_PKT0_S9_ifPKiSB_iPKfiiiSD_SD_iiiii.num_named_barrier, 0
	.set _ZN4vllm25paged_attention_v1_kernelI14__hip_bfloat16S1_Li64ELi8ELi128ELNS_18Fp8KVCacheDataTypeE0ELb1EEEvPT_PKS3_PKT0_S9_ifPKiSB_iPKfiiiSD_SD_iiiii.private_seg_size, 0
	.set _ZN4vllm25paged_attention_v1_kernelI14__hip_bfloat16S1_Li64ELi8ELi128ELNS_18Fp8KVCacheDataTypeE0ELb1EEEvPT_PKS3_PKT0_S9_ifPKiSB_iPKfiiiSD_SD_iiiii.uses_vcc, 1
	.set _ZN4vllm25paged_attention_v1_kernelI14__hip_bfloat16S1_Li64ELi8ELi128ELNS_18Fp8KVCacheDataTypeE0ELb1EEEvPT_PKS3_PKT0_S9_ifPKiSB_iPKfiiiSD_SD_iiiii.uses_flat_scratch, 0
	.set _ZN4vllm25paged_attention_v1_kernelI14__hip_bfloat16S1_Li64ELi8ELi128ELNS_18Fp8KVCacheDataTypeE0ELb1EEEvPT_PKS3_PKT0_S9_ifPKiSB_iPKfiiiSD_SD_iiiii.has_dyn_sized_stack, 0
	.set _ZN4vllm25paged_attention_v1_kernelI14__hip_bfloat16S1_Li64ELi8ELi128ELNS_18Fp8KVCacheDataTypeE0ELb1EEEvPT_PKS3_PKT0_S9_ifPKiSB_iPKfiiiSD_SD_iiiii.has_recursion, 0
	.set _ZN4vllm25paged_attention_v1_kernelI14__hip_bfloat16S1_Li64ELi8ELi128ELNS_18Fp8KVCacheDataTypeE0ELb1EEEvPT_PKS3_PKT0_S9_ifPKiSB_iPKfiiiSD_SD_iiiii.has_indirect_call, 0
	.section	.AMDGPU.csdata,"",@progbits
; Kernel info:
; codeLenInByte = 4228
; TotalNumSgprs: 52
; NumVgprs: 40
; NumAgprs: 0
; TotalNumVgprs: 40
; ScratchSize: 0
; MemoryBound: 0
; FloatMode: 240
; IeeeMode: 1
; LDSByteSize: 144 bytes/workgroup (compile time only)
; SGPRBlocks: 6
; VGPRBlocks: 4
; NumSGPRsForWavesPerEU: 52
; NumVGPRsForWavesPerEU: 40
; AccumOffset: 40
; Occupancy: 8
; WaveLimiterHint : 1
; COMPUTE_PGM_RSRC2:SCRATCH_EN: 0
; COMPUTE_PGM_RSRC2:USER_SGPR: 2
; COMPUTE_PGM_RSRC2:TRAP_HANDLER: 0
; COMPUTE_PGM_RSRC2:TGID_X_EN: 1
; COMPUTE_PGM_RSRC2:TGID_Y_EN: 1
; COMPUTE_PGM_RSRC2:TGID_Z_EN: 1
; COMPUTE_PGM_RSRC2:TIDIG_COMP_CNT: 0
; COMPUTE_PGM_RSRC3_GFX90A:ACCUM_OFFSET: 9
; COMPUTE_PGM_RSRC3_GFX90A:TG_SPLIT: 0
	.section	.text._ZN4vllm25paged_attention_v1_kernelI14__hip_bfloat16S1_Li80ELi8ELi128ELNS_18Fp8KVCacheDataTypeE0ELb1EEEvPT_PKS3_PKT0_S9_ifPKiSB_iPKfiiiSD_SD_iiiii,"axG",@progbits,_ZN4vllm25paged_attention_v1_kernelI14__hip_bfloat16S1_Li80ELi8ELi128ELNS_18Fp8KVCacheDataTypeE0ELb1EEEvPT_PKS3_PKT0_S9_ifPKiSB_iPKfiiiSD_SD_iiiii,comdat
	.protected	_ZN4vllm25paged_attention_v1_kernelI14__hip_bfloat16S1_Li80ELi8ELi128ELNS_18Fp8KVCacheDataTypeE0ELb1EEEvPT_PKS3_PKT0_S9_ifPKiSB_iPKfiiiSD_SD_iiiii ; -- Begin function _ZN4vllm25paged_attention_v1_kernelI14__hip_bfloat16S1_Li80ELi8ELi128ELNS_18Fp8KVCacheDataTypeE0ELb1EEEvPT_PKS3_PKT0_S9_ifPKiSB_iPKfiiiSD_SD_iiiii
	.globl	_ZN4vllm25paged_attention_v1_kernelI14__hip_bfloat16S1_Li80ELi8ELi128ELNS_18Fp8KVCacheDataTypeE0ELb1EEEvPT_PKS3_PKT0_S9_ifPKiSB_iPKfiiiSD_SD_iiiii
	.p2align	8
	.type	_ZN4vllm25paged_attention_v1_kernelI14__hip_bfloat16S1_Li80ELi8ELi128ELNS_18Fp8KVCacheDataTypeE0ELb1EEEvPT_PKS3_PKT0_S9_ifPKiSB_iPKfiiiSD_SD_iiiii,@function
_ZN4vllm25paged_attention_v1_kernelI14__hip_bfloat16S1_Li80ELi8ELi128ELNS_18Fp8KVCacheDataTypeE0ELb1EEEvPT_PKS3_PKT0_S9_ifPKiSB_iPKfiiiSD_SD_iiiii: ; @_ZN4vllm25paged_attention_v1_kernelI14__hip_bfloat16S1_Li80ELi8ELi128ELNS_18Fp8KVCacheDataTypeE0ELb1EEEvPT_PKS3_PKT0_S9_ifPKiSB_iPKfiiiSD_SD_iiiii
; %bb.0:
	s_load_dword s5, s[0:1], 0x80
	s_load_dwordx2 s[6:7], s[0:1], 0x30
	s_load_dwordx2 s[34:35], s[0:1], 0x20
	s_mov_b32 s20, s3
	s_ashr_i32 s21, s3, 31
	s_lshl_b64 s[8:9], s[20:21], 2
	s_waitcnt lgkmcnt(0)
	s_add_u32 s6, s6, s8
	s_addc_u32 s7, s7, s9
	s_abs_i32 s3, s34
	v_cvt_f32_u32_e32 v1, s3
	s_sub_i32 s10, 0, s3
	s_abs_i32 s9, s5
	s_xor_b32 s8, s5, s34
	v_rcp_iflag_f32_e32 v1, v1
	s_ashr_i32 s8, s8, 31
	s_mov_b32 s46, 0
	v_mul_f32_e32 v1, 0x4f7ffffe, v1
	v_cvt_u32_f32_e32 v1, v1
	s_nop 0
	v_readfirstlane_b32 s11, v1
	s_mul_i32 s10, s10, s11
	s_mul_hi_u32 s10, s11, s10
	s_add_i32 s11, s11, s10
	s_mul_hi_u32 s10, s9, s11
	s_mul_i32 s11, s10, s3
	s_sub_i32 s9, s9, s11
	s_add_i32 s11, s10, 1
	s_sub_i32 s12, s9, s3
	s_cmp_ge_u32 s9, s3
	s_cselect_b32 s10, s11, s10
	s_cselect_b32 s9, s12, s9
	s_add_i32 s11, s10, 1
	s_cmp_ge_u32 s9, s3
	s_cselect_b32 s3, s11, s10
	s_xor_b32 s3, s3, s8
	s_sub_i32 s12, s3, s8
	s_abs_i32 s10, s12
	v_cvt_f32_u32_e32 v1, s10
	s_load_dwordx2 s[8:9], s[0:1], 0x40
	s_sub_i32 s3, 0, s10
	s_abs_i32 s11, s2
	v_rcp_iflag_f32_e32 v1, v1
	s_nop 0
	v_mul_f32_e32 v1, 0x4f7ffffe, v1
	v_cvt_u32_f32_e32 v1, v1
	s_nop 0
	v_readfirstlane_b32 s13, v1
	s_mul_i32 s3, s3, s13
	s_mul_hi_u32 s3, s13, s3
	s_add_i32 s13, s13, s3
	s_waitcnt lgkmcnt(0)
	s_cmp_eq_u64 s[8:9], 0
	s_mul_hi_u32 s24, s11, s13
	s_cbranch_scc1 .LBB110_2
; %bb.1:
	s_ashr_i32 s3, s2, 31
	s_lshl_b64 s[14:15], s[2:3], 2
	s_add_u32 s8, s8, s14
	s_addc_u32 s9, s9, s15
	s_load_dword s46, s[8:9], 0x0
.LBB110_2:
	s_load_dword s21, s[6:7], 0x0
	s_ashr_i32 s26, s12, 31
	s_load_dwordx4 s[12:15], s[0:1], 0x48
	s_movk_i32 s3, 0x50
	s_ashr_i32 s25, s2, 31
	v_and_b32_e32 v4, 7, v0
	s_mul_i32 s22, s2, 0x50
	v_cmp_gt_u32_e64 s[6:7], s3, v0
	v_lshlrev_b32_e32 v14, 1, v0
	s_and_saveexec_b64 s[8:9], s[6:7]
	s_cbranch_execz .LBB110_4
; %bb.3:
	s_load_dwordx2 s[16:17], s[0:1], 0x8
	s_waitcnt lgkmcnt(0)
	s_mul_i32 s18, s12, s20
	s_ashr_i32 s19, s18, 31
	s_lshl_b64 s[18:19], s[18:19], 1
	v_lshrrev_b32_e32 v2, 2, v0
	s_add_u32 s3, s16, s18
	s_addc_u32 s12, s17, s19
	s_ashr_i32 s23, s22, 31
	s_lshl_b64 s[16:17], s[22:23], 1
	s_add_u32 s16, s3, s16
	s_addc_u32 s17, s12, s17
	global_load_ushort v1, v14, s[16:17]
	v_and_b32_e32 v2, 0xfe, v2
	v_mad_u32_u24 v2, v4, 20, v2
	s_waitcnt vmcnt(0)
	ds_write_b16 v2, v1
.LBB110_4:
	s_or_b64 exec, exec, s[8:9]
	s_mul_i32 s9, s24, s10
	s_sub_i32 s9, s11, s9
	s_xor_b32 s8, s25, s26
	s_add_i32 s11, s24, 1
	s_waitcnt lgkmcnt(0)
	s_sub_i32 s12, s9, s10
	s_load_dwordx4 s[16:19], s[0:1], 0x68
	s_load_dword s3, s[0:1], 0x78
	s_cmp_ge_u32 s9, s10
	s_cselect_b32 s11, s11, s24
	s_cselect_b32 s9, s12, s9
	s_add_i32 s12, s11, 1
	s_cmp_ge_u32 s9, s10
	s_cselect_b32 s9, s12, s11
	s_waitcnt lgkmcnt(0)
	s_abs_i32 s33, s19
	v_cvt_f32_u32_e32 v1, s33
	s_xor_b32 s9, s9, s8
	s_sub_i32 s10, s9, s8
	s_sub_i32 s8, 0, s33
	v_rcp_iflag_f32_e32 v1, v1
	s_add_i32 s15, s21, -1
	s_abs_i32 s11, s15
	v_mul_f32_e32 v1, 0x4f7ffffe, v1
	v_cvt_u32_f32_e32 v1, v1
	s_barrier
	v_readfirstlane_b32 s42, v1
	s_mul_i32 s8, s8, s42
	s_mul_hi_u32 s8, s42, s8
	s_add_i32 s42, s42, s8
	s_cmp_lt_i32 s3, 0
	s_mul_hi_u32 s12, s11, s42
	s_cbranch_scc0 .LBB110_6
; %bb.5:
	s_mul_i32 s8, s16, s34
	s_add_i32 s8, s10, s8
	s_mul_i32 s8, s8, s3
	s_sub_i32 s43, 1, s8
	s_mov_b64 s[8:9], 0
	s_branch .LBB110_7
.LBB110_6:
	s_mov_b64 s[8:9], -1
                                        ; implicit-def: $sgpr43
.LBB110_7:
	s_load_dwordx2 s[26:27], s[0:1], 0x28
	s_ashr_i32 s15, s15, 31
	s_andn2_b64 vcc, exec, s[8:9]
	s_ashr_i32 s44, s19, 31
	s_cbranch_vccnz .LBB110_9
; %bb.8:
	s_mul_i32 s8, s5, s16
	s_add_i32 s2, s8, s2
	s_mul_i32 s2, s2, s3
	s_add_i32 s43, s2, 1
.LBB110_9:
	s_load_dword s2, s[0:1], 0x38
	s_load_dwordx2 s[24:25], s[0:1], 0x0
	s_load_dwordx2 s[30:31], s[0:1], 0x18
	s_load_dword s23, s[0:1], 0x88
	s_xor_b32 s3, s15, s44
	s_waitcnt lgkmcnt(0)
	s_mul_i32 s28, s2, s20
	s_mul_i32 s2, s12, s33
	s_sub_i32 s2, s11, s2
	s_ashr_i32 s29, s28, 31
	s_add_i32 s8, s12, 1
	s_sub_i32 s9, s2, s33
	s_cmp_ge_u32 s2, s33
	s_cselect_b32 s8, s8, s12
	s_cselect_b32 s2, s9, s2
	s_add_i32 s9, s8, 1
	s_cmp_ge_u32 s2, s33
	s_cselect_b32 s2, s9, s8
	s_xor_b32 s2, s2, s3
	s_sub_i32 s12, s2, s3
	s_add_i32 s2, s21, 7
	s_ashr_i32 s3, s2, 31
	s_lshr_b32 s3, s3, 29
	s_add_i32 s2, s2, s3
	s_ashr_i32 s45, s2, 3
	v_lshrrev_b32_e32 v1, 6, v0
	v_cmp_gt_i32_e64 s[2:3], s45, v1
	v_mov_b32_e32 v10, 0xff7fffff
	s_mul_i32 s14, s10, s14
	v_lshrrev_b32_e32 v6, 4, v0
	v_lshlrev_b32_e32 v15, 3, v1
	v_mbcnt_lo_u32_b32 v7, -1, 0
	s_and_saveexec_b64 s[36:37], s[2:3]
	s_cbranch_execz .LBB110_21
; %bb.10:
	s_load_dwordx2 s[0:1], s[0:1], 0x10
	s_ashr_i32 s15, s14, 31
	s_sub_i32 s16, s12, s17
	s_lshl_b64 s[8:9], s[14:15], 1
	v_bfe_u32 v8, v0, 3, 3
	s_waitcnt lgkmcnt(0)
	s_add_u32 s0, s0, s8
	s_addc_u32 s1, s1, s9
	s_abs_i32 s15, s18
	v_cvt_f32_u32_e32 v2, s15
	v_lshlrev_b32_e32 v12, 4, v8
	v_mov_b32_e32 v13, 0
	s_sub_i32 s8, 0, s15
	v_rcp_iflag_f32_e32 v5, v2
	v_cmp_eq_u32_e32 vcc, 0, v4
	v_lshl_add_u64 v[2:3], s[0:1], 0, v[12:13]
	v_lshlrev_b32_e32 v12, 1, v4
	v_mul_f32_e32 v5, 0x4f7ffffe, v5
	v_cvt_u32_f32_e32 v5, v5
	v_mul_u32_u24_e32 v9, 20, v4
	v_lshl_add_u64 v[2:3], v[2:3], 0, v[12:13]
	v_and_b32_e32 v12, 60, v6
	v_mul_lo_u32 v4, s8, v5
	s_lshl_b64 s[8:9], s[28:29], 2
	s_add_u32 s8, s26, s8
	v_mul_hi_u32 v4, v5, v4
	s_addc_u32 s9, s27, s9
	v_subrev_u32_e32 v10, s21, v8
	v_add_u32_e32 v11, v5, v4
	v_lshl_add_u64 v[4:5], s[8:9], 0, v[12:13]
	v_add_u32_e32 v13, 1, v10
	v_lshlrev_b32_e32 v10, 2, v8
	v_lshl_or_b32 v10, v1, 5, v10
	v_mbcnt_hi_u32_b32 v18, -1, v7
	v_add_u32_e32 v16, 0xb0, v10
	v_and_b32_e32 v10, 64, v18
	s_mov_b32 s19, s13
	v_cmp_neq_f32_e64 s[0:1], s46, 0
	v_lshlrev_b32_e32 v12, 3, v1
	v_mov_b32_e32 v17, 0xff7fffff
	s_mov_b64 s[38:39], 0
	v_add_u32_e32 v19, 64, v10
	v_xor_b32_e32 v20, 4, v18
	v_xor_b32_e32 v21, 2, v18
	;; [unrolled: 1-line block ×3, first 2 shown]
	v_mov_b32_e32 v10, 0xff7fffff
	v_mov_b32_e32 v23, v1
	s_branch .LBB110_13
.LBB110_11:                             ;   in Loop: Header=BB110_13 Depth=1
	s_or_b64 exec, exec, s[40:41]
.LBB110_12:                             ;   in Loop: Header=BB110_13 Depth=1
	s_or_b64 exec, exec, s[10:11]
	v_add_u32_e32 v23, 2, v23
	v_cmp_le_i32_e64 s[8:9], s45, v23
	v_lshl_add_u64 v[4:5], v[4:5], 0, 8
	v_add_u32_e32 v12, 16, v12
	s_or_b64 s[38:39], s[8:9], s[38:39]
	v_add_u32_e32 v16, 64, v16
	s_andn2_b64 exec, exec, s[38:39]
	s_cbranch_execz .LBB110_20
.LBB110_13:                             ; =>This Inner Loop Header: Depth=1
	v_mul_hi_u32 v24, v12, s42
	s_waitcnt lgkmcnt(0)
	v_mul_lo_u32 v25, v24, s33
	v_sub_u32_e32 v25, v12, v25
	v_add_u32_e32 v26, 1, v24
	v_cmp_le_u32_e64 s[8:9], s33, v25
	s_nop 1
	v_cndmask_b32_e64 v24, v24, v26, s[8:9]
	v_subrev_u32_e32 v26, s33, v25
	v_cndmask_b32_e64 v25, v25, v26, s[8:9]
	v_add_u32_e32 v26, 1, v24
	v_cmp_le_u32_e64 s[8:9], s33, v25
	s_nop 1
	v_cndmask_b32_e64 v24, v24, v26, s[8:9]
	v_xor_b32_e32 v24, s44, v24
	v_subrev_u32_e32 v24, s44, v24
	v_add_u32_e32 v25, s43, v24
	v_sub_u32_e32 v27, 0, v25
	v_ashrrev_i32_e32 v26, 31, v25
	v_max_i32_e32 v25, v25, v27
	v_mul_hi_u32 v27, v25, v11
	v_mul_lo_u32 v27, v27, s15
	v_sub_u32_e32 v25, v25, v27
	v_subrev_u32_e32 v27, s15, v25
	v_cmp_le_u32_e64 s[8:9], s15, v25
	v_cmp_ge_i32_e64 s[10:11], s16, v24
	s_nop 0
	v_cndmask_b32_e64 v25, v25, v27, s[8:9]
	v_subrev_u32_e32 v27, s15, v25
	v_cmp_le_u32_e64 s[8:9], s15, v25
	s_nop 1
	v_cndmask_b32_e64 v25, v25, v27, s[8:9]
	v_xor_b32_e32 v25, v25, v26
	v_sub_u32_e32 v25, v25, v26
	v_cmp_ne_u32_e64 s[8:9], 0, v25
	s_and_b64 s[8:9], s[8:9], s[10:11]
	s_and_saveexec_b64 s[10:11], s[8:9]
	s_xor_b64 s[8:9], exec, s[10:11]
	s_cbranch_execz .LBB110_17
; %bb.14:                               ;   in Loop: Header=BB110_13 Depth=1
	s_and_saveexec_b64 s[10:11], vcc
; %bb.15:                               ;   in Loop: Header=BB110_13 Depth=1
	ds_write_b32 v16, v17
; %bb.16:                               ;   in Loop: Header=BB110_13 Depth=1
	s_or_b64 exec, exec, s[10:11]
.LBB110_17:                             ;   in Loop: Header=BB110_13 Depth=1
	s_andn2_saveexec_b64 s[10:11], s[8:9]
	s_cbranch_execz .LBB110_12
; %bb.18:                               ;   in Loop: Header=BB110_13 Depth=1
	global_load_dword v24, v[4:5], off
	s_waitcnt vmcnt(0)
	v_mad_i64_i32 v[24:25], s[8:9], v24, s19, 0
	v_lshl_add_u64 v[24:25], v[24:25], 1, v[2:3]
	global_load_ushort v28, v[24:25], off
	global_load_ushort v29, v[24:25], off offset:128
	global_load_ushort v30, v[24:25], off offset:256
	;; [unrolled: 1-line block ×9, first 2 shown]
	ds_read2_b32 v[24:25], v9 offset1:1
	ds_read2_b32 v[26:27], v9 offset0:2 offset1:3
	ds_read_b32 v38, v9 offset:16
	v_cmp_lt_i32_e64 s[8:9], v20, v19
	s_waitcnt lgkmcnt(2)
	v_lshlrev_b32_e32 v40, 16, v24
	v_and_b32_e32 v24, 0xffff0000, v24
	v_lshlrev_b32_e32 v41, 16, v25
	v_and_b32_e32 v25, 0xffff0000, v25
	s_waitcnt lgkmcnt(1)
	v_lshlrev_b32_e32 v42, 16, v26
	v_and_b32_e32 v26, 0xffff0000, v26
	v_lshlrev_b32_e32 v43, 16, v27
	v_and_b32_e32 v27, 0xffff0000, v27
	s_waitcnt lgkmcnt(0)
	v_lshlrev_b32_e32 v44, 16, v38
	v_cndmask_b32_e64 v39, v18, v20, s[8:9]
	v_and_b32_e32 v38, 0xffff0000, v38
	v_lshlrev_b32_e32 v39, 2, v39
	v_cmp_lt_i32_e64 s[8:9], v21, v19
	s_waitcnt vmcnt(9)
	v_lshlrev_b32_e32 v28, 16, v28
	s_waitcnt vmcnt(8)
	v_lshlrev_b32_e32 v29, 16, v29
	v_mul_f32_e32 v24, v24, v29
	s_waitcnt vmcnt(7)
	v_lshlrev_b32_e32 v30, 16, v30
	v_fmac_f32_e32 v24, v40, v28
	s_waitcnt vmcnt(6)
	v_lshlrev_b32_e32 v31, 16, v31
	v_fmac_f32_e32 v24, v41, v30
	;; [unrolled: 3-line block ×7, first 2 shown]
	v_fmac_f32_e32 v24, v44, v36
	s_waitcnt vmcnt(0)
	v_lshlrev_b32_e32 v25, 16, v37
	v_fmac_f32_e32 v24, v38, v25
	ds_bpermute_b32 v25, v39, v24
	v_cndmask_b32_e64 v26, v18, v21, s[8:9]
	v_lshlrev_b32_e32 v26, 2, v26
	v_cmp_lt_i32_e64 s[8:9], v22, v19
	s_waitcnt lgkmcnt(0)
	v_add_f32_e32 v24, v24, v25
	ds_bpermute_b32 v25, v26, v24
	v_cndmask_b32_e64 v26, v18, v22, s[8:9]
	v_lshlrev_b32_e32 v26, 2, v26
	s_waitcnt lgkmcnt(0)
	v_add_f32_e32 v24, v24, v25
	ds_bpermute_b32 v25, v26, v24
	s_and_saveexec_b64 s[40:41], vcc
	s_cbranch_execz .LBB110_11
; %bb.19:                               ;   in Loop: Header=BB110_13 Depth=1
	v_add_u32_e32 v26, v13, v12
	v_cvt_f32_i32_e32 v26, v26
	s_waitcnt lgkmcnt(0)
	v_add_f32_e32 v24, v24, v25
	v_add_u32_e32 v27, v8, v12
	v_cmp_gt_i32_e64 s[8:9], s21, v27
	v_mul_f32_e32 v25, s46, v26
	v_cndmask_b32_e64 v25, 0, v25, s[0:1]
	v_fmac_f32_e32 v25, s35, v24
	v_cndmask_b32_e64 v24, 0, v25, s[8:9]
	ds_write_b32 v16, v24
	v_max_f32_e32 v24, v10, v10
	v_max_f32_e32 v24, v24, v25
	v_cndmask_b32_e64 v10, v10, v24, s[8:9]
	s_branch .LBB110_11
.LBB110_20:
	s_or_b64 exec, exec, s[38:39]
.LBB110_21:
	s_or_b64 exec, exec, s[36:37]
	v_mbcnt_hi_u32_b32 v2, -1, v7
	v_and_b32_e32 v11, 64, v2
	v_add_u32_e32 v3, 64, v11
	v_xor_b32_e32 v4, 32, v2
	v_cmp_lt_i32_e32 vcc, v4, v3
	v_xor_b32_e32 v8, 16, v2
	v_max_f32_e32 v7, v10, v10
	v_cndmask_b32_e32 v4, v2, v4, vcc
	v_lshlrev_b32_e32 v5, 2, v4
	ds_bpermute_b32 v4, v5, v10
	v_cmp_lt_i32_e32 vcc, v8, v3
	v_xor_b32_e32 v9, 8, v2
	v_and_b32_e32 v28, 63, v0
	s_waitcnt lgkmcnt(0)
	v_max_f32_e32 v4, v4, v4
	v_max_f32_e32 v4, v7, v4
	v_cndmask_b32_e32 v7, v2, v8, vcc
	v_lshlrev_b32_e32 v8, 2, v7
	ds_bpermute_b32 v7, v8, v4
	v_cmp_lt_i32_e32 vcc, v9, v3
	s_waitcnt lgkmcnt(0)
	v_max_f32_e32 v7, v7, v7
	v_max_f32_e32 v7, v4, v7
	v_cndmask_b32_e32 v4, v2, v9, vcc
	v_lshlrev_b32_e32 v10, 2, v4
	ds_bpermute_b32 v9, v10, v7
	v_cmp_eq_u32_e32 vcc, 0, v28
	v_lshlrev_b32_e32 v4, 2, v1
	s_and_saveexec_b64 s[0:1], vcc
	s_cbranch_execz .LBB110_23
; %bb.22:
	s_waitcnt lgkmcnt(0)
	v_max_f32_e32 v9, v9, v9
	v_max_f32_e32 v7, v7, v7
	;; [unrolled: 1-line block ×3, first 2 shown]
	ds_write_b32 v4, v7 offset:160
.LBB110_23:
	s_or_b64 exec, exec, s[0:1]
	v_cmp_gt_u32_e64 s[0:1], 2, v28
	v_mov_b32_e32 v12, 0xff7fffff
	v_lshlrev_b32_e32 v7, 2, v28
	s_waitcnt lgkmcnt(0)
	s_barrier
	s_and_saveexec_b64 s[8:9], s[0:1]
; %bb.24:
	ds_read_b32 v12, v7 offset:160
; %bb.25:
	s_or_b64 exec, exec, s[8:9]
	v_xor_b32_e32 v9, 1, v2
	v_cmp_lt_i32_e64 s[8:9], v9, v3
	v_lshlrev_b32_e32 v11, 2, v11
	s_nop 0
	v_cndmask_b32_e64 v9, v2, v9, s[8:9]
	v_lshlrev_b32_e32 v9, 2, v9
	s_waitcnt lgkmcnt(0)
	ds_bpermute_b32 v13, v9, v12
	v_max_f32_e32 v12, v12, v12
	s_lshl_b32 s8, s45, 3
	s_min_i32 s15, s8, s21
	v_cmp_gt_i32_e64 s[8:9], s15, v0
	s_waitcnt lgkmcnt(0)
	v_max_f32_e32 v13, v13, v13
	v_max_f32_e32 v12, v12, v13
	ds_bpermute_b32 v12, v11, v12
	v_mov_b32_e32 v11, 0
	s_and_saveexec_b64 s[34:35], s[8:9]
	s_cbranch_execz .LBB110_29
; %bb.26:
	v_mov_b32_e32 v11, 0xb0
	v_lshl_add_u32 v13, v0, 2, v11
	v_mov_b32_e32 v11, 0
	s_mov_b64 s[36:37], 0
	v_mov_b32_e32 v16, v0
.LBB110_27:                             ; =>This Inner Loop Header: Depth=1
	ds_read_b32 v17, v13
	v_add_u32_e32 v16, 0x80, v16
	v_cmp_le_i32_e64 s[10:11], s15, v16
	s_or_b64 s[36:37], s[10:11], s[36:37]
	s_waitcnt lgkmcnt(0)
	v_sub_f32_e32 v17, v17, v12
	v_mul_f32_e32 v17, 0x3fb8aa3b, v17
	v_exp_f32_e32 v17, v17
	ds_write_b32 v13, v17
	v_add_f32_e32 v11, v11, v17
	v_add_u32_e32 v13, 0x200, v13
	s_andn2_b64 exec, exec, s[36:37]
	s_cbranch_execnz .LBB110_27
; %bb.28:
	s_or_b64 exec, exec, s[36:37]
.LBB110_29:
	s_or_b64 exec, exec, s[34:35]
	ds_bpermute_b32 v5, v5, v11
	s_waitcnt lgkmcnt(0)
	v_add_f32_e32 v5, v11, v5
	ds_bpermute_b32 v8, v8, v5
	s_waitcnt lgkmcnt(0)
	v_add_f32_e32 v5, v5, v8
	ds_bpermute_b32 v8, v10, v5
	v_xor_b32_e32 v10, 4, v2
	v_cmp_lt_i32_e64 s[10:11], v10, v3
	s_waitcnt lgkmcnt(0)
	v_add_f32_e32 v5, v5, v8
	v_cndmask_b32_e64 v10, v2, v10, s[10:11]
	v_lshlrev_b32_e32 v10, 2, v10
	ds_bpermute_b32 v8, v10, v5
	v_xor_b32_e32 v10, 2, v2
	v_cmp_lt_i32_e64 s[10:11], v10, v3
	s_waitcnt lgkmcnt(0)
	v_add_f32_e32 v5, v5, v8
	v_cndmask_b32_e64 v3, v2, v10, s[10:11]
	v_lshlrev_b32_e32 v3, 2, v3
	ds_bpermute_b32 v3, v3, v5
	s_waitcnt lgkmcnt(0)
	v_add_f32_e32 v3, v5, v3
	ds_bpermute_b32 v5, v9, v3
	s_waitcnt lgkmcnt(0)
	v_add_f32_e32 v3, v3, v5
	s_and_saveexec_b64 s[10:11], vcc
; %bb.30:
	ds_write_b32 v4, v3 offset:168
; %bb.31:
	s_or_b64 exec, exec, s[10:11]
	s_waitcnt lgkmcnt(0)
	s_barrier
	s_and_saveexec_b64 s[10:11], s[0:1]
; %bb.32:
	ds_read_b32 v3, v7 offset:168
; %bb.33:
	s_or_b64 exec, exec, s[10:11]
	s_waitcnt lgkmcnt(0)
	ds_bpermute_b32 v4, v9, v3
	v_lshlrev_b32_e32 v2, 2, v2
	v_and_b32_e32 v2, 0x100, v2
	s_waitcnt lgkmcnt(0)
	v_add_f32_e32 v3, v3, v4
	ds_bpermute_b32 v2, v2, v3
	s_and_saveexec_b64 s[0:1], s[8:9]
	s_cbranch_execz .LBB110_46
; %bb.34:
	s_waitcnt lgkmcnt(0)
	v_add_f32_e32 v2, 0x358637bd, v2
	v_div_scale_f32 v3, s[8:9], v2, v2, 1.0
	v_rcp_f32_e32 v4, v3
	v_div_scale_f32 v5, vcc, 1.0, v2, 1.0
	s_movk_i32 s8, 0x7f
	v_fma_f32 v7, -v3, v4, 1.0
	v_fmac_f32_e32 v4, v7, v4
	v_mul_f32_e32 v7, v5, v4
	v_fma_f32 v8, -v3, v7, v5
	v_fmac_f32_e32 v7, v8, v4
	v_fma_f32 v3, -v3, v7, v5
	v_div_fmas_f32 v3, v3, v4, v7
	v_xad_u32 v4, v0, -1, s15
	v_div_fixup_f32 v2, v3, v2, 1.0
	v_cmp_lt_u32_e32 vcc, s8, v4
	s_mov_b64 s[10:11], -1
	v_mov_b32_e32 v3, v0
	s_and_saveexec_b64 s[8:9], vcc
	s_cbranch_execz .LBB110_43
; %bb.35:
	v_lshrrev_b32_e32 v4, 7, v4
	v_add_u32_e32 v7, -1, v4
	v_lshrrev_b32_e32 v5, 1, v7
	v_mov_b32_e32 v3, v2
	v_add_u32_e32 v5, 1, v5
	v_cmp_lt_u32_e32 vcc, 13, v7
	v_mov_b32_e32 v9, 0
	s_and_saveexec_b64 s[10:11], vcc
	s_cbranch_execz .LBB110_39
; %bb.36:
	v_mov_b32_e32 v8, 0xb0
	v_and_b32_e32 v7, -8, v5
	v_lshl_add_u32 v8, v0, 2, v8
	s_mov_b32 s16, 0
	s_mov_b64 s[34:35], 0
.LBB110_37:                             ; =>This Inner Loop Header: Depth=1
	ds_read2st64_b32 v[10:11], v8 offset1:2
	ds_read2st64_b32 v[12:13], v8 offset0:4 offset1:6
	ds_read2st64_b32 v[16:17], v8 offset0:8 offset1:10
	;; [unrolled: 1-line block ×3, first 2 shown]
	v_add_u32_e32 v7, -8, v7
	s_waitcnt lgkmcnt(3)
	v_pk_mul_f32 v[10:11], v[2:3], v[10:11]
	s_waitcnt lgkmcnt(2)
	v_pk_mul_f32 v[12:13], v[2:3], v[12:13]
	ds_write2st64_b32 v8, v10, v11 offset1:2
	ds_write2st64_b32 v8, v12, v13 offset0:4 offset1:6
	ds_read2st64_b32 v[12:13], v8 offset0:16 offset1:18
	s_waitcnt lgkmcnt(4)
	v_pk_mul_f32 v[10:11], v[2:3], v[16:17]
	ds_write2st64_b32 v8, v10, v11 offset0:8 offset1:10
	s_waitcnt lgkmcnt(4)
	v_pk_mul_f32 v[10:11], v[2:3], v[18:19]
	ds_write2st64_b32 v8, v10, v11 offset0:12 offset1:14
	ds_read2st64_b32 v[10:11], v8 offset0:20 offset1:22
	s_waitcnt lgkmcnt(3)
	v_pk_mul_f32 v[12:13], v[2:3], v[12:13]
	ds_read2st64_b32 v[16:17], v8 offset0:24 offset1:26
	ds_write2st64_b32 v8, v12, v13 offset0:16 offset1:18
	ds_read2st64_b32 v[12:13], v8 offset0:28 offset1:30
	s_waitcnt lgkmcnt(3)
	v_pk_mul_f32 v[10:11], v[2:3], v[10:11]
	ds_write2st64_b32 v8, v10, v11 offset0:20 offset1:22
	s_waitcnt lgkmcnt(3)
	v_pk_mul_f32 v[10:11], v[2:3], v[16:17]
	ds_write2st64_b32 v8, v10, v11 offset0:24 offset1:26
	s_waitcnt lgkmcnt(2)
	v_pk_mul_f32 v[10:11], v[2:3], v[12:13]
	s_add_i32 s16, s16, 16
	v_cmp_eq_u32_e32 vcc, 0, v7
	ds_write2st64_b32 v8, v10, v11 offset0:28 offset1:30
	v_add_u32_e32 v8, 0x2000, v8
	s_or_b64 s[34:35], vcc, s[34:35]
	v_mov_b32_e32 v9, s16
	s_andn2_b64 exec, exec, s[34:35]
	s_cbranch_execnz .LBB110_37
; %bb.38:
	s_or_b64 exec, exec, s[34:35]
.LBB110_39:
	s_or_b64 exec, exec, s[10:11]
	v_and_b32_e32 v5, 7, v5
	v_cmp_ne_u32_e32 vcc, 0, v5
	s_and_saveexec_b64 s[10:11], vcc
	s_cbranch_execz .LBB110_42
; %bb.40:
	v_lshlrev_b32_e32 v7, 9, v9
	v_lshlrev_b32_e32 v8, 2, v0
	s_movk_i32 s16, 0xb0
	v_add3_u32 v7, v7, v8, s16
	s_mov_b64 s[34:35], 0
.LBB110_41:                             ; =>This Inner Loop Header: Depth=1
	ds_read2st64_b32 v[8:9], v7 offset1:2
	v_add_u32_e32 v5, -1, v5
	v_cmp_eq_u32_e32 vcc, 0, v5
	s_or_b64 s[34:35], vcc, s[34:35]
	s_waitcnt lgkmcnt(0)
	v_pk_mul_f32 v[8:9], v[2:3], v[8:9]
	ds_write2st64_b32 v7, v8, v9 offset1:2
	v_add_u32_e32 v7, 0x400, v7
	s_andn2_b64 exec, exec, s[34:35]
	s_cbranch_execnz .LBB110_41
.LBB110_42:
	s_or_b64 exec, exec, s[10:11]
	v_add_u32_e32 v4, 1, v4
	v_and_b32_e32 v5, 0x3fffffe, v4
	v_cmp_ne_u32_e32 vcc, v4, v5
	v_lshl_add_u32 v3, v5, 7, v0
	s_orn2_b64 s[10:11], vcc, exec
.LBB110_43:
	s_or_b64 exec, exec, s[8:9]
	s_and_b64 exec, exec, s[10:11]
	s_cbranch_execz .LBB110_46
; %bb.44:
	v_mov_b32_e32 v4, 0xb0
	v_lshl_add_u32 v4, v3, 2, v4
	s_mov_b64 s[8:9], 0
.LBB110_45:                             ; =>This Inner Loop Header: Depth=1
	ds_read_b32 v5, v4
	v_add_u32_e32 v3, 0x80, v3
	v_cmp_le_i32_e32 vcc, s15, v3
	s_or_b64 s[8:9], vcc, s[8:9]
	s_waitcnt lgkmcnt(0)
	v_mul_f32_e32 v5, v2, v5
	ds_write_b32 v4, v5
	v_add_u32_e32 v4, 0x200, v4
	s_andn2_b64 exec, exec, s[8:9]
	s_cbranch_execnz .LBB110_45
.LBB110_46:
	s_or_b64 exec, exec, s[0:1]
	v_mov_b32_e32 v17, 0
	v_mov_b32_e32 v16, v17
	s_waitcnt lgkmcnt(0)
	s_barrier
	s_and_saveexec_b64 s[10:11], s[2:3]
	s_cbranch_execz .LBB110_58
; %bb.47:
	s_ashr_i32 s15, s14, 31
	s_sub_i32 s34, s12, s17
	s_lshl_b64 s[0:1], s[14:15], 1
	s_add_u32 s12, s30, s0
	s_mov_b32 s35, s13
	s_addc_u32 s13, s31, s1
	s_abs_i32 s30, s18
	v_cvt_f32_u32_e32 v3, s30
	v_or_b32_e32 v4, 64, v28
	s_movk_i32 s0, 0x50
	v_cmp_gt_u32_e64 s[2:3], s0, v4
	v_rcp_iflag_f32_e32 v3, v3
	s_sub_i32 s0, 0, s30
	s_add_i32 s31, s45, -1
	v_lshlrev_b32_e32 v2, 3, v28
	v_mul_f32_e32 v3, 0x4f7ffffe, v3
	v_cvt_u32_f32_e32 v3, v3
	v_mov_b32_e32 v19, 0
	v_lshlrev_b32_e32 v4, 3, v4
	v_and_b32_e32 v18, 60, v6
	v_mul_lo_u32 v5, s0, v3
	s_lshl_b64 s[0:1], s[28:29], 2
	v_mul_hi_u32 v5, v3, v5
	s_add_u32 s0, s26, s0
	v_add_u32_e32 v29, v3, v5
	s_addc_u32 s1, s27, s1
	v_mov_b32_e32 v3, 0xb0
	s_mov_b32 s36, s21
	v_lshl_add_u64 v[20:21], s[0:1], 0, v[18:19]
	v_lshl_add_u32 v30, v1, 5, v3
	s_mov_b64 s[14:15], 0
	v_lshlrev_b32_e32 v18, 1, v2
	s_mov_b32 s26, 0x5040100
	v_lshlrev_b32_e32 v22, 1, v4
	v_mov_b32_e32 v16, v19
	v_mov_b32_e32 v17, v19
	s_branch .LBB110_51
.LBB110_48:                             ;   in Loop: Header=BB110_51 Depth=1
	s_or_b64 exec, exec, s[18:19]
	v_cvt_pk_bf16_f32 v6, v6, v7
	v_cvt_pk_bf16_f32 v2, v2, v3
	;; [unrolled: 1-line block ×3, first 2 shown]
	s_waitcnt vmcnt(0)
	v_lshlrev_b32_e32 v4, 16, v10
	v_lshlrev_b32_e32 v5, 16, v6
	v_cvt_pk_bf16_f32 v7, v8, v9
	v_mul_f32_e32 v4, v5, v4
	v_and_b32_e32 v5, 0xffff0000, v10
	v_and_b32_e32 v6, 0xffff0000, v6
	v_mul_f32_e32 v5, v6, v5
	v_lshlrev_b32_e32 v6, 16, v11
	v_lshlrev_b32_e32 v8, 16, v7
	v_mul_f32_e32 v6, v8, v6
	v_and_b32_e32 v8, 0xffff0000, v11
	v_and_b32_e32 v7, 0xffff0000, v7
	v_mul_f32_e32 v7, v7, v8
	v_lshlrev_b32_e32 v8, 16, v12
	v_lshlrev_b32_e32 v9, 16, v2
	v_mul_f32_e32 v8, v9, v8
	v_and_b32_e32 v9, 0xffff0000, v12
	v_and_b32_e32 v2, 0xffff0000, v2
	v_mul_f32_e32 v2, v2, v9
	v_cvt_pk_bf16_f32 v9, v2, s0
	v_lshlrev_b32_e32 v2, 16, v13
	v_lshlrev_b32_e32 v10, 16, v3
	v_mul_f32_e32 v2, v10, v2
	v_cvt_pk_bf16_f32 v10, v2, s0
	v_and_b32_e32 v2, 0xffff0000, v13
	v_and_b32_e32 v3, 0xffff0000, v3
	v_cvt_pk_bf16_f32 v4, v4, s0
	v_cvt_pk_bf16_f32 v5, v5, s0
	;; [unrolled: 1-line block ×4, first 2 shown]
	v_mul_f32_e32 v2, v3, v2
	v_cvt_pk_bf16_f32 v8, v8, s0
	v_cvt_pk_bf16_f32 v11, v2, s0
	v_lshlrev_b32_e32 v3, 16, v5
	v_lshlrev_b32_e32 v5, 16, v4
	;; [unrolled: 1-line block ×4, first 2 shown]
	v_pk_add_f32 v[2:3], v[4:5], v[2:3]
	v_lshlrev_b32_e32 v5, 16, v9
	v_lshlrev_b32_e32 v7, 16, v8
	v_lshlrev_b32_e32 v4, 16, v11
	v_lshlrev_b32_e32 v6, 16, v10
	v_pk_add_f32 v[4:5], v[6:7], v[4:5]
	v_add_f32_e32 v2, v2, v3
	v_add_f32_e32 v2, v5, v2
	;; [unrolled: 1-line block ×3, first 2 shown]
	v_pk_add_f32 v[16:17], v[16:17], v[2:3] op_sel_hi:[1,0]
.LBB110_49:                             ;   in Loop: Header=BB110_51 Depth=1
	s_or_b64 exec, exec, s[8:9]
	v_mov_b32_e32 v16, v26
.LBB110_50:                             ;   in Loop: Header=BB110_51 Depth=1
	s_or_b64 exec, exec, s[16:17]
	v_add_u32_e32 v1, 2, v1
	v_cmp_le_i32_e32 vcc, s45, v1
	v_lshl_add_u64 v[20:21], v[20:21], 0, 8
	v_add_u32_e32 v15, 16, v15
	s_or_b64 s[14:15], vcc, s[14:15]
	v_add_u32_e32 v30, 64, v30
	s_andn2_b64 exec, exec, s[14:15]
	s_cbranch_execz .LBB110_57
.LBB110_51:                             ; =>This Inner Loop Header: Depth=1
	v_mul_hi_u32 v2, v15, s42
	v_mul_lo_u32 v3, v2, s33
	v_sub_u32_e32 v3, v15, v3
	v_add_u32_e32 v4, 1, v2
	v_cmp_le_u32_e32 vcc, s33, v3
	s_nop 1
	v_cndmask_b32_e32 v2, v2, v4, vcc
	v_subrev_u32_e32 v4, s33, v3
	v_cndmask_b32_e32 v3, v3, v4, vcc
	v_add_u32_e32 v4, 1, v2
	v_cmp_le_u32_e32 vcc, s33, v3
	s_nop 1
	v_cndmask_b32_e32 v2, v2, v4, vcc
	v_xor_b32_e32 v2, s44, v2
	v_subrev_u32_e32 v2, s44, v2
	v_add_u32_e32 v3, s43, v2
	v_sub_u32_e32 v5, 0, v3
	v_ashrrev_i32_e32 v4, 31, v3
	v_max_i32_e32 v3, v3, v5
	v_mul_hi_u32 v5, v3, v29
	v_mul_lo_u32 v5, v5, s30
	v_sub_u32_e32 v3, v3, v5
	v_subrev_u32_e32 v5, s30, v3
	v_cmp_le_u32_e32 vcc, s30, v3
	v_cmp_lt_i32_e64 s[0:1], s34, v2
	s_nop 0
	v_cndmask_b32_e32 v3, v3, v5, vcc
	v_subrev_u32_e32 v5, s30, v3
	v_cmp_le_u32_e32 vcc, s30, v3
	s_nop 1
	v_cndmask_b32_e32 v3, v3, v5, vcc
	v_xor_b32_e32 v3, v3, v4
	v_sub_u32_e32 v3, v3, v4
	v_cmp_eq_u32_e32 vcc, 0, v3
	s_or_b64 s[0:1], vcc, s[0:1]
	s_and_saveexec_b64 s[16:17], s[0:1]
	s_cbranch_execz .LBB110_50
; %bb.52:                               ;   in Loop: Header=BB110_51 Depth=1
	global_load_dword v2, v[20:21], off
	s_waitcnt vmcnt(0)
	v_mad_i64_i32 v[2:3], s[0:1], v2, s35, 0
	v_lshl_add_u64 v[24:25], v[2:3], 1, s[12:13]
	v_lshl_add_u64 v[2:3], v[24:25], 0, v[18:19]
	global_load_dwordx4 v[10:13], v[2:3], off
	ds_read2_b64 v[6:9], v30 offset1:1
	ds_read2_b64 v[2:5], v30 offset0:2 offset1:3
	v_cmp_eq_u32_e64 s[0:1], s31, v1
	s_and_saveexec_b64 s[18:19], s[0:1]
	s_cbranch_execz .LBB110_54
; %bb.53:                               ;   in Loop: Header=BB110_51 Depth=1
	v_add_u32_e32 v23, 1, v15
	v_cmp_gt_i32_e32 vcc, s36, v23
	v_or_b32_e32 v26, 2, v15
	v_cmp_gt_i32_e64 s[8:9], s21, v26
	s_waitcnt vmcnt(0)
	v_cndmask_b32_sdwa v23, v19, v10, vcc dst_sel:DWORD dst_unused:UNUSED_PAD src0_sel:DWORD src1_sel:WORD_1
	v_cmp_gt_i32_e32 vcc, s21, v15
	v_or_b32_e32 v26, 4, v15
	s_nop 0
	v_cndmask_b32_e32 v10, 0, v10, vcc
	v_perm_b32 v10, v23, v10, s26
	v_or_b32_e32 v23, 3, v15
	v_cmp_gt_i32_e32 vcc, s36, v23
	v_cndmask_b32_e64 v23, 0, v11, s[8:9]
	v_cmp_gt_i32_e64 s[8:9], s21, v26
	v_cndmask_b32_sdwa v11, v19, v11, vcc dst_sel:DWORD dst_unused:UNUSED_PAD src0_sel:DWORD src1_sel:WORD_1
	v_perm_b32 v11, v11, v23, s26
	v_or_b32_e32 v23, 5, v15
	v_cmp_gt_i32_e32 vcc, s36, v23
	v_cndmask_b32_e64 v23, 0, v12, s[8:9]
	v_or_b32_e32 v26, 6, v15
	v_cndmask_b32_sdwa v12, v19, v12, vcc dst_sel:DWORD dst_unused:UNUSED_PAD src0_sel:DWORD src1_sel:WORD_1
	v_perm_b32 v12, v12, v23, s26
	v_or_b32_e32 v23, 7, v15
	v_cmp_gt_i32_e32 vcc, s36, v23
	v_cmp_gt_i32_e64 s[8:9], s21, v26
	s_nop 1
	v_cndmask_b32_e64 v23, 0, v13, s[8:9]
	v_cndmask_b32_sdwa v13, v19, v13, vcc dst_sel:DWORD dst_unused:UNUSED_PAD src0_sel:DWORD src1_sel:WORD_1
	v_perm_b32 v13, v13, v23, s26
.LBB110_54:                             ;   in Loop: Header=BB110_51 Depth=1
	s_or_b64 exec, exec, s[18:19]
	s_waitcnt lgkmcnt(1)
	v_cvt_pk_bf16_f32 v26, v7, s0
	v_cvt_pk_bf16_f32 v27, v8, s0
	s_waitcnt vmcnt(0)
	v_lshlrev_b32_e32 v36, 16, v10
	v_and_b32_e32 v10, 0xffff0000, v10
	v_lshlrev_b32_e32 v26, 16, v26
	v_cvt_pk_bf16_f32 v31, v9, s0
	v_mul_f32_e32 v10, v26, v10
	v_lshlrev_b32_e32 v26, 16, v11
	v_lshlrev_b32_e32 v27, 16, v27
	v_mul_f32_e32 v26, v27, v26
	v_and_b32_e32 v11, 0xffff0000, v11
	v_lshlrev_b32_e32 v27, 16, v31
	s_waitcnt lgkmcnt(0)
	v_cvt_pk_bf16_f32 v32, v2, s0
	v_mul_f32_e32 v11, v27, v11
	v_cvt_pk_bf16_f32 v27, v11, s0
	v_lshlrev_b32_e32 v11, 16, v12
	v_lshlrev_b32_e32 v31, 16, v32
	v_cvt_pk_bf16_f32 v33, v3, s0
	v_mul_f32_e32 v11, v31, v11
	v_cvt_pk_bf16_f32 v31, v11, s0
	v_and_b32_e32 v11, 0xffff0000, v12
	v_lshlrev_b32_e32 v12, 16, v33
	v_cvt_pk_bf16_f32 v34, v4, s0
	v_mul_f32_e32 v11, v12, v11
	v_cvt_pk_bf16_f32 v23, v6, s0
	v_cvt_pk_bf16_f32 v32, v11, s0
	v_lshlrev_b32_e32 v11, 16, v13
	v_lshlrev_b32_e32 v12, 16, v34
	v_cvt_pk_bf16_f32 v35, v5, s0
	v_lshlrev_b32_e32 v23, 16, v23
	v_mul_f32_e32 v11, v12, v11
	v_mul_f32_e32 v23, v23, v36
	v_cvt_pk_bf16_f32 v33, v11, s0
	v_and_b32_e32 v11, 0xffff0000, v13
	v_lshlrev_b32_e32 v12, 16, v35
	v_cvt_pk_bf16_f32 v23, v23, s0
	v_cvt_pk_bf16_f32 v10, v10, s0
	;; [unrolled: 1-line block ×3, first 2 shown]
	v_mul_f32_e32 v11, v12, v11
	v_cvt_pk_bf16_f32 v34, v11, s0
	v_lshlrev_b32_e32 v11, 16, v10
	v_lshlrev_b32_e32 v13, 16, v23
	;; [unrolled: 1-line block ×4, first 2 shown]
	v_pk_add_f32 v[10:11], v[12:13], v[10:11]
	v_lshlrev_b32_e32 v13, 16, v32
	v_lshlrev_b32_e32 v27, 16, v31
	;; [unrolled: 1-line block ×4, first 2 shown]
	v_pk_add_f32 v[10:11], v[10:11], v[10:11] op_sel:[0,1] op_sel_hi:[1,0]
	v_pk_add_f32 v[12:13], v[26:27], v[12:13]
	s_nop 0
	v_pk_add_f32 v[10:11], v[12:13], v[10:11] op_sel:[1,0] op_sel_hi:[0,1]
	v_pk_add_f32 v[10:11], v[12:13], v[10:11]
	s_nop 0
	v_pk_add_f32 v[26:27], v[16:17], v[10:11]
	s_and_saveexec_b64 s[8:9], s[2:3]
	s_cbranch_execz .LBB110_49
; %bb.55:                               ;   in Loop: Header=BB110_51 Depth=1
	v_mov_b32_e32 v23, v19
	v_lshl_add_u64 v[10:11], v[24:25], 0, v[22:23]
	global_load_dwordx4 v[10:13], v[10:11], off
	s_and_saveexec_b64 s[18:19], s[0:1]
	s_cbranch_execz .LBB110_48
; %bb.56:                               ;   in Loop: Header=BB110_51 Depth=1
	v_add_u32_e32 v23, 1, v15
	v_cmp_gt_i32_e32 vcc, s36, v23
	v_or_b32_e32 v24, 2, v15
	v_cmp_gt_i32_e64 s[0:1], s21, v24
	s_waitcnt vmcnt(0)
	v_cndmask_b32_sdwa v23, v19, v10, vcc dst_sel:DWORD dst_unused:UNUSED_PAD src0_sel:DWORD src1_sel:WORD_1
	v_cmp_gt_i32_e32 vcc, s21, v15
	v_or_b32_e32 v24, 4, v15
	s_nop 0
	v_cndmask_b32_e32 v10, 0, v10, vcc
	v_perm_b32 v10, v23, v10, s26
	v_or_b32_e32 v23, 3, v15
	v_cmp_gt_i32_e32 vcc, s36, v23
	v_cndmask_b32_e64 v23, 0, v11, s[0:1]
	v_cmp_gt_i32_e64 s[0:1], s21, v24
	v_cndmask_b32_sdwa v11, v19, v11, vcc dst_sel:DWORD dst_unused:UNUSED_PAD src0_sel:DWORD src1_sel:WORD_1
	v_perm_b32 v11, v11, v23, s26
	v_or_b32_e32 v23, 5, v15
	v_cmp_gt_i32_e32 vcc, s36, v23
	v_cndmask_b32_e64 v23, 0, v12, s[0:1]
	v_or_b32_e32 v24, 6, v15
	v_cndmask_b32_sdwa v12, v19, v12, vcc dst_sel:DWORD dst_unused:UNUSED_PAD src0_sel:DWORD src1_sel:WORD_1
	v_perm_b32 v12, v12, v23, s26
	v_or_b32_e32 v23, 7, v15
	v_cmp_gt_i32_e32 vcc, s36, v23
	v_cmp_gt_i32_e64 s[0:1], s21, v24
	s_nop 1
	v_cndmask_b32_e64 v23, 0, v13, s[0:1]
	v_cndmask_b32_sdwa v13, v19, v13, vcc dst_sel:DWORD dst_unused:UNUSED_PAD src0_sel:DWORD src1_sel:WORD_1
	v_perm_b32 v13, v13, v23, s26
	s_branch .LBB110_48
.LBB110_57:
	s_or_b64 exec, exec, s[14:15]
.LBB110_58:
	s_or_b64 exec, exec, s[10:11]
	v_and_b32_e32 v1, 0x3c0, v0
	v_cmp_eq_u32_e32 vcc, 64, v1
	s_barrier
	s_and_saveexec_b64 s[0:1], vcc
	s_cbranch_execz .LBB110_61
; %bb.59:
	v_mov_b32_e32 v1, 0xb0
	v_lshl_add_u32 v2, v28, 2, v1
	ds_write_b32 v2, v16
	s_and_b64 exec, exec, s[6:7]
; %bb.60:
	v_lshl_add_u32 v1, v0, 2, v1
	ds_write_b32 v1, v17
.LBB110_61:
	s_or_b64 exec, exec, s[0:1]
	v_cmp_gt_u32_e32 vcc, 64, v0
	v_or_b32_e32 v1, 64, v0
	s_waitcnt lgkmcnt(0)
	s_barrier
	s_and_saveexec_b64 s[2:3], vcc
	s_cbranch_execz .LBB110_65
; %bb.62:
	v_mov_b32_e32 v2, 0xb0
	v_lshl_add_u32 v2, v0, 2, v2
	ds_read_b32 v0, v2
	s_movk_i32 s0, 0x50
	v_cmp_gt_u32_e64 s[0:1], s0, v1
	s_and_saveexec_b64 s[6:7], s[0:1]
	s_cbranch_execz .LBB110_64
; %bb.63:
	ds_read_b32 v2, v2 offset:256
	s_waitcnt lgkmcnt(0)
	v_add_f32_e32 v17, v17, v2
.LBB110_64:
	s_or_b64 exec, exec, s[6:7]
	s_waitcnt lgkmcnt(0)
	v_add_f32_e32 v16, v16, v0
.LBB110_65:
	s_or_b64 exec, exec, s[2:3]
	s_barrier
	s_and_saveexec_b64 s[0:1], vcc
	s_cbranch_execz .LBB110_68
; %bb.66:
	s_mul_i32 s0, s20, s23
	s_mul_i32 s0, s0, s5
	s_mulk_i32 s0, 0x50
	s_ashr_i32 s1, s0, 31
	s_lshl_b64 s[0:1], s[0:1], 1
	s_add_u32 s3, s24, s0
	s_mul_i32 s0, s23, s22
	s_addc_u32 s5, s25, s1
	s_ashr_i32 s1, s0, 31
	s_lshl_b64 s[0:1], s[0:1], 1
	s_add_u32 s3, s3, s0
	s_mul_i32 s0, s4, 0x50
	s_addc_u32 s5, s5, s1
	s_ashr_i32 s1, s0, 31
	s_lshl_b64 s[0:1], s[0:1], 1
	s_movk_i32 s2, 0x50
	s_add_u32 s0, s3, s0
	s_addc_u32 s1, s5, s1
	v_cvt_pk_bf16_f32 v0, v16, s0
	v_cmp_gt_u32_e32 vcc, s2, v1
	global_store_short v14, v0, s[0:1]
	s_and_b64 exec, exec, vcc
	s_cbranch_execz .LBB110_68
; %bb.67:
	v_mov_b32_e32 v15, 0
	v_lshl_add_u64 v[0:1], s[0:1], 0, v[14:15]
	v_cvt_pk_bf16_f32 v2, v17, s0
	global_store_short v[0:1], v2, off offset:128
.LBB110_68:
	s_endpgm
	.section	.rodata,"a",@progbits
	.p2align	6, 0x0
	.amdhsa_kernel _ZN4vllm25paged_attention_v1_kernelI14__hip_bfloat16S1_Li80ELi8ELi128ELNS_18Fp8KVCacheDataTypeE0ELb1EEEvPT_PKS3_PKT0_S9_ifPKiSB_iPKfiiiSD_SD_iiiii
		.amdhsa_group_segment_fixed_size 176
		.amdhsa_private_segment_fixed_size 0
		.amdhsa_kernarg_size 384
		.amdhsa_user_sgpr_count 2
		.amdhsa_user_sgpr_dispatch_ptr 0
		.amdhsa_user_sgpr_queue_ptr 0
		.amdhsa_user_sgpr_kernarg_segment_ptr 1
		.amdhsa_user_sgpr_dispatch_id 0
		.amdhsa_user_sgpr_kernarg_preload_length 0
		.amdhsa_user_sgpr_kernarg_preload_offset 0
		.amdhsa_user_sgpr_private_segment_size 0
		.amdhsa_uses_dynamic_stack 0
		.amdhsa_enable_private_segment 0
		.amdhsa_system_sgpr_workgroup_id_x 1
		.amdhsa_system_sgpr_workgroup_id_y 1
		.amdhsa_system_sgpr_workgroup_id_z 1
		.amdhsa_system_sgpr_workgroup_info 0
		.amdhsa_system_vgpr_workitem_id 0
		.amdhsa_next_free_vgpr 45
		.amdhsa_next_free_sgpr 47
		.amdhsa_accum_offset 48
		.amdhsa_reserve_vcc 1
		.amdhsa_float_round_mode_32 0
		.amdhsa_float_round_mode_16_64 0
		.amdhsa_float_denorm_mode_32 3
		.amdhsa_float_denorm_mode_16_64 3
		.amdhsa_dx10_clamp 1
		.amdhsa_ieee_mode 1
		.amdhsa_fp16_overflow 0
		.amdhsa_tg_split 0
		.amdhsa_exception_fp_ieee_invalid_op 0
		.amdhsa_exception_fp_denorm_src 0
		.amdhsa_exception_fp_ieee_div_zero 0
		.amdhsa_exception_fp_ieee_overflow 0
		.amdhsa_exception_fp_ieee_underflow 0
		.amdhsa_exception_fp_ieee_inexact 0
		.amdhsa_exception_int_div_zero 0
	.end_amdhsa_kernel
	.section	.text._ZN4vllm25paged_attention_v1_kernelI14__hip_bfloat16S1_Li80ELi8ELi128ELNS_18Fp8KVCacheDataTypeE0ELb1EEEvPT_PKS3_PKT0_S9_ifPKiSB_iPKfiiiSD_SD_iiiii,"axG",@progbits,_ZN4vllm25paged_attention_v1_kernelI14__hip_bfloat16S1_Li80ELi8ELi128ELNS_18Fp8KVCacheDataTypeE0ELb1EEEvPT_PKS3_PKT0_S9_ifPKiSB_iPKfiiiSD_SD_iiiii,comdat
.Lfunc_end110:
	.size	_ZN4vllm25paged_attention_v1_kernelI14__hip_bfloat16S1_Li80ELi8ELi128ELNS_18Fp8KVCacheDataTypeE0ELb1EEEvPT_PKS3_PKT0_S9_ifPKiSB_iPKfiiiSD_SD_iiiii, .Lfunc_end110-_ZN4vllm25paged_attention_v1_kernelI14__hip_bfloat16S1_Li80ELi8ELi128ELNS_18Fp8KVCacheDataTypeE0ELb1EEEvPT_PKS3_PKT0_S9_ifPKiSB_iPKfiiiSD_SD_iiiii
                                        ; -- End function
	.set _ZN4vllm25paged_attention_v1_kernelI14__hip_bfloat16S1_Li80ELi8ELi128ELNS_18Fp8KVCacheDataTypeE0ELb1EEEvPT_PKS3_PKT0_S9_ifPKiSB_iPKfiiiSD_SD_iiiii.num_vgpr, 45
	.set _ZN4vllm25paged_attention_v1_kernelI14__hip_bfloat16S1_Li80ELi8ELi128ELNS_18Fp8KVCacheDataTypeE0ELb1EEEvPT_PKS3_PKT0_S9_ifPKiSB_iPKfiiiSD_SD_iiiii.num_agpr, 0
	.set _ZN4vllm25paged_attention_v1_kernelI14__hip_bfloat16S1_Li80ELi8ELi128ELNS_18Fp8KVCacheDataTypeE0ELb1EEEvPT_PKS3_PKT0_S9_ifPKiSB_iPKfiiiSD_SD_iiiii.numbered_sgpr, 47
	.set _ZN4vllm25paged_attention_v1_kernelI14__hip_bfloat16S1_Li80ELi8ELi128ELNS_18Fp8KVCacheDataTypeE0ELb1EEEvPT_PKS3_PKT0_S9_ifPKiSB_iPKfiiiSD_SD_iiiii.num_named_barrier, 0
	.set _ZN4vllm25paged_attention_v1_kernelI14__hip_bfloat16S1_Li80ELi8ELi128ELNS_18Fp8KVCacheDataTypeE0ELb1EEEvPT_PKS3_PKT0_S9_ifPKiSB_iPKfiiiSD_SD_iiiii.private_seg_size, 0
	.set _ZN4vllm25paged_attention_v1_kernelI14__hip_bfloat16S1_Li80ELi8ELi128ELNS_18Fp8KVCacheDataTypeE0ELb1EEEvPT_PKS3_PKT0_S9_ifPKiSB_iPKfiiiSD_SD_iiiii.uses_vcc, 1
	.set _ZN4vllm25paged_attention_v1_kernelI14__hip_bfloat16S1_Li80ELi8ELi128ELNS_18Fp8KVCacheDataTypeE0ELb1EEEvPT_PKS3_PKT0_S9_ifPKiSB_iPKfiiiSD_SD_iiiii.uses_flat_scratch, 0
	.set _ZN4vllm25paged_attention_v1_kernelI14__hip_bfloat16S1_Li80ELi8ELi128ELNS_18Fp8KVCacheDataTypeE0ELb1EEEvPT_PKS3_PKT0_S9_ifPKiSB_iPKfiiiSD_SD_iiiii.has_dyn_sized_stack, 0
	.set _ZN4vllm25paged_attention_v1_kernelI14__hip_bfloat16S1_Li80ELi8ELi128ELNS_18Fp8KVCacheDataTypeE0ELb1EEEvPT_PKS3_PKT0_S9_ifPKiSB_iPKfiiiSD_SD_iiiii.has_recursion, 0
	.set _ZN4vllm25paged_attention_v1_kernelI14__hip_bfloat16S1_Li80ELi8ELi128ELNS_18Fp8KVCacheDataTypeE0ELb1EEEvPT_PKS3_PKT0_S9_ifPKiSB_iPKfiiiSD_SD_iiiii.has_indirect_call, 0
	.section	.AMDGPU.csdata,"",@progbits
; Kernel info:
; codeLenInByte = 5028
; TotalNumSgprs: 53
; NumVgprs: 45
; NumAgprs: 0
; TotalNumVgprs: 45
; ScratchSize: 0
; MemoryBound: 0
; FloatMode: 240
; IeeeMode: 1
; LDSByteSize: 176 bytes/workgroup (compile time only)
; SGPRBlocks: 6
; VGPRBlocks: 5
; NumSGPRsForWavesPerEU: 53
; NumVGPRsForWavesPerEU: 45
; AccumOffset: 48
; Occupancy: 8
; WaveLimiterHint : 1
; COMPUTE_PGM_RSRC2:SCRATCH_EN: 0
; COMPUTE_PGM_RSRC2:USER_SGPR: 2
; COMPUTE_PGM_RSRC2:TRAP_HANDLER: 0
; COMPUTE_PGM_RSRC2:TGID_X_EN: 1
; COMPUTE_PGM_RSRC2:TGID_Y_EN: 1
; COMPUTE_PGM_RSRC2:TGID_Z_EN: 1
; COMPUTE_PGM_RSRC2:TIDIG_COMP_CNT: 0
; COMPUTE_PGM_RSRC3_GFX90A:ACCUM_OFFSET: 11
; COMPUTE_PGM_RSRC3_GFX90A:TG_SPLIT: 0
	.section	.text._ZN4vllm25paged_attention_v1_kernelI14__hip_bfloat16S1_Li96ELi8ELi128ELNS_18Fp8KVCacheDataTypeE0ELb1EEEvPT_PKS3_PKT0_S9_ifPKiSB_iPKfiiiSD_SD_iiiii,"axG",@progbits,_ZN4vllm25paged_attention_v1_kernelI14__hip_bfloat16S1_Li96ELi8ELi128ELNS_18Fp8KVCacheDataTypeE0ELb1EEEvPT_PKS3_PKT0_S9_ifPKiSB_iPKfiiiSD_SD_iiiii,comdat
	.protected	_ZN4vllm25paged_attention_v1_kernelI14__hip_bfloat16S1_Li96ELi8ELi128ELNS_18Fp8KVCacheDataTypeE0ELb1EEEvPT_PKS3_PKT0_S9_ifPKiSB_iPKfiiiSD_SD_iiiii ; -- Begin function _ZN4vllm25paged_attention_v1_kernelI14__hip_bfloat16S1_Li96ELi8ELi128ELNS_18Fp8KVCacheDataTypeE0ELb1EEEvPT_PKS3_PKT0_S9_ifPKiSB_iPKfiiiSD_SD_iiiii
	.globl	_ZN4vllm25paged_attention_v1_kernelI14__hip_bfloat16S1_Li96ELi8ELi128ELNS_18Fp8KVCacheDataTypeE0ELb1EEEvPT_PKS3_PKT0_S9_ifPKiSB_iPKfiiiSD_SD_iiiii
	.p2align	8
	.type	_ZN4vllm25paged_attention_v1_kernelI14__hip_bfloat16S1_Li96ELi8ELi128ELNS_18Fp8KVCacheDataTypeE0ELb1EEEvPT_PKS3_PKT0_S9_ifPKiSB_iPKfiiiSD_SD_iiiii,@function
_ZN4vllm25paged_attention_v1_kernelI14__hip_bfloat16S1_Li96ELi8ELi128ELNS_18Fp8KVCacheDataTypeE0ELb1EEEvPT_PKS3_PKT0_S9_ifPKiSB_iPKfiiiSD_SD_iiiii: ; @_ZN4vllm25paged_attention_v1_kernelI14__hip_bfloat16S1_Li96ELi8ELi128ELNS_18Fp8KVCacheDataTypeE0ELb1EEEvPT_PKS3_PKT0_S9_ifPKiSB_iPKfiiiSD_SD_iiiii
; %bb.0:
	s_load_dword s5, s[0:1], 0x80
	s_load_dwordx2 s[6:7], s[0:1], 0x30
	s_load_dwordx2 s[34:35], s[0:1], 0x20
	s_mov_b32 s20, s3
	s_ashr_i32 s21, s3, 31
	s_lshl_b64 s[8:9], s[20:21], 2
	s_waitcnt lgkmcnt(0)
	s_add_u32 s6, s6, s8
	s_addc_u32 s7, s7, s9
	s_abs_i32 s3, s34
	v_cvt_f32_u32_e32 v1, s3
	s_sub_i32 s10, 0, s3
	s_abs_i32 s9, s5
	s_xor_b32 s8, s5, s34
	v_rcp_iflag_f32_e32 v1, v1
	s_ashr_i32 s8, s8, 31
	s_mov_b32 s46, 0
	v_mul_f32_e32 v1, 0x4f7ffffe, v1
	v_cvt_u32_f32_e32 v1, v1
	s_nop 0
	v_readfirstlane_b32 s11, v1
	s_mul_i32 s10, s10, s11
	s_mul_hi_u32 s10, s11, s10
	s_add_i32 s11, s11, s10
	s_mul_hi_u32 s10, s9, s11
	s_mul_i32 s11, s10, s3
	s_sub_i32 s9, s9, s11
	s_add_i32 s11, s10, 1
	s_sub_i32 s12, s9, s3
	s_cmp_ge_u32 s9, s3
	s_cselect_b32 s10, s11, s10
	s_cselect_b32 s9, s12, s9
	s_add_i32 s11, s10, 1
	s_cmp_ge_u32 s9, s3
	s_cselect_b32 s3, s11, s10
	s_xor_b32 s3, s3, s8
	s_sub_i32 s12, s3, s8
	s_abs_i32 s10, s12
	v_cvt_f32_u32_e32 v1, s10
	s_load_dwordx2 s[8:9], s[0:1], 0x40
	s_sub_i32 s3, 0, s10
	s_abs_i32 s11, s2
	v_rcp_iflag_f32_e32 v1, v1
	s_nop 0
	v_mul_f32_e32 v1, 0x4f7ffffe, v1
	v_cvt_u32_f32_e32 v1, v1
	s_nop 0
	v_readfirstlane_b32 s13, v1
	s_mul_i32 s3, s3, s13
	s_mul_hi_u32 s3, s13, s3
	s_add_i32 s13, s13, s3
	s_waitcnt lgkmcnt(0)
	s_cmp_eq_u64 s[8:9], 0
	s_mul_hi_u32 s24, s11, s13
	s_cbranch_scc1 .LBB111_2
; %bb.1:
	s_ashr_i32 s3, s2, 31
	s_lshl_b64 s[14:15], s[2:3], 2
	s_add_u32 s8, s8, s14
	s_addc_u32 s9, s9, s15
	s_load_dword s46, s[8:9], 0x0
.LBB111_2:
	s_load_dword s21, s[6:7], 0x0
	s_ashr_i32 s26, s12, 31
	s_load_dwordx4 s[12:15], s[0:1], 0x48
	s_movk_i32 s3, 0x60
	s_ashr_i32 s25, s2, 31
	v_and_b32_e32 v4, 7, v0
	s_mul_i32 s22, s2, 0x60
	v_cmp_gt_u32_e64 s[6:7], s3, v0
	v_lshlrev_b32_e32 v14, 1, v0
	s_and_saveexec_b64 s[8:9], s[6:7]
	s_cbranch_execz .LBB111_4
; %bb.3:
	s_load_dwordx2 s[16:17], s[0:1], 0x8
	s_waitcnt lgkmcnt(0)
	s_mul_i32 s18, s12, s20
	s_ashr_i32 s19, s18, 31
	s_lshl_b64 s[18:19], s[18:19], 1
	v_lshrrev_b32_e32 v2, 2, v0
	s_add_u32 s3, s16, s18
	s_addc_u32 s12, s17, s19
	s_ashr_i32 s23, s22, 31
	s_lshl_b64 s[16:17], s[22:23], 1
	s_add_u32 s16, s3, s16
	s_addc_u32 s17, s12, s17
	global_load_ushort v1, v14, s[16:17]
	v_and_b32_e32 v2, 0xfe, v2
	v_mad_u32_u24 v2, v4, 24, v2
	s_waitcnt vmcnt(0)
	ds_write_b16 v2, v1
.LBB111_4:
	s_or_b64 exec, exec, s[8:9]
	s_mul_i32 s9, s24, s10
	s_sub_i32 s9, s11, s9
	s_xor_b32 s8, s25, s26
	s_add_i32 s11, s24, 1
	s_waitcnt lgkmcnt(0)
	s_sub_i32 s12, s9, s10
	s_load_dwordx4 s[16:19], s[0:1], 0x68
	s_load_dword s3, s[0:1], 0x78
	s_cmp_ge_u32 s9, s10
	s_cselect_b32 s11, s11, s24
	s_cselect_b32 s9, s12, s9
	s_add_i32 s12, s11, 1
	s_cmp_ge_u32 s9, s10
	s_cselect_b32 s9, s12, s11
	s_waitcnt lgkmcnt(0)
	s_abs_i32 s33, s19
	v_cvt_f32_u32_e32 v1, s33
	s_xor_b32 s9, s9, s8
	s_sub_i32 s10, s9, s8
	s_sub_i32 s8, 0, s33
	v_rcp_iflag_f32_e32 v1, v1
	s_add_i32 s15, s21, -1
	s_abs_i32 s11, s15
	v_mul_f32_e32 v1, 0x4f7ffffe, v1
	v_cvt_u32_f32_e32 v1, v1
	s_barrier
	v_readfirstlane_b32 s42, v1
	s_mul_i32 s8, s8, s42
	s_mul_hi_u32 s8, s42, s8
	s_add_i32 s42, s42, s8
	s_cmp_lt_i32 s3, 0
	s_mul_hi_u32 s12, s11, s42
	s_cbranch_scc0 .LBB111_6
; %bb.5:
	s_mul_i32 s8, s16, s34
	s_add_i32 s8, s10, s8
	s_mul_i32 s8, s8, s3
	s_sub_i32 s43, 1, s8
	s_mov_b64 s[8:9], 0
	s_branch .LBB111_7
.LBB111_6:
	s_mov_b64 s[8:9], -1
                                        ; implicit-def: $sgpr43
.LBB111_7:
	s_load_dwordx2 s[26:27], s[0:1], 0x28
	s_ashr_i32 s15, s15, 31
	s_andn2_b64 vcc, exec, s[8:9]
	s_ashr_i32 s44, s19, 31
	s_cbranch_vccnz .LBB111_9
; %bb.8:
	s_mul_i32 s8, s5, s16
	s_add_i32 s2, s8, s2
	s_mul_i32 s2, s2, s3
	s_add_i32 s43, s2, 1
.LBB111_9:
	s_load_dword s2, s[0:1], 0x38
	s_load_dwordx2 s[24:25], s[0:1], 0x0
	s_load_dwordx2 s[30:31], s[0:1], 0x18
	s_load_dword s23, s[0:1], 0x88
	s_xor_b32 s3, s15, s44
	s_waitcnt lgkmcnt(0)
	s_mul_i32 s28, s2, s20
	s_mul_i32 s2, s12, s33
	s_sub_i32 s2, s11, s2
	s_ashr_i32 s29, s28, 31
	s_add_i32 s8, s12, 1
	s_sub_i32 s9, s2, s33
	s_cmp_ge_u32 s2, s33
	s_cselect_b32 s8, s8, s12
	s_cselect_b32 s2, s9, s2
	s_add_i32 s9, s8, 1
	s_cmp_ge_u32 s2, s33
	s_cselect_b32 s2, s9, s8
	s_xor_b32 s2, s2, s3
	s_sub_i32 s12, s2, s3
	s_add_i32 s2, s21, 7
	s_ashr_i32 s3, s2, 31
	s_lshr_b32 s3, s3, 29
	s_add_i32 s2, s2, s3
	s_ashr_i32 s45, s2, 3
	v_lshrrev_b32_e32 v1, 6, v0
	v_cmp_gt_i32_e64 s[2:3], s45, v1
	v_mov_b32_e32 v10, 0xff7fffff
	s_mul_i32 s14, s10, s14
	v_lshrrev_b32_e32 v6, 4, v0
	v_lshlrev_b32_e32 v15, 3, v1
	v_mbcnt_lo_u32_b32 v7, -1, 0
	s_and_saveexec_b64 s[36:37], s[2:3]
	s_cbranch_execz .LBB111_21
; %bb.10:
	s_load_dwordx2 s[0:1], s[0:1], 0x10
	s_ashr_i32 s15, s14, 31
	s_sub_i32 s16, s12, s17
	s_lshl_b64 s[8:9], s[14:15], 1
	v_bfe_u32 v8, v0, 3, 3
	s_waitcnt lgkmcnt(0)
	s_add_u32 s0, s0, s8
	s_addc_u32 s1, s1, s9
	s_abs_i32 s15, s18
	v_cvt_f32_u32_e32 v2, s15
	v_lshlrev_b32_e32 v12, 4, v8
	v_mov_b32_e32 v13, 0
	s_sub_i32 s8, 0, s15
	v_rcp_iflag_f32_e32 v5, v2
	v_cmp_eq_u32_e32 vcc, 0, v4
	v_lshl_add_u64 v[2:3], s[0:1], 0, v[12:13]
	v_lshlrev_b32_e32 v12, 1, v4
	v_mul_f32_e32 v5, 0x4f7ffffe, v5
	v_cvt_u32_f32_e32 v5, v5
	v_mul_u32_u24_e32 v9, 24, v4
	v_lshl_add_u64 v[2:3], v[2:3], 0, v[12:13]
	v_and_b32_e32 v12, 60, v6
	v_mul_lo_u32 v4, s8, v5
	s_lshl_b64 s[8:9], s[28:29], 2
	s_add_u32 s8, s26, s8
	v_mul_hi_u32 v4, v5, v4
	s_addc_u32 s9, s27, s9
	v_subrev_u32_e32 v10, s21, v8
	v_add_u32_e32 v11, v5, v4
	v_lshl_add_u64 v[4:5], s[8:9], 0, v[12:13]
	v_add_u32_e32 v13, 1, v10
	v_lshlrev_b32_e32 v10, 2, v8
	v_lshl_or_b32 v10, v1, 5, v10
	v_mbcnt_hi_u32_b32 v18, -1, v7
	v_add_u32_e32 v16, 0xd0, v10
	v_and_b32_e32 v10, 64, v18
	s_mov_b32 s19, s13
	v_cmp_neq_f32_e64 s[0:1], s46, 0
	v_lshlrev_b32_e32 v12, 3, v1
	v_mov_b32_e32 v17, 0xff7fffff
	s_mov_b64 s[38:39], 0
	v_add_u32_e32 v19, 64, v10
	v_xor_b32_e32 v20, 4, v18
	v_xor_b32_e32 v21, 2, v18
	;; [unrolled: 1-line block ×3, first 2 shown]
	v_mov_b32_e32 v10, 0xff7fffff
	v_mov_b32_e32 v23, v1
	s_branch .LBB111_13
.LBB111_11:                             ;   in Loop: Header=BB111_13 Depth=1
	s_or_b64 exec, exec, s[40:41]
.LBB111_12:                             ;   in Loop: Header=BB111_13 Depth=1
	s_or_b64 exec, exec, s[10:11]
	v_add_u32_e32 v23, 2, v23
	v_cmp_le_i32_e64 s[8:9], s45, v23
	v_lshl_add_u64 v[4:5], v[4:5], 0, 8
	v_add_u32_e32 v12, 16, v12
	s_or_b64 s[38:39], s[8:9], s[38:39]
	v_add_u32_e32 v16, 64, v16
	s_andn2_b64 exec, exec, s[38:39]
	s_cbranch_execz .LBB111_20
.LBB111_13:                             ; =>This Inner Loop Header: Depth=1
	v_mul_hi_u32 v24, v12, s42
	s_waitcnt lgkmcnt(0)
	v_mul_lo_u32 v25, v24, s33
	v_sub_u32_e32 v25, v12, v25
	v_add_u32_e32 v26, 1, v24
	v_cmp_le_u32_e64 s[8:9], s33, v25
	s_nop 1
	v_cndmask_b32_e64 v24, v24, v26, s[8:9]
	v_subrev_u32_e32 v26, s33, v25
	v_cndmask_b32_e64 v25, v25, v26, s[8:9]
	v_add_u32_e32 v26, 1, v24
	v_cmp_le_u32_e64 s[8:9], s33, v25
	s_nop 1
	v_cndmask_b32_e64 v24, v24, v26, s[8:9]
	v_xor_b32_e32 v24, s44, v24
	v_subrev_u32_e32 v24, s44, v24
	v_add_u32_e32 v25, s43, v24
	v_sub_u32_e32 v27, 0, v25
	v_ashrrev_i32_e32 v26, 31, v25
	v_max_i32_e32 v25, v25, v27
	v_mul_hi_u32 v27, v25, v11
	v_mul_lo_u32 v27, v27, s15
	v_sub_u32_e32 v25, v25, v27
	v_subrev_u32_e32 v27, s15, v25
	v_cmp_le_u32_e64 s[8:9], s15, v25
	v_cmp_ge_i32_e64 s[10:11], s16, v24
	s_nop 0
	v_cndmask_b32_e64 v25, v25, v27, s[8:9]
	v_subrev_u32_e32 v27, s15, v25
	v_cmp_le_u32_e64 s[8:9], s15, v25
	s_nop 1
	v_cndmask_b32_e64 v25, v25, v27, s[8:9]
	v_xor_b32_e32 v25, v25, v26
	v_sub_u32_e32 v25, v25, v26
	v_cmp_ne_u32_e64 s[8:9], 0, v25
	s_and_b64 s[8:9], s[8:9], s[10:11]
	s_and_saveexec_b64 s[10:11], s[8:9]
	s_xor_b64 s[8:9], exec, s[10:11]
	s_cbranch_execz .LBB111_17
; %bb.14:                               ;   in Loop: Header=BB111_13 Depth=1
	s_and_saveexec_b64 s[10:11], vcc
; %bb.15:                               ;   in Loop: Header=BB111_13 Depth=1
	ds_write_b32 v16, v17
; %bb.16:                               ;   in Loop: Header=BB111_13 Depth=1
	s_or_b64 exec, exec, s[10:11]
.LBB111_17:                             ;   in Loop: Header=BB111_13 Depth=1
	s_andn2_saveexec_b64 s[10:11], s[8:9]
	s_cbranch_execz .LBB111_12
; %bb.18:                               ;   in Loop: Header=BB111_13 Depth=1
	global_load_dword v24, v[4:5], off
	s_waitcnt vmcnt(0)
	v_mad_i64_i32 v[24:25], s[8:9], v24, s19, 0
	v_lshl_add_u64 v[24:25], v[24:25], 1, v[2:3]
	global_load_ushort v30, v[24:25], off
	global_load_ushort v31, v[24:25], off offset:128
	global_load_ushort v32, v[24:25], off offset:256
	;; [unrolled: 1-line block ×11, first 2 shown]
	ds_read2_b64 v[24:27], v9 offset1:1
	ds_read_b64 v[28:29], v9 offset:16
	v_cmp_lt_i32_e64 s[8:9], v20, v19
	s_waitcnt lgkmcnt(1)
	v_lshlrev_b32_e32 v43, 16, v24
	v_and_b32_e32 v24, 0xffff0000, v24
	v_lshlrev_b32_e32 v44, 16, v25
	v_and_b32_e32 v25, 0xffff0000, v25
	;; [unrolled: 2-line block ×4, first 2 shown]
	s_waitcnt lgkmcnt(0)
	v_lshlrev_b32_e32 v47, 16, v28
	v_and_b32_e32 v28, 0xffff0000, v28
	v_lshlrev_b32_e32 v48, 16, v29
	v_cndmask_b32_e64 v42, v18, v20, s[8:9]
	v_and_b32_e32 v29, 0xffff0000, v29
	v_lshlrev_b32_e32 v42, 2, v42
	v_cmp_lt_i32_e64 s[8:9], v21, v19
	s_waitcnt vmcnt(11)
	v_lshlrev_b32_e32 v30, 16, v30
	s_waitcnt vmcnt(10)
	v_lshlrev_b32_e32 v31, 16, v31
	v_mul_f32_e32 v24, v24, v31
	s_waitcnt vmcnt(9)
	v_lshlrev_b32_e32 v32, 16, v32
	v_fmac_f32_e32 v24, v43, v30
	s_waitcnt vmcnt(8)
	v_lshlrev_b32_e32 v33, 16, v33
	v_fmac_f32_e32 v24, v44, v32
	;; [unrolled: 3-line block ×9, first 2 shown]
	v_fmac_f32_e32 v24, v48, v40
	s_waitcnt vmcnt(0)
	v_lshlrev_b32_e32 v25, 16, v41
	v_fmac_f32_e32 v24, v29, v25
	ds_bpermute_b32 v25, v42, v24
	v_cndmask_b32_e64 v26, v18, v21, s[8:9]
	v_lshlrev_b32_e32 v26, 2, v26
	v_cmp_lt_i32_e64 s[8:9], v22, v19
	s_waitcnt lgkmcnt(0)
	v_add_f32_e32 v24, v24, v25
	ds_bpermute_b32 v25, v26, v24
	v_cndmask_b32_e64 v26, v18, v22, s[8:9]
	v_lshlrev_b32_e32 v26, 2, v26
	s_waitcnt lgkmcnt(0)
	v_add_f32_e32 v24, v24, v25
	ds_bpermute_b32 v25, v26, v24
	s_and_saveexec_b64 s[40:41], vcc
	s_cbranch_execz .LBB111_11
; %bb.19:                               ;   in Loop: Header=BB111_13 Depth=1
	v_add_u32_e32 v26, v13, v12
	v_cvt_f32_i32_e32 v26, v26
	s_waitcnt lgkmcnt(0)
	v_add_f32_e32 v24, v24, v25
	v_add_u32_e32 v27, v8, v12
	v_cmp_gt_i32_e64 s[8:9], s21, v27
	v_mul_f32_e32 v25, s46, v26
	v_cndmask_b32_e64 v25, 0, v25, s[0:1]
	v_fmac_f32_e32 v25, s35, v24
	v_cndmask_b32_e64 v24, 0, v25, s[8:9]
	ds_write_b32 v16, v24
	v_max_f32_e32 v24, v10, v10
	v_max_f32_e32 v24, v24, v25
	v_cndmask_b32_e64 v10, v10, v24, s[8:9]
	s_branch .LBB111_11
.LBB111_20:
	s_or_b64 exec, exec, s[38:39]
.LBB111_21:
	s_or_b64 exec, exec, s[36:37]
	v_mbcnt_hi_u32_b32 v2, -1, v7
	v_and_b32_e32 v11, 64, v2
	v_add_u32_e32 v3, 64, v11
	v_xor_b32_e32 v4, 32, v2
	v_cmp_lt_i32_e32 vcc, v4, v3
	v_xor_b32_e32 v8, 16, v2
	v_max_f32_e32 v7, v10, v10
	v_cndmask_b32_e32 v4, v2, v4, vcc
	v_lshlrev_b32_e32 v5, 2, v4
	ds_bpermute_b32 v4, v5, v10
	v_cmp_lt_i32_e32 vcc, v8, v3
	v_xor_b32_e32 v9, 8, v2
	v_and_b32_e32 v28, 63, v0
	s_waitcnt lgkmcnt(0)
	v_max_f32_e32 v4, v4, v4
	v_max_f32_e32 v4, v7, v4
	v_cndmask_b32_e32 v7, v2, v8, vcc
	v_lshlrev_b32_e32 v8, 2, v7
	ds_bpermute_b32 v7, v8, v4
	v_cmp_lt_i32_e32 vcc, v9, v3
	s_waitcnt lgkmcnt(0)
	v_max_f32_e32 v7, v7, v7
	v_max_f32_e32 v7, v4, v7
	v_cndmask_b32_e32 v4, v2, v9, vcc
	v_lshlrev_b32_e32 v10, 2, v4
	ds_bpermute_b32 v9, v10, v7
	v_cmp_eq_u32_e32 vcc, 0, v28
	v_lshlrev_b32_e32 v4, 2, v1
	s_and_saveexec_b64 s[0:1], vcc
	s_cbranch_execz .LBB111_23
; %bb.22:
	s_waitcnt lgkmcnt(0)
	v_max_f32_e32 v9, v9, v9
	v_max_f32_e32 v7, v7, v7
	;; [unrolled: 1-line block ×3, first 2 shown]
	ds_write_b32 v4, v7 offset:192
.LBB111_23:
	s_or_b64 exec, exec, s[0:1]
	v_cmp_gt_u32_e64 s[0:1], 2, v28
	v_mov_b32_e32 v12, 0xff7fffff
	v_lshlrev_b32_e32 v7, 2, v28
	s_waitcnt lgkmcnt(0)
	s_barrier
	s_and_saveexec_b64 s[8:9], s[0:1]
; %bb.24:
	ds_read_b32 v12, v7 offset:192
; %bb.25:
	s_or_b64 exec, exec, s[8:9]
	v_xor_b32_e32 v9, 1, v2
	v_cmp_lt_i32_e64 s[8:9], v9, v3
	v_lshlrev_b32_e32 v11, 2, v11
	s_nop 0
	v_cndmask_b32_e64 v9, v2, v9, s[8:9]
	v_lshlrev_b32_e32 v9, 2, v9
	s_waitcnt lgkmcnt(0)
	ds_bpermute_b32 v13, v9, v12
	v_max_f32_e32 v12, v12, v12
	s_lshl_b32 s8, s45, 3
	s_min_i32 s15, s8, s21
	v_cmp_gt_i32_e64 s[8:9], s15, v0
	s_waitcnt lgkmcnt(0)
	v_max_f32_e32 v13, v13, v13
	v_max_f32_e32 v12, v12, v13
	ds_bpermute_b32 v12, v11, v12
	v_mov_b32_e32 v11, 0
	s_and_saveexec_b64 s[34:35], s[8:9]
	s_cbranch_execz .LBB111_29
; %bb.26:
	v_mov_b32_e32 v11, 0xd0
	v_lshl_add_u32 v13, v0, 2, v11
	v_mov_b32_e32 v11, 0
	s_mov_b64 s[36:37], 0
	v_mov_b32_e32 v16, v0
.LBB111_27:                             ; =>This Inner Loop Header: Depth=1
	ds_read_b32 v17, v13
	v_add_u32_e32 v16, 0x80, v16
	v_cmp_le_i32_e64 s[10:11], s15, v16
	s_or_b64 s[36:37], s[10:11], s[36:37]
	s_waitcnt lgkmcnt(0)
	v_sub_f32_e32 v17, v17, v12
	v_mul_f32_e32 v17, 0x3fb8aa3b, v17
	v_exp_f32_e32 v17, v17
	ds_write_b32 v13, v17
	v_add_f32_e32 v11, v11, v17
	v_add_u32_e32 v13, 0x200, v13
	s_andn2_b64 exec, exec, s[36:37]
	s_cbranch_execnz .LBB111_27
; %bb.28:
	s_or_b64 exec, exec, s[36:37]
.LBB111_29:
	s_or_b64 exec, exec, s[34:35]
	ds_bpermute_b32 v5, v5, v11
	s_waitcnt lgkmcnt(0)
	v_add_f32_e32 v5, v11, v5
	ds_bpermute_b32 v8, v8, v5
	s_waitcnt lgkmcnt(0)
	v_add_f32_e32 v5, v5, v8
	ds_bpermute_b32 v8, v10, v5
	v_xor_b32_e32 v10, 4, v2
	v_cmp_lt_i32_e64 s[10:11], v10, v3
	s_waitcnt lgkmcnt(0)
	v_add_f32_e32 v5, v5, v8
	v_cndmask_b32_e64 v10, v2, v10, s[10:11]
	v_lshlrev_b32_e32 v10, 2, v10
	ds_bpermute_b32 v8, v10, v5
	v_xor_b32_e32 v10, 2, v2
	v_cmp_lt_i32_e64 s[10:11], v10, v3
	s_waitcnt lgkmcnt(0)
	v_add_f32_e32 v5, v5, v8
	v_cndmask_b32_e64 v3, v2, v10, s[10:11]
	v_lshlrev_b32_e32 v3, 2, v3
	ds_bpermute_b32 v3, v3, v5
	s_waitcnt lgkmcnt(0)
	v_add_f32_e32 v3, v5, v3
	ds_bpermute_b32 v5, v9, v3
	s_waitcnt lgkmcnt(0)
	v_add_f32_e32 v3, v3, v5
	s_and_saveexec_b64 s[10:11], vcc
; %bb.30:
	ds_write_b32 v4, v3 offset:200
; %bb.31:
	s_or_b64 exec, exec, s[10:11]
	s_waitcnt lgkmcnt(0)
	s_barrier
	s_and_saveexec_b64 s[10:11], s[0:1]
; %bb.32:
	ds_read_b32 v3, v7 offset:200
; %bb.33:
	s_or_b64 exec, exec, s[10:11]
	s_waitcnt lgkmcnt(0)
	ds_bpermute_b32 v4, v9, v3
	v_lshlrev_b32_e32 v2, 2, v2
	v_and_b32_e32 v2, 0x100, v2
	s_waitcnt lgkmcnt(0)
	v_add_f32_e32 v3, v3, v4
	ds_bpermute_b32 v2, v2, v3
	s_and_saveexec_b64 s[0:1], s[8:9]
	s_cbranch_execz .LBB111_46
; %bb.34:
	s_waitcnt lgkmcnt(0)
	v_add_f32_e32 v2, 0x358637bd, v2
	v_div_scale_f32 v3, s[8:9], v2, v2, 1.0
	v_rcp_f32_e32 v4, v3
	v_div_scale_f32 v5, vcc, 1.0, v2, 1.0
	s_movk_i32 s8, 0x7f
	v_fma_f32 v7, -v3, v4, 1.0
	v_fmac_f32_e32 v4, v7, v4
	v_mul_f32_e32 v7, v5, v4
	v_fma_f32 v8, -v3, v7, v5
	v_fmac_f32_e32 v7, v8, v4
	v_fma_f32 v3, -v3, v7, v5
	v_div_fmas_f32 v3, v3, v4, v7
	v_xad_u32 v4, v0, -1, s15
	v_div_fixup_f32 v2, v3, v2, 1.0
	v_cmp_lt_u32_e32 vcc, s8, v4
	s_mov_b64 s[10:11], -1
	v_mov_b32_e32 v3, v0
	s_and_saveexec_b64 s[8:9], vcc
	s_cbranch_execz .LBB111_43
; %bb.35:
	v_lshrrev_b32_e32 v4, 7, v4
	v_add_u32_e32 v7, -1, v4
	v_lshrrev_b32_e32 v5, 1, v7
	v_mov_b32_e32 v3, v2
	v_add_u32_e32 v5, 1, v5
	v_cmp_lt_u32_e32 vcc, 13, v7
	v_mov_b32_e32 v9, 0
	s_and_saveexec_b64 s[10:11], vcc
	s_cbranch_execz .LBB111_39
; %bb.36:
	v_mov_b32_e32 v8, 0xd0
	v_and_b32_e32 v7, -8, v5
	v_lshl_add_u32 v8, v0, 2, v8
	s_mov_b32 s16, 0
	s_mov_b64 s[34:35], 0
.LBB111_37:                             ; =>This Inner Loop Header: Depth=1
	ds_read2st64_b32 v[10:11], v8 offset1:2
	ds_read2st64_b32 v[12:13], v8 offset0:4 offset1:6
	ds_read2st64_b32 v[16:17], v8 offset0:8 offset1:10
	;; [unrolled: 1-line block ×3, first 2 shown]
	v_add_u32_e32 v7, -8, v7
	s_waitcnt lgkmcnt(3)
	v_pk_mul_f32 v[10:11], v[2:3], v[10:11]
	s_waitcnt lgkmcnt(2)
	v_pk_mul_f32 v[12:13], v[2:3], v[12:13]
	ds_write2st64_b32 v8, v10, v11 offset1:2
	ds_write2st64_b32 v8, v12, v13 offset0:4 offset1:6
	ds_read2st64_b32 v[12:13], v8 offset0:16 offset1:18
	s_waitcnt lgkmcnt(4)
	v_pk_mul_f32 v[10:11], v[2:3], v[16:17]
	ds_write2st64_b32 v8, v10, v11 offset0:8 offset1:10
	s_waitcnt lgkmcnt(4)
	v_pk_mul_f32 v[10:11], v[2:3], v[18:19]
	ds_write2st64_b32 v8, v10, v11 offset0:12 offset1:14
	ds_read2st64_b32 v[10:11], v8 offset0:20 offset1:22
	s_waitcnt lgkmcnt(3)
	v_pk_mul_f32 v[12:13], v[2:3], v[12:13]
	ds_read2st64_b32 v[16:17], v8 offset0:24 offset1:26
	ds_write2st64_b32 v8, v12, v13 offset0:16 offset1:18
	ds_read2st64_b32 v[12:13], v8 offset0:28 offset1:30
	s_waitcnt lgkmcnt(3)
	v_pk_mul_f32 v[10:11], v[2:3], v[10:11]
	ds_write2st64_b32 v8, v10, v11 offset0:20 offset1:22
	s_waitcnt lgkmcnt(3)
	v_pk_mul_f32 v[10:11], v[2:3], v[16:17]
	ds_write2st64_b32 v8, v10, v11 offset0:24 offset1:26
	s_waitcnt lgkmcnt(2)
	v_pk_mul_f32 v[10:11], v[2:3], v[12:13]
	s_add_i32 s16, s16, 16
	v_cmp_eq_u32_e32 vcc, 0, v7
	ds_write2st64_b32 v8, v10, v11 offset0:28 offset1:30
	v_add_u32_e32 v8, 0x2000, v8
	s_or_b64 s[34:35], vcc, s[34:35]
	v_mov_b32_e32 v9, s16
	s_andn2_b64 exec, exec, s[34:35]
	s_cbranch_execnz .LBB111_37
; %bb.38:
	s_or_b64 exec, exec, s[34:35]
.LBB111_39:
	s_or_b64 exec, exec, s[10:11]
	v_and_b32_e32 v5, 7, v5
	v_cmp_ne_u32_e32 vcc, 0, v5
	s_and_saveexec_b64 s[10:11], vcc
	s_cbranch_execz .LBB111_42
; %bb.40:
	v_lshlrev_b32_e32 v7, 9, v9
	v_lshlrev_b32_e32 v8, 2, v0
	s_movk_i32 s16, 0xd0
	v_add3_u32 v7, v7, v8, s16
	s_mov_b64 s[34:35], 0
.LBB111_41:                             ; =>This Inner Loop Header: Depth=1
	ds_read2st64_b32 v[8:9], v7 offset1:2
	v_add_u32_e32 v5, -1, v5
	v_cmp_eq_u32_e32 vcc, 0, v5
	s_or_b64 s[34:35], vcc, s[34:35]
	s_waitcnt lgkmcnt(0)
	v_pk_mul_f32 v[8:9], v[2:3], v[8:9]
	ds_write2st64_b32 v7, v8, v9 offset1:2
	v_add_u32_e32 v7, 0x400, v7
	s_andn2_b64 exec, exec, s[34:35]
	s_cbranch_execnz .LBB111_41
.LBB111_42:
	s_or_b64 exec, exec, s[10:11]
	v_add_u32_e32 v4, 1, v4
	v_and_b32_e32 v5, 0x3fffffe, v4
	v_cmp_ne_u32_e32 vcc, v4, v5
	v_lshl_add_u32 v3, v5, 7, v0
	s_orn2_b64 s[10:11], vcc, exec
.LBB111_43:
	s_or_b64 exec, exec, s[8:9]
	s_and_b64 exec, exec, s[10:11]
	s_cbranch_execz .LBB111_46
; %bb.44:
	v_mov_b32_e32 v4, 0xd0
	v_lshl_add_u32 v4, v3, 2, v4
	s_mov_b64 s[8:9], 0
.LBB111_45:                             ; =>This Inner Loop Header: Depth=1
	ds_read_b32 v5, v4
	v_add_u32_e32 v3, 0x80, v3
	v_cmp_le_i32_e32 vcc, s15, v3
	s_or_b64 s[8:9], vcc, s[8:9]
	s_waitcnt lgkmcnt(0)
	v_mul_f32_e32 v5, v2, v5
	ds_write_b32 v4, v5
	v_add_u32_e32 v4, 0x200, v4
	s_andn2_b64 exec, exec, s[8:9]
	s_cbranch_execnz .LBB111_45
.LBB111_46:
	s_or_b64 exec, exec, s[0:1]
	v_mov_b32_e32 v17, 0
	v_mov_b32_e32 v16, v17
	s_waitcnt lgkmcnt(0)
	s_barrier
	s_and_saveexec_b64 s[10:11], s[2:3]
	s_cbranch_execz .LBB111_58
; %bb.47:
	s_ashr_i32 s15, s14, 31
	s_sub_i32 s34, s12, s17
	s_lshl_b64 s[0:1], s[14:15], 1
	s_add_u32 s12, s30, s0
	s_mov_b32 s35, s13
	s_addc_u32 s13, s31, s1
	s_abs_i32 s30, s18
	v_cvt_f32_u32_e32 v3, s30
	v_or_b32_e32 v4, 64, v28
	s_movk_i32 s0, 0x60
	v_cmp_gt_u32_e64 s[2:3], s0, v4
	v_rcp_iflag_f32_e32 v3, v3
	s_sub_i32 s0, 0, s30
	s_add_i32 s31, s45, -1
	v_lshlrev_b32_e32 v2, 3, v28
	v_mul_f32_e32 v3, 0x4f7ffffe, v3
	v_cvt_u32_f32_e32 v3, v3
	v_mov_b32_e32 v19, 0
	v_lshlrev_b32_e32 v4, 3, v4
	v_and_b32_e32 v18, 60, v6
	v_mul_lo_u32 v5, s0, v3
	s_lshl_b64 s[0:1], s[28:29], 2
	v_mul_hi_u32 v5, v3, v5
	s_add_u32 s0, s26, s0
	v_add_u32_e32 v29, v3, v5
	s_addc_u32 s1, s27, s1
	v_mov_b32_e32 v3, 0xd0
	s_mov_b32 s36, s21
	v_lshl_add_u64 v[20:21], s[0:1], 0, v[18:19]
	v_lshl_add_u32 v30, v1, 5, v3
	s_mov_b64 s[14:15], 0
	v_lshlrev_b32_e32 v18, 1, v2
	s_mov_b32 s26, 0x5040100
	v_lshlrev_b32_e32 v22, 1, v4
	v_mov_b32_e32 v16, v19
	v_mov_b32_e32 v17, v19
	s_branch .LBB111_51
.LBB111_48:                             ;   in Loop: Header=BB111_51 Depth=1
	s_or_b64 exec, exec, s[18:19]
	v_cvt_pk_bf16_f32 v6, v6, v7
	v_cvt_pk_bf16_f32 v2, v2, v3
	;; [unrolled: 1-line block ×3, first 2 shown]
	s_waitcnt vmcnt(0)
	v_lshlrev_b32_e32 v4, 16, v10
	v_lshlrev_b32_e32 v5, 16, v6
	v_cvt_pk_bf16_f32 v7, v8, v9
	v_mul_f32_e32 v4, v5, v4
	v_and_b32_e32 v5, 0xffff0000, v10
	v_and_b32_e32 v6, 0xffff0000, v6
	v_mul_f32_e32 v5, v6, v5
	v_lshlrev_b32_e32 v6, 16, v11
	v_lshlrev_b32_e32 v8, 16, v7
	v_mul_f32_e32 v6, v8, v6
	v_and_b32_e32 v8, 0xffff0000, v11
	v_and_b32_e32 v7, 0xffff0000, v7
	v_mul_f32_e32 v7, v7, v8
	v_lshlrev_b32_e32 v8, 16, v12
	v_lshlrev_b32_e32 v9, 16, v2
	v_mul_f32_e32 v8, v9, v8
	v_and_b32_e32 v9, 0xffff0000, v12
	v_and_b32_e32 v2, 0xffff0000, v2
	v_mul_f32_e32 v2, v2, v9
	v_cvt_pk_bf16_f32 v9, v2, s0
	v_lshlrev_b32_e32 v2, 16, v13
	v_lshlrev_b32_e32 v10, 16, v3
	v_mul_f32_e32 v2, v10, v2
	v_cvt_pk_bf16_f32 v10, v2, s0
	v_and_b32_e32 v2, 0xffff0000, v13
	v_and_b32_e32 v3, 0xffff0000, v3
	v_cvt_pk_bf16_f32 v4, v4, s0
	v_cvt_pk_bf16_f32 v5, v5, s0
	;; [unrolled: 1-line block ×4, first 2 shown]
	v_mul_f32_e32 v2, v3, v2
	v_cvt_pk_bf16_f32 v8, v8, s0
	v_cvt_pk_bf16_f32 v11, v2, s0
	v_lshlrev_b32_e32 v3, 16, v5
	v_lshlrev_b32_e32 v5, 16, v4
	;; [unrolled: 1-line block ×4, first 2 shown]
	v_pk_add_f32 v[2:3], v[4:5], v[2:3]
	v_lshlrev_b32_e32 v5, 16, v9
	v_lshlrev_b32_e32 v7, 16, v8
	;; [unrolled: 1-line block ×4, first 2 shown]
	v_pk_add_f32 v[4:5], v[6:7], v[4:5]
	v_add_f32_e32 v2, v2, v3
	v_add_f32_e32 v2, v5, v2
	;; [unrolled: 1-line block ×3, first 2 shown]
	v_pk_add_f32 v[16:17], v[16:17], v[2:3] op_sel_hi:[1,0]
.LBB111_49:                             ;   in Loop: Header=BB111_51 Depth=1
	s_or_b64 exec, exec, s[8:9]
	v_mov_b32_e32 v16, v26
.LBB111_50:                             ;   in Loop: Header=BB111_51 Depth=1
	s_or_b64 exec, exec, s[16:17]
	v_add_u32_e32 v1, 2, v1
	v_cmp_le_i32_e32 vcc, s45, v1
	v_lshl_add_u64 v[20:21], v[20:21], 0, 8
	v_add_u32_e32 v15, 16, v15
	s_or_b64 s[14:15], vcc, s[14:15]
	v_add_u32_e32 v30, 64, v30
	s_andn2_b64 exec, exec, s[14:15]
	s_cbranch_execz .LBB111_57
.LBB111_51:                             ; =>This Inner Loop Header: Depth=1
	v_mul_hi_u32 v2, v15, s42
	v_mul_lo_u32 v3, v2, s33
	v_sub_u32_e32 v3, v15, v3
	v_add_u32_e32 v4, 1, v2
	v_cmp_le_u32_e32 vcc, s33, v3
	s_nop 1
	v_cndmask_b32_e32 v2, v2, v4, vcc
	v_subrev_u32_e32 v4, s33, v3
	v_cndmask_b32_e32 v3, v3, v4, vcc
	v_add_u32_e32 v4, 1, v2
	v_cmp_le_u32_e32 vcc, s33, v3
	s_nop 1
	v_cndmask_b32_e32 v2, v2, v4, vcc
	v_xor_b32_e32 v2, s44, v2
	v_subrev_u32_e32 v2, s44, v2
	v_add_u32_e32 v3, s43, v2
	v_sub_u32_e32 v5, 0, v3
	v_ashrrev_i32_e32 v4, 31, v3
	v_max_i32_e32 v3, v3, v5
	v_mul_hi_u32 v5, v3, v29
	v_mul_lo_u32 v5, v5, s30
	v_sub_u32_e32 v3, v3, v5
	v_subrev_u32_e32 v5, s30, v3
	v_cmp_le_u32_e32 vcc, s30, v3
	v_cmp_lt_i32_e64 s[0:1], s34, v2
	s_nop 0
	v_cndmask_b32_e32 v3, v3, v5, vcc
	v_subrev_u32_e32 v5, s30, v3
	v_cmp_le_u32_e32 vcc, s30, v3
	s_nop 1
	v_cndmask_b32_e32 v3, v3, v5, vcc
	v_xor_b32_e32 v3, v3, v4
	v_sub_u32_e32 v3, v3, v4
	v_cmp_eq_u32_e32 vcc, 0, v3
	s_or_b64 s[0:1], vcc, s[0:1]
	s_and_saveexec_b64 s[16:17], s[0:1]
	s_cbranch_execz .LBB111_50
; %bb.52:                               ;   in Loop: Header=BB111_51 Depth=1
	global_load_dword v2, v[20:21], off
	s_waitcnt vmcnt(0)
	v_mad_i64_i32 v[2:3], s[0:1], v2, s35, 0
	v_lshl_add_u64 v[24:25], v[2:3], 1, s[12:13]
	v_lshl_add_u64 v[2:3], v[24:25], 0, v[18:19]
	global_load_dwordx4 v[10:13], v[2:3], off
	ds_read2_b64 v[6:9], v30 offset1:1
	ds_read2_b64 v[2:5], v30 offset0:2 offset1:3
	v_cmp_eq_u32_e64 s[0:1], s31, v1
	s_and_saveexec_b64 s[18:19], s[0:1]
	s_cbranch_execz .LBB111_54
; %bb.53:                               ;   in Loop: Header=BB111_51 Depth=1
	v_add_u32_e32 v23, 1, v15
	v_cmp_gt_i32_e32 vcc, s36, v23
	v_or_b32_e32 v26, 2, v15
	v_cmp_gt_i32_e64 s[8:9], s21, v26
	s_waitcnt vmcnt(0)
	v_cndmask_b32_sdwa v23, v19, v10, vcc dst_sel:DWORD dst_unused:UNUSED_PAD src0_sel:DWORD src1_sel:WORD_1
	v_cmp_gt_i32_e32 vcc, s21, v15
	v_or_b32_e32 v26, 4, v15
	s_nop 0
	v_cndmask_b32_e32 v10, 0, v10, vcc
	v_perm_b32 v10, v23, v10, s26
	v_or_b32_e32 v23, 3, v15
	v_cmp_gt_i32_e32 vcc, s36, v23
	v_cndmask_b32_e64 v23, 0, v11, s[8:9]
	v_cmp_gt_i32_e64 s[8:9], s21, v26
	v_cndmask_b32_sdwa v11, v19, v11, vcc dst_sel:DWORD dst_unused:UNUSED_PAD src0_sel:DWORD src1_sel:WORD_1
	v_perm_b32 v11, v11, v23, s26
	v_or_b32_e32 v23, 5, v15
	v_cmp_gt_i32_e32 vcc, s36, v23
	v_cndmask_b32_e64 v23, 0, v12, s[8:9]
	v_or_b32_e32 v26, 6, v15
	v_cndmask_b32_sdwa v12, v19, v12, vcc dst_sel:DWORD dst_unused:UNUSED_PAD src0_sel:DWORD src1_sel:WORD_1
	v_perm_b32 v12, v12, v23, s26
	v_or_b32_e32 v23, 7, v15
	v_cmp_gt_i32_e32 vcc, s36, v23
	v_cmp_gt_i32_e64 s[8:9], s21, v26
	s_nop 1
	v_cndmask_b32_e64 v23, 0, v13, s[8:9]
	v_cndmask_b32_sdwa v13, v19, v13, vcc dst_sel:DWORD dst_unused:UNUSED_PAD src0_sel:DWORD src1_sel:WORD_1
	v_perm_b32 v13, v13, v23, s26
.LBB111_54:                             ;   in Loop: Header=BB111_51 Depth=1
	s_or_b64 exec, exec, s[18:19]
	s_waitcnt lgkmcnt(1)
	v_cvt_pk_bf16_f32 v26, v7, s0
	v_cvt_pk_bf16_f32 v27, v8, s0
	s_waitcnt vmcnt(0)
	v_lshlrev_b32_e32 v36, 16, v10
	v_and_b32_e32 v10, 0xffff0000, v10
	v_lshlrev_b32_e32 v26, 16, v26
	v_cvt_pk_bf16_f32 v31, v9, s0
	v_mul_f32_e32 v10, v26, v10
	v_lshlrev_b32_e32 v26, 16, v11
	v_lshlrev_b32_e32 v27, 16, v27
	v_mul_f32_e32 v26, v27, v26
	v_and_b32_e32 v11, 0xffff0000, v11
	v_lshlrev_b32_e32 v27, 16, v31
	s_waitcnt lgkmcnt(0)
	v_cvt_pk_bf16_f32 v32, v2, s0
	v_mul_f32_e32 v11, v27, v11
	v_cvt_pk_bf16_f32 v27, v11, s0
	v_lshlrev_b32_e32 v11, 16, v12
	v_lshlrev_b32_e32 v31, 16, v32
	v_cvt_pk_bf16_f32 v33, v3, s0
	v_mul_f32_e32 v11, v31, v11
	v_cvt_pk_bf16_f32 v31, v11, s0
	v_and_b32_e32 v11, 0xffff0000, v12
	v_lshlrev_b32_e32 v12, 16, v33
	v_cvt_pk_bf16_f32 v34, v4, s0
	v_mul_f32_e32 v11, v12, v11
	v_cvt_pk_bf16_f32 v23, v6, s0
	v_cvt_pk_bf16_f32 v32, v11, s0
	v_lshlrev_b32_e32 v11, 16, v13
	v_lshlrev_b32_e32 v12, 16, v34
	v_cvt_pk_bf16_f32 v35, v5, s0
	v_lshlrev_b32_e32 v23, 16, v23
	v_mul_f32_e32 v11, v12, v11
	v_mul_f32_e32 v23, v23, v36
	v_cvt_pk_bf16_f32 v33, v11, s0
	v_and_b32_e32 v11, 0xffff0000, v13
	v_lshlrev_b32_e32 v12, 16, v35
	v_cvt_pk_bf16_f32 v23, v23, s0
	v_cvt_pk_bf16_f32 v10, v10, s0
	;; [unrolled: 1-line block ×3, first 2 shown]
	v_mul_f32_e32 v11, v12, v11
	v_cvt_pk_bf16_f32 v34, v11, s0
	v_lshlrev_b32_e32 v11, 16, v10
	v_lshlrev_b32_e32 v13, 16, v23
	;; [unrolled: 1-line block ×4, first 2 shown]
	v_pk_add_f32 v[10:11], v[12:13], v[10:11]
	v_lshlrev_b32_e32 v13, 16, v32
	v_lshlrev_b32_e32 v27, 16, v31
	;; [unrolled: 1-line block ×4, first 2 shown]
	v_pk_add_f32 v[10:11], v[10:11], v[10:11] op_sel:[0,1] op_sel_hi:[1,0]
	v_pk_add_f32 v[12:13], v[26:27], v[12:13]
	s_nop 0
	v_pk_add_f32 v[10:11], v[12:13], v[10:11] op_sel:[1,0] op_sel_hi:[0,1]
	v_pk_add_f32 v[10:11], v[12:13], v[10:11]
	s_nop 0
	v_pk_add_f32 v[26:27], v[16:17], v[10:11]
	s_and_saveexec_b64 s[8:9], s[2:3]
	s_cbranch_execz .LBB111_49
; %bb.55:                               ;   in Loop: Header=BB111_51 Depth=1
	v_mov_b32_e32 v23, v19
	v_lshl_add_u64 v[10:11], v[24:25], 0, v[22:23]
	global_load_dwordx4 v[10:13], v[10:11], off
	s_and_saveexec_b64 s[18:19], s[0:1]
	s_cbranch_execz .LBB111_48
; %bb.56:                               ;   in Loop: Header=BB111_51 Depth=1
	v_add_u32_e32 v23, 1, v15
	v_cmp_gt_i32_e32 vcc, s36, v23
	v_or_b32_e32 v24, 2, v15
	v_cmp_gt_i32_e64 s[0:1], s21, v24
	s_waitcnt vmcnt(0)
	v_cndmask_b32_sdwa v23, v19, v10, vcc dst_sel:DWORD dst_unused:UNUSED_PAD src0_sel:DWORD src1_sel:WORD_1
	v_cmp_gt_i32_e32 vcc, s21, v15
	v_or_b32_e32 v24, 4, v15
	s_nop 0
	v_cndmask_b32_e32 v10, 0, v10, vcc
	v_perm_b32 v10, v23, v10, s26
	v_or_b32_e32 v23, 3, v15
	v_cmp_gt_i32_e32 vcc, s36, v23
	v_cndmask_b32_e64 v23, 0, v11, s[0:1]
	v_cmp_gt_i32_e64 s[0:1], s21, v24
	v_cndmask_b32_sdwa v11, v19, v11, vcc dst_sel:DWORD dst_unused:UNUSED_PAD src0_sel:DWORD src1_sel:WORD_1
	v_perm_b32 v11, v11, v23, s26
	v_or_b32_e32 v23, 5, v15
	v_cmp_gt_i32_e32 vcc, s36, v23
	v_cndmask_b32_e64 v23, 0, v12, s[0:1]
	v_or_b32_e32 v24, 6, v15
	v_cndmask_b32_sdwa v12, v19, v12, vcc dst_sel:DWORD dst_unused:UNUSED_PAD src0_sel:DWORD src1_sel:WORD_1
	v_perm_b32 v12, v12, v23, s26
	v_or_b32_e32 v23, 7, v15
	v_cmp_gt_i32_e32 vcc, s36, v23
	v_cmp_gt_i32_e64 s[0:1], s21, v24
	s_nop 1
	v_cndmask_b32_e64 v23, 0, v13, s[0:1]
	v_cndmask_b32_sdwa v13, v19, v13, vcc dst_sel:DWORD dst_unused:UNUSED_PAD src0_sel:DWORD src1_sel:WORD_1
	v_perm_b32 v13, v13, v23, s26
	s_branch .LBB111_48
.LBB111_57:
	s_or_b64 exec, exec, s[14:15]
.LBB111_58:
	s_or_b64 exec, exec, s[10:11]
	v_and_b32_e32 v1, 0x3c0, v0
	v_cmp_eq_u32_e32 vcc, 64, v1
	s_barrier
	s_and_saveexec_b64 s[0:1], vcc
	s_cbranch_execz .LBB111_61
; %bb.59:
	v_mov_b32_e32 v1, 0xd0
	v_lshl_add_u32 v2, v28, 2, v1
	ds_write_b32 v2, v16
	s_and_b64 exec, exec, s[6:7]
; %bb.60:
	v_lshl_add_u32 v1, v0, 2, v1
	ds_write_b32 v1, v17
.LBB111_61:
	s_or_b64 exec, exec, s[0:1]
	v_cmp_gt_u32_e32 vcc, 64, v0
	v_or_b32_e32 v1, 64, v0
	s_waitcnt lgkmcnt(0)
	s_barrier
	s_and_saveexec_b64 s[2:3], vcc
	s_cbranch_execz .LBB111_65
; %bb.62:
	v_mov_b32_e32 v2, 0xd0
	v_lshl_add_u32 v2, v0, 2, v2
	ds_read_b32 v0, v2
	s_movk_i32 s0, 0x60
	v_cmp_gt_u32_e64 s[0:1], s0, v1
	s_and_saveexec_b64 s[6:7], s[0:1]
	s_cbranch_execz .LBB111_64
; %bb.63:
	ds_read_b32 v2, v2 offset:256
	s_waitcnt lgkmcnt(0)
	v_add_f32_e32 v17, v17, v2
.LBB111_64:
	s_or_b64 exec, exec, s[6:7]
	s_waitcnt lgkmcnt(0)
	v_add_f32_e32 v16, v16, v0
.LBB111_65:
	s_or_b64 exec, exec, s[2:3]
	s_barrier
	s_and_saveexec_b64 s[0:1], vcc
	s_cbranch_execz .LBB111_68
; %bb.66:
	s_mul_i32 s0, s20, s23
	s_mul_i32 s0, s0, s5
	s_mulk_i32 s0, 0x60
	s_ashr_i32 s1, s0, 31
	s_lshl_b64 s[0:1], s[0:1], 1
	s_add_u32 s3, s24, s0
	s_mul_i32 s0, s23, s22
	s_addc_u32 s5, s25, s1
	s_ashr_i32 s1, s0, 31
	s_lshl_b64 s[0:1], s[0:1], 1
	s_add_u32 s3, s3, s0
	s_mul_i32 s0, s4, 0x60
	s_addc_u32 s5, s5, s1
	s_ashr_i32 s1, s0, 31
	s_lshl_b64 s[0:1], s[0:1], 1
	s_movk_i32 s2, 0x60
	s_add_u32 s0, s3, s0
	s_addc_u32 s1, s5, s1
	v_cvt_pk_bf16_f32 v0, v16, s0
	v_cmp_gt_u32_e32 vcc, s2, v1
	global_store_short v14, v0, s[0:1]
	s_and_b64 exec, exec, vcc
	s_cbranch_execz .LBB111_68
; %bb.67:
	v_mov_b32_e32 v15, 0
	v_lshl_add_u64 v[0:1], s[0:1], 0, v[14:15]
	v_cvt_pk_bf16_f32 v2, v17, s0
	global_store_short v[0:1], v2, off offset:128
.LBB111_68:
	s_endpgm
	.section	.rodata,"a",@progbits
	.p2align	6, 0x0
	.amdhsa_kernel _ZN4vllm25paged_attention_v1_kernelI14__hip_bfloat16S1_Li96ELi8ELi128ELNS_18Fp8KVCacheDataTypeE0ELb1EEEvPT_PKS3_PKT0_S9_ifPKiSB_iPKfiiiSD_SD_iiiii
		.amdhsa_group_segment_fixed_size 208
		.amdhsa_private_segment_fixed_size 0
		.amdhsa_kernarg_size 384
		.amdhsa_user_sgpr_count 2
		.amdhsa_user_sgpr_dispatch_ptr 0
		.amdhsa_user_sgpr_queue_ptr 0
		.amdhsa_user_sgpr_kernarg_segment_ptr 1
		.amdhsa_user_sgpr_dispatch_id 0
		.amdhsa_user_sgpr_kernarg_preload_length 0
		.amdhsa_user_sgpr_kernarg_preload_offset 0
		.amdhsa_user_sgpr_private_segment_size 0
		.amdhsa_uses_dynamic_stack 0
		.amdhsa_enable_private_segment 0
		.amdhsa_system_sgpr_workgroup_id_x 1
		.amdhsa_system_sgpr_workgroup_id_y 1
		.amdhsa_system_sgpr_workgroup_id_z 1
		.amdhsa_system_sgpr_workgroup_info 0
		.amdhsa_system_vgpr_workitem_id 0
		.amdhsa_next_free_vgpr 49
		.amdhsa_next_free_sgpr 47
		.amdhsa_accum_offset 52
		.amdhsa_reserve_vcc 1
		.amdhsa_float_round_mode_32 0
		.amdhsa_float_round_mode_16_64 0
		.amdhsa_float_denorm_mode_32 3
		.amdhsa_float_denorm_mode_16_64 3
		.amdhsa_dx10_clamp 1
		.amdhsa_ieee_mode 1
		.amdhsa_fp16_overflow 0
		.amdhsa_tg_split 0
		.amdhsa_exception_fp_ieee_invalid_op 0
		.amdhsa_exception_fp_denorm_src 0
		.amdhsa_exception_fp_ieee_div_zero 0
		.amdhsa_exception_fp_ieee_overflow 0
		.amdhsa_exception_fp_ieee_underflow 0
		.amdhsa_exception_fp_ieee_inexact 0
		.amdhsa_exception_int_div_zero 0
	.end_amdhsa_kernel
	.section	.text._ZN4vllm25paged_attention_v1_kernelI14__hip_bfloat16S1_Li96ELi8ELi128ELNS_18Fp8KVCacheDataTypeE0ELb1EEEvPT_PKS3_PKT0_S9_ifPKiSB_iPKfiiiSD_SD_iiiii,"axG",@progbits,_ZN4vllm25paged_attention_v1_kernelI14__hip_bfloat16S1_Li96ELi8ELi128ELNS_18Fp8KVCacheDataTypeE0ELb1EEEvPT_PKS3_PKT0_S9_ifPKiSB_iPKfiiiSD_SD_iiiii,comdat
.Lfunc_end111:
	.size	_ZN4vllm25paged_attention_v1_kernelI14__hip_bfloat16S1_Li96ELi8ELi128ELNS_18Fp8KVCacheDataTypeE0ELb1EEEvPT_PKS3_PKT0_S9_ifPKiSB_iPKfiiiSD_SD_iiiii, .Lfunc_end111-_ZN4vllm25paged_attention_v1_kernelI14__hip_bfloat16S1_Li96ELi8ELi128ELNS_18Fp8KVCacheDataTypeE0ELb1EEEvPT_PKS3_PKT0_S9_ifPKiSB_iPKfiiiSD_SD_iiiii
                                        ; -- End function
	.set _ZN4vllm25paged_attention_v1_kernelI14__hip_bfloat16S1_Li96ELi8ELi128ELNS_18Fp8KVCacheDataTypeE0ELb1EEEvPT_PKS3_PKT0_S9_ifPKiSB_iPKfiiiSD_SD_iiiii.num_vgpr, 49
	.set _ZN4vllm25paged_attention_v1_kernelI14__hip_bfloat16S1_Li96ELi8ELi128ELNS_18Fp8KVCacheDataTypeE0ELb1EEEvPT_PKS3_PKT0_S9_ifPKiSB_iPKfiiiSD_SD_iiiii.num_agpr, 0
	.set _ZN4vllm25paged_attention_v1_kernelI14__hip_bfloat16S1_Li96ELi8ELi128ELNS_18Fp8KVCacheDataTypeE0ELb1EEEvPT_PKS3_PKT0_S9_ifPKiSB_iPKfiiiSD_SD_iiiii.numbered_sgpr, 47
	.set _ZN4vllm25paged_attention_v1_kernelI14__hip_bfloat16S1_Li96ELi8ELi128ELNS_18Fp8KVCacheDataTypeE0ELb1EEEvPT_PKS3_PKT0_S9_ifPKiSB_iPKfiiiSD_SD_iiiii.num_named_barrier, 0
	.set _ZN4vllm25paged_attention_v1_kernelI14__hip_bfloat16S1_Li96ELi8ELi128ELNS_18Fp8KVCacheDataTypeE0ELb1EEEvPT_PKS3_PKT0_S9_ifPKiSB_iPKfiiiSD_SD_iiiii.private_seg_size, 0
	.set _ZN4vllm25paged_attention_v1_kernelI14__hip_bfloat16S1_Li96ELi8ELi128ELNS_18Fp8KVCacheDataTypeE0ELb1EEEvPT_PKS3_PKT0_S9_ifPKiSB_iPKfiiiSD_SD_iiiii.uses_vcc, 1
	.set _ZN4vllm25paged_attention_v1_kernelI14__hip_bfloat16S1_Li96ELi8ELi128ELNS_18Fp8KVCacheDataTypeE0ELb1EEEvPT_PKS3_PKT0_S9_ifPKiSB_iPKfiiiSD_SD_iiiii.uses_flat_scratch, 0
	.set _ZN4vllm25paged_attention_v1_kernelI14__hip_bfloat16S1_Li96ELi8ELi128ELNS_18Fp8KVCacheDataTypeE0ELb1EEEvPT_PKS3_PKT0_S9_ifPKiSB_iPKfiiiSD_SD_iiiii.has_dyn_sized_stack, 0
	.set _ZN4vllm25paged_attention_v1_kernelI14__hip_bfloat16S1_Li96ELi8ELi128ELNS_18Fp8KVCacheDataTypeE0ELb1EEEvPT_PKS3_PKT0_S9_ifPKiSB_iPKfiiiSD_SD_iiiii.has_recursion, 0
	.set _ZN4vllm25paged_attention_v1_kernelI14__hip_bfloat16S1_Li96ELi8ELi128ELNS_18Fp8KVCacheDataTypeE0ELb1EEEvPT_PKS3_PKT0_S9_ifPKiSB_iPKfiiiSD_SD_iiiii.has_indirect_call, 0
	.section	.AMDGPU.csdata,"",@progbits
; Kernel info:
; codeLenInByte = 5068
; TotalNumSgprs: 53
; NumVgprs: 49
; NumAgprs: 0
; TotalNumVgprs: 49
; ScratchSize: 0
; MemoryBound: 0
; FloatMode: 240
; IeeeMode: 1
; LDSByteSize: 208 bytes/workgroup (compile time only)
; SGPRBlocks: 6
; VGPRBlocks: 6
; NumSGPRsForWavesPerEU: 53
; NumVGPRsForWavesPerEU: 49
; AccumOffset: 52
; Occupancy: 8
; WaveLimiterHint : 1
; COMPUTE_PGM_RSRC2:SCRATCH_EN: 0
; COMPUTE_PGM_RSRC2:USER_SGPR: 2
; COMPUTE_PGM_RSRC2:TRAP_HANDLER: 0
; COMPUTE_PGM_RSRC2:TGID_X_EN: 1
; COMPUTE_PGM_RSRC2:TGID_Y_EN: 1
; COMPUTE_PGM_RSRC2:TGID_Z_EN: 1
; COMPUTE_PGM_RSRC2:TIDIG_COMP_CNT: 0
; COMPUTE_PGM_RSRC3_GFX90A:ACCUM_OFFSET: 12
; COMPUTE_PGM_RSRC3_GFX90A:TG_SPLIT: 0
	.section	.text._ZN4vllm25paged_attention_v1_kernelI14__hip_bfloat16S1_Li112ELi8ELi128ELNS_18Fp8KVCacheDataTypeE0ELb1EEEvPT_PKS3_PKT0_S9_ifPKiSB_iPKfiiiSD_SD_iiiii,"axG",@progbits,_ZN4vllm25paged_attention_v1_kernelI14__hip_bfloat16S1_Li112ELi8ELi128ELNS_18Fp8KVCacheDataTypeE0ELb1EEEvPT_PKS3_PKT0_S9_ifPKiSB_iPKfiiiSD_SD_iiiii,comdat
	.protected	_ZN4vllm25paged_attention_v1_kernelI14__hip_bfloat16S1_Li112ELi8ELi128ELNS_18Fp8KVCacheDataTypeE0ELb1EEEvPT_PKS3_PKT0_S9_ifPKiSB_iPKfiiiSD_SD_iiiii ; -- Begin function _ZN4vllm25paged_attention_v1_kernelI14__hip_bfloat16S1_Li112ELi8ELi128ELNS_18Fp8KVCacheDataTypeE0ELb1EEEvPT_PKS3_PKT0_S9_ifPKiSB_iPKfiiiSD_SD_iiiii
	.globl	_ZN4vllm25paged_attention_v1_kernelI14__hip_bfloat16S1_Li112ELi8ELi128ELNS_18Fp8KVCacheDataTypeE0ELb1EEEvPT_PKS3_PKT0_S9_ifPKiSB_iPKfiiiSD_SD_iiiii
	.p2align	8
	.type	_ZN4vllm25paged_attention_v1_kernelI14__hip_bfloat16S1_Li112ELi8ELi128ELNS_18Fp8KVCacheDataTypeE0ELb1EEEvPT_PKS3_PKT0_S9_ifPKiSB_iPKfiiiSD_SD_iiiii,@function
_ZN4vllm25paged_attention_v1_kernelI14__hip_bfloat16S1_Li112ELi8ELi128ELNS_18Fp8KVCacheDataTypeE0ELb1EEEvPT_PKS3_PKT0_S9_ifPKiSB_iPKfiiiSD_SD_iiiii: ; @_ZN4vllm25paged_attention_v1_kernelI14__hip_bfloat16S1_Li112ELi8ELi128ELNS_18Fp8KVCacheDataTypeE0ELb1EEEvPT_PKS3_PKT0_S9_ifPKiSB_iPKfiiiSD_SD_iiiii
; %bb.0:
	s_load_dword s5, s[0:1], 0x80
	s_load_dwordx2 s[6:7], s[0:1], 0x30
	s_load_dwordx2 s[34:35], s[0:1], 0x20
	s_mov_b32 s20, s3
	s_ashr_i32 s21, s3, 31
	s_lshl_b64 s[8:9], s[20:21], 2
	s_waitcnt lgkmcnt(0)
	s_add_u32 s6, s6, s8
	s_addc_u32 s7, s7, s9
	s_abs_i32 s3, s34
	v_cvt_f32_u32_e32 v1, s3
	s_sub_i32 s10, 0, s3
	s_abs_i32 s9, s5
	s_xor_b32 s8, s5, s34
	v_rcp_iflag_f32_e32 v1, v1
	s_ashr_i32 s8, s8, 31
	s_mov_b32 s46, 0
	v_mul_f32_e32 v1, 0x4f7ffffe, v1
	v_cvt_u32_f32_e32 v1, v1
	s_nop 0
	v_readfirstlane_b32 s11, v1
	s_mul_i32 s10, s10, s11
	s_mul_hi_u32 s10, s11, s10
	s_add_i32 s11, s11, s10
	s_mul_hi_u32 s10, s9, s11
	s_mul_i32 s11, s10, s3
	s_sub_i32 s9, s9, s11
	s_add_i32 s11, s10, 1
	s_sub_i32 s12, s9, s3
	s_cmp_ge_u32 s9, s3
	s_cselect_b32 s10, s11, s10
	s_cselect_b32 s9, s12, s9
	s_add_i32 s11, s10, 1
	s_cmp_ge_u32 s9, s3
	s_cselect_b32 s3, s11, s10
	s_xor_b32 s3, s3, s8
	s_sub_i32 s12, s3, s8
	s_abs_i32 s10, s12
	v_cvt_f32_u32_e32 v1, s10
	s_load_dwordx2 s[8:9], s[0:1], 0x40
	s_sub_i32 s3, 0, s10
	s_abs_i32 s11, s2
	v_rcp_iflag_f32_e32 v1, v1
	s_nop 0
	v_mul_f32_e32 v1, 0x4f7ffffe, v1
	v_cvt_u32_f32_e32 v1, v1
	s_nop 0
	v_readfirstlane_b32 s13, v1
	s_mul_i32 s3, s3, s13
	s_mul_hi_u32 s3, s13, s3
	s_add_i32 s13, s13, s3
	s_waitcnt lgkmcnt(0)
	s_cmp_eq_u64 s[8:9], 0
	s_mul_hi_u32 s24, s11, s13
	s_cbranch_scc1 .LBB112_2
; %bb.1:
	s_ashr_i32 s3, s2, 31
	s_lshl_b64 s[14:15], s[2:3], 2
	s_add_u32 s8, s8, s14
	s_addc_u32 s9, s9, s15
	s_load_dword s46, s[8:9], 0x0
.LBB112_2:
	s_load_dword s21, s[6:7], 0x0
	s_ashr_i32 s26, s12, 31
	s_load_dwordx4 s[12:15], s[0:1], 0x48
	s_movk_i32 s3, 0x70
	s_ashr_i32 s25, s2, 31
	v_and_b32_e32 v4, 7, v0
	s_mul_i32 s22, s2, 0x70
	v_cmp_gt_u32_e64 s[6:7], s3, v0
	v_lshlrev_b32_e32 v14, 1, v0
	s_and_saveexec_b64 s[8:9], s[6:7]
	s_cbranch_execz .LBB112_4
; %bb.3:
	s_load_dwordx2 s[16:17], s[0:1], 0x8
	s_waitcnt lgkmcnt(0)
	s_mul_i32 s18, s12, s20
	s_ashr_i32 s19, s18, 31
	s_lshl_b64 s[18:19], s[18:19], 1
	v_lshrrev_b32_e32 v2, 2, v0
	s_add_u32 s3, s16, s18
	s_addc_u32 s12, s17, s19
	s_ashr_i32 s23, s22, 31
	s_lshl_b64 s[16:17], s[22:23], 1
	s_add_u32 s16, s3, s16
	s_addc_u32 s17, s12, s17
	global_load_ushort v1, v14, s[16:17]
	v_and_b32_e32 v2, 0xfe, v2
	v_mad_u32_u24 v2, v4, 28, v2
	s_waitcnt vmcnt(0)
	ds_write_b16 v2, v1
.LBB112_4:
	s_or_b64 exec, exec, s[8:9]
	s_mul_i32 s9, s24, s10
	s_sub_i32 s9, s11, s9
	s_xor_b32 s8, s25, s26
	s_add_i32 s11, s24, 1
	s_waitcnt lgkmcnt(0)
	s_sub_i32 s12, s9, s10
	s_load_dwordx4 s[16:19], s[0:1], 0x68
	s_load_dword s3, s[0:1], 0x78
	s_cmp_ge_u32 s9, s10
	s_cselect_b32 s11, s11, s24
	s_cselect_b32 s9, s12, s9
	s_add_i32 s12, s11, 1
	s_cmp_ge_u32 s9, s10
	s_cselect_b32 s9, s12, s11
	s_waitcnt lgkmcnt(0)
	s_abs_i32 s33, s19
	v_cvt_f32_u32_e32 v1, s33
	s_xor_b32 s9, s9, s8
	s_sub_i32 s10, s9, s8
	s_sub_i32 s8, 0, s33
	v_rcp_iflag_f32_e32 v1, v1
	s_add_i32 s15, s21, -1
	s_abs_i32 s11, s15
	v_mul_f32_e32 v1, 0x4f7ffffe, v1
	v_cvt_u32_f32_e32 v1, v1
	s_barrier
	v_readfirstlane_b32 s42, v1
	s_mul_i32 s8, s8, s42
	s_mul_hi_u32 s8, s42, s8
	s_add_i32 s42, s42, s8
	s_cmp_lt_i32 s3, 0
	s_mul_hi_u32 s12, s11, s42
	s_cbranch_scc0 .LBB112_6
; %bb.5:
	s_mul_i32 s8, s16, s34
	s_add_i32 s8, s10, s8
	s_mul_i32 s8, s8, s3
	s_sub_i32 s43, 1, s8
	s_mov_b64 s[8:9], 0
	s_branch .LBB112_7
.LBB112_6:
	s_mov_b64 s[8:9], -1
                                        ; implicit-def: $sgpr43
.LBB112_7:
	s_load_dwordx2 s[26:27], s[0:1], 0x28
	s_ashr_i32 s15, s15, 31
	s_andn2_b64 vcc, exec, s[8:9]
	s_ashr_i32 s44, s19, 31
	s_cbranch_vccnz .LBB112_9
; %bb.8:
	s_mul_i32 s8, s5, s16
	s_add_i32 s2, s8, s2
	s_mul_i32 s2, s2, s3
	s_add_i32 s43, s2, 1
.LBB112_9:
	s_load_dword s2, s[0:1], 0x38
	s_load_dwordx2 s[24:25], s[0:1], 0x0
	s_load_dwordx2 s[30:31], s[0:1], 0x18
	s_load_dword s23, s[0:1], 0x88
	s_xor_b32 s3, s15, s44
	s_waitcnt lgkmcnt(0)
	s_mul_i32 s28, s2, s20
	s_mul_i32 s2, s12, s33
	s_sub_i32 s2, s11, s2
	s_ashr_i32 s29, s28, 31
	s_add_i32 s8, s12, 1
	s_sub_i32 s9, s2, s33
	s_cmp_ge_u32 s2, s33
	s_cselect_b32 s8, s8, s12
	s_cselect_b32 s2, s9, s2
	s_add_i32 s9, s8, 1
	s_cmp_ge_u32 s2, s33
	s_cselect_b32 s2, s9, s8
	s_xor_b32 s2, s2, s3
	s_sub_i32 s12, s2, s3
	s_add_i32 s2, s21, 7
	s_ashr_i32 s3, s2, 31
	s_lshr_b32 s3, s3, 29
	s_add_i32 s2, s2, s3
	s_ashr_i32 s45, s2, 3
	v_lshrrev_b32_e32 v1, 6, v0
	v_cmp_gt_i32_e64 s[2:3], s45, v1
	v_mov_b32_e32 v10, 0xff7fffff
	s_mul_i32 s14, s10, s14
	v_lshrrev_b32_e32 v6, 4, v0
	v_lshlrev_b32_e32 v15, 3, v1
	v_mbcnt_lo_u32_b32 v7, -1, 0
	s_and_saveexec_b64 s[36:37], s[2:3]
	s_cbranch_execz .LBB112_21
; %bb.10:
	s_load_dwordx2 s[0:1], s[0:1], 0x10
	s_ashr_i32 s15, s14, 31
	s_sub_i32 s16, s12, s17
	s_lshl_b64 s[8:9], s[14:15], 1
	v_bfe_u32 v8, v0, 3, 3
	s_waitcnt lgkmcnt(0)
	s_add_u32 s0, s0, s8
	s_addc_u32 s1, s1, s9
	s_abs_i32 s15, s18
	v_cvt_f32_u32_e32 v2, s15
	v_lshlrev_b32_e32 v12, 4, v8
	v_mov_b32_e32 v13, 0
	s_sub_i32 s8, 0, s15
	v_rcp_iflag_f32_e32 v5, v2
	v_cmp_eq_u32_e32 vcc, 0, v4
	v_lshl_add_u64 v[2:3], s[0:1], 0, v[12:13]
	v_lshlrev_b32_e32 v12, 1, v4
	v_mul_f32_e32 v5, 0x4f7ffffe, v5
	v_cvt_u32_f32_e32 v5, v5
	v_mul_u32_u24_e32 v9, 28, v4
	v_lshl_add_u64 v[2:3], v[2:3], 0, v[12:13]
	v_and_b32_e32 v12, 60, v6
	v_mul_lo_u32 v4, s8, v5
	s_lshl_b64 s[8:9], s[28:29], 2
	s_add_u32 s8, s26, s8
	v_mul_hi_u32 v4, v5, v4
	s_addc_u32 s9, s27, s9
	v_subrev_u32_e32 v10, s21, v8
	v_add_u32_e32 v11, v5, v4
	v_lshl_add_u64 v[4:5], s[8:9], 0, v[12:13]
	v_add_u32_e32 v13, 1, v10
	v_lshlrev_b32_e32 v10, 2, v8
	v_lshl_or_b32 v10, v1, 5, v10
	v_mbcnt_hi_u32_b32 v18, -1, v7
	v_add_u32_e32 v16, 0xf0, v10
	v_and_b32_e32 v10, 64, v18
	s_mov_b32 s19, s13
	v_cmp_neq_f32_e64 s[0:1], s46, 0
	v_lshlrev_b32_e32 v12, 3, v1
	v_mov_b32_e32 v17, 0xff7fffff
	s_mov_b64 s[38:39], 0
	v_add_u32_e32 v19, 64, v10
	v_xor_b32_e32 v20, 4, v18
	v_xor_b32_e32 v21, 2, v18
	;; [unrolled: 1-line block ×3, first 2 shown]
	v_mov_b32_e32 v10, 0xff7fffff
	v_mov_b32_e32 v23, v1
	s_branch .LBB112_13
.LBB112_11:                             ;   in Loop: Header=BB112_13 Depth=1
	s_or_b64 exec, exec, s[40:41]
.LBB112_12:                             ;   in Loop: Header=BB112_13 Depth=1
	s_or_b64 exec, exec, s[10:11]
	v_add_u32_e32 v23, 2, v23
	v_cmp_le_i32_e64 s[8:9], s45, v23
	v_lshl_add_u64 v[4:5], v[4:5], 0, 8
	v_add_u32_e32 v12, 16, v12
	s_or_b64 s[38:39], s[8:9], s[38:39]
	v_add_u32_e32 v16, 64, v16
	s_andn2_b64 exec, exec, s[38:39]
	s_cbranch_execz .LBB112_20
.LBB112_13:                             ; =>This Inner Loop Header: Depth=1
	v_mul_hi_u32 v24, v12, s42
	s_waitcnt lgkmcnt(0)
	v_mul_lo_u32 v25, v24, s33
	v_sub_u32_e32 v25, v12, v25
	v_add_u32_e32 v26, 1, v24
	v_cmp_le_u32_e64 s[8:9], s33, v25
	s_nop 1
	v_cndmask_b32_e64 v24, v24, v26, s[8:9]
	v_subrev_u32_e32 v26, s33, v25
	v_cndmask_b32_e64 v25, v25, v26, s[8:9]
	v_add_u32_e32 v26, 1, v24
	v_cmp_le_u32_e64 s[8:9], s33, v25
	s_nop 1
	v_cndmask_b32_e64 v24, v24, v26, s[8:9]
	v_xor_b32_e32 v24, s44, v24
	v_subrev_u32_e32 v24, s44, v24
	v_add_u32_e32 v25, s43, v24
	v_sub_u32_e32 v27, 0, v25
	v_ashrrev_i32_e32 v26, 31, v25
	v_max_i32_e32 v25, v25, v27
	v_mul_hi_u32 v27, v25, v11
	v_mul_lo_u32 v27, v27, s15
	v_sub_u32_e32 v25, v25, v27
	v_subrev_u32_e32 v27, s15, v25
	v_cmp_le_u32_e64 s[8:9], s15, v25
	v_cmp_ge_i32_e64 s[10:11], s16, v24
	s_nop 0
	v_cndmask_b32_e64 v25, v25, v27, s[8:9]
	v_subrev_u32_e32 v27, s15, v25
	v_cmp_le_u32_e64 s[8:9], s15, v25
	s_nop 1
	v_cndmask_b32_e64 v25, v25, v27, s[8:9]
	v_xor_b32_e32 v25, v25, v26
	v_sub_u32_e32 v25, v25, v26
	v_cmp_ne_u32_e64 s[8:9], 0, v25
	s_and_b64 s[8:9], s[8:9], s[10:11]
	s_and_saveexec_b64 s[10:11], s[8:9]
	s_xor_b64 s[8:9], exec, s[10:11]
	s_cbranch_execz .LBB112_17
; %bb.14:                               ;   in Loop: Header=BB112_13 Depth=1
	s_and_saveexec_b64 s[10:11], vcc
; %bb.15:                               ;   in Loop: Header=BB112_13 Depth=1
	ds_write_b32 v16, v17
; %bb.16:                               ;   in Loop: Header=BB112_13 Depth=1
	s_or_b64 exec, exec, s[10:11]
.LBB112_17:                             ;   in Loop: Header=BB112_13 Depth=1
	s_andn2_saveexec_b64 s[10:11], s[8:9]
	s_cbranch_execz .LBB112_12
; %bb.18:                               ;   in Loop: Header=BB112_13 Depth=1
	global_load_dword v24, v[4:5], off
	s_waitcnt vmcnt(0)
	v_mad_i64_i32 v[24:25], s[8:9], v24, s19, 0
	v_lshl_add_u64 v[24:25], v[24:25], 1, v[2:3]
	global_load_ushort v30, v[24:25], off
	global_load_ushort v31, v[24:25], off offset:128
	global_load_ushort v32, v[24:25], off offset:256
	;; [unrolled: 1-line block ×13, first 2 shown]
	ds_read2_b32 v[24:25], v9 offset1:1
	ds_read2_b32 v[26:27], v9 offset0:2 offset1:3
	ds_read2_b32 v[28:29], v9 offset0:4 offset1:5
	ds_read_b32 v44, v9 offset:24
	v_cmp_lt_i32_e64 s[8:9], v20, v19
	s_waitcnt lgkmcnt(3)
	v_lshlrev_b32_e32 v46, 16, v24
	v_and_b32_e32 v24, 0xffff0000, v24
	v_lshlrev_b32_e32 v47, 16, v25
	v_and_b32_e32 v25, 0xffff0000, v25
	s_waitcnt lgkmcnt(2)
	v_lshlrev_b32_e32 v48, 16, v26
	v_and_b32_e32 v26, 0xffff0000, v26
	v_lshlrev_b32_e32 v49, 16, v27
	v_and_b32_e32 v27, 0xffff0000, v27
	;; [unrolled: 5-line block ×3, first 2 shown]
	s_waitcnt lgkmcnt(0)
	v_lshlrev_b32_e32 v52, 16, v44
	v_cndmask_b32_e64 v45, v18, v20, s[8:9]
	v_and_b32_e32 v44, 0xffff0000, v44
	v_lshlrev_b32_e32 v45, 2, v45
	v_cmp_lt_i32_e64 s[8:9], v21, v19
	s_waitcnt vmcnt(13)
	v_lshlrev_b32_e32 v30, 16, v30
	s_waitcnt vmcnt(12)
	v_lshlrev_b32_e32 v31, 16, v31
	v_mul_f32_e32 v24, v24, v31
	s_waitcnt vmcnt(11)
	v_lshlrev_b32_e32 v32, 16, v32
	v_fmac_f32_e32 v24, v46, v30
	s_waitcnt vmcnt(10)
	v_lshlrev_b32_e32 v33, 16, v33
	v_fmac_f32_e32 v24, v47, v32
	;; [unrolled: 3-line block ×11, first 2 shown]
	v_fmac_f32_e32 v24, v52, v42
	s_waitcnt vmcnt(0)
	v_lshlrev_b32_e32 v25, 16, v43
	v_fmac_f32_e32 v24, v44, v25
	ds_bpermute_b32 v25, v45, v24
	v_cndmask_b32_e64 v26, v18, v21, s[8:9]
	v_lshlrev_b32_e32 v26, 2, v26
	v_cmp_lt_i32_e64 s[8:9], v22, v19
	s_waitcnt lgkmcnt(0)
	v_add_f32_e32 v24, v24, v25
	ds_bpermute_b32 v25, v26, v24
	v_cndmask_b32_e64 v26, v18, v22, s[8:9]
	v_lshlrev_b32_e32 v26, 2, v26
	s_waitcnt lgkmcnt(0)
	v_add_f32_e32 v24, v24, v25
	ds_bpermute_b32 v25, v26, v24
	s_and_saveexec_b64 s[40:41], vcc
	s_cbranch_execz .LBB112_11
; %bb.19:                               ;   in Loop: Header=BB112_13 Depth=1
	v_add_u32_e32 v26, v13, v12
	v_cvt_f32_i32_e32 v26, v26
	s_waitcnt lgkmcnt(0)
	v_add_f32_e32 v24, v24, v25
	v_add_u32_e32 v27, v8, v12
	v_cmp_gt_i32_e64 s[8:9], s21, v27
	v_mul_f32_e32 v25, s46, v26
	v_cndmask_b32_e64 v25, 0, v25, s[0:1]
	v_fmac_f32_e32 v25, s35, v24
	v_cndmask_b32_e64 v24, 0, v25, s[8:9]
	ds_write_b32 v16, v24
	v_max_f32_e32 v24, v10, v10
	v_max_f32_e32 v24, v24, v25
	v_cndmask_b32_e64 v10, v10, v24, s[8:9]
	s_branch .LBB112_11
.LBB112_20:
	s_or_b64 exec, exec, s[38:39]
.LBB112_21:
	s_or_b64 exec, exec, s[36:37]
	v_mbcnt_hi_u32_b32 v2, -1, v7
	v_and_b32_e32 v11, 64, v2
	v_add_u32_e32 v3, 64, v11
	v_xor_b32_e32 v4, 32, v2
	v_cmp_lt_i32_e32 vcc, v4, v3
	v_xor_b32_e32 v8, 16, v2
	v_max_f32_e32 v7, v10, v10
	v_cndmask_b32_e32 v4, v2, v4, vcc
	v_lshlrev_b32_e32 v5, 2, v4
	ds_bpermute_b32 v4, v5, v10
	v_cmp_lt_i32_e32 vcc, v8, v3
	v_xor_b32_e32 v9, 8, v2
	v_and_b32_e32 v28, 63, v0
	s_waitcnt lgkmcnt(0)
	v_max_f32_e32 v4, v4, v4
	v_max_f32_e32 v4, v7, v4
	v_cndmask_b32_e32 v7, v2, v8, vcc
	v_lshlrev_b32_e32 v8, 2, v7
	ds_bpermute_b32 v7, v8, v4
	v_cmp_lt_i32_e32 vcc, v9, v3
	s_waitcnt lgkmcnt(0)
	v_max_f32_e32 v7, v7, v7
	v_max_f32_e32 v7, v4, v7
	v_cndmask_b32_e32 v4, v2, v9, vcc
	v_lshlrev_b32_e32 v10, 2, v4
	ds_bpermute_b32 v9, v10, v7
	v_cmp_eq_u32_e32 vcc, 0, v28
	v_lshlrev_b32_e32 v4, 2, v1
	s_and_saveexec_b64 s[0:1], vcc
	s_cbranch_execz .LBB112_23
; %bb.22:
	s_waitcnt lgkmcnt(0)
	v_max_f32_e32 v9, v9, v9
	v_max_f32_e32 v7, v7, v7
	;; [unrolled: 1-line block ×3, first 2 shown]
	ds_write_b32 v4, v7 offset:224
.LBB112_23:
	s_or_b64 exec, exec, s[0:1]
	v_cmp_gt_u32_e64 s[0:1], 2, v28
	v_mov_b32_e32 v12, 0xff7fffff
	v_lshlrev_b32_e32 v7, 2, v28
	s_waitcnt lgkmcnt(0)
	s_barrier
	s_and_saveexec_b64 s[8:9], s[0:1]
; %bb.24:
	ds_read_b32 v12, v7 offset:224
; %bb.25:
	s_or_b64 exec, exec, s[8:9]
	v_xor_b32_e32 v9, 1, v2
	v_cmp_lt_i32_e64 s[8:9], v9, v3
	v_lshlrev_b32_e32 v11, 2, v11
	s_nop 0
	v_cndmask_b32_e64 v9, v2, v9, s[8:9]
	v_lshlrev_b32_e32 v9, 2, v9
	s_waitcnt lgkmcnt(0)
	ds_bpermute_b32 v13, v9, v12
	v_max_f32_e32 v12, v12, v12
	s_lshl_b32 s8, s45, 3
	s_min_i32 s15, s8, s21
	v_cmp_gt_i32_e64 s[8:9], s15, v0
	s_waitcnt lgkmcnt(0)
	v_max_f32_e32 v13, v13, v13
	v_max_f32_e32 v12, v12, v13
	ds_bpermute_b32 v12, v11, v12
	v_mov_b32_e32 v11, 0
	s_and_saveexec_b64 s[34:35], s[8:9]
	s_cbranch_execz .LBB112_29
; %bb.26:
	v_mov_b32_e32 v11, 0xf0
	v_lshl_add_u32 v13, v0, 2, v11
	v_mov_b32_e32 v11, 0
	s_mov_b64 s[36:37], 0
	v_mov_b32_e32 v16, v0
.LBB112_27:                             ; =>This Inner Loop Header: Depth=1
	ds_read_b32 v17, v13
	v_add_u32_e32 v16, 0x80, v16
	v_cmp_le_i32_e64 s[10:11], s15, v16
	s_or_b64 s[36:37], s[10:11], s[36:37]
	s_waitcnt lgkmcnt(0)
	v_sub_f32_e32 v17, v17, v12
	v_mul_f32_e32 v17, 0x3fb8aa3b, v17
	v_exp_f32_e32 v17, v17
	ds_write_b32 v13, v17
	v_add_f32_e32 v11, v11, v17
	v_add_u32_e32 v13, 0x200, v13
	s_andn2_b64 exec, exec, s[36:37]
	s_cbranch_execnz .LBB112_27
; %bb.28:
	s_or_b64 exec, exec, s[36:37]
.LBB112_29:
	s_or_b64 exec, exec, s[34:35]
	ds_bpermute_b32 v5, v5, v11
	s_waitcnt lgkmcnt(0)
	v_add_f32_e32 v5, v11, v5
	ds_bpermute_b32 v8, v8, v5
	s_waitcnt lgkmcnt(0)
	v_add_f32_e32 v5, v5, v8
	ds_bpermute_b32 v8, v10, v5
	v_xor_b32_e32 v10, 4, v2
	v_cmp_lt_i32_e64 s[10:11], v10, v3
	s_waitcnt lgkmcnt(0)
	v_add_f32_e32 v5, v5, v8
	v_cndmask_b32_e64 v10, v2, v10, s[10:11]
	v_lshlrev_b32_e32 v10, 2, v10
	ds_bpermute_b32 v8, v10, v5
	v_xor_b32_e32 v10, 2, v2
	v_cmp_lt_i32_e64 s[10:11], v10, v3
	s_waitcnt lgkmcnt(0)
	v_add_f32_e32 v5, v5, v8
	v_cndmask_b32_e64 v3, v2, v10, s[10:11]
	v_lshlrev_b32_e32 v3, 2, v3
	ds_bpermute_b32 v3, v3, v5
	s_waitcnt lgkmcnt(0)
	v_add_f32_e32 v3, v5, v3
	ds_bpermute_b32 v5, v9, v3
	s_waitcnt lgkmcnt(0)
	v_add_f32_e32 v3, v3, v5
	s_and_saveexec_b64 s[10:11], vcc
; %bb.30:
	ds_write_b32 v4, v3 offset:232
; %bb.31:
	s_or_b64 exec, exec, s[10:11]
	s_waitcnt lgkmcnt(0)
	s_barrier
	s_and_saveexec_b64 s[10:11], s[0:1]
; %bb.32:
	ds_read_b32 v3, v7 offset:232
; %bb.33:
	s_or_b64 exec, exec, s[10:11]
	s_waitcnt lgkmcnt(0)
	ds_bpermute_b32 v4, v9, v3
	v_lshlrev_b32_e32 v2, 2, v2
	v_and_b32_e32 v2, 0x100, v2
	s_waitcnt lgkmcnt(0)
	v_add_f32_e32 v3, v3, v4
	ds_bpermute_b32 v2, v2, v3
	s_and_saveexec_b64 s[0:1], s[8:9]
	s_cbranch_execz .LBB112_46
; %bb.34:
	s_waitcnt lgkmcnt(0)
	v_add_f32_e32 v2, 0x358637bd, v2
	v_div_scale_f32 v3, s[8:9], v2, v2, 1.0
	v_rcp_f32_e32 v4, v3
	v_div_scale_f32 v5, vcc, 1.0, v2, 1.0
	s_movk_i32 s8, 0x7f
	v_fma_f32 v7, -v3, v4, 1.0
	v_fmac_f32_e32 v4, v7, v4
	v_mul_f32_e32 v7, v5, v4
	v_fma_f32 v8, -v3, v7, v5
	v_fmac_f32_e32 v7, v8, v4
	v_fma_f32 v3, -v3, v7, v5
	v_div_fmas_f32 v3, v3, v4, v7
	v_xad_u32 v4, v0, -1, s15
	v_div_fixup_f32 v2, v3, v2, 1.0
	v_cmp_lt_u32_e32 vcc, s8, v4
	s_mov_b64 s[10:11], -1
	v_mov_b32_e32 v3, v0
	s_and_saveexec_b64 s[8:9], vcc
	s_cbranch_execz .LBB112_43
; %bb.35:
	v_lshrrev_b32_e32 v4, 7, v4
	v_add_u32_e32 v7, -1, v4
	v_lshrrev_b32_e32 v5, 1, v7
	v_mov_b32_e32 v3, v2
	v_add_u32_e32 v5, 1, v5
	v_cmp_lt_u32_e32 vcc, 13, v7
	v_mov_b32_e32 v9, 0
	s_and_saveexec_b64 s[10:11], vcc
	s_cbranch_execz .LBB112_39
; %bb.36:
	v_mov_b32_e32 v8, 0xf0
	v_and_b32_e32 v7, -8, v5
	v_lshl_add_u32 v8, v0, 2, v8
	s_mov_b32 s16, 0
	s_mov_b64 s[34:35], 0
.LBB112_37:                             ; =>This Inner Loop Header: Depth=1
	ds_read2st64_b32 v[10:11], v8 offset1:2
	ds_read2st64_b32 v[12:13], v8 offset0:4 offset1:6
	ds_read2st64_b32 v[16:17], v8 offset0:8 offset1:10
	;; [unrolled: 1-line block ×3, first 2 shown]
	v_add_u32_e32 v7, -8, v7
	s_waitcnt lgkmcnt(3)
	v_pk_mul_f32 v[10:11], v[2:3], v[10:11]
	s_waitcnt lgkmcnt(2)
	v_pk_mul_f32 v[12:13], v[2:3], v[12:13]
	ds_write2st64_b32 v8, v10, v11 offset1:2
	ds_write2st64_b32 v8, v12, v13 offset0:4 offset1:6
	ds_read2st64_b32 v[12:13], v8 offset0:16 offset1:18
	s_waitcnt lgkmcnt(4)
	v_pk_mul_f32 v[10:11], v[2:3], v[16:17]
	ds_write2st64_b32 v8, v10, v11 offset0:8 offset1:10
	s_waitcnt lgkmcnt(4)
	v_pk_mul_f32 v[10:11], v[2:3], v[18:19]
	ds_write2st64_b32 v8, v10, v11 offset0:12 offset1:14
	ds_read2st64_b32 v[10:11], v8 offset0:20 offset1:22
	s_waitcnt lgkmcnt(3)
	v_pk_mul_f32 v[12:13], v[2:3], v[12:13]
	ds_read2st64_b32 v[16:17], v8 offset0:24 offset1:26
	ds_write2st64_b32 v8, v12, v13 offset0:16 offset1:18
	ds_read2st64_b32 v[12:13], v8 offset0:28 offset1:30
	s_waitcnt lgkmcnt(3)
	v_pk_mul_f32 v[10:11], v[2:3], v[10:11]
	ds_write2st64_b32 v8, v10, v11 offset0:20 offset1:22
	s_waitcnt lgkmcnt(3)
	v_pk_mul_f32 v[10:11], v[2:3], v[16:17]
	ds_write2st64_b32 v8, v10, v11 offset0:24 offset1:26
	s_waitcnt lgkmcnt(2)
	v_pk_mul_f32 v[10:11], v[2:3], v[12:13]
	s_add_i32 s16, s16, 16
	v_cmp_eq_u32_e32 vcc, 0, v7
	ds_write2st64_b32 v8, v10, v11 offset0:28 offset1:30
	v_add_u32_e32 v8, 0x2000, v8
	s_or_b64 s[34:35], vcc, s[34:35]
	v_mov_b32_e32 v9, s16
	s_andn2_b64 exec, exec, s[34:35]
	s_cbranch_execnz .LBB112_37
; %bb.38:
	s_or_b64 exec, exec, s[34:35]
.LBB112_39:
	s_or_b64 exec, exec, s[10:11]
	v_and_b32_e32 v5, 7, v5
	v_cmp_ne_u32_e32 vcc, 0, v5
	s_and_saveexec_b64 s[10:11], vcc
	s_cbranch_execz .LBB112_42
; %bb.40:
	v_lshlrev_b32_e32 v7, 9, v9
	v_lshlrev_b32_e32 v8, 2, v0
	s_movk_i32 s16, 0xf0
	v_add3_u32 v7, v7, v8, s16
	s_mov_b64 s[34:35], 0
.LBB112_41:                             ; =>This Inner Loop Header: Depth=1
	ds_read2st64_b32 v[8:9], v7 offset1:2
	v_add_u32_e32 v5, -1, v5
	v_cmp_eq_u32_e32 vcc, 0, v5
	s_or_b64 s[34:35], vcc, s[34:35]
	s_waitcnt lgkmcnt(0)
	v_pk_mul_f32 v[8:9], v[2:3], v[8:9]
	ds_write2st64_b32 v7, v8, v9 offset1:2
	v_add_u32_e32 v7, 0x400, v7
	s_andn2_b64 exec, exec, s[34:35]
	s_cbranch_execnz .LBB112_41
.LBB112_42:
	s_or_b64 exec, exec, s[10:11]
	v_add_u32_e32 v4, 1, v4
	v_and_b32_e32 v5, 0x3fffffe, v4
	v_cmp_ne_u32_e32 vcc, v4, v5
	v_lshl_add_u32 v3, v5, 7, v0
	s_orn2_b64 s[10:11], vcc, exec
.LBB112_43:
	s_or_b64 exec, exec, s[8:9]
	s_and_b64 exec, exec, s[10:11]
	s_cbranch_execz .LBB112_46
; %bb.44:
	v_mov_b32_e32 v4, 0xf0
	v_lshl_add_u32 v4, v3, 2, v4
	s_mov_b64 s[8:9], 0
.LBB112_45:                             ; =>This Inner Loop Header: Depth=1
	ds_read_b32 v5, v4
	v_add_u32_e32 v3, 0x80, v3
	v_cmp_le_i32_e32 vcc, s15, v3
	s_or_b64 s[8:9], vcc, s[8:9]
	s_waitcnt lgkmcnt(0)
	v_mul_f32_e32 v5, v2, v5
	ds_write_b32 v4, v5
	v_add_u32_e32 v4, 0x200, v4
	s_andn2_b64 exec, exec, s[8:9]
	s_cbranch_execnz .LBB112_45
.LBB112_46:
	s_or_b64 exec, exec, s[0:1]
	v_mov_b32_e32 v17, 0
	v_mov_b32_e32 v16, v17
	s_waitcnt lgkmcnt(0)
	s_barrier
	s_and_saveexec_b64 s[10:11], s[2:3]
	s_cbranch_execz .LBB112_58
; %bb.47:
	s_ashr_i32 s15, s14, 31
	s_sub_i32 s34, s12, s17
	s_lshl_b64 s[0:1], s[14:15], 1
	s_add_u32 s12, s30, s0
	s_mov_b32 s35, s13
	s_addc_u32 s13, s31, s1
	s_abs_i32 s30, s18
	v_cvt_f32_u32_e32 v3, s30
	v_or_b32_e32 v4, 64, v28
	s_movk_i32 s0, 0x70
	v_cmp_gt_u32_e64 s[2:3], s0, v4
	v_rcp_iflag_f32_e32 v3, v3
	s_sub_i32 s0, 0, s30
	s_add_i32 s31, s45, -1
	v_lshlrev_b32_e32 v2, 3, v28
	v_mul_f32_e32 v3, 0x4f7ffffe, v3
	v_cvt_u32_f32_e32 v3, v3
	v_mov_b32_e32 v19, 0
	v_lshlrev_b32_e32 v4, 3, v4
	v_and_b32_e32 v18, 60, v6
	v_mul_lo_u32 v5, s0, v3
	s_lshl_b64 s[0:1], s[28:29], 2
	v_mul_hi_u32 v5, v3, v5
	s_add_u32 s0, s26, s0
	v_add_u32_e32 v29, v3, v5
	s_addc_u32 s1, s27, s1
	v_mov_b32_e32 v3, 0xf0
	s_mov_b32 s36, s21
	v_lshl_add_u64 v[20:21], s[0:1], 0, v[18:19]
	v_lshl_add_u32 v30, v1, 5, v3
	s_mov_b64 s[14:15], 0
	v_lshlrev_b32_e32 v18, 1, v2
	s_mov_b32 s26, 0x5040100
	v_lshlrev_b32_e32 v22, 1, v4
	v_mov_b32_e32 v16, v19
	v_mov_b32_e32 v17, v19
	s_branch .LBB112_51
.LBB112_48:                             ;   in Loop: Header=BB112_51 Depth=1
	s_or_b64 exec, exec, s[18:19]
	v_cvt_pk_bf16_f32 v6, v6, v7
	v_cvt_pk_bf16_f32 v2, v2, v3
	;; [unrolled: 1-line block ×3, first 2 shown]
	s_waitcnt vmcnt(0)
	v_lshlrev_b32_e32 v4, 16, v10
	v_lshlrev_b32_e32 v5, 16, v6
	v_cvt_pk_bf16_f32 v7, v8, v9
	v_mul_f32_e32 v4, v5, v4
	v_and_b32_e32 v5, 0xffff0000, v10
	v_and_b32_e32 v6, 0xffff0000, v6
	v_mul_f32_e32 v5, v6, v5
	v_lshlrev_b32_e32 v6, 16, v11
	v_lshlrev_b32_e32 v8, 16, v7
	v_mul_f32_e32 v6, v8, v6
	v_and_b32_e32 v8, 0xffff0000, v11
	v_and_b32_e32 v7, 0xffff0000, v7
	v_mul_f32_e32 v7, v7, v8
	v_lshlrev_b32_e32 v8, 16, v12
	v_lshlrev_b32_e32 v9, 16, v2
	v_mul_f32_e32 v8, v9, v8
	v_and_b32_e32 v9, 0xffff0000, v12
	v_and_b32_e32 v2, 0xffff0000, v2
	v_mul_f32_e32 v2, v2, v9
	v_cvt_pk_bf16_f32 v9, v2, s0
	v_lshlrev_b32_e32 v2, 16, v13
	v_lshlrev_b32_e32 v10, 16, v3
	v_mul_f32_e32 v2, v10, v2
	v_cvt_pk_bf16_f32 v10, v2, s0
	v_and_b32_e32 v2, 0xffff0000, v13
	v_and_b32_e32 v3, 0xffff0000, v3
	v_cvt_pk_bf16_f32 v4, v4, s0
	v_cvt_pk_bf16_f32 v5, v5, s0
	;; [unrolled: 1-line block ×4, first 2 shown]
	v_mul_f32_e32 v2, v3, v2
	v_cvt_pk_bf16_f32 v8, v8, s0
	v_cvt_pk_bf16_f32 v11, v2, s0
	v_lshlrev_b32_e32 v3, 16, v5
	v_lshlrev_b32_e32 v5, 16, v4
	;; [unrolled: 1-line block ×4, first 2 shown]
	v_pk_add_f32 v[2:3], v[4:5], v[2:3]
	v_lshlrev_b32_e32 v5, 16, v9
	v_lshlrev_b32_e32 v7, 16, v8
	;; [unrolled: 1-line block ×4, first 2 shown]
	v_pk_add_f32 v[4:5], v[6:7], v[4:5]
	v_add_f32_e32 v2, v2, v3
	v_add_f32_e32 v2, v5, v2
	;; [unrolled: 1-line block ×3, first 2 shown]
	v_pk_add_f32 v[16:17], v[16:17], v[2:3] op_sel_hi:[1,0]
.LBB112_49:                             ;   in Loop: Header=BB112_51 Depth=1
	s_or_b64 exec, exec, s[8:9]
	v_mov_b32_e32 v16, v26
.LBB112_50:                             ;   in Loop: Header=BB112_51 Depth=1
	s_or_b64 exec, exec, s[16:17]
	v_add_u32_e32 v1, 2, v1
	v_cmp_le_i32_e32 vcc, s45, v1
	v_lshl_add_u64 v[20:21], v[20:21], 0, 8
	v_add_u32_e32 v15, 16, v15
	s_or_b64 s[14:15], vcc, s[14:15]
	v_add_u32_e32 v30, 64, v30
	s_andn2_b64 exec, exec, s[14:15]
	s_cbranch_execz .LBB112_57
.LBB112_51:                             ; =>This Inner Loop Header: Depth=1
	v_mul_hi_u32 v2, v15, s42
	v_mul_lo_u32 v3, v2, s33
	v_sub_u32_e32 v3, v15, v3
	v_add_u32_e32 v4, 1, v2
	v_cmp_le_u32_e32 vcc, s33, v3
	s_nop 1
	v_cndmask_b32_e32 v2, v2, v4, vcc
	v_subrev_u32_e32 v4, s33, v3
	v_cndmask_b32_e32 v3, v3, v4, vcc
	v_add_u32_e32 v4, 1, v2
	v_cmp_le_u32_e32 vcc, s33, v3
	s_nop 1
	v_cndmask_b32_e32 v2, v2, v4, vcc
	v_xor_b32_e32 v2, s44, v2
	v_subrev_u32_e32 v2, s44, v2
	v_add_u32_e32 v3, s43, v2
	v_sub_u32_e32 v5, 0, v3
	v_ashrrev_i32_e32 v4, 31, v3
	v_max_i32_e32 v3, v3, v5
	v_mul_hi_u32 v5, v3, v29
	v_mul_lo_u32 v5, v5, s30
	v_sub_u32_e32 v3, v3, v5
	v_subrev_u32_e32 v5, s30, v3
	v_cmp_le_u32_e32 vcc, s30, v3
	v_cmp_lt_i32_e64 s[0:1], s34, v2
	s_nop 0
	v_cndmask_b32_e32 v3, v3, v5, vcc
	v_subrev_u32_e32 v5, s30, v3
	v_cmp_le_u32_e32 vcc, s30, v3
	s_nop 1
	v_cndmask_b32_e32 v3, v3, v5, vcc
	v_xor_b32_e32 v3, v3, v4
	v_sub_u32_e32 v3, v3, v4
	v_cmp_eq_u32_e32 vcc, 0, v3
	s_or_b64 s[0:1], vcc, s[0:1]
	s_and_saveexec_b64 s[16:17], s[0:1]
	s_cbranch_execz .LBB112_50
; %bb.52:                               ;   in Loop: Header=BB112_51 Depth=1
	global_load_dword v2, v[20:21], off
	s_waitcnt vmcnt(0)
	v_mad_i64_i32 v[2:3], s[0:1], v2, s35, 0
	v_lshl_add_u64 v[24:25], v[2:3], 1, s[12:13]
	v_lshl_add_u64 v[2:3], v[24:25], 0, v[18:19]
	global_load_dwordx4 v[10:13], v[2:3], off
	ds_read2_b64 v[6:9], v30 offset1:1
	ds_read2_b64 v[2:5], v30 offset0:2 offset1:3
	v_cmp_eq_u32_e64 s[0:1], s31, v1
	s_and_saveexec_b64 s[18:19], s[0:1]
	s_cbranch_execz .LBB112_54
; %bb.53:                               ;   in Loop: Header=BB112_51 Depth=1
	v_add_u32_e32 v23, 1, v15
	v_cmp_gt_i32_e32 vcc, s36, v23
	v_or_b32_e32 v26, 2, v15
	v_cmp_gt_i32_e64 s[8:9], s21, v26
	s_waitcnt vmcnt(0)
	v_cndmask_b32_sdwa v23, v19, v10, vcc dst_sel:DWORD dst_unused:UNUSED_PAD src0_sel:DWORD src1_sel:WORD_1
	v_cmp_gt_i32_e32 vcc, s21, v15
	v_or_b32_e32 v26, 4, v15
	s_nop 0
	v_cndmask_b32_e32 v10, 0, v10, vcc
	v_perm_b32 v10, v23, v10, s26
	v_or_b32_e32 v23, 3, v15
	v_cmp_gt_i32_e32 vcc, s36, v23
	v_cndmask_b32_e64 v23, 0, v11, s[8:9]
	v_cmp_gt_i32_e64 s[8:9], s21, v26
	v_cndmask_b32_sdwa v11, v19, v11, vcc dst_sel:DWORD dst_unused:UNUSED_PAD src0_sel:DWORD src1_sel:WORD_1
	v_perm_b32 v11, v11, v23, s26
	v_or_b32_e32 v23, 5, v15
	v_cmp_gt_i32_e32 vcc, s36, v23
	v_cndmask_b32_e64 v23, 0, v12, s[8:9]
	v_or_b32_e32 v26, 6, v15
	v_cndmask_b32_sdwa v12, v19, v12, vcc dst_sel:DWORD dst_unused:UNUSED_PAD src0_sel:DWORD src1_sel:WORD_1
	v_perm_b32 v12, v12, v23, s26
	v_or_b32_e32 v23, 7, v15
	v_cmp_gt_i32_e32 vcc, s36, v23
	v_cmp_gt_i32_e64 s[8:9], s21, v26
	s_nop 1
	v_cndmask_b32_e64 v23, 0, v13, s[8:9]
	v_cndmask_b32_sdwa v13, v19, v13, vcc dst_sel:DWORD dst_unused:UNUSED_PAD src0_sel:DWORD src1_sel:WORD_1
	v_perm_b32 v13, v13, v23, s26
.LBB112_54:                             ;   in Loop: Header=BB112_51 Depth=1
	s_or_b64 exec, exec, s[18:19]
	s_waitcnt lgkmcnt(1)
	v_cvt_pk_bf16_f32 v26, v7, s0
	v_cvt_pk_bf16_f32 v27, v8, s0
	s_waitcnt vmcnt(0)
	v_lshlrev_b32_e32 v36, 16, v10
	v_and_b32_e32 v10, 0xffff0000, v10
	v_lshlrev_b32_e32 v26, 16, v26
	v_cvt_pk_bf16_f32 v31, v9, s0
	v_mul_f32_e32 v10, v26, v10
	v_lshlrev_b32_e32 v26, 16, v11
	v_lshlrev_b32_e32 v27, 16, v27
	v_mul_f32_e32 v26, v27, v26
	v_and_b32_e32 v11, 0xffff0000, v11
	v_lshlrev_b32_e32 v27, 16, v31
	s_waitcnt lgkmcnt(0)
	v_cvt_pk_bf16_f32 v32, v2, s0
	v_mul_f32_e32 v11, v27, v11
	v_cvt_pk_bf16_f32 v27, v11, s0
	v_lshlrev_b32_e32 v11, 16, v12
	v_lshlrev_b32_e32 v31, 16, v32
	v_cvt_pk_bf16_f32 v33, v3, s0
	v_mul_f32_e32 v11, v31, v11
	v_cvt_pk_bf16_f32 v31, v11, s0
	v_and_b32_e32 v11, 0xffff0000, v12
	v_lshlrev_b32_e32 v12, 16, v33
	v_cvt_pk_bf16_f32 v34, v4, s0
	v_mul_f32_e32 v11, v12, v11
	v_cvt_pk_bf16_f32 v23, v6, s0
	v_cvt_pk_bf16_f32 v32, v11, s0
	v_lshlrev_b32_e32 v11, 16, v13
	v_lshlrev_b32_e32 v12, 16, v34
	v_cvt_pk_bf16_f32 v35, v5, s0
	v_lshlrev_b32_e32 v23, 16, v23
	v_mul_f32_e32 v11, v12, v11
	v_mul_f32_e32 v23, v23, v36
	v_cvt_pk_bf16_f32 v33, v11, s0
	v_and_b32_e32 v11, 0xffff0000, v13
	v_lshlrev_b32_e32 v12, 16, v35
	v_cvt_pk_bf16_f32 v23, v23, s0
	v_cvt_pk_bf16_f32 v10, v10, s0
	;; [unrolled: 1-line block ×3, first 2 shown]
	v_mul_f32_e32 v11, v12, v11
	v_cvt_pk_bf16_f32 v34, v11, s0
	v_lshlrev_b32_e32 v11, 16, v10
	v_lshlrev_b32_e32 v13, 16, v23
	;; [unrolled: 1-line block ×4, first 2 shown]
	v_pk_add_f32 v[10:11], v[12:13], v[10:11]
	v_lshlrev_b32_e32 v13, 16, v32
	v_lshlrev_b32_e32 v27, 16, v31
	;; [unrolled: 1-line block ×4, first 2 shown]
	v_pk_add_f32 v[10:11], v[10:11], v[10:11] op_sel:[0,1] op_sel_hi:[1,0]
	v_pk_add_f32 v[12:13], v[26:27], v[12:13]
	s_nop 0
	v_pk_add_f32 v[10:11], v[12:13], v[10:11] op_sel:[1,0] op_sel_hi:[0,1]
	v_pk_add_f32 v[10:11], v[12:13], v[10:11]
	s_nop 0
	v_pk_add_f32 v[26:27], v[16:17], v[10:11]
	s_and_saveexec_b64 s[8:9], s[2:3]
	s_cbranch_execz .LBB112_49
; %bb.55:                               ;   in Loop: Header=BB112_51 Depth=1
	v_mov_b32_e32 v23, v19
	v_lshl_add_u64 v[10:11], v[24:25], 0, v[22:23]
	global_load_dwordx4 v[10:13], v[10:11], off
	s_and_saveexec_b64 s[18:19], s[0:1]
	s_cbranch_execz .LBB112_48
; %bb.56:                               ;   in Loop: Header=BB112_51 Depth=1
	v_add_u32_e32 v23, 1, v15
	v_cmp_gt_i32_e32 vcc, s36, v23
	v_or_b32_e32 v24, 2, v15
	v_cmp_gt_i32_e64 s[0:1], s21, v24
	s_waitcnt vmcnt(0)
	v_cndmask_b32_sdwa v23, v19, v10, vcc dst_sel:DWORD dst_unused:UNUSED_PAD src0_sel:DWORD src1_sel:WORD_1
	v_cmp_gt_i32_e32 vcc, s21, v15
	v_or_b32_e32 v24, 4, v15
	s_nop 0
	v_cndmask_b32_e32 v10, 0, v10, vcc
	v_perm_b32 v10, v23, v10, s26
	v_or_b32_e32 v23, 3, v15
	v_cmp_gt_i32_e32 vcc, s36, v23
	v_cndmask_b32_e64 v23, 0, v11, s[0:1]
	v_cmp_gt_i32_e64 s[0:1], s21, v24
	v_cndmask_b32_sdwa v11, v19, v11, vcc dst_sel:DWORD dst_unused:UNUSED_PAD src0_sel:DWORD src1_sel:WORD_1
	v_perm_b32 v11, v11, v23, s26
	v_or_b32_e32 v23, 5, v15
	v_cmp_gt_i32_e32 vcc, s36, v23
	v_cndmask_b32_e64 v23, 0, v12, s[0:1]
	v_or_b32_e32 v24, 6, v15
	v_cndmask_b32_sdwa v12, v19, v12, vcc dst_sel:DWORD dst_unused:UNUSED_PAD src0_sel:DWORD src1_sel:WORD_1
	v_perm_b32 v12, v12, v23, s26
	v_or_b32_e32 v23, 7, v15
	v_cmp_gt_i32_e32 vcc, s36, v23
	v_cmp_gt_i32_e64 s[0:1], s21, v24
	s_nop 1
	v_cndmask_b32_e64 v23, 0, v13, s[0:1]
	v_cndmask_b32_sdwa v13, v19, v13, vcc dst_sel:DWORD dst_unused:UNUSED_PAD src0_sel:DWORD src1_sel:WORD_1
	v_perm_b32 v13, v13, v23, s26
	s_branch .LBB112_48
.LBB112_57:
	s_or_b64 exec, exec, s[14:15]
.LBB112_58:
	s_or_b64 exec, exec, s[10:11]
	v_and_b32_e32 v1, 0x3c0, v0
	v_cmp_eq_u32_e32 vcc, 64, v1
	s_barrier
	s_and_saveexec_b64 s[0:1], vcc
	s_cbranch_execz .LBB112_61
; %bb.59:
	v_mov_b32_e32 v1, 0xf0
	v_lshl_add_u32 v2, v28, 2, v1
	ds_write_b32 v2, v16
	s_and_b64 exec, exec, s[6:7]
; %bb.60:
	v_lshl_add_u32 v1, v0, 2, v1
	ds_write_b32 v1, v17
.LBB112_61:
	s_or_b64 exec, exec, s[0:1]
	v_cmp_gt_u32_e32 vcc, 64, v0
	v_or_b32_e32 v1, 64, v0
	s_waitcnt lgkmcnt(0)
	s_barrier
	s_and_saveexec_b64 s[2:3], vcc
	s_cbranch_execz .LBB112_65
; %bb.62:
	v_mov_b32_e32 v2, 0xf0
	v_lshl_add_u32 v2, v0, 2, v2
	ds_read_b32 v0, v2
	s_movk_i32 s0, 0x70
	v_cmp_gt_u32_e64 s[0:1], s0, v1
	s_and_saveexec_b64 s[6:7], s[0:1]
	s_cbranch_execz .LBB112_64
; %bb.63:
	ds_read_b32 v2, v2 offset:256
	s_waitcnt lgkmcnt(0)
	v_add_f32_e32 v17, v17, v2
.LBB112_64:
	s_or_b64 exec, exec, s[6:7]
	s_waitcnt lgkmcnt(0)
	v_add_f32_e32 v16, v16, v0
.LBB112_65:
	s_or_b64 exec, exec, s[2:3]
	s_barrier
	s_and_saveexec_b64 s[0:1], vcc
	s_cbranch_execz .LBB112_68
; %bb.66:
	s_mul_i32 s0, s20, s23
	s_mul_i32 s0, s0, s5
	s_mulk_i32 s0, 0x70
	s_ashr_i32 s1, s0, 31
	s_lshl_b64 s[0:1], s[0:1], 1
	s_add_u32 s3, s24, s0
	s_mul_i32 s0, s23, s22
	s_addc_u32 s5, s25, s1
	s_ashr_i32 s1, s0, 31
	s_lshl_b64 s[0:1], s[0:1], 1
	s_add_u32 s3, s3, s0
	s_mul_i32 s0, s4, 0x70
	s_addc_u32 s5, s5, s1
	s_ashr_i32 s1, s0, 31
	s_lshl_b64 s[0:1], s[0:1], 1
	s_movk_i32 s2, 0x70
	s_add_u32 s0, s3, s0
	s_addc_u32 s1, s5, s1
	v_cvt_pk_bf16_f32 v0, v16, s0
	v_cmp_gt_u32_e32 vcc, s2, v1
	global_store_short v14, v0, s[0:1]
	s_and_b64 exec, exec, vcc
	s_cbranch_execz .LBB112_68
; %bb.67:
	v_mov_b32_e32 v15, 0
	v_lshl_add_u64 v[0:1], s[0:1], 0, v[14:15]
	v_cvt_pk_bf16_f32 v2, v17, s0
	global_store_short v[0:1], v2, off offset:128
.LBB112_68:
	s_endpgm
	.section	.rodata,"a",@progbits
	.p2align	6, 0x0
	.amdhsa_kernel _ZN4vllm25paged_attention_v1_kernelI14__hip_bfloat16S1_Li112ELi8ELi128ELNS_18Fp8KVCacheDataTypeE0ELb1EEEvPT_PKS3_PKT0_S9_ifPKiSB_iPKfiiiSD_SD_iiiii
		.amdhsa_group_segment_fixed_size 240
		.amdhsa_private_segment_fixed_size 0
		.amdhsa_kernarg_size 384
		.amdhsa_user_sgpr_count 2
		.amdhsa_user_sgpr_dispatch_ptr 0
		.amdhsa_user_sgpr_queue_ptr 0
		.amdhsa_user_sgpr_kernarg_segment_ptr 1
		.amdhsa_user_sgpr_dispatch_id 0
		.amdhsa_user_sgpr_kernarg_preload_length 0
		.amdhsa_user_sgpr_kernarg_preload_offset 0
		.amdhsa_user_sgpr_private_segment_size 0
		.amdhsa_uses_dynamic_stack 0
		.amdhsa_enable_private_segment 0
		.amdhsa_system_sgpr_workgroup_id_x 1
		.amdhsa_system_sgpr_workgroup_id_y 1
		.amdhsa_system_sgpr_workgroup_id_z 1
		.amdhsa_system_sgpr_workgroup_info 0
		.amdhsa_system_vgpr_workitem_id 0
		.amdhsa_next_free_vgpr 53
		.amdhsa_next_free_sgpr 47
		.amdhsa_accum_offset 56
		.amdhsa_reserve_vcc 1
		.amdhsa_float_round_mode_32 0
		.amdhsa_float_round_mode_16_64 0
		.amdhsa_float_denorm_mode_32 3
		.amdhsa_float_denorm_mode_16_64 3
		.amdhsa_dx10_clamp 1
		.amdhsa_ieee_mode 1
		.amdhsa_fp16_overflow 0
		.amdhsa_tg_split 0
		.amdhsa_exception_fp_ieee_invalid_op 0
		.amdhsa_exception_fp_denorm_src 0
		.amdhsa_exception_fp_ieee_div_zero 0
		.amdhsa_exception_fp_ieee_overflow 0
		.amdhsa_exception_fp_ieee_underflow 0
		.amdhsa_exception_fp_ieee_inexact 0
		.amdhsa_exception_int_div_zero 0
	.end_amdhsa_kernel
	.section	.text._ZN4vllm25paged_attention_v1_kernelI14__hip_bfloat16S1_Li112ELi8ELi128ELNS_18Fp8KVCacheDataTypeE0ELb1EEEvPT_PKS3_PKT0_S9_ifPKiSB_iPKfiiiSD_SD_iiiii,"axG",@progbits,_ZN4vllm25paged_attention_v1_kernelI14__hip_bfloat16S1_Li112ELi8ELi128ELNS_18Fp8KVCacheDataTypeE0ELb1EEEvPT_PKS3_PKT0_S9_ifPKiSB_iPKfiiiSD_SD_iiiii,comdat
.Lfunc_end112:
	.size	_ZN4vllm25paged_attention_v1_kernelI14__hip_bfloat16S1_Li112ELi8ELi128ELNS_18Fp8KVCacheDataTypeE0ELb1EEEvPT_PKS3_PKT0_S9_ifPKiSB_iPKfiiiSD_SD_iiiii, .Lfunc_end112-_ZN4vllm25paged_attention_v1_kernelI14__hip_bfloat16S1_Li112ELi8ELi128ELNS_18Fp8KVCacheDataTypeE0ELb1EEEvPT_PKS3_PKT0_S9_ifPKiSB_iPKfiiiSD_SD_iiiii
                                        ; -- End function
	.set _ZN4vllm25paged_attention_v1_kernelI14__hip_bfloat16S1_Li112ELi8ELi128ELNS_18Fp8KVCacheDataTypeE0ELb1EEEvPT_PKS3_PKT0_S9_ifPKiSB_iPKfiiiSD_SD_iiiii.num_vgpr, 53
	.set _ZN4vllm25paged_attention_v1_kernelI14__hip_bfloat16S1_Li112ELi8ELi128ELNS_18Fp8KVCacheDataTypeE0ELb1EEEvPT_PKS3_PKT0_S9_ifPKiSB_iPKfiiiSD_SD_iiiii.num_agpr, 0
	.set _ZN4vllm25paged_attention_v1_kernelI14__hip_bfloat16S1_Li112ELi8ELi128ELNS_18Fp8KVCacheDataTypeE0ELb1EEEvPT_PKS3_PKT0_S9_ifPKiSB_iPKfiiiSD_SD_iiiii.numbered_sgpr, 47
	.set _ZN4vllm25paged_attention_v1_kernelI14__hip_bfloat16S1_Li112ELi8ELi128ELNS_18Fp8KVCacheDataTypeE0ELb1EEEvPT_PKS3_PKT0_S9_ifPKiSB_iPKfiiiSD_SD_iiiii.num_named_barrier, 0
	.set _ZN4vllm25paged_attention_v1_kernelI14__hip_bfloat16S1_Li112ELi8ELi128ELNS_18Fp8KVCacheDataTypeE0ELb1EEEvPT_PKS3_PKT0_S9_ifPKiSB_iPKfiiiSD_SD_iiiii.private_seg_size, 0
	.set _ZN4vllm25paged_attention_v1_kernelI14__hip_bfloat16S1_Li112ELi8ELi128ELNS_18Fp8KVCacheDataTypeE0ELb1EEEvPT_PKS3_PKT0_S9_ifPKiSB_iPKfiiiSD_SD_iiiii.uses_vcc, 1
	.set _ZN4vllm25paged_attention_v1_kernelI14__hip_bfloat16S1_Li112ELi8ELi128ELNS_18Fp8KVCacheDataTypeE0ELb1EEEvPT_PKS3_PKT0_S9_ifPKiSB_iPKfiiiSD_SD_iiiii.uses_flat_scratch, 0
	.set _ZN4vllm25paged_attention_v1_kernelI14__hip_bfloat16S1_Li112ELi8ELi128ELNS_18Fp8KVCacheDataTypeE0ELb1EEEvPT_PKS3_PKT0_S9_ifPKiSB_iPKfiiiSD_SD_iiiii.has_dyn_sized_stack, 0
	.set _ZN4vllm25paged_attention_v1_kernelI14__hip_bfloat16S1_Li112ELi8ELi128ELNS_18Fp8KVCacheDataTypeE0ELb1EEEvPT_PKS3_PKT0_S9_ifPKiSB_iPKfiiiSD_SD_iiiii.has_recursion, 0
	.set _ZN4vllm25paged_attention_v1_kernelI14__hip_bfloat16S1_Li112ELi8ELi128ELNS_18Fp8KVCacheDataTypeE0ELb1EEEvPT_PKS3_PKT0_S9_ifPKiSB_iPKfiiiSD_SD_iiiii.has_indirect_call, 0
	.section	.AMDGPU.csdata,"",@progbits
; Kernel info:
; codeLenInByte = 5144
; TotalNumSgprs: 53
; NumVgprs: 53
; NumAgprs: 0
; TotalNumVgprs: 53
; ScratchSize: 0
; MemoryBound: 0
; FloatMode: 240
; IeeeMode: 1
; LDSByteSize: 240 bytes/workgroup (compile time only)
; SGPRBlocks: 6
; VGPRBlocks: 6
; NumSGPRsForWavesPerEU: 53
; NumVGPRsForWavesPerEU: 53
; AccumOffset: 56
; Occupancy: 8
; WaveLimiterHint : 1
; COMPUTE_PGM_RSRC2:SCRATCH_EN: 0
; COMPUTE_PGM_RSRC2:USER_SGPR: 2
; COMPUTE_PGM_RSRC2:TRAP_HANDLER: 0
; COMPUTE_PGM_RSRC2:TGID_X_EN: 1
; COMPUTE_PGM_RSRC2:TGID_Y_EN: 1
; COMPUTE_PGM_RSRC2:TGID_Z_EN: 1
; COMPUTE_PGM_RSRC2:TIDIG_COMP_CNT: 0
; COMPUTE_PGM_RSRC3_GFX90A:ACCUM_OFFSET: 13
; COMPUTE_PGM_RSRC3_GFX90A:TG_SPLIT: 0
	.section	.text._ZN4vllm25paged_attention_v1_kernelI14__hip_bfloat16S1_Li120ELi8ELi128ELNS_18Fp8KVCacheDataTypeE0ELb1EEEvPT_PKS3_PKT0_S9_ifPKiSB_iPKfiiiSD_SD_iiiii,"axG",@progbits,_ZN4vllm25paged_attention_v1_kernelI14__hip_bfloat16S1_Li120ELi8ELi128ELNS_18Fp8KVCacheDataTypeE0ELb1EEEvPT_PKS3_PKT0_S9_ifPKiSB_iPKfiiiSD_SD_iiiii,comdat
	.protected	_ZN4vllm25paged_attention_v1_kernelI14__hip_bfloat16S1_Li120ELi8ELi128ELNS_18Fp8KVCacheDataTypeE0ELb1EEEvPT_PKS3_PKT0_S9_ifPKiSB_iPKfiiiSD_SD_iiiii ; -- Begin function _ZN4vllm25paged_attention_v1_kernelI14__hip_bfloat16S1_Li120ELi8ELi128ELNS_18Fp8KVCacheDataTypeE0ELb1EEEvPT_PKS3_PKT0_S9_ifPKiSB_iPKfiiiSD_SD_iiiii
	.globl	_ZN4vllm25paged_attention_v1_kernelI14__hip_bfloat16S1_Li120ELi8ELi128ELNS_18Fp8KVCacheDataTypeE0ELb1EEEvPT_PKS3_PKT0_S9_ifPKiSB_iPKfiiiSD_SD_iiiii
	.p2align	8
	.type	_ZN4vllm25paged_attention_v1_kernelI14__hip_bfloat16S1_Li120ELi8ELi128ELNS_18Fp8KVCacheDataTypeE0ELb1EEEvPT_PKS3_PKT0_S9_ifPKiSB_iPKfiiiSD_SD_iiiii,@function
_ZN4vllm25paged_attention_v1_kernelI14__hip_bfloat16S1_Li120ELi8ELi128ELNS_18Fp8KVCacheDataTypeE0ELb1EEEvPT_PKS3_PKT0_S9_ifPKiSB_iPKfiiiSD_SD_iiiii: ; @_ZN4vllm25paged_attention_v1_kernelI14__hip_bfloat16S1_Li120ELi8ELi128ELNS_18Fp8KVCacheDataTypeE0ELb1EEEvPT_PKS3_PKT0_S9_ifPKiSB_iPKfiiiSD_SD_iiiii
; %bb.0:
	s_load_dword s5, s[0:1], 0x80
	s_load_dwordx2 s[6:7], s[0:1], 0x30
	s_load_dwordx2 s[34:35], s[0:1], 0x20
	s_mov_b32 s20, s3
	s_ashr_i32 s21, s3, 31
	s_lshl_b64 s[8:9], s[20:21], 2
	s_waitcnt lgkmcnt(0)
	s_add_u32 s6, s6, s8
	s_addc_u32 s7, s7, s9
	s_abs_i32 s3, s34
	v_cvt_f32_u32_e32 v1, s3
	s_sub_i32 s10, 0, s3
	s_abs_i32 s9, s5
	s_xor_b32 s8, s5, s34
	v_rcp_iflag_f32_e32 v1, v1
	s_ashr_i32 s8, s8, 31
	s_mov_b32 s46, 0
	v_mul_f32_e32 v1, 0x4f7ffffe, v1
	v_cvt_u32_f32_e32 v1, v1
	s_nop 0
	v_readfirstlane_b32 s11, v1
	s_mul_i32 s10, s10, s11
	s_mul_hi_u32 s10, s11, s10
	s_add_i32 s11, s11, s10
	s_mul_hi_u32 s10, s9, s11
	s_mul_i32 s11, s10, s3
	s_sub_i32 s9, s9, s11
	s_add_i32 s11, s10, 1
	s_sub_i32 s12, s9, s3
	s_cmp_ge_u32 s9, s3
	s_cselect_b32 s10, s11, s10
	s_cselect_b32 s9, s12, s9
	s_add_i32 s11, s10, 1
	s_cmp_ge_u32 s9, s3
	s_cselect_b32 s3, s11, s10
	s_xor_b32 s3, s3, s8
	s_sub_i32 s12, s3, s8
	s_abs_i32 s10, s12
	v_cvt_f32_u32_e32 v1, s10
	s_load_dwordx2 s[8:9], s[0:1], 0x40
	s_sub_i32 s3, 0, s10
	s_abs_i32 s11, s2
	v_rcp_iflag_f32_e32 v1, v1
	s_nop 0
	v_mul_f32_e32 v1, 0x4f7ffffe, v1
	v_cvt_u32_f32_e32 v1, v1
	s_nop 0
	v_readfirstlane_b32 s13, v1
	s_mul_i32 s3, s3, s13
	s_mul_hi_u32 s3, s13, s3
	s_add_i32 s13, s13, s3
	s_waitcnt lgkmcnt(0)
	s_cmp_eq_u64 s[8:9], 0
	s_mul_hi_u32 s24, s11, s13
	s_cbranch_scc1 .LBB113_2
; %bb.1:
	s_ashr_i32 s3, s2, 31
	s_lshl_b64 s[14:15], s[2:3], 2
	s_add_u32 s8, s8, s14
	s_addc_u32 s9, s9, s15
	s_load_dword s46, s[8:9], 0x0
.LBB113_2:
	s_load_dword s21, s[6:7], 0x0
	s_ashr_i32 s26, s12, 31
	s_load_dwordx4 s[12:15], s[0:1], 0x48
	s_movk_i32 s3, 0x78
	s_ashr_i32 s25, s2, 31
	v_and_b32_e32 v4, 7, v0
	s_mul_i32 s22, s2, 0x78
	v_cmp_gt_u32_e64 s[6:7], s3, v0
	v_lshlrev_b32_e32 v14, 1, v0
	s_and_saveexec_b64 s[8:9], s[6:7]
	s_cbranch_execz .LBB113_4
; %bb.3:
	s_load_dwordx2 s[16:17], s[0:1], 0x8
	s_waitcnt lgkmcnt(0)
	s_mul_i32 s18, s12, s20
	s_ashr_i32 s19, s18, 31
	s_lshl_b64 s[18:19], s[18:19], 1
	v_lshrrev_b32_e32 v2, 2, v0
	s_add_u32 s3, s16, s18
	s_addc_u32 s12, s17, s19
	s_ashr_i32 s23, s22, 31
	s_lshl_b64 s[16:17], s[22:23], 1
	s_add_u32 s16, s3, s16
	s_addc_u32 s17, s12, s17
	global_load_ushort v1, v14, s[16:17]
	v_and_b32_e32 v2, 0xfe, v2
	v_mad_u32_u24 v2, v4, 30, v2
	s_waitcnt vmcnt(0)
	ds_write_b16 v2, v1
.LBB113_4:
	s_or_b64 exec, exec, s[8:9]
	s_mul_i32 s9, s24, s10
	s_sub_i32 s9, s11, s9
	s_xor_b32 s8, s25, s26
	s_add_i32 s11, s24, 1
	s_waitcnt lgkmcnt(0)
	s_sub_i32 s12, s9, s10
	s_load_dwordx4 s[16:19], s[0:1], 0x68
	s_load_dword s3, s[0:1], 0x78
	s_cmp_ge_u32 s9, s10
	s_cselect_b32 s11, s11, s24
	s_cselect_b32 s9, s12, s9
	s_add_i32 s12, s11, 1
	s_cmp_ge_u32 s9, s10
	s_cselect_b32 s9, s12, s11
	s_waitcnt lgkmcnt(0)
	s_abs_i32 s33, s19
	v_cvt_f32_u32_e32 v1, s33
	s_xor_b32 s9, s9, s8
	s_sub_i32 s10, s9, s8
	s_sub_i32 s8, 0, s33
	v_rcp_iflag_f32_e32 v1, v1
	s_add_i32 s15, s21, -1
	s_abs_i32 s11, s15
	v_mul_f32_e32 v1, 0x4f7ffffe, v1
	v_cvt_u32_f32_e32 v1, v1
	s_barrier
	v_readfirstlane_b32 s42, v1
	s_mul_i32 s8, s8, s42
	s_mul_hi_u32 s8, s42, s8
	s_add_i32 s42, s42, s8
	s_cmp_lt_i32 s3, 0
	s_mul_hi_u32 s12, s11, s42
	s_cbranch_scc0 .LBB113_6
; %bb.5:
	s_mul_i32 s8, s16, s34
	s_add_i32 s8, s10, s8
	s_mul_i32 s8, s8, s3
	s_sub_i32 s43, 1, s8
	s_mov_b64 s[8:9], 0
	s_branch .LBB113_7
.LBB113_6:
	s_mov_b64 s[8:9], -1
                                        ; implicit-def: $sgpr43
.LBB113_7:
	s_load_dwordx2 s[26:27], s[0:1], 0x28
	s_ashr_i32 s15, s15, 31
	s_andn2_b64 vcc, exec, s[8:9]
	s_ashr_i32 s44, s19, 31
	s_cbranch_vccnz .LBB113_9
; %bb.8:
	s_mul_i32 s8, s5, s16
	s_add_i32 s2, s8, s2
	s_mul_i32 s2, s2, s3
	s_add_i32 s43, s2, 1
.LBB113_9:
	s_load_dword s2, s[0:1], 0x38
	s_load_dwordx2 s[24:25], s[0:1], 0x0
	s_load_dwordx2 s[30:31], s[0:1], 0x18
	s_load_dword s23, s[0:1], 0x88
	s_xor_b32 s3, s15, s44
	s_waitcnt lgkmcnt(0)
	s_mul_i32 s28, s2, s20
	s_mul_i32 s2, s12, s33
	s_sub_i32 s2, s11, s2
	s_ashr_i32 s29, s28, 31
	s_add_i32 s8, s12, 1
	s_sub_i32 s9, s2, s33
	s_cmp_ge_u32 s2, s33
	s_cselect_b32 s8, s8, s12
	s_cselect_b32 s2, s9, s2
	s_add_i32 s9, s8, 1
	s_cmp_ge_u32 s2, s33
	s_cselect_b32 s2, s9, s8
	s_xor_b32 s2, s2, s3
	s_sub_i32 s12, s2, s3
	s_add_i32 s2, s21, 7
	s_ashr_i32 s3, s2, 31
	s_lshr_b32 s3, s3, 29
	s_add_i32 s2, s2, s3
	s_ashr_i32 s45, s2, 3
	v_lshrrev_b32_e32 v1, 6, v0
	v_cmp_gt_i32_e64 s[2:3], s45, v1
	v_mov_b32_e32 v10, 0xff7fffff
	s_mul_i32 s14, s10, s14
	v_lshrrev_b32_e32 v6, 4, v0
	v_lshlrev_b32_e32 v15, 3, v1
	v_mbcnt_lo_u32_b32 v7, -1, 0
	s_and_saveexec_b64 s[36:37], s[2:3]
	s_cbranch_execz .LBB113_21
; %bb.10:
	s_load_dwordx2 s[0:1], s[0:1], 0x10
	s_ashr_i32 s15, s14, 31
	s_sub_i32 s16, s12, s17
	s_lshl_b64 s[8:9], s[14:15], 1
	v_bfe_u32 v8, v0, 3, 3
	s_waitcnt lgkmcnt(0)
	s_add_u32 s0, s0, s8
	s_addc_u32 s1, s1, s9
	s_abs_i32 s15, s18
	v_cvt_f32_u32_e32 v2, s15
	v_lshlrev_b32_e32 v12, 4, v8
	v_mov_b32_e32 v13, 0
	s_sub_i32 s8, 0, s15
	v_rcp_iflag_f32_e32 v5, v2
	v_cmp_eq_u32_e32 vcc, 0, v4
	v_lshl_add_u64 v[2:3], s[0:1], 0, v[12:13]
	v_lshlrev_b32_e32 v12, 1, v4
	v_mul_f32_e32 v5, 0x4f7ffffe, v5
	v_cvt_u32_f32_e32 v5, v5
	v_mul_u32_u24_e32 v9, 30, v4
	v_lshl_add_u64 v[2:3], v[2:3], 0, v[12:13]
	v_and_b32_e32 v12, 60, v6
	v_mul_lo_u32 v4, s8, v5
	s_lshl_b64 s[8:9], s[28:29], 2
	s_add_u32 s8, s26, s8
	v_mul_hi_u32 v4, v5, v4
	s_addc_u32 s9, s27, s9
	v_subrev_u32_e32 v10, s21, v8
	v_add_u32_e32 v11, v5, v4
	v_lshl_add_u64 v[4:5], s[8:9], 0, v[12:13]
	v_add_u32_e32 v13, 1, v10
	v_lshlrev_b32_e32 v10, 2, v8
	v_lshl_or_b32 v10, v1, 5, v10
	v_mbcnt_hi_u32_b32 v18, -1, v7
	v_add_u32_e32 v16, 0x100, v10
	v_and_b32_e32 v10, 64, v18
	s_mov_b32 s19, s13
	v_cmp_neq_f32_e64 s[0:1], s46, 0
	v_lshlrev_b32_e32 v12, 3, v1
	v_mov_b32_e32 v17, 0xff7fffff
	s_mov_b64 s[38:39], 0
	v_add_u32_e32 v19, 64, v10
	v_xor_b32_e32 v20, 4, v18
	v_xor_b32_e32 v21, 2, v18
	;; [unrolled: 1-line block ×3, first 2 shown]
	v_mov_b32_e32 v10, 0xff7fffff
	v_mov_b32_e32 v23, v1
	s_branch .LBB113_13
.LBB113_11:                             ;   in Loop: Header=BB113_13 Depth=1
	s_or_b64 exec, exec, s[40:41]
.LBB113_12:                             ;   in Loop: Header=BB113_13 Depth=1
	s_or_b64 exec, exec, s[10:11]
	v_add_u32_e32 v23, 2, v23
	v_cmp_le_i32_e64 s[8:9], s45, v23
	v_lshl_add_u64 v[4:5], v[4:5], 0, 8
	v_add_u32_e32 v12, 16, v12
	s_or_b64 s[38:39], s[8:9], s[38:39]
	v_add_u32_e32 v16, 64, v16
	s_andn2_b64 exec, exec, s[38:39]
	s_cbranch_execz .LBB113_20
.LBB113_13:                             ; =>This Inner Loop Header: Depth=1
	v_mul_hi_u32 v24, v12, s42
	s_waitcnt lgkmcnt(0)
	v_mul_lo_u32 v25, v24, s33
	v_sub_u32_e32 v25, v12, v25
	v_add_u32_e32 v26, 1, v24
	v_cmp_le_u32_e64 s[8:9], s33, v25
	s_nop 1
	v_cndmask_b32_e64 v24, v24, v26, s[8:9]
	v_subrev_u32_e32 v26, s33, v25
	v_cndmask_b32_e64 v25, v25, v26, s[8:9]
	v_add_u32_e32 v26, 1, v24
	v_cmp_le_u32_e64 s[8:9], s33, v25
	s_nop 1
	v_cndmask_b32_e64 v24, v24, v26, s[8:9]
	v_xor_b32_e32 v24, s44, v24
	v_subrev_u32_e32 v24, s44, v24
	v_add_u32_e32 v25, s43, v24
	v_sub_u32_e32 v27, 0, v25
	v_ashrrev_i32_e32 v26, 31, v25
	v_max_i32_e32 v25, v25, v27
	v_mul_hi_u32 v27, v25, v11
	v_mul_lo_u32 v27, v27, s15
	v_sub_u32_e32 v25, v25, v27
	v_subrev_u32_e32 v27, s15, v25
	v_cmp_le_u32_e64 s[8:9], s15, v25
	v_cmp_ge_i32_e64 s[10:11], s16, v24
	s_nop 0
	v_cndmask_b32_e64 v25, v25, v27, s[8:9]
	v_subrev_u32_e32 v27, s15, v25
	v_cmp_le_u32_e64 s[8:9], s15, v25
	s_nop 1
	v_cndmask_b32_e64 v25, v25, v27, s[8:9]
	v_xor_b32_e32 v25, v25, v26
	v_sub_u32_e32 v25, v25, v26
	v_cmp_ne_u32_e64 s[8:9], 0, v25
	s_and_b64 s[8:9], s[8:9], s[10:11]
	s_and_saveexec_b64 s[10:11], s[8:9]
	s_xor_b64 s[8:9], exec, s[10:11]
	s_cbranch_execz .LBB113_17
; %bb.14:                               ;   in Loop: Header=BB113_13 Depth=1
	s_and_saveexec_b64 s[10:11], vcc
; %bb.15:                               ;   in Loop: Header=BB113_13 Depth=1
	ds_write_b32 v16, v17
; %bb.16:                               ;   in Loop: Header=BB113_13 Depth=1
	s_or_b64 exec, exec, s[10:11]
.LBB113_17:                             ;   in Loop: Header=BB113_13 Depth=1
	s_andn2_saveexec_b64 s[10:11], s[8:9]
	s_cbranch_execz .LBB113_12
; %bb.18:                               ;   in Loop: Header=BB113_13 Depth=1
	global_load_dword v24, v[4:5], off
	s_waitcnt vmcnt(0)
	v_mad_i64_i32 v[24:25], s[8:9], v24, s19, 0
	v_lshl_add_u64 v[24:25], v[24:25], 1, v[2:3]
	global_load_ushort v31, v[24:25], off
	global_load_ushort v32, v[24:25], off offset:128
	global_load_ushort v33, v[24:25], off offset:256
	;; [unrolled: 1-line block ×14, first 2 shown]
	ds_read_b128 v[24:27], v9
	ds_read_b96 v[28:30], v9 offset:16
	ds_read_u16 v46, v9 offset:28
	v_cmp_lt_i32_e64 s[8:9], v20, v19
	s_waitcnt lgkmcnt(2)
	v_lshlrev_b32_e32 v48, 16, v24
	v_and_b32_e32 v24, 0xffff0000, v24
	v_lshlrev_b32_e32 v49, 16, v25
	v_and_b32_e32 v25, 0xffff0000, v25
	;; [unrolled: 2-line block ×4, first 2 shown]
	s_waitcnt lgkmcnt(1)
	v_lshlrev_b32_e32 v52, 16, v28
	v_and_b32_e32 v28, 0xffff0000, v28
	v_lshlrev_b32_e32 v53, 16, v29
	v_and_b32_e32 v29, 0xffff0000, v29
	;; [unrolled: 2-line block ×3, first 2 shown]
	v_cndmask_b32_e64 v47, v18, v20, s[8:9]
	s_waitcnt lgkmcnt(0)
	v_lshlrev_b32_e32 v46, 16, v46
	v_lshlrev_b32_e32 v47, 2, v47
	v_cmp_lt_i32_e64 s[8:9], v21, v19
	s_waitcnt vmcnt(14)
	v_lshlrev_b32_e32 v31, 16, v31
	s_waitcnt vmcnt(13)
	v_lshlrev_b32_e32 v32, 16, v32
	v_mul_f32_e32 v24, v24, v32
	s_waitcnt vmcnt(12)
	v_lshlrev_b32_e32 v33, 16, v33
	v_fmac_f32_e32 v24, v48, v31
	s_waitcnt vmcnt(11)
	v_lshlrev_b32_e32 v34, 16, v34
	v_fmac_f32_e32 v24, v49, v33
	;; [unrolled: 3-line block ×12, first 2 shown]
	v_fmac_f32_e32 v24, v30, v44
	s_waitcnt vmcnt(0)
	v_lshlrev_b32_e32 v25, 16, v45
	v_fmac_f32_e32 v24, v46, v25
	ds_bpermute_b32 v25, v47, v24
	v_cndmask_b32_e64 v26, v18, v21, s[8:9]
	v_lshlrev_b32_e32 v26, 2, v26
	v_cmp_lt_i32_e64 s[8:9], v22, v19
	s_waitcnt lgkmcnt(0)
	v_add_f32_e32 v24, v24, v25
	ds_bpermute_b32 v25, v26, v24
	v_cndmask_b32_e64 v26, v18, v22, s[8:9]
	v_lshlrev_b32_e32 v26, 2, v26
	s_waitcnt lgkmcnt(0)
	v_add_f32_e32 v24, v24, v25
	ds_bpermute_b32 v25, v26, v24
	s_and_saveexec_b64 s[40:41], vcc
	s_cbranch_execz .LBB113_11
; %bb.19:                               ;   in Loop: Header=BB113_13 Depth=1
	v_add_u32_e32 v26, v13, v12
	v_cvt_f32_i32_e32 v26, v26
	s_waitcnt lgkmcnt(0)
	v_add_f32_e32 v24, v24, v25
	v_add_u32_e32 v27, v8, v12
	v_cmp_gt_i32_e64 s[8:9], s21, v27
	v_mul_f32_e32 v25, s46, v26
	v_cndmask_b32_e64 v25, 0, v25, s[0:1]
	v_fmac_f32_e32 v25, s35, v24
	v_cndmask_b32_e64 v24, 0, v25, s[8:9]
	ds_write_b32 v16, v24
	v_max_f32_e32 v24, v10, v10
	v_max_f32_e32 v24, v24, v25
	v_cndmask_b32_e64 v10, v10, v24, s[8:9]
	s_branch .LBB113_11
.LBB113_20:
	s_or_b64 exec, exec, s[38:39]
.LBB113_21:
	s_or_b64 exec, exec, s[36:37]
	v_mbcnt_hi_u32_b32 v2, -1, v7
	v_and_b32_e32 v11, 64, v2
	v_add_u32_e32 v3, 64, v11
	v_xor_b32_e32 v4, 32, v2
	v_cmp_lt_i32_e32 vcc, v4, v3
	v_xor_b32_e32 v8, 16, v2
	v_max_f32_e32 v7, v10, v10
	v_cndmask_b32_e32 v4, v2, v4, vcc
	v_lshlrev_b32_e32 v5, 2, v4
	ds_bpermute_b32 v4, v5, v10
	v_cmp_lt_i32_e32 vcc, v8, v3
	v_xor_b32_e32 v9, 8, v2
	v_and_b32_e32 v28, 63, v0
	s_waitcnt lgkmcnt(0)
	v_max_f32_e32 v4, v4, v4
	v_max_f32_e32 v4, v7, v4
	v_cndmask_b32_e32 v7, v2, v8, vcc
	v_lshlrev_b32_e32 v8, 2, v7
	ds_bpermute_b32 v7, v8, v4
	v_cmp_lt_i32_e32 vcc, v9, v3
	s_waitcnt lgkmcnt(0)
	v_max_f32_e32 v7, v7, v7
	v_max_f32_e32 v7, v4, v7
	v_cndmask_b32_e32 v4, v2, v9, vcc
	v_lshlrev_b32_e32 v10, 2, v4
	ds_bpermute_b32 v9, v10, v7
	v_cmp_eq_u32_e32 vcc, 0, v28
	v_lshlrev_b32_e32 v4, 2, v1
	s_and_saveexec_b64 s[0:1], vcc
	s_cbranch_execz .LBB113_23
; %bb.22:
	s_waitcnt lgkmcnt(0)
	v_max_f32_e32 v9, v9, v9
	v_max_f32_e32 v7, v7, v7
	;; [unrolled: 1-line block ×3, first 2 shown]
	ds_write_b32 v4, v7 offset:240
.LBB113_23:
	s_or_b64 exec, exec, s[0:1]
	v_cmp_gt_u32_e64 s[0:1], 2, v28
	v_mov_b32_e32 v12, 0xff7fffff
	v_lshlrev_b32_e32 v7, 2, v28
	s_waitcnt lgkmcnt(0)
	s_barrier
	s_and_saveexec_b64 s[8:9], s[0:1]
; %bb.24:
	ds_read_b32 v12, v7 offset:240
; %bb.25:
	s_or_b64 exec, exec, s[8:9]
	v_xor_b32_e32 v9, 1, v2
	v_cmp_lt_i32_e64 s[8:9], v9, v3
	v_lshlrev_b32_e32 v11, 2, v11
	s_nop 0
	v_cndmask_b32_e64 v9, v2, v9, s[8:9]
	v_lshlrev_b32_e32 v9, 2, v9
	s_waitcnt lgkmcnt(0)
	ds_bpermute_b32 v13, v9, v12
	v_max_f32_e32 v12, v12, v12
	s_lshl_b32 s8, s45, 3
	s_min_i32 s15, s8, s21
	v_cmp_gt_i32_e64 s[8:9], s15, v0
	s_waitcnt lgkmcnt(0)
	v_max_f32_e32 v13, v13, v13
	v_max_f32_e32 v12, v12, v13
	ds_bpermute_b32 v12, v11, v12
	v_mov_b32_e32 v11, 0
	s_and_saveexec_b64 s[34:35], s[8:9]
	s_cbranch_execz .LBB113_29
; %bb.26:
	v_mov_b32_e32 v11, 0x100
	v_lshl_add_u32 v13, v0, 2, v11
	v_mov_b32_e32 v11, 0
	s_mov_b64 s[36:37], 0
	v_mov_b32_e32 v16, v0
.LBB113_27:                             ; =>This Inner Loop Header: Depth=1
	ds_read_b32 v17, v13
	v_add_u32_e32 v16, 0x80, v16
	v_cmp_le_i32_e64 s[10:11], s15, v16
	s_or_b64 s[36:37], s[10:11], s[36:37]
	s_waitcnt lgkmcnt(0)
	v_sub_f32_e32 v17, v17, v12
	v_mul_f32_e32 v17, 0x3fb8aa3b, v17
	v_exp_f32_e32 v17, v17
	ds_write_b32 v13, v17
	v_add_f32_e32 v11, v11, v17
	v_add_u32_e32 v13, 0x200, v13
	s_andn2_b64 exec, exec, s[36:37]
	s_cbranch_execnz .LBB113_27
; %bb.28:
	s_or_b64 exec, exec, s[36:37]
.LBB113_29:
	s_or_b64 exec, exec, s[34:35]
	ds_bpermute_b32 v5, v5, v11
	s_waitcnt lgkmcnt(0)
	v_add_f32_e32 v5, v11, v5
	ds_bpermute_b32 v8, v8, v5
	s_waitcnt lgkmcnt(0)
	v_add_f32_e32 v5, v5, v8
	ds_bpermute_b32 v8, v10, v5
	v_xor_b32_e32 v10, 4, v2
	v_cmp_lt_i32_e64 s[10:11], v10, v3
	s_waitcnt lgkmcnt(0)
	v_add_f32_e32 v5, v5, v8
	v_cndmask_b32_e64 v10, v2, v10, s[10:11]
	v_lshlrev_b32_e32 v10, 2, v10
	ds_bpermute_b32 v8, v10, v5
	v_xor_b32_e32 v10, 2, v2
	v_cmp_lt_i32_e64 s[10:11], v10, v3
	s_waitcnt lgkmcnt(0)
	v_add_f32_e32 v5, v5, v8
	v_cndmask_b32_e64 v3, v2, v10, s[10:11]
	v_lshlrev_b32_e32 v3, 2, v3
	ds_bpermute_b32 v3, v3, v5
	s_waitcnt lgkmcnt(0)
	v_add_f32_e32 v3, v5, v3
	ds_bpermute_b32 v5, v9, v3
	s_waitcnt lgkmcnt(0)
	v_add_f32_e32 v3, v3, v5
	s_and_saveexec_b64 s[10:11], vcc
; %bb.30:
	ds_write_b32 v4, v3 offset:248
; %bb.31:
	s_or_b64 exec, exec, s[10:11]
	s_waitcnt lgkmcnt(0)
	s_barrier
	s_and_saveexec_b64 s[10:11], s[0:1]
; %bb.32:
	ds_read_b32 v3, v7 offset:248
; %bb.33:
	s_or_b64 exec, exec, s[10:11]
	s_waitcnt lgkmcnt(0)
	ds_bpermute_b32 v4, v9, v3
	v_lshlrev_b32_e32 v2, 2, v2
	v_and_b32_e32 v2, 0x100, v2
	s_waitcnt lgkmcnt(0)
	v_add_f32_e32 v3, v3, v4
	ds_bpermute_b32 v2, v2, v3
	s_and_saveexec_b64 s[0:1], s[8:9]
	s_cbranch_execz .LBB113_46
; %bb.34:
	s_waitcnt lgkmcnt(0)
	v_add_f32_e32 v2, 0x358637bd, v2
	v_div_scale_f32 v3, s[8:9], v2, v2, 1.0
	v_rcp_f32_e32 v4, v3
	v_div_scale_f32 v5, vcc, 1.0, v2, 1.0
	s_movk_i32 s8, 0x7f
	v_fma_f32 v7, -v3, v4, 1.0
	v_fmac_f32_e32 v4, v7, v4
	v_mul_f32_e32 v7, v5, v4
	v_fma_f32 v8, -v3, v7, v5
	v_fmac_f32_e32 v7, v8, v4
	v_fma_f32 v3, -v3, v7, v5
	v_div_fmas_f32 v3, v3, v4, v7
	v_xad_u32 v4, v0, -1, s15
	v_div_fixup_f32 v2, v3, v2, 1.0
	v_cmp_lt_u32_e32 vcc, s8, v4
	s_mov_b64 s[10:11], -1
	v_mov_b32_e32 v3, v0
	s_and_saveexec_b64 s[8:9], vcc
	s_cbranch_execz .LBB113_43
; %bb.35:
	v_lshrrev_b32_e32 v4, 7, v4
	v_add_u32_e32 v7, -1, v4
	v_lshrrev_b32_e32 v5, 1, v7
	v_mov_b32_e32 v3, v2
	v_add_u32_e32 v5, 1, v5
	v_cmp_lt_u32_e32 vcc, 13, v7
	v_mov_b32_e32 v9, 0
	s_and_saveexec_b64 s[10:11], vcc
	s_cbranch_execz .LBB113_39
; %bb.36:
	v_mov_b32_e32 v8, 0x100
	v_and_b32_e32 v7, -8, v5
	v_lshl_add_u32 v8, v0, 2, v8
	s_mov_b32 s16, 0
	s_mov_b64 s[34:35], 0
.LBB113_37:                             ; =>This Inner Loop Header: Depth=1
	ds_read2st64_b32 v[10:11], v8 offset1:2
	ds_read2st64_b32 v[12:13], v8 offset0:4 offset1:6
	ds_read2st64_b32 v[16:17], v8 offset0:8 offset1:10
	;; [unrolled: 1-line block ×3, first 2 shown]
	v_add_u32_e32 v7, -8, v7
	s_waitcnt lgkmcnt(3)
	v_pk_mul_f32 v[10:11], v[2:3], v[10:11]
	s_waitcnt lgkmcnt(2)
	v_pk_mul_f32 v[12:13], v[2:3], v[12:13]
	ds_write2st64_b32 v8, v10, v11 offset1:2
	ds_write2st64_b32 v8, v12, v13 offset0:4 offset1:6
	ds_read2st64_b32 v[12:13], v8 offset0:16 offset1:18
	s_waitcnt lgkmcnt(4)
	v_pk_mul_f32 v[10:11], v[2:3], v[16:17]
	ds_write2st64_b32 v8, v10, v11 offset0:8 offset1:10
	s_waitcnt lgkmcnt(4)
	v_pk_mul_f32 v[10:11], v[2:3], v[18:19]
	ds_write2st64_b32 v8, v10, v11 offset0:12 offset1:14
	ds_read2st64_b32 v[10:11], v8 offset0:20 offset1:22
	s_waitcnt lgkmcnt(3)
	v_pk_mul_f32 v[12:13], v[2:3], v[12:13]
	ds_read2st64_b32 v[16:17], v8 offset0:24 offset1:26
	ds_write2st64_b32 v8, v12, v13 offset0:16 offset1:18
	ds_read2st64_b32 v[12:13], v8 offset0:28 offset1:30
	s_waitcnt lgkmcnt(3)
	v_pk_mul_f32 v[10:11], v[2:3], v[10:11]
	ds_write2st64_b32 v8, v10, v11 offset0:20 offset1:22
	s_waitcnt lgkmcnt(3)
	v_pk_mul_f32 v[10:11], v[2:3], v[16:17]
	ds_write2st64_b32 v8, v10, v11 offset0:24 offset1:26
	s_waitcnt lgkmcnt(2)
	v_pk_mul_f32 v[10:11], v[2:3], v[12:13]
	s_add_i32 s16, s16, 16
	v_cmp_eq_u32_e32 vcc, 0, v7
	ds_write2st64_b32 v8, v10, v11 offset0:28 offset1:30
	v_add_u32_e32 v8, 0x2000, v8
	s_or_b64 s[34:35], vcc, s[34:35]
	v_mov_b32_e32 v9, s16
	s_andn2_b64 exec, exec, s[34:35]
	s_cbranch_execnz .LBB113_37
; %bb.38:
	s_or_b64 exec, exec, s[34:35]
.LBB113_39:
	s_or_b64 exec, exec, s[10:11]
	v_and_b32_e32 v5, 7, v5
	v_cmp_ne_u32_e32 vcc, 0, v5
	s_and_saveexec_b64 s[10:11], vcc
	s_cbranch_execz .LBB113_42
; %bb.40:
	v_lshlrev_b32_e32 v7, 9, v9
	v_lshlrev_b32_e32 v8, 2, v0
	s_movk_i32 s16, 0x100
	v_add3_u32 v7, v7, v8, s16
	s_mov_b64 s[34:35], 0
.LBB113_41:                             ; =>This Inner Loop Header: Depth=1
	ds_read2st64_b32 v[8:9], v7 offset1:2
	v_add_u32_e32 v5, -1, v5
	v_cmp_eq_u32_e32 vcc, 0, v5
	s_or_b64 s[34:35], vcc, s[34:35]
	s_waitcnt lgkmcnt(0)
	v_pk_mul_f32 v[8:9], v[2:3], v[8:9]
	ds_write2st64_b32 v7, v8, v9 offset1:2
	v_add_u32_e32 v7, 0x400, v7
	s_andn2_b64 exec, exec, s[34:35]
	s_cbranch_execnz .LBB113_41
.LBB113_42:
	s_or_b64 exec, exec, s[10:11]
	v_add_u32_e32 v4, 1, v4
	v_and_b32_e32 v5, 0x3fffffe, v4
	v_cmp_ne_u32_e32 vcc, v4, v5
	v_lshl_add_u32 v3, v5, 7, v0
	s_orn2_b64 s[10:11], vcc, exec
.LBB113_43:
	s_or_b64 exec, exec, s[8:9]
	s_and_b64 exec, exec, s[10:11]
	s_cbranch_execz .LBB113_46
; %bb.44:
	v_mov_b32_e32 v4, 0x100
	v_lshl_add_u32 v4, v3, 2, v4
	s_mov_b64 s[8:9], 0
.LBB113_45:                             ; =>This Inner Loop Header: Depth=1
	ds_read_b32 v5, v4
	v_add_u32_e32 v3, 0x80, v3
	v_cmp_le_i32_e32 vcc, s15, v3
	s_or_b64 s[8:9], vcc, s[8:9]
	s_waitcnt lgkmcnt(0)
	v_mul_f32_e32 v5, v2, v5
	ds_write_b32 v4, v5
	v_add_u32_e32 v4, 0x200, v4
	s_andn2_b64 exec, exec, s[8:9]
	s_cbranch_execnz .LBB113_45
.LBB113_46:
	s_or_b64 exec, exec, s[0:1]
	v_mov_b32_e32 v17, 0
	v_mov_b32_e32 v16, v17
	s_waitcnt lgkmcnt(0)
	s_barrier
	s_and_saveexec_b64 s[10:11], s[2:3]
	s_cbranch_execz .LBB113_58
; %bb.47:
	s_ashr_i32 s15, s14, 31
	s_sub_i32 s34, s12, s17
	s_lshl_b64 s[0:1], s[14:15], 1
	s_add_u32 s12, s30, s0
	s_mov_b32 s35, s13
	s_addc_u32 s13, s31, s1
	s_abs_i32 s30, s18
	v_cvt_f32_u32_e32 v3, s30
	v_or_b32_e32 v4, 64, v28
	s_movk_i32 s0, 0x78
	v_cmp_gt_u32_e64 s[2:3], s0, v4
	v_rcp_iflag_f32_e32 v3, v3
	s_sub_i32 s0, 0, s30
	s_add_i32 s31, s45, -1
	v_lshlrev_b32_e32 v2, 3, v28
	v_mul_f32_e32 v3, 0x4f7ffffe, v3
	v_cvt_u32_f32_e32 v3, v3
	v_mov_b32_e32 v19, 0
	v_lshlrev_b32_e32 v4, 3, v4
	v_and_b32_e32 v18, 60, v6
	v_mul_lo_u32 v5, s0, v3
	s_lshl_b64 s[0:1], s[28:29], 2
	v_mul_hi_u32 v5, v3, v5
	s_add_u32 s0, s26, s0
	v_add_u32_e32 v29, v3, v5
	s_addc_u32 s1, s27, s1
	v_mov_b32_e32 v3, 0x100
	s_mov_b32 s36, s21
	v_lshl_add_u64 v[20:21], s[0:1], 0, v[18:19]
	v_lshl_add_u32 v30, v1, 5, v3
	s_mov_b64 s[14:15], 0
	v_lshlrev_b32_e32 v18, 1, v2
	s_mov_b32 s26, 0x5040100
	v_lshlrev_b32_e32 v22, 1, v4
	v_mov_b32_e32 v16, v19
	v_mov_b32_e32 v17, v19
	s_branch .LBB113_51
.LBB113_48:                             ;   in Loop: Header=BB113_51 Depth=1
	s_or_b64 exec, exec, s[18:19]
	v_cvt_pk_bf16_f32 v6, v6, v7
	v_cvt_pk_bf16_f32 v2, v2, v3
	;; [unrolled: 1-line block ×3, first 2 shown]
	s_waitcnt vmcnt(0)
	v_lshlrev_b32_e32 v4, 16, v10
	v_lshlrev_b32_e32 v5, 16, v6
	v_cvt_pk_bf16_f32 v7, v8, v9
	v_mul_f32_e32 v4, v5, v4
	v_and_b32_e32 v5, 0xffff0000, v10
	v_and_b32_e32 v6, 0xffff0000, v6
	v_mul_f32_e32 v5, v6, v5
	v_lshlrev_b32_e32 v6, 16, v11
	v_lshlrev_b32_e32 v8, 16, v7
	v_mul_f32_e32 v6, v8, v6
	v_and_b32_e32 v8, 0xffff0000, v11
	v_and_b32_e32 v7, 0xffff0000, v7
	v_mul_f32_e32 v7, v7, v8
	v_lshlrev_b32_e32 v8, 16, v12
	v_lshlrev_b32_e32 v9, 16, v2
	v_mul_f32_e32 v8, v9, v8
	v_and_b32_e32 v9, 0xffff0000, v12
	v_and_b32_e32 v2, 0xffff0000, v2
	v_mul_f32_e32 v2, v2, v9
	v_cvt_pk_bf16_f32 v9, v2, s0
	v_lshlrev_b32_e32 v2, 16, v13
	v_lshlrev_b32_e32 v10, 16, v3
	v_mul_f32_e32 v2, v10, v2
	v_cvt_pk_bf16_f32 v10, v2, s0
	v_and_b32_e32 v2, 0xffff0000, v13
	v_and_b32_e32 v3, 0xffff0000, v3
	v_cvt_pk_bf16_f32 v4, v4, s0
	v_cvt_pk_bf16_f32 v5, v5, s0
	;; [unrolled: 1-line block ×4, first 2 shown]
	v_mul_f32_e32 v2, v3, v2
	v_cvt_pk_bf16_f32 v8, v8, s0
	v_cvt_pk_bf16_f32 v11, v2, s0
	v_lshlrev_b32_e32 v3, 16, v5
	v_lshlrev_b32_e32 v5, 16, v4
	;; [unrolled: 1-line block ×4, first 2 shown]
	v_pk_add_f32 v[2:3], v[4:5], v[2:3]
	v_lshlrev_b32_e32 v5, 16, v9
	v_lshlrev_b32_e32 v7, 16, v8
	;; [unrolled: 1-line block ×4, first 2 shown]
	v_pk_add_f32 v[4:5], v[6:7], v[4:5]
	v_add_f32_e32 v2, v2, v3
	v_add_f32_e32 v2, v5, v2
	;; [unrolled: 1-line block ×3, first 2 shown]
	v_pk_add_f32 v[16:17], v[16:17], v[2:3] op_sel_hi:[1,0]
.LBB113_49:                             ;   in Loop: Header=BB113_51 Depth=1
	s_or_b64 exec, exec, s[8:9]
	v_mov_b32_e32 v16, v26
.LBB113_50:                             ;   in Loop: Header=BB113_51 Depth=1
	s_or_b64 exec, exec, s[16:17]
	v_add_u32_e32 v1, 2, v1
	v_cmp_le_i32_e32 vcc, s45, v1
	v_lshl_add_u64 v[20:21], v[20:21], 0, 8
	v_add_u32_e32 v15, 16, v15
	s_or_b64 s[14:15], vcc, s[14:15]
	v_add_u32_e32 v30, 64, v30
	s_andn2_b64 exec, exec, s[14:15]
	s_cbranch_execz .LBB113_57
.LBB113_51:                             ; =>This Inner Loop Header: Depth=1
	v_mul_hi_u32 v2, v15, s42
	v_mul_lo_u32 v3, v2, s33
	v_sub_u32_e32 v3, v15, v3
	v_add_u32_e32 v4, 1, v2
	v_cmp_le_u32_e32 vcc, s33, v3
	s_nop 1
	v_cndmask_b32_e32 v2, v2, v4, vcc
	v_subrev_u32_e32 v4, s33, v3
	v_cndmask_b32_e32 v3, v3, v4, vcc
	v_add_u32_e32 v4, 1, v2
	v_cmp_le_u32_e32 vcc, s33, v3
	s_nop 1
	v_cndmask_b32_e32 v2, v2, v4, vcc
	v_xor_b32_e32 v2, s44, v2
	v_subrev_u32_e32 v2, s44, v2
	v_add_u32_e32 v3, s43, v2
	v_sub_u32_e32 v5, 0, v3
	v_ashrrev_i32_e32 v4, 31, v3
	v_max_i32_e32 v3, v3, v5
	v_mul_hi_u32 v5, v3, v29
	v_mul_lo_u32 v5, v5, s30
	v_sub_u32_e32 v3, v3, v5
	v_subrev_u32_e32 v5, s30, v3
	v_cmp_le_u32_e32 vcc, s30, v3
	v_cmp_lt_i32_e64 s[0:1], s34, v2
	s_nop 0
	v_cndmask_b32_e32 v3, v3, v5, vcc
	v_subrev_u32_e32 v5, s30, v3
	v_cmp_le_u32_e32 vcc, s30, v3
	s_nop 1
	v_cndmask_b32_e32 v3, v3, v5, vcc
	v_xor_b32_e32 v3, v3, v4
	v_sub_u32_e32 v3, v3, v4
	v_cmp_eq_u32_e32 vcc, 0, v3
	s_or_b64 s[0:1], vcc, s[0:1]
	s_and_saveexec_b64 s[16:17], s[0:1]
	s_cbranch_execz .LBB113_50
; %bb.52:                               ;   in Loop: Header=BB113_51 Depth=1
	global_load_dword v2, v[20:21], off
	s_waitcnt vmcnt(0)
	v_mad_i64_i32 v[2:3], s[0:1], v2, s35, 0
	v_lshl_add_u64 v[24:25], v[2:3], 1, s[12:13]
	v_lshl_add_u64 v[2:3], v[24:25], 0, v[18:19]
	global_load_dwordx4 v[10:13], v[2:3], off
	ds_read2_b64 v[6:9], v30 offset1:1
	ds_read2_b64 v[2:5], v30 offset0:2 offset1:3
	v_cmp_eq_u32_e64 s[0:1], s31, v1
	s_and_saveexec_b64 s[18:19], s[0:1]
	s_cbranch_execz .LBB113_54
; %bb.53:                               ;   in Loop: Header=BB113_51 Depth=1
	v_add_u32_e32 v23, 1, v15
	v_cmp_gt_i32_e32 vcc, s36, v23
	v_or_b32_e32 v26, 2, v15
	v_cmp_gt_i32_e64 s[8:9], s21, v26
	s_waitcnt vmcnt(0)
	v_cndmask_b32_sdwa v23, v19, v10, vcc dst_sel:DWORD dst_unused:UNUSED_PAD src0_sel:DWORD src1_sel:WORD_1
	v_cmp_gt_i32_e32 vcc, s21, v15
	v_or_b32_e32 v26, 4, v15
	s_nop 0
	v_cndmask_b32_e32 v10, 0, v10, vcc
	v_perm_b32 v10, v23, v10, s26
	v_or_b32_e32 v23, 3, v15
	v_cmp_gt_i32_e32 vcc, s36, v23
	v_cndmask_b32_e64 v23, 0, v11, s[8:9]
	v_cmp_gt_i32_e64 s[8:9], s21, v26
	v_cndmask_b32_sdwa v11, v19, v11, vcc dst_sel:DWORD dst_unused:UNUSED_PAD src0_sel:DWORD src1_sel:WORD_1
	v_perm_b32 v11, v11, v23, s26
	v_or_b32_e32 v23, 5, v15
	v_cmp_gt_i32_e32 vcc, s36, v23
	v_cndmask_b32_e64 v23, 0, v12, s[8:9]
	v_or_b32_e32 v26, 6, v15
	v_cndmask_b32_sdwa v12, v19, v12, vcc dst_sel:DWORD dst_unused:UNUSED_PAD src0_sel:DWORD src1_sel:WORD_1
	v_perm_b32 v12, v12, v23, s26
	v_or_b32_e32 v23, 7, v15
	v_cmp_gt_i32_e32 vcc, s36, v23
	v_cmp_gt_i32_e64 s[8:9], s21, v26
	s_nop 1
	v_cndmask_b32_e64 v23, 0, v13, s[8:9]
	v_cndmask_b32_sdwa v13, v19, v13, vcc dst_sel:DWORD dst_unused:UNUSED_PAD src0_sel:DWORD src1_sel:WORD_1
	v_perm_b32 v13, v13, v23, s26
.LBB113_54:                             ;   in Loop: Header=BB113_51 Depth=1
	s_or_b64 exec, exec, s[18:19]
	s_waitcnt lgkmcnt(1)
	v_cvt_pk_bf16_f32 v26, v7, s0
	v_cvt_pk_bf16_f32 v27, v8, s0
	s_waitcnt vmcnt(0)
	v_lshlrev_b32_e32 v36, 16, v10
	v_and_b32_e32 v10, 0xffff0000, v10
	v_lshlrev_b32_e32 v26, 16, v26
	v_cvt_pk_bf16_f32 v31, v9, s0
	v_mul_f32_e32 v10, v26, v10
	v_lshlrev_b32_e32 v26, 16, v11
	v_lshlrev_b32_e32 v27, 16, v27
	v_mul_f32_e32 v26, v27, v26
	v_and_b32_e32 v11, 0xffff0000, v11
	v_lshlrev_b32_e32 v27, 16, v31
	s_waitcnt lgkmcnt(0)
	v_cvt_pk_bf16_f32 v32, v2, s0
	v_mul_f32_e32 v11, v27, v11
	v_cvt_pk_bf16_f32 v27, v11, s0
	v_lshlrev_b32_e32 v11, 16, v12
	v_lshlrev_b32_e32 v31, 16, v32
	v_cvt_pk_bf16_f32 v33, v3, s0
	v_mul_f32_e32 v11, v31, v11
	v_cvt_pk_bf16_f32 v31, v11, s0
	v_and_b32_e32 v11, 0xffff0000, v12
	v_lshlrev_b32_e32 v12, 16, v33
	v_cvt_pk_bf16_f32 v34, v4, s0
	v_mul_f32_e32 v11, v12, v11
	v_cvt_pk_bf16_f32 v23, v6, s0
	v_cvt_pk_bf16_f32 v32, v11, s0
	v_lshlrev_b32_e32 v11, 16, v13
	v_lshlrev_b32_e32 v12, 16, v34
	v_cvt_pk_bf16_f32 v35, v5, s0
	v_lshlrev_b32_e32 v23, 16, v23
	v_mul_f32_e32 v11, v12, v11
	v_mul_f32_e32 v23, v23, v36
	v_cvt_pk_bf16_f32 v33, v11, s0
	v_and_b32_e32 v11, 0xffff0000, v13
	v_lshlrev_b32_e32 v12, 16, v35
	v_cvt_pk_bf16_f32 v23, v23, s0
	v_cvt_pk_bf16_f32 v10, v10, s0
	;; [unrolled: 1-line block ×3, first 2 shown]
	v_mul_f32_e32 v11, v12, v11
	v_cvt_pk_bf16_f32 v34, v11, s0
	v_lshlrev_b32_e32 v11, 16, v10
	v_lshlrev_b32_e32 v13, 16, v23
	;; [unrolled: 1-line block ×4, first 2 shown]
	v_pk_add_f32 v[10:11], v[12:13], v[10:11]
	v_lshlrev_b32_e32 v13, 16, v32
	v_lshlrev_b32_e32 v27, 16, v31
	;; [unrolled: 1-line block ×4, first 2 shown]
	v_pk_add_f32 v[10:11], v[10:11], v[10:11] op_sel:[0,1] op_sel_hi:[1,0]
	v_pk_add_f32 v[12:13], v[26:27], v[12:13]
	s_nop 0
	v_pk_add_f32 v[10:11], v[12:13], v[10:11] op_sel:[1,0] op_sel_hi:[0,1]
	v_pk_add_f32 v[10:11], v[12:13], v[10:11]
	s_nop 0
	v_pk_add_f32 v[26:27], v[16:17], v[10:11]
	s_and_saveexec_b64 s[8:9], s[2:3]
	s_cbranch_execz .LBB113_49
; %bb.55:                               ;   in Loop: Header=BB113_51 Depth=1
	v_mov_b32_e32 v23, v19
	v_lshl_add_u64 v[10:11], v[24:25], 0, v[22:23]
	global_load_dwordx4 v[10:13], v[10:11], off
	s_and_saveexec_b64 s[18:19], s[0:1]
	s_cbranch_execz .LBB113_48
; %bb.56:                               ;   in Loop: Header=BB113_51 Depth=1
	v_add_u32_e32 v23, 1, v15
	v_cmp_gt_i32_e32 vcc, s36, v23
	v_or_b32_e32 v24, 2, v15
	v_cmp_gt_i32_e64 s[0:1], s21, v24
	s_waitcnt vmcnt(0)
	v_cndmask_b32_sdwa v23, v19, v10, vcc dst_sel:DWORD dst_unused:UNUSED_PAD src0_sel:DWORD src1_sel:WORD_1
	v_cmp_gt_i32_e32 vcc, s21, v15
	v_or_b32_e32 v24, 4, v15
	s_nop 0
	v_cndmask_b32_e32 v10, 0, v10, vcc
	v_perm_b32 v10, v23, v10, s26
	v_or_b32_e32 v23, 3, v15
	v_cmp_gt_i32_e32 vcc, s36, v23
	v_cndmask_b32_e64 v23, 0, v11, s[0:1]
	v_cmp_gt_i32_e64 s[0:1], s21, v24
	v_cndmask_b32_sdwa v11, v19, v11, vcc dst_sel:DWORD dst_unused:UNUSED_PAD src0_sel:DWORD src1_sel:WORD_1
	v_perm_b32 v11, v11, v23, s26
	v_or_b32_e32 v23, 5, v15
	v_cmp_gt_i32_e32 vcc, s36, v23
	v_cndmask_b32_e64 v23, 0, v12, s[0:1]
	v_or_b32_e32 v24, 6, v15
	v_cndmask_b32_sdwa v12, v19, v12, vcc dst_sel:DWORD dst_unused:UNUSED_PAD src0_sel:DWORD src1_sel:WORD_1
	v_perm_b32 v12, v12, v23, s26
	v_or_b32_e32 v23, 7, v15
	v_cmp_gt_i32_e32 vcc, s36, v23
	v_cmp_gt_i32_e64 s[0:1], s21, v24
	s_nop 1
	v_cndmask_b32_e64 v23, 0, v13, s[0:1]
	v_cndmask_b32_sdwa v13, v19, v13, vcc dst_sel:DWORD dst_unused:UNUSED_PAD src0_sel:DWORD src1_sel:WORD_1
	v_perm_b32 v13, v13, v23, s26
	s_branch .LBB113_48
.LBB113_57:
	s_or_b64 exec, exec, s[14:15]
.LBB113_58:
	s_or_b64 exec, exec, s[10:11]
	v_and_b32_e32 v1, 0x3c0, v0
	v_cmp_eq_u32_e32 vcc, 64, v1
	s_barrier
	s_and_saveexec_b64 s[0:1], vcc
	s_cbranch_execz .LBB113_61
; %bb.59:
	v_mov_b32_e32 v1, 0x100
	v_lshl_add_u32 v2, v28, 2, v1
	ds_write_b32 v2, v16
	s_and_b64 exec, exec, s[6:7]
; %bb.60:
	v_lshl_add_u32 v1, v0, 2, v1
	ds_write_b32 v1, v17
.LBB113_61:
	s_or_b64 exec, exec, s[0:1]
	v_cmp_gt_u32_e32 vcc, 64, v0
	v_or_b32_e32 v1, 64, v0
	s_waitcnt lgkmcnt(0)
	s_barrier
	s_and_saveexec_b64 s[2:3], vcc
	s_cbranch_execz .LBB113_65
; %bb.62:
	v_mov_b32_e32 v2, 0x100
	v_lshl_add_u32 v2, v0, 2, v2
	ds_read_b32 v0, v2
	s_movk_i32 s0, 0x78
	v_cmp_gt_u32_e64 s[0:1], s0, v1
	s_and_saveexec_b64 s[6:7], s[0:1]
	s_cbranch_execz .LBB113_64
; %bb.63:
	ds_read_b32 v2, v2 offset:256
	s_waitcnt lgkmcnt(0)
	v_add_f32_e32 v17, v17, v2
.LBB113_64:
	s_or_b64 exec, exec, s[6:7]
	s_waitcnt lgkmcnt(0)
	v_add_f32_e32 v16, v16, v0
.LBB113_65:
	s_or_b64 exec, exec, s[2:3]
	s_barrier
	s_and_saveexec_b64 s[0:1], vcc
	s_cbranch_execz .LBB113_68
; %bb.66:
	s_mul_i32 s0, s20, s23
	s_mul_i32 s0, s0, s5
	s_mulk_i32 s0, 0x78
	s_ashr_i32 s1, s0, 31
	s_lshl_b64 s[0:1], s[0:1], 1
	s_add_u32 s3, s24, s0
	s_mul_i32 s0, s23, s22
	s_addc_u32 s5, s25, s1
	s_ashr_i32 s1, s0, 31
	s_lshl_b64 s[0:1], s[0:1], 1
	s_add_u32 s3, s3, s0
	s_mul_i32 s0, s4, 0x78
	s_addc_u32 s5, s5, s1
	s_ashr_i32 s1, s0, 31
	s_lshl_b64 s[0:1], s[0:1], 1
	s_movk_i32 s2, 0x78
	s_add_u32 s0, s3, s0
	s_addc_u32 s1, s5, s1
	v_cvt_pk_bf16_f32 v0, v16, s0
	v_cmp_gt_u32_e32 vcc, s2, v1
	global_store_short v14, v0, s[0:1]
	s_and_b64 exec, exec, vcc
	s_cbranch_execz .LBB113_68
; %bb.67:
	v_mov_b32_e32 v15, 0
	v_lshl_add_u64 v[0:1], s[0:1], 0, v[14:15]
	v_cvt_pk_bf16_f32 v2, v17, s0
	global_store_short v[0:1], v2, off offset:128
.LBB113_68:
	s_endpgm
	.section	.rodata,"a",@progbits
	.p2align	6, 0x0
	.amdhsa_kernel _ZN4vllm25paged_attention_v1_kernelI14__hip_bfloat16S1_Li120ELi8ELi128ELNS_18Fp8KVCacheDataTypeE0ELb1EEEvPT_PKS3_PKT0_S9_ifPKiSB_iPKfiiiSD_SD_iiiii
		.amdhsa_group_segment_fixed_size 256
		.amdhsa_private_segment_fixed_size 0
		.amdhsa_kernarg_size 384
		.amdhsa_user_sgpr_count 2
		.amdhsa_user_sgpr_dispatch_ptr 0
		.amdhsa_user_sgpr_queue_ptr 0
		.amdhsa_user_sgpr_kernarg_segment_ptr 1
		.amdhsa_user_sgpr_dispatch_id 0
		.amdhsa_user_sgpr_kernarg_preload_length 0
		.amdhsa_user_sgpr_kernarg_preload_offset 0
		.amdhsa_user_sgpr_private_segment_size 0
		.amdhsa_uses_dynamic_stack 0
		.amdhsa_enable_private_segment 0
		.amdhsa_system_sgpr_workgroup_id_x 1
		.amdhsa_system_sgpr_workgroup_id_y 1
		.amdhsa_system_sgpr_workgroup_id_z 1
		.amdhsa_system_sgpr_workgroup_info 0
		.amdhsa_system_vgpr_workitem_id 0
		.amdhsa_next_free_vgpr 55
		.amdhsa_next_free_sgpr 47
		.amdhsa_accum_offset 56
		.amdhsa_reserve_vcc 1
		.amdhsa_float_round_mode_32 0
		.amdhsa_float_round_mode_16_64 0
		.amdhsa_float_denorm_mode_32 3
		.amdhsa_float_denorm_mode_16_64 3
		.amdhsa_dx10_clamp 1
		.amdhsa_ieee_mode 1
		.amdhsa_fp16_overflow 0
		.amdhsa_tg_split 0
		.amdhsa_exception_fp_ieee_invalid_op 0
		.amdhsa_exception_fp_denorm_src 0
		.amdhsa_exception_fp_ieee_div_zero 0
		.amdhsa_exception_fp_ieee_overflow 0
		.amdhsa_exception_fp_ieee_underflow 0
		.amdhsa_exception_fp_ieee_inexact 0
		.amdhsa_exception_int_div_zero 0
	.end_amdhsa_kernel
	.section	.text._ZN4vllm25paged_attention_v1_kernelI14__hip_bfloat16S1_Li120ELi8ELi128ELNS_18Fp8KVCacheDataTypeE0ELb1EEEvPT_PKS3_PKT0_S9_ifPKiSB_iPKfiiiSD_SD_iiiii,"axG",@progbits,_ZN4vllm25paged_attention_v1_kernelI14__hip_bfloat16S1_Li120ELi8ELi128ELNS_18Fp8KVCacheDataTypeE0ELb1EEEvPT_PKS3_PKT0_S9_ifPKiSB_iPKfiiiSD_SD_iiiii,comdat
.Lfunc_end113:
	.size	_ZN4vllm25paged_attention_v1_kernelI14__hip_bfloat16S1_Li120ELi8ELi128ELNS_18Fp8KVCacheDataTypeE0ELb1EEEvPT_PKS3_PKT0_S9_ifPKiSB_iPKfiiiSD_SD_iiiii, .Lfunc_end113-_ZN4vllm25paged_attention_v1_kernelI14__hip_bfloat16S1_Li120ELi8ELi128ELNS_18Fp8KVCacheDataTypeE0ELb1EEEvPT_PKS3_PKT0_S9_ifPKiSB_iPKfiiiSD_SD_iiiii
                                        ; -- End function
	.set _ZN4vllm25paged_attention_v1_kernelI14__hip_bfloat16S1_Li120ELi8ELi128ELNS_18Fp8KVCacheDataTypeE0ELb1EEEvPT_PKS3_PKT0_S9_ifPKiSB_iPKfiiiSD_SD_iiiii.num_vgpr, 55
	.set _ZN4vllm25paged_attention_v1_kernelI14__hip_bfloat16S1_Li120ELi8ELi128ELNS_18Fp8KVCacheDataTypeE0ELb1EEEvPT_PKS3_PKT0_S9_ifPKiSB_iPKfiiiSD_SD_iiiii.num_agpr, 0
	.set _ZN4vllm25paged_attention_v1_kernelI14__hip_bfloat16S1_Li120ELi8ELi128ELNS_18Fp8KVCacheDataTypeE0ELb1EEEvPT_PKS3_PKT0_S9_ifPKiSB_iPKfiiiSD_SD_iiiii.numbered_sgpr, 47
	.set _ZN4vllm25paged_attention_v1_kernelI14__hip_bfloat16S1_Li120ELi8ELi128ELNS_18Fp8KVCacheDataTypeE0ELb1EEEvPT_PKS3_PKT0_S9_ifPKiSB_iPKfiiiSD_SD_iiiii.num_named_barrier, 0
	.set _ZN4vllm25paged_attention_v1_kernelI14__hip_bfloat16S1_Li120ELi8ELi128ELNS_18Fp8KVCacheDataTypeE0ELb1EEEvPT_PKS3_PKT0_S9_ifPKiSB_iPKfiiiSD_SD_iiiii.private_seg_size, 0
	.set _ZN4vllm25paged_attention_v1_kernelI14__hip_bfloat16S1_Li120ELi8ELi128ELNS_18Fp8KVCacheDataTypeE0ELb1EEEvPT_PKS3_PKT0_S9_ifPKiSB_iPKfiiiSD_SD_iiiii.uses_vcc, 1
	.set _ZN4vllm25paged_attention_v1_kernelI14__hip_bfloat16S1_Li120ELi8ELi128ELNS_18Fp8KVCacheDataTypeE0ELb1EEEvPT_PKS3_PKT0_S9_ifPKiSB_iPKfiiiSD_SD_iiiii.uses_flat_scratch, 0
	.set _ZN4vllm25paged_attention_v1_kernelI14__hip_bfloat16S1_Li120ELi8ELi128ELNS_18Fp8KVCacheDataTypeE0ELb1EEEvPT_PKS3_PKT0_S9_ifPKiSB_iPKfiiiSD_SD_iiiii.has_dyn_sized_stack, 0
	.set _ZN4vllm25paged_attention_v1_kernelI14__hip_bfloat16S1_Li120ELi8ELi128ELNS_18Fp8KVCacheDataTypeE0ELb1EEEvPT_PKS3_PKT0_S9_ifPKiSB_iPKfiiiSD_SD_iiiii.has_recursion, 0
	.set _ZN4vllm25paged_attention_v1_kernelI14__hip_bfloat16S1_Li120ELi8ELi128ELNS_18Fp8KVCacheDataTypeE0ELb1EEEvPT_PKS3_PKT0_S9_ifPKiSB_iPKfiiiSD_SD_iiiii.has_indirect_call, 0
	.section	.AMDGPU.csdata,"",@progbits
; Kernel info:
; codeLenInByte = 5156
; TotalNumSgprs: 53
; NumVgprs: 55
; NumAgprs: 0
; TotalNumVgprs: 55
; ScratchSize: 0
; MemoryBound: 0
; FloatMode: 240
; IeeeMode: 1
; LDSByteSize: 256 bytes/workgroup (compile time only)
; SGPRBlocks: 6
; VGPRBlocks: 6
; NumSGPRsForWavesPerEU: 53
; NumVGPRsForWavesPerEU: 55
; AccumOffset: 56
; Occupancy: 8
; WaveLimiterHint : 1
; COMPUTE_PGM_RSRC2:SCRATCH_EN: 0
; COMPUTE_PGM_RSRC2:USER_SGPR: 2
; COMPUTE_PGM_RSRC2:TRAP_HANDLER: 0
; COMPUTE_PGM_RSRC2:TGID_X_EN: 1
; COMPUTE_PGM_RSRC2:TGID_Y_EN: 1
; COMPUTE_PGM_RSRC2:TGID_Z_EN: 1
; COMPUTE_PGM_RSRC2:TIDIG_COMP_CNT: 0
; COMPUTE_PGM_RSRC3_GFX90A:ACCUM_OFFSET: 13
; COMPUTE_PGM_RSRC3_GFX90A:TG_SPLIT: 0
	.section	.text._ZN4vllm25paged_attention_v1_kernelI14__hip_bfloat16S1_Li128ELi8ELi128ELNS_18Fp8KVCacheDataTypeE0ELb1EEEvPT_PKS3_PKT0_S9_ifPKiSB_iPKfiiiSD_SD_iiiii,"axG",@progbits,_ZN4vllm25paged_attention_v1_kernelI14__hip_bfloat16S1_Li128ELi8ELi128ELNS_18Fp8KVCacheDataTypeE0ELb1EEEvPT_PKS3_PKT0_S9_ifPKiSB_iPKfiiiSD_SD_iiiii,comdat
	.protected	_ZN4vllm25paged_attention_v1_kernelI14__hip_bfloat16S1_Li128ELi8ELi128ELNS_18Fp8KVCacheDataTypeE0ELb1EEEvPT_PKS3_PKT0_S9_ifPKiSB_iPKfiiiSD_SD_iiiii ; -- Begin function _ZN4vllm25paged_attention_v1_kernelI14__hip_bfloat16S1_Li128ELi8ELi128ELNS_18Fp8KVCacheDataTypeE0ELb1EEEvPT_PKS3_PKT0_S9_ifPKiSB_iPKfiiiSD_SD_iiiii
	.globl	_ZN4vllm25paged_attention_v1_kernelI14__hip_bfloat16S1_Li128ELi8ELi128ELNS_18Fp8KVCacheDataTypeE0ELb1EEEvPT_PKS3_PKT0_S9_ifPKiSB_iPKfiiiSD_SD_iiiii
	.p2align	8
	.type	_ZN4vllm25paged_attention_v1_kernelI14__hip_bfloat16S1_Li128ELi8ELi128ELNS_18Fp8KVCacheDataTypeE0ELb1EEEvPT_PKS3_PKT0_S9_ifPKiSB_iPKfiiiSD_SD_iiiii,@function
_ZN4vllm25paged_attention_v1_kernelI14__hip_bfloat16S1_Li128ELi8ELi128ELNS_18Fp8KVCacheDataTypeE0ELb1EEEvPT_PKS3_PKT0_S9_ifPKiSB_iPKfiiiSD_SD_iiiii: ; @_ZN4vllm25paged_attention_v1_kernelI14__hip_bfloat16S1_Li128ELi8ELi128ELNS_18Fp8KVCacheDataTypeE0ELb1EEEvPT_PKS3_PKT0_S9_ifPKiSB_iPKfiiiSD_SD_iiiii
; %bb.0:
	s_load_dword s5, s[0:1], 0x80
	s_load_dwordx2 s[6:7], s[0:1], 0x30
	s_load_dwordx2 s[30:31], s[0:1], 0x20
	s_mov_b32 s10, s3
	s_ashr_i32 s11, s3, 31
	s_lshl_b64 s[8:9], s[10:11], 2
	s_waitcnt lgkmcnt(0)
	s_add_u32 s6, s6, s8
	s_addc_u32 s7, s7, s9
	s_abs_i32 s3, s30
	v_cvt_f32_u32_e32 v1, s3
	s_sub_i32 s11, 0, s3
	s_abs_i32 s9, s5
	s_xor_b32 s8, s5, s30
	v_rcp_iflag_f32_e32 v1, v1
	s_ashr_i32 s8, s8, 31
	s_mov_b32 s42, 0
	v_mul_f32_e32 v1, 0x4f7ffffe, v1
	v_cvt_u32_f32_e32 v1, v1
	s_nop 0
	v_readfirstlane_b32 s12, v1
	s_mul_i32 s11, s11, s12
	s_mul_hi_u32 s11, s12, s11
	s_add_i32 s12, s12, s11
	s_mul_hi_u32 s11, s9, s12
	s_mul_i32 s12, s11, s3
	s_sub_i32 s9, s9, s12
	s_add_i32 s12, s11, 1
	s_sub_i32 s13, s9, s3
	s_cmp_ge_u32 s9, s3
	s_cselect_b32 s11, s12, s11
	s_cselect_b32 s9, s13, s9
	s_add_i32 s12, s11, 1
	s_cmp_ge_u32 s9, s3
	s_cselect_b32 s3, s12, s11
	s_xor_b32 s3, s3, s8
	s_sub_i32 s12, s3, s8
	s_abs_i32 s22, s12
	v_cvt_f32_u32_e32 v1, s22
	s_load_dwordx2 s[8:9], s[0:1], 0x40
	s_sub_i32 s3, 0, s22
	s_abs_i32 s23, s2
	v_rcp_iflag_f32_e32 v1, v1
	s_nop 0
	v_mul_f32_e32 v1, 0x4f7ffffe, v1
	v_cvt_u32_f32_e32 v1, v1
	s_nop 0
	v_readfirstlane_b32 s11, v1
	s_mul_i32 s3, s3, s11
	s_mul_hi_u32 s3, s11, s3
	s_add_i32 s11, s11, s3
	s_waitcnt lgkmcnt(0)
	s_cmp_eq_u64 s[8:9], 0
	s_mul_hi_u32 s24, s23, s11
	s_cbranch_scc1 .LBB114_2
; %bb.1:
	s_ashr_i32 s3, s2, 31
	s_lshl_b64 s[14:15], s[2:3], 2
	s_add_u32 s8, s8, s14
	s_addc_u32 s9, s9, s15
	s_load_dword s42, s[8:9], 0x0
.LBB114_2:
	s_load_dword s11, s[6:7], 0x0
	s_ashr_i32 s9, s12, 31
	s_load_dwordx4 s[12:15], s[0:1], 0x48
	s_movk_i32 s6, 0x80
	s_ashr_i32 s3, s2, 31
	v_and_b32_e32 v4, 7, v0
	s_lshl_b32 s20, s2, 7
	v_cmp_gt_u32_e32 vcc, s6, v0
	v_lshlrev_b32_e32 v1, 1, v0
	s_and_saveexec_b64 s[6:7], vcc
	s_cbranch_execz .LBB114_4
; %bb.3:
	s_load_dwordx2 s[16:17], s[0:1], 0x8
	s_waitcnt lgkmcnt(0)
	s_mul_i32 s18, s12, s10
	s_ashr_i32 s19, s18, 31
	s_lshl_b64 s[18:19], s[18:19], 1
	v_lshrrev_b32_e32 v3, 2, v0
	s_add_u32 s8, s16, s18
	s_addc_u32 s12, s17, s19
	s_ashr_i32 s21, s20, 31
	s_lshl_b64 s[16:17], s[20:21], 1
	s_add_u32 s16, s8, s16
	s_addc_u32 s17, s12, s17
	global_load_ushort v2, v1, s[16:17]
	v_and_b32_e32 v3, 0xfe, v3
	v_lshl_add_u32 v3, v4, 5, v3
	s_waitcnt vmcnt(0)
	ds_write_b16 v3, v2
.LBB114_4:
	s_or_b64 exec, exec, s[6:7]
	s_mul_i32 s6, s24, s22
	s_sub_i32 s6, s23, s6
	s_xor_b32 s3, s3, s9
	s_add_i32 s7, s24, 1
	s_sub_i32 s9, s6, s22
	s_load_dwordx4 s[16:19], s[0:1], 0x68
	s_load_dword s8, s[0:1], 0x78
	s_cmp_ge_u32 s6, s22
	s_cselect_b32 s7, s7, s24
	s_cselect_b32 s6, s9, s6
	s_add_i32 s9, s7, 1
	s_cmp_ge_u32 s6, s22
	s_cselect_b32 s6, s9, s7
	s_waitcnt lgkmcnt(0)
	s_abs_i32 s21, s19
	v_cvt_f32_u32_e32 v2, s21
	s_xor_b32 s6, s6, s3
	s_sub_i32 s3, s6, s3
	s_sub_i32 s6, 0, s21
	v_rcp_iflag_f32_e32 v2, v2
	s_add_i32 s15, s11, -1
	s_abs_i32 s9, s15
	v_mul_f32_e32 v2, 0x4f7ffffe, v2
	v_cvt_u32_f32_e32 v2, v2
	s_barrier
	v_readfirstlane_b32 s33, v2
	s_mul_i32 s6, s6, s33
	s_mul_hi_u32 s6, s33, s6
	s_add_i32 s33, s33, s6
	s_cmp_lt_i32 s8, 0
	s_mul_hi_u32 s12, s9, s33
	s_cbranch_scc0 .LBB114_6
; %bb.5:
	s_mul_i32 s6, s16, s30
	s_add_i32 s6, s3, s6
	s_mul_i32 s6, s6, s8
	s_sub_i32 s40, 1, s6
	s_mov_b64 s[6:7], 0
	s_branch .LBB114_7
.LBB114_6:
	s_mov_b64 s[6:7], -1
                                        ; implicit-def: $sgpr40
.LBB114_7:
	s_load_dwordx2 s[24:25], s[0:1], 0x28
	s_ashr_i32 s15, s15, 31
	s_andn2_b64 vcc, exec, s[6:7]
	s_ashr_i32 s19, s19, 31
	s_cbranch_vccnz .LBB114_9
; %bb.8:
	s_mul_i32 s6, s5, s16
	s_add_i32 s2, s6, s2
	s_mul_i32 s2, s2, s8
	s_add_i32 s40, s2, 1
.LBB114_9:
	s_load_dword s2, s[0:1], 0x38
	s_load_dwordx2 s[22:23], s[0:1], 0x0
	s_load_dwordx2 s[28:29], s[0:1], 0x18
	s_load_dword s16, s[0:1], 0x88
	s_xor_b32 s6, s15, s19
	s_waitcnt lgkmcnt(0)
	s_mul_i32 s26, s2, s10
	s_mul_i32 s2, s12, s21
	s_sub_i32 s2, s9, s2
	s_ashr_i32 s27, s26, 31
	s_add_i32 s7, s12, 1
	s_sub_i32 s8, s2, s21
	s_cmp_ge_u32 s2, s21
	s_cselect_b32 s7, s7, s12
	s_cselect_b32 s2, s8, s2
	s_add_i32 s8, s7, 1
	s_cmp_ge_u32 s2, s21
	s_cselect_b32 s2, s8, s7
	s_xor_b32 s2, s2, s6
	s_sub_i32 s12, s2, s6
	s_add_i32 s2, s11, 7
	s_ashr_i32 s6, s2, 31
	s_lshr_b32 s6, s6, 29
	s_add_i32 s2, s2, s6
	s_ashr_i32 s41, s2, 3
	v_lshrrev_b32_e32 v26, 6, v0
	v_cmp_gt_i32_e64 s[6:7], s41, v26
	v_mov_b32_e32 v10, 0xff7fffff
	s_mul_i32 s14, s3, s14
	v_lshrrev_b32_e32 v6, 4, v0
	v_lshlrev_b32_e32 v27, 3, v26
	v_mbcnt_lo_u32_b32 v7, -1, 0
	s_and_saveexec_b64 s[34:35], s[6:7]
	s_cbranch_execz .LBB114_21
; %bb.10:
	s_load_dwordx2 s[0:1], s[0:1], 0x10
	s_ashr_i32 s15, s14, 31
	s_sub_i32 s30, s12, s17
	s_lshl_b64 s[2:3], s[14:15], 1
	v_bfe_u32 v8, v0, 3, 3
	s_waitcnt lgkmcnt(0)
	s_add_u32 s0, s0, s2
	s_addc_u32 s1, s1, s3
	s_abs_i32 s15, s18
	v_cvt_f32_u32_e32 v2, s15
	v_lshlrev_b32_e32 v12, 4, v8
	v_mov_b32_e32 v13, 0
	v_cmp_eq_u32_e32 vcc, 0, v4
	v_rcp_iflag_f32_e32 v5, v2
	v_lshl_add_u64 v[2:3], s[0:1], 0, v[12:13]
	s_sub_i32 s0, 0, s15
	v_lshlrev_b32_e32 v12, 1, v4
	v_mul_f32_e32 v5, 0x4f7ffffe, v5
	v_cvt_u32_f32_e32 v5, v5
	v_lshlrev_b32_e32 v9, 5, v4
	v_lshl_add_u64 v[2:3], v[2:3], 0, v[12:13]
	v_and_b32_e32 v12, 60, v6
	v_mul_lo_u32 v4, s0, v5
	s_lshl_b64 s[0:1], s[26:27], 2
	s_add_u32 s0, s24, s0
	v_mul_hi_u32 v4, v5, v4
	s_addc_u32 s1, s25, s1
	v_subrev_u32_e32 v10, s11, v8
	v_add_u32_e32 v11, v5, v4
	v_lshl_add_u64 v[4:5], s[0:1], 0, v[12:13]
	v_add_u32_e32 v13, 1, v10
	v_lshlrev_b32_e32 v10, 2, v8
	v_lshl_or_b32 v10, v26, 5, v10
	v_mbcnt_hi_u32_b32 v16, -1, v7
	v_add_u32_e32 v14, 0x110, v10
	v_and_b32_e32 v10, 64, v16
	s_mov_b32 s43, s13
	v_cmp_neq_f32_e64 s[2:3], s42, 0
	v_lshlrev_b32_e32 v12, 3, v26
	v_mov_b32_e32 v15, 0xff7fffff
	s_mov_b64 s[36:37], 0
	v_add_u32_e32 v17, 64, v10
	v_xor_b32_e32 v18, 4, v16
	v_xor_b32_e32 v19, 2, v16
	;; [unrolled: 1-line block ×3, first 2 shown]
	v_mov_b32_e32 v10, 0xff7fffff
	v_mov_b32_e32 v21, v26
	s_branch .LBB114_13
.LBB114_11:                             ;   in Loop: Header=BB114_13 Depth=1
	s_or_b64 exec, exec, s[38:39]
.LBB114_12:                             ;   in Loop: Header=BB114_13 Depth=1
	s_or_b64 exec, exec, s[8:9]
	v_add_u32_e32 v21, 2, v21
	v_cmp_le_i32_e64 s[0:1], s41, v21
	v_lshl_add_u64 v[4:5], v[4:5], 0, 8
	v_add_u32_e32 v12, 16, v12
	s_or_b64 s[36:37], s[0:1], s[36:37]
	v_add_u32_e32 v14, 64, v14
	s_andn2_b64 exec, exec, s[36:37]
	s_cbranch_execz .LBB114_20
.LBB114_13:                             ; =>This Inner Loop Header: Depth=1
	v_mul_hi_u32 v22, v12, s33
	s_waitcnt lgkmcnt(0)
	v_mul_lo_u32 v23, v22, s21
	v_sub_u32_e32 v23, v12, v23
	v_add_u32_e32 v24, 1, v22
	v_cmp_le_u32_e64 s[0:1], s21, v23
	s_nop 1
	v_cndmask_b32_e64 v22, v22, v24, s[0:1]
	v_subrev_u32_e32 v24, s21, v23
	v_cndmask_b32_e64 v23, v23, v24, s[0:1]
	v_add_u32_e32 v24, 1, v22
	v_cmp_le_u32_e64 s[0:1], s21, v23
	s_nop 1
	v_cndmask_b32_e64 v22, v22, v24, s[0:1]
	v_xor_b32_e32 v22, s19, v22
	v_subrev_u32_e32 v22, s19, v22
	v_add_u32_e32 v23, s40, v22
	v_sub_u32_e32 v25, 0, v23
	v_ashrrev_i32_e32 v24, 31, v23
	v_max_i32_e32 v23, v23, v25
	v_mul_hi_u32 v25, v23, v11
	v_mul_lo_u32 v25, v25, s15
	v_sub_u32_e32 v23, v23, v25
	v_subrev_u32_e32 v25, s15, v23
	v_cmp_le_u32_e64 s[0:1], s15, v23
	v_cmp_ge_i32_e64 s[8:9], s30, v22
	s_nop 0
	v_cndmask_b32_e64 v23, v23, v25, s[0:1]
	v_subrev_u32_e32 v25, s15, v23
	v_cmp_le_u32_e64 s[0:1], s15, v23
	s_nop 1
	v_cndmask_b32_e64 v23, v23, v25, s[0:1]
	v_xor_b32_e32 v23, v23, v24
	v_sub_u32_e32 v23, v23, v24
	v_cmp_ne_u32_e64 s[0:1], 0, v23
	s_and_b64 s[0:1], s[0:1], s[8:9]
	s_and_saveexec_b64 s[8:9], s[0:1]
	s_xor_b64 s[0:1], exec, s[8:9]
	s_cbranch_execz .LBB114_17
; %bb.14:                               ;   in Loop: Header=BB114_13 Depth=1
	s_and_saveexec_b64 s[8:9], vcc
; %bb.15:                               ;   in Loop: Header=BB114_13 Depth=1
	ds_write_b32 v14, v15
; %bb.16:                               ;   in Loop: Header=BB114_13 Depth=1
	s_or_b64 exec, exec, s[8:9]
.LBB114_17:                             ;   in Loop: Header=BB114_13 Depth=1
	s_andn2_saveexec_b64 s[8:9], s[0:1]
	s_cbranch_execz .LBB114_12
; %bb.18:                               ;   in Loop: Header=BB114_13 Depth=1
	global_load_dword v22, v[4:5], off
	s_waitcnt vmcnt(0)
	v_mad_i64_i32 v[22:23], s[0:1], v22, s43, 0
	v_lshl_add_u64 v[22:23], v[22:23], 1, v[2:3]
	global_load_ushort v32, v[22:23], off
	global_load_ushort v33, v[22:23], off offset:128
	global_load_ushort v34, v[22:23], off offset:256
	global_load_ushort v35, v[22:23], off offset:384
	global_load_ushort v36, v[22:23], off offset:512
	global_load_ushort v37, v[22:23], off offset:640
	global_load_ushort v38, v[22:23], off offset:768
	global_load_ushort v39, v[22:23], off offset:896
	global_load_ushort v40, v[22:23], off offset:1024
	global_load_ushort v41, v[22:23], off offset:1152
	global_load_ushort v42, v[22:23], off offset:1280
	global_load_ushort v43, v[22:23], off offset:1408
	global_load_ushort v44, v[22:23], off offset:1536
	global_load_ushort v45, v[22:23], off offset:1664
	global_load_ushort v46, v[22:23], off offset:1792
	global_load_ushort v47, v[22:23], off offset:1920
	ds_read_b128 v[22:25], v9
	ds_read_b128 v[28:31], v9 offset:16
	v_cmp_lt_i32_e64 s[0:1], v18, v17
	s_waitcnt lgkmcnt(1)
	v_lshlrev_b32_e32 v49, 16, v22
	v_and_b32_e32 v22, 0xffff0000, v22
	v_lshlrev_b32_e32 v50, 16, v23
	v_and_b32_e32 v23, 0xffff0000, v23
	;; [unrolled: 2-line block ×4, first 2 shown]
	s_waitcnt lgkmcnt(0)
	v_lshlrev_b32_e32 v53, 16, v28
	v_and_b32_e32 v28, 0xffff0000, v28
	v_lshlrev_b32_e32 v54, 16, v29
	v_and_b32_e32 v29, 0xffff0000, v29
	;; [unrolled: 2-line block ×3, first 2 shown]
	v_lshlrev_b32_e32 v56, 16, v31
	v_cndmask_b32_e64 v48, v16, v18, s[0:1]
	v_and_b32_e32 v31, 0xffff0000, v31
	v_lshlrev_b32_e32 v48, 2, v48
	v_cmp_lt_i32_e64 s[0:1], v19, v17
	s_waitcnt vmcnt(15)
	v_lshlrev_b32_e32 v32, 16, v32
	s_waitcnt vmcnt(14)
	v_lshlrev_b32_e32 v33, 16, v33
	v_mul_f32_e32 v22, v22, v33
	s_waitcnt vmcnt(13)
	v_lshlrev_b32_e32 v34, 16, v34
	v_fmac_f32_e32 v22, v49, v32
	s_waitcnt vmcnt(12)
	v_lshlrev_b32_e32 v35, 16, v35
	v_fmac_f32_e32 v22, v50, v34
	;; [unrolled: 3-line block ×13, first 2 shown]
	v_fmac_f32_e32 v22, v56, v46
	s_waitcnt vmcnt(0)
	v_lshlrev_b32_e32 v23, 16, v47
	v_fmac_f32_e32 v22, v31, v23
	ds_bpermute_b32 v23, v48, v22
	v_cndmask_b32_e64 v24, v16, v19, s[0:1]
	v_lshlrev_b32_e32 v24, 2, v24
	v_cmp_lt_i32_e64 s[0:1], v20, v17
	s_waitcnt lgkmcnt(0)
	v_add_f32_e32 v22, v22, v23
	ds_bpermute_b32 v23, v24, v22
	v_cndmask_b32_e64 v24, v16, v20, s[0:1]
	v_lshlrev_b32_e32 v24, 2, v24
	s_waitcnt lgkmcnt(0)
	v_add_f32_e32 v22, v22, v23
	ds_bpermute_b32 v23, v24, v22
	s_and_saveexec_b64 s[38:39], vcc
	s_cbranch_execz .LBB114_11
; %bb.19:                               ;   in Loop: Header=BB114_13 Depth=1
	v_add_u32_e32 v24, v13, v12
	v_cvt_f32_i32_e32 v24, v24
	s_waitcnt lgkmcnt(0)
	v_add_f32_e32 v22, v22, v23
	v_add_u32_e32 v25, v8, v12
	v_cmp_gt_i32_e64 s[0:1], s11, v25
	v_mul_f32_e32 v23, s42, v24
	v_cndmask_b32_e64 v23, 0, v23, s[2:3]
	v_fmac_f32_e32 v23, s31, v22
	v_cndmask_b32_e64 v22, 0, v23, s[0:1]
	ds_write_b32 v14, v22
	v_max_f32_e32 v22, v10, v10
	v_max_f32_e32 v22, v22, v23
	v_cndmask_b32_e64 v10, v10, v22, s[0:1]
	s_branch .LBB114_11
.LBB114_20:
	s_or_b64 exec, exec, s[36:37]
.LBB114_21:
	s_or_b64 exec, exec, s[34:35]
	v_mbcnt_hi_u32_b32 v2, -1, v7
	v_and_b32_e32 v11, 64, v2
	v_add_u32_e32 v3, 64, v11
	v_xor_b32_e32 v4, 32, v2
	v_cmp_lt_i32_e32 vcc, v4, v3
	v_xor_b32_e32 v8, 16, v2
	v_max_f32_e32 v7, v10, v10
	v_cndmask_b32_e32 v4, v2, v4, vcc
	v_lshlrev_b32_e32 v5, 2, v4
	ds_bpermute_b32 v4, v5, v10
	v_cmp_lt_i32_e32 vcc, v8, v3
	v_xor_b32_e32 v9, 8, v2
	v_and_b32_e32 v28, 63, v0
	s_waitcnt lgkmcnt(0)
	v_max_f32_e32 v4, v4, v4
	v_max_f32_e32 v4, v7, v4
	v_cndmask_b32_e32 v7, v2, v8, vcc
	v_lshlrev_b32_e32 v8, 2, v7
	ds_bpermute_b32 v7, v8, v4
	v_cmp_lt_i32_e32 vcc, v9, v3
	s_waitcnt lgkmcnt(0)
	v_max_f32_e32 v7, v7, v7
	v_max_f32_e32 v7, v4, v7
	v_cndmask_b32_e32 v4, v2, v9, vcc
	v_lshlrev_b32_e32 v10, 2, v4
	ds_bpermute_b32 v9, v10, v7
	v_cmp_eq_u32_e32 vcc, 0, v28
	v_lshlrev_b32_e32 v4, 2, v26
	s_and_saveexec_b64 s[0:1], vcc
	s_cbranch_execz .LBB114_23
; %bb.22:
	s_waitcnt lgkmcnt(0)
	v_max_f32_e32 v9, v9, v9
	v_max_f32_e32 v7, v7, v7
	v_max_f32_e32 v7, v7, v9
	ds_write_b32 v4, v7 offset:256
.LBB114_23:
	s_or_b64 exec, exec, s[0:1]
	v_cmp_gt_u32_e64 s[0:1], 2, v28
	v_mov_b32_e32 v12, 0xff7fffff
	v_lshlrev_b32_e32 v7, 2, v28
	s_waitcnt lgkmcnt(0)
	s_barrier
	s_and_saveexec_b64 s[2:3], s[0:1]
; %bb.24:
	ds_read_b32 v12, v7 offset:256
; %bb.25:
	s_or_b64 exec, exec, s[2:3]
	v_xor_b32_e32 v9, 1, v2
	v_cmp_lt_i32_e64 s[2:3], v9, v3
	v_lshlrev_b32_e32 v11, 2, v11
	s_nop 0
	v_cndmask_b32_e64 v9, v2, v9, s[2:3]
	v_lshlrev_b32_e32 v9, 2, v9
	s_waitcnt lgkmcnt(0)
	ds_bpermute_b32 v13, v9, v12
	v_max_f32_e32 v12, v12, v12
	s_lshl_b32 s2, s41, 3
	s_min_i32 s15, s2, s11
	v_cmp_gt_i32_e64 s[2:3], s15, v0
	s_waitcnt lgkmcnt(0)
	v_max_f32_e32 v13, v13, v13
	v_max_f32_e32 v12, v12, v13
	ds_bpermute_b32 v12, v11, v12
	v_mov_b32_e32 v11, 0
	s_and_saveexec_b64 s[30:31], s[2:3]
	s_cbranch_execz .LBB114_29
; %bb.26:
	v_mov_b32_e32 v11, 0x110
	v_lshl_add_u32 v13, v0, 2, v11
	v_mov_b32_e32 v11, 0
	s_mov_b64 s[34:35], 0
	v_mov_b32_e32 v14, v0
.LBB114_27:                             ; =>This Inner Loop Header: Depth=1
	ds_read_b32 v15, v13
	v_add_u32_e32 v14, 0x80, v14
	v_cmp_le_i32_e64 s[8:9], s15, v14
	s_or_b64 s[34:35], s[8:9], s[34:35]
	s_waitcnt lgkmcnt(0)
	v_sub_f32_e32 v15, v15, v12
	v_mul_f32_e32 v15, 0x3fb8aa3b, v15
	v_exp_f32_e32 v15, v15
	ds_write_b32 v13, v15
	v_add_f32_e32 v11, v11, v15
	v_add_u32_e32 v13, 0x200, v13
	s_andn2_b64 exec, exec, s[34:35]
	s_cbranch_execnz .LBB114_27
; %bb.28:
	s_or_b64 exec, exec, s[34:35]
.LBB114_29:
	s_or_b64 exec, exec, s[30:31]
	ds_bpermute_b32 v5, v5, v11
	s_waitcnt lgkmcnt(0)
	v_add_f32_e32 v5, v11, v5
	ds_bpermute_b32 v8, v8, v5
	s_waitcnt lgkmcnt(0)
	v_add_f32_e32 v5, v5, v8
	ds_bpermute_b32 v8, v10, v5
	v_xor_b32_e32 v10, 4, v2
	v_cmp_lt_i32_e64 s[8:9], v10, v3
	s_waitcnt lgkmcnt(0)
	v_add_f32_e32 v5, v5, v8
	v_cndmask_b32_e64 v10, v2, v10, s[8:9]
	v_lshlrev_b32_e32 v10, 2, v10
	ds_bpermute_b32 v8, v10, v5
	v_xor_b32_e32 v10, 2, v2
	v_cmp_lt_i32_e64 s[8:9], v10, v3
	s_waitcnt lgkmcnt(0)
	v_add_f32_e32 v5, v5, v8
	v_cndmask_b32_e64 v3, v2, v10, s[8:9]
	v_lshlrev_b32_e32 v3, 2, v3
	ds_bpermute_b32 v3, v3, v5
	s_waitcnt lgkmcnt(0)
	v_add_f32_e32 v3, v5, v3
	ds_bpermute_b32 v5, v9, v3
	s_waitcnt lgkmcnt(0)
	v_add_f32_e32 v3, v3, v5
	s_and_saveexec_b64 s[8:9], vcc
; %bb.30:
	ds_write_b32 v4, v3 offset:264
; %bb.31:
	s_or_b64 exec, exec, s[8:9]
	s_waitcnt lgkmcnt(0)
	s_barrier
	s_and_saveexec_b64 s[8:9], s[0:1]
; %bb.32:
	ds_read_b32 v3, v7 offset:264
; %bb.33:
	s_or_b64 exec, exec, s[8:9]
	s_waitcnt lgkmcnt(0)
	ds_bpermute_b32 v4, v9, v3
	v_lshlrev_b32_e32 v2, 2, v2
	v_and_b32_e32 v2, 0x100, v2
	s_waitcnt lgkmcnt(0)
	v_add_f32_e32 v3, v3, v4
	ds_bpermute_b32 v2, v2, v3
	s_and_saveexec_b64 s[0:1], s[2:3]
	s_cbranch_execz .LBB114_46
; %bb.34:
	s_waitcnt lgkmcnt(0)
	v_add_f32_e32 v2, 0x358637bd, v2
	v_div_scale_f32 v3, s[2:3], v2, v2, 1.0
	v_rcp_f32_e32 v4, v3
	v_div_scale_f32 v5, vcc, 1.0, v2, 1.0
	s_movk_i32 s2, 0x7f
	v_fma_f32 v7, -v3, v4, 1.0
	v_fmac_f32_e32 v4, v7, v4
	v_mul_f32_e32 v7, v5, v4
	v_fma_f32 v8, -v3, v7, v5
	v_fmac_f32_e32 v7, v8, v4
	v_fma_f32 v3, -v3, v7, v5
	v_div_fmas_f32 v3, v3, v4, v7
	v_xad_u32 v4, v0, -1, s15
	v_div_fixup_f32 v2, v3, v2, 1.0
	v_cmp_lt_u32_e32 vcc, s2, v4
	s_mov_b64 s[8:9], -1
	v_mov_b32_e32 v3, v0
	s_and_saveexec_b64 s[2:3], vcc
	s_cbranch_execz .LBB114_43
; %bb.35:
	v_lshrrev_b32_e32 v4, 7, v4
	v_add_u32_e32 v7, -1, v4
	v_lshrrev_b32_e32 v5, 1, v7
	v_mov_b32_e32 v3, v2
	v_add_u32_e32 v5, 1, v5
	v_cmp_lt_u32_e32 vcc, 13, v7
	v_mov_b32_e32 v9, 0
	s_and_saveexec_b64 s[8:9], vcc
	s_cbranch_execz .LBB114_39
; %bb.36:
	v_mov_b32_e32 v8, 0x110
	v_and_b32_e32 v7, -8, v5
	v_lshl_add_u32 v8, v0, 2, v8
	s_mov_b32 s34, 0
	s_mov_b64 s[30:31], 0
.LBB114_37:                             ; =>This Inner Loop Header: Depth=1
	ds_read2st64_b32 v[10:11], v8 offset1:2
	ds_read2st64_b32 v[12:13], v8 offset0:4 offset1:6
	ds_read2st64_b32 v[14:15], v8 offset0:8 offset1:10
	;; [unrolled: 1-line block ×3, first 2 shown]
	v_add_u32_e32 v7, -8, v7
	s_waitcnt lgkmcnt(3)
	v_pk_mul_f32 v[10:11], v[2:3], v[10:11]
	s_waitcnt lgkmcnt(2)
	v_pk_mul_f32 v[12:13], v[2:3], v[12:13]
	ds_write2st64_b32 v8, v10, v11 offset1:2
	ds_write2st64_b32 v8, v12, v13 offset0:4 offset1:6
	ds_read2st64_b32 v[12:13], v8 offset0:16 offset1:18
	s_waitcnt lgkmcnt(4)
	v_pk_mul_f32 v[10:11], v[2:3], v[14:15]
	ds_write2st64_b32 v8, v10, v11 offset0:8 offset1:10
	s_waitcnt lgkmcnt(4)
	v_pk_mul_f32 v[10:11], v[2:3], v[16:17]
	ds_write2st64_b32 v8, v10, v11 offset0:12 offset1:14
	ds_read2st64_b32 v[10:11], v8 offset0:20 offset1:22
	s_waitcnt lgkmcnt(3)
	v_pk_mul_f32 v[12:13], v[2:3], v[12:13]
	ds_read2st64_b32 v[14:15], v8 offset0:24 offset1:26
	ds_write2st64_b32 v8, v12, v13 offset0:16 offset1:18
	ds_read2st64_b32 v[12:13], v8 offset0:28 offset1:30
	s_waitcnt lgkmcnt(3)
	v_pk_mul_f32 v[10:11], v[2:3], v[10:11]
	ds_write2st64_b32 v8, v10, v11 offset0:20 offset1:22
	s_waitcnt lgkmcnt(3)
	v_pk_mul_f32 v[10:11], v[2:3], v[14:15]
	ds_write2st64_b32 v8, v10, v11 offset0:24 offset1:26
	s_waitcnt lgkmcnt(2)
	v_pk_mul_f32 v[10:11], v[2:3], v[12:13]
	s_add_i32 s34, s34, 16
	v_cmp_eq_u32_e32 vcc, 0, v7
	ds_write2st64_b32 v8, v10, v11 offset0:28 offset1:30
	v_add_u32_e32 v8, 0x2000, v8
	s_or_b64 s[30:31], vcc, s[30:31]
	v_mov_b32_e32 v9, s34
	s_andn2_b64 exec, exec, s[30:31]
	s_cbranch_execnz .LBB114_37
; %bb.38:
	s_or_b64 exec, exec, s[30:31]
.LBB114_39:
	s_or_b64 exec, exec, s[8:9]
	v_and_b32_e32 v5, 7, v5
	v_cmp_ne_u32_e32 vcc, 0, v5
	s_and_saveexec_b64 s[8:9], vcc
	s_cbranch_execz .LBB114_42
; %bb.40:
	v_lshlrev_b32_e32 v7, 9, v9
	v_lshlrev_b32_e32 v8, 2, v0
	s_movk_i32 s30, 0x110
	v_add3_u32 v7, v7, v8, s30
	s_mov_b64 s[30:31], 0
.LBB114_41:                             ; =>This Inner Loop Header: Depth=1
	ds_read2st64_b32 v[8:9], v7 offset1:2
	v_add_u32_e32 v5, -1, v5
	v_cmp_eq_u32_e32 vcc, 0, v5
	s_or_b64 s[30:31], vcc, s[30:31]
	s_waitcnt lgkmcnt(0)
	v_pk_mul_f32 v[8:9], v[2:3], v[8:9]
	ds_write2st64_b32 v7, v8, v9 offset1:2
	v_add_u32_e32 v7, 0x400, v7
	s_andn2_b64 exec, exec, s[30:31]
	s_cbranch_execnz .LBB114_41
.LBB114_42:
	s_or_b64 exec, exec, s[8:9]
	v_add_u32_e32 v4, 1, v4
	v_and_b32_e32 v5, 0x3fffffe, v4
	v_cmp_ne_u32_e32 vcc, v4, v5
	v_lshl_add_u32 v3, v5, 7, v0
	s_orn2_b64 s[8:9], vcc, exec
.LBB114_43:
	s_or_b64 exec, exec, s[2:3]
	s_and_b64 exec, exec, s[8:9]
	s_cbranch_execz .LBB114_46
; %bb.44:
	v_mov_b32_e32 v4, 0x110
	v_lshl_add_u32 v4, v3, 2, v4
	s_mov_b64 s[2:3], 0
.LBB114_45:                             ; =>This Inner Loop Header: Depth=1
	ds_read_b32 v5, v4
	v_add_u32_e32 v3, 0x80, v3
	v_cmp_le_i32_e32 vcc, s15, v3
	s_or_b64 s[2:3], vcc, s[2:3]
	s_waitcnt lgkmcnt(0)
	v_mul_f32_e32 v5, v2, v5
	ds_write_b32 v4, v5
	v_add_u32_e32 v4, 0x200, v4
	s_andn2_b64 exec, exec, s[2:3]
	s_cbranch_execnz .LBB114_45
.LBB114_46:
	s_or_b64 exec, exec, s[0:1]
	v_mov_b32_e32 v20, 0
	v_mov_b32_e32 v21, v20
	v_mov_b64_e32 v[18:19], v[20:21]
	s_waitcnt lgkmcnt(0)
	s_barrier
	s_and_saveexec_b64 s[8:9], s[6:7]
	s_cbranch_execz .LBB114_56
; %bb.47:
	s_ashr_i32 s15, s14, 31
	s_sub_i32 s17, s12, s17
	s_lshl_b64 s[0:1], s[14:15], 1
	s_add_u32 s0, s28, s0
	s_addc_u32 s1, s29, s1
	s_abs_i32 s18, s18
	v_cvt_f32_u32_e32 v2, s18
	v_mov_b32_e32 v3, v20
	s_add_i32 s30, s41, -1
	v_mov_b32_e32 v21, v20
	v_rcp_iflag_f32_e32 v4, v2
	v_lshlrev_b32_e32 v2, 4, v28
	v_lshl_add_u64 v[22:23], s[0:1], 0, v[2:3]
	s_sub_i32 s0, 0, s18
	v_mul_f32_e32 v4, 0x4f7ffffe, v4
	v_cvt_u32_f32_e32 v4, v4
	s_mov_b32 s28, s13
	s_mov_b32 s29, s11
	s_mov_b64 s[6:7], 0
	v_mul_lo_u32 v2, s0, v4
	s_lshl_b64 s[0:1], s[26:27], 2
	v_mul_hi_u32 v2, v4, v2
	s_add_u32 s0, s24, s0
	v_add_u32_e32 v29, v4, v2
	v_and_b32_e32 v2, 60, v6
	s_addc_u32 s1, s25, s1
	v_lshl_add_u64 v[24:25], s[0:1], 0, v[2:3]
	v_mov_b32_e32 v2, 0x110
	v_lshl_add_u32 v30, v26, 5, v2
	s_mov_b32 s24, 0x5040100
	v_mov_b64_e32 v[18:19], v[20:21]
	s_branch .LBB114_50
.LBB114_48:                             ;   in Loop: Header=BB114_50 Depth=1
	s_or_b64 exec, exec, s[2:3]
	s_waitcnt lgkmcnt(0)
	v_cvt_pk_bf16_f32 v10, v10, s0
	s_waitcnt vmcnt(1)
	v_and_b32_e32 v32, 0xffff0000, v4
	v_lshlrev_b32_e32 v4, 16, v4
	v_lshlrev_b32_e32 v33, 16, v10
	v_cvt_pk_bf16_f32 v13, v13, s0
	v_mul_f32_e32 v4, v33, v4
	v_cvt_pk_bf16_f32 v14, v14, s0
	v_cvt_pk_bf16_f32 v15, v15, s0
	;; [unrolled: 1-line block ×3, first 2 shown]
	v_and_b32_e32 v4, 0xffff0000, v5
	v_lshlrev_b32_e32 v13, 16, v13
	v_cvt_pk_bf16_f32 v16, v16, s0
	v_cvt_pk_bf16_f32 v17, v17, s0
	;; [unrolled: 1-line block ×3, first 2 shown]
	v_and_b32_e32 v21, 0xffff0000, v2
	v_lshlrev_b32_e32 v15, 16, v15
	v_lshlrev_b32_e32 v2, 16, v2
	;; [unrolled: 1-line block ×3, first 2 shown]
	v_mul_f32_e32 v4, v13, v4
	v_cvt_pk_bf16_f32 v11, v11, s0
	v_mul_f32_e32 v21, v15, v21
	v_mul_f32_e32 v2, v14, v2
	v_and_b32_e32 v31, 0xffff0000, v3
	v_lshlrev_b32_e32 v17, 16, v17
	v_lshlrev_b32_e32 v3, 16, v3
	;; [unrolled: 1-line block ×3, first 2 shown]
	v_cvt_pk_bf16_f32 v34, v4, s0
	v_lshlrev_b32_e32 v4, 16, v5
	v_lshlrev_b32_e32 v5, 16, v12
	v_cvt_pk_bf16_f32 v21, v21, s0
	v_cvt_pk_bf16_f32 v2, v2, s0
	v_mul_f32_e32 v31, v17, v31
	v_mul_f32_e32 v3, v16, v3
	v_lshlrev_b32_e32 v11, 16, v11
	v_mul_f32_e32 v4, v5, v4
	v_cvt_pk_bf16_f32 v31, v31, s0
	v_cvt_pk_bf16_f32 v3, v3, s0
	v_mul_f32_e32 v32, v11, v32
	v_cvt_pk_bf16_f32 v12, v4, s0
	v_lshlrev_b32_e32 v2, 16, v2
	v_lshlrev_b32_e32 v4, 16, v21
	v_cvt_pk_bf16_f32 v32, v32, s0
	v_add_f32_e32 v2, v4, v2
	v_lshlrev_b32_e32 v3, 16, v3
	v_lshlrev_b32_e32 v4, 16, v31
	v_add_f32_e32 v4, v4, v3
	v_lshlrev_b32_e32 v3, 16, v10
	v_lshlrev_b32_e32 v10, 16, v32
	;; [unrolled: 3-line block ×3, first 2 shown]
	v_add_f32_e32 v12, v12, v3
	s_waitcnt vmcnt(0)
	v_lshlrev_b32_e32 v3, 16, v6
	v_mul_f32_e32 v3, v14, v3
	v_lshlrev_b32_e32 v14, 16, v7
	v_and_b32_e32 v7, 0xffff0000, v7
	v_and_b32_e32 v6, 0xffff0000, v6
	v_mul_f32_e32 v7, v17, v7
	v_mul_f32_e32 v6, v15, v6
	v_cvt_pk_bf16_f32 v15, v7, s0
	v_lshlrev_b32_e32 v7, 16, v8
	v_mul_f32_e32 v7, v33, v7
	v_mul_f32_e32 v14, v16, v14
	v_cvt_pk_bf16_f32 v16, v7, s0
	v_and_b32_e32 v7, 0xffff0000, v8
	v_mul_f32_e32 v7, v11, v7
	v_cvt_pk_bf16_f32 v11, v7, s0
	v_lshlrev_b32_e32 v7, 16, v9
	v_mul_f32_e32 v5, v5, v7
	v_and_b32_e32 v7, 0xffff0000, v9
	v_cvt_pk_bf16_f32 v3, v3, s0
	v_cvt_pk_bf16_f32 v6, v6, s0
	;; [unrolled: 1-line block ×3, first 2 shown]
	v_mul_f32_e32 v7, v13, v7
	v_cvt_pk_bf16_f32 v5, v5, s0
	v_cvt_pk_bf16_f32 v13, v7, s0
	v_lshlrev_b32_e32 v7, 16, v6
	v_lshlrev_b32_e32 v9, 16, v3
	;; [unrolled: 1-line block ×4, first 2 shown]
	v_pk_add_f32 v[6:7], v[8:9], v[6:7]
	v_lshlrev_b32_e32 v9, 16, v11
	v_lshlrev_b32_e32 v15, 16, v16
	;; [unrolled: 1-line block ×4, first 2 shown]
	v_pk_add_f32 v[8:9], v[14:15], v[8:9]
	v_mov_b32_e32 v5, v6
	v_mov_b32_e32 v3, v7
	;; [unrolled: 1-line block ×3, first 2 shown]
	v_pk_add_f32 v[2:3], v[4:5], v[2:3]
	v_mov_b32_e32 v13, v8
	v_pk_add_f32 v[2:3], v[10:11], v[2:3]
	s_nop 0
	v_pk_add_f32 v[2:3], v[12:13], v[2:3]
	s_nop 0
	v_pk_add_f32 v[18:19], v[18:19], v[2:3]
.LBB114_49:                             ;   in Loop: Header=BB114_50 Depth=1
	s_or_b64 exec, exec, s[12:13]
	v_add_u32_e32 v26, 2, v26
	v_cmp_le_i32_e32 vcc, s41, v26
	v_lshl_add_u64 v[24:25], v[24:25], 0, 8
	v_add_u32_e32 v27, 16, v27
	s_or_b64 s[6:7], vcc, s[6:7]
	v_add_u32_e32 v30, 64, v30
	s_andn2_b64 exec, exec, s[6:7]
	s_cbranch_execz .LBB114_55
.LBB114_50:                             ; =>This Inner Loop Header: Depth=1
	v_mul_hi_u32 v2, v27, s33
	v_mul_lo_u32 v3, v2, s21
	v_sub_u32_e32 v3, v27, v3
	v_add_u32_e32 v4, 1, v2
	v_cmp_le_u32_e32 vcc, s21, v3
	s_nop 1
	v_cndmask_b32_e32 v2, v2, v4, vcc
	v_subrev_u32_e32 v4, s21, v3
	v_cndmask_b32_e32 v3, v3, v4, vcc
	v_add_u32_e32 v4, 1, v2
	v_cmp_le_u32_e32 vcc, s21, v3
	s_nop 1
	v_cndmask_b32_e32 v2, v2, v4, vcc
	v_xor_b32_e32 v2, s19, v2
	v_subrev_u32_e32 v2, s19, v2
	v_add_u32_e32 v3, s40, v2
	v_sub_u32_e32 v5, 0, v3
	v_ashrrev_i32_e32 v4, 31, v3
	v_max_i32_e32 v3, v3, v5
	v_mul_hi_u32 v5, v3, v29
	v_mul_lo_u32 v5, v5, s18
	v_sub_u32_e32 v3, v3, v5
	v_subrev_u32_e32 v5, s18, v3
	v_cmp_le_u32_e32 vcc, s18, v3
	v_cmp_lt_i32_e64 s[0:1], s17, v2
	s_nop 0
	v_cndmask_b32_e32 v3, v3, v5, vcc
	v_subrev_u32_e32 v5, s18, v3
	v_cmp_le_u32_e32 vcc, s18, v3
	s_nop 1
	v_cndmask_b32_e32 v3, v3, v5, vcc
	v_xor_b32_e32 v3, v3, v4
	v_sub_u32_e32 v3, v3, v4
	v_cmp_eq_u32_e32 vcc, 0, v3
	s_or_b64 s[0:1], vcc, s[0:1]
	s_and_saveexec_b64 s[12:13], s[0:1]
	s_cbranch_execz .LBB114_49
; %bb.51:                               ;   in Loop: Header=BB114_50 Depth=1
	global_load_dword v2, v[24:25], off
	v_add_u32_e32 v36, 1, v27
	v_or_b32_e32 v34, 3, v27
	v_or_b32_e32 v35, 2, v27
	;; [unrolled: 1-line block ×6, first 2 shown]
	s_waitcnt vmcnt(0)
	v_mad_i64_i32 v[2:3], s[0:1], v2, s28, 0
	v_lshl_add_u64 v[6:7], v[2:3], 1, v[22:23]
	global_load_dwordx4 v[2:5], v[6:7], off
	ds_read2_b64 v[14:17], v30 offset1:1
	ds_read2_b64 v[10:13], v30 offset0:2 offset1:3
	v_cmp_eq_u32_e64 s[0:1], s30, v26
	s_and_saveexec_b64 s[14:15], s[0:1]
	s_cbranch_execz .LBB114_53
; %bb.52:                               ;   in Loop: Header=BB114_50 Depth=1
	v_cmp_gt_i32_e32 vcc, s29, v36
	v_cmp_gt_i32_e64 s[2:3], s11, v35
	s_waitcnt vmcnt(0)
	v_cndmask_b32_sdwa v8, v20, v2, vcc dst_sel:DWORD dst_unused:UNUSED_PAD src0_sel:DWORD src1_sel:WORD_1
	v_cmp_gt_i32_e32 vcc, s11, v27
	s_nop 1
	v_cndmask_b32_e32 v2, 0, v2, vcc
	v_cmp_gt_i32_e32 vcc, s29, v34
	v_perm_b32 v2, v8, v2, s24
	v_cndmask_b32_e64 v8, 0, v3, s[2:3]
	v_cndmask_b32_sdwa v3, v20, v3, vcc dst_sel:DWORD dst_unused:UNUSED_PAD src0_sel:DWORD src1_sel:WORD_1
	v_cmp_gt_i32_e32 vcc, s29, v32
	v_cmp_gt_i32_e64 s[2:3], s11, v33
	v_perm_b32 v3, v3, v8, s24
	s_nop 0
	v_cndmask_b32_e64 v8, 0, v4, s[2:3]
	v_cndmask_b32_sdwa v4, v20, v4, vcc dst_sel:DWORD dst_unused:UNUSED_PAD src0_sel:DWORD src1_sel:WORD_1
	v_cmp_gt_i32_e32 vcc, s29, v21
	v_cmp_gt_i32_e64 s[2:3], s11, v31
	v_perm_b32 v4, v4, v8, s24
	s_nop 0
	v_cndmask_b32_e64 v8, 0, v5, s[2:3]
	v_cndmask_b32_sdwa v5, v20, v5, vcc dst_sel:DWORD dst_unused:UNUSED_PAD src0_sel:DWORD src1_sel:WORD_1
	v_perm_b32 v5, v5, v8, s24
.LBB114_53:                             ;   in Loop: Header=BB114_50 Depth=1
	s_or_b64 exec, exec, s[14:15]
	global_load_dwordx4 v[6:9], v[6:7], off offset:1024
	s_and_saveexec_b64 s[2:3], s[0:1]
	s_cbranch_execz .LBB114_48
; %bb.54:                               ;   in Loop: Header=BB114_50 Depth=1
	v_cmp_gt_i32_e32 vcc, s29, v36
	v_cmp_gt_i32_e64 s[0:1], s11, v35
	s_waitcnt vmcnt(0)
	v_cndmask_b32_sdwa v36, v20, v6, vcc dst_sel:DWORD dst_unused:UNUSED_PAD src0_sel:DWORD src1_sel:WORD_1
	v_cmp_gt_i32_e32 vcc, s11, v27
	s_nop 1
	v_cndmask_b32_e32 v6, 0, v6, vcc
	v_cmp_gt_i32_e32 vcc, s29, v34
	v_cndmask_b32_e64 v34, 0, v7, s[0:1]
	v_cmp_gt_i32_e64 s[0:1], s11, v33
	v_cndmask_b32_sdwa v7, v20, v7, vcc dst_sel:DWORD dst_unused:UNUSED_PAD src0_sel:DWORD src1_sel:WORD_1
	v_cmp_gt_i32_e32 vcc, s29, v32
	v_cndmask_b32_e64 v32, 0, v8, s[0:1]
	v_cmp_gt_i32_e64 s[0:1], s11, v31
	v_cndmask_b32_sdwa v8, v20, v8, vcc dst_sel:DWORD dst_unused:UNUSED_PAD src0_sel:DWORD src1_sel:WORD_1
	v_cmp_gt_i32_e32 vcc, s29, v21
	v_cndmask_b32_e64 v21, 0, v9, s[0:1]
	v_perm_b32 v6, v36, v6, s24
	v_cndmask_b32_sdwa v9, v20, v9, vcc dst_sel:DWORD dst_unused:UNUSED_PAD src0_sel:DWORD src1_sel:WORD_1
	v_perm_b32 v7, v7, v34, s24
	v_perm_b32 v8, v8, v32, s24
	;; [unrolled: 1-line block ×3, first 2 shown]
	s_branch .LBB114_48
.LBB114_55:
	s_or_b64 exec, exec, s[6:7]
.LBB114_56:
	s_or_b64 exec, exec, s[8:9]
	v_and_b32_e32 v2, 0x3c0, v0
	v_cmp_eq_u32_e32 vcc, 64, v2
	s_barrier
	s_and_saveexec_b64 s[0:1], vcc
; %bb.57:
	v_mov_b32_e32 v2, 0x110
	v_lshl_add_u32 v2, v28, 2, v2
	ds_write2st64_b32 v2, v18, v19 offset1:1
; %bb.58:
	s_or_b64 exec, exec, s[0:1]
	v_cmp_gt_u32_e32 vcc, 64, v0
	s_waitcnt lgkmcnt(0)
	s_barrier
	s_and_saveexec_b64 s[0:1], vcc
	s_cbranch_execz .LBB114_60
; %bb.59:
	v_mov_b32_e32 v2, 0x110
	v_lshl_add_u32 v0, v0, 2, v2
	ds_read2st64_b32 v[2:3], v0 offset1:1
	s_waitcnt lgkmcnt(0)
	v_pk_add_f32 v[18:19], v[18:19], v[2:3]
.LBB114_60:
	s_or_b64 exec, exec, s[0:1]
	s_barrier
	s_and_saveexec_b64 s[0:1], vcc
	s_cbranch_execz .LBB114_62
; %bb.61:
	s_mul_i32 s0, s10, s16
	s_mul_i32 s0, s0, s5
	s_lshl_b32 s0, s0, 7
	s_ashr_i32 s1, s0, 31
	s_lshl_b64 s[0:1], s[0:1], 1
	s_add_u32 s2, s22, s0
	s_mul_i32 s0, s16, s20
	s_addc_u32 s3, s23, s1
	s_ashr_i32 s1, s0, 31
	s_lshl_b64 s[0:1], s[0:1], 1
	s_add_u32 s2, s2, s0
	s_addc_u32 s3, s3, s1
	s_lshl_b32 s0, s4, 7
	s_ashr_i32 s1, s0, 31
	s_lshl_b64 s[0:1], s[0:1], 1
	s_add_u32 s0, s2, s0
	s_addc_u32 s1, s3, s1
	v_cvt_pk_bf16_f32 v0, v18, s0
	global_store_short v1, v0, s[0:1]
	v_cvt_pk_bf16_f32 v0, v19, s0
	global_store_short v1, v0, s[0:1] offset:128
.LBB114_62:
	s_endpgm
	.section	.rodata,"a",@progbits
	.p2align	6, 0x0
	.amdhsa_kernel _ZN4vllm25paged_attention_v1_kernelI14__hip_bfloat16S1_Li128ELi8ELi128ELNS_18Fp8KVCacheDataTypeE0ELb1EEEvPT_PKS3_PKT0_S9_ifPKiSB_iPKfiiiSD_SD_iiiii
		.amdhsa_group_segment_fixed_size 272
		.amdhsa_private_segment_fixed_size 0
		.amdhsa_kernarg_size 384
		.amdhsa_user_sgpr_count 2
		.amdhsa_user_sgpr_dispatch_ptr 0
		.amdhsa_user_sgpr_queue_ptr 0
		.amdhsa_user_sgpr_kernarg_segment_ptr 1
		.amdhsa_user_sgpr_dispatch_id 0
		.amdhsa_user_sgpr_kernarg_preload_length 0
		.amdhsa_user_sgpr_kernarg_preload_offset 0
		.amdhsa_user_sgpr_private_segment_size 0
		.amdhsa_uses_dynamic_stack 0
		.amdhsa_enable_private_segment 0
		.amdhsa_system_sgpr_workgroup_id_x 1
		.amdhsa_system_sgpr_workgroup_id_y 1
		.amdhsa_system_sgpr_workgroup_id_z 1
		.amdhsa_system_sgpr_workgroup_info 0
		.amdhsa_system_vgpr_workitem_id 0
		.amdhsa_next_free_vgpr 57
		.amdhsa_next_free_sgpr 44
		.amdhsa_accum_offset 60
		.amdhsa_reserve_vcc 1
		.amdhsa_float_round_mode_32 0
		.amdhsa_float_round_mode_16_64 0
		.amdhsa_float_denorm_mode_32 3
		.amdhsa_float_denorm_mode_16_64 3
		.amdhsa_dx10_clamp 1
		.amdhsa_ieee_mode 1
		.amdhsa_fp16_overflow 0
		.amdhsa_tg_split 0
		.amdhsa_exception_fp_ieee_invalid_op 0
		.amdhsa_exception_fp_denorm_src 0
		.amdhsa_exception_fp_ieee_div_zero 0
		.amdhsa_exception_fp_ieee_overflow 0
		.amdhsa_exception_fp_ieee_underflow 0
		.amdhsa_exception_fp_ieee_inexact 0
		.amdhsa_exception_int_div_zero 0
	.end_amdhsa_kernel
	.section	.text._ZN4vllm25paged_attention_v1_kernelI14__hip_bfloat16S1_Li128ELi8ELi128ELNS_18Fp8KVCacheDataTypeE0ELb1EEEvPT_PKS3_PKT0_S9_ifPKiSB_iPKfiiiSD_SD_iiiii,"axG",@progbits,_ZN4vllm25paged_attention_v1_kernelI14__hip_bfloat16S1_Li128ELi8ELi128ELNS_18Fp8KVCacheDataTypeE0ELb1EEEvPT_PKS3_PKT0_S9_ifPKiSB_iPKfiiiSD_SD_iiiii,comdat
.Lfunc_end114:
	.size	_ZN4vllm25paged_attention_v1_kernelI14__hip_bfloat16S1_Li128ELi8ELi128ELNS_18Fp8KVCacheDataTypeE0ELb1EEEvPT_PKS3_PKT0_S9_ifPKiSB_iPKfiiiSD_SD_iiiii, .Lfunc_end114-_ZN4vllm25paged_attention_v1_kernelI14__hip_bfloat16S1_Li128ELi8ELi128ELNS_18Fp8KVCacheDataTypeE0ELb1EEEvPT_PKS3_PKT0_S9_ifPKiSB_iPKfiiiSD_SD_iiiii
                                        ; -- End function
	.set _ZN4vllm25paged_attention_v1_kernelI14__hip_bfloat16S1_Li128ELi8ELi128ELNS_18Fp8KVCacheDataTypeE0ELb1EEEvPT_PKS3_PKT0_S9_ifPKiSB_iPKfiiiSD_SD_iiiii.num_vgpr, 57
	.set _ZN4vllm25paged_attention_v1_kernelI14__hip_bfloat16S1_Li128ELi8ELi128ELNS_18Fp8KVCacheDataTypeE0ELb1EEEvPT_PKS3_PKT0_S9_ifPKiSB_iPKfiiiSD_SD_iiiii.num_agpr, 0
	.set _ZN4vllm25paged_attention_v1_kernelI14__hip_bfloat16S1_Li128ELi8ELi128ELNS_18Fp8KVCacheDataTypeE0ELb1EEEvPT_PKS3_PKT0_S9_ifPKiSB_iPKfiiiSD_SD_iiiii.numbered_sgpr, 44
	.set _ZN4vllm25paged_attention_v1_kernelI14__hip_bfloat16S1_Li128ELi8ELi128ELNS_18Fp8KVCacheDataTypeE0ELb1EEEvPT_PKS3_PKT0_S9_ifPKiSB_iPKfiiiSD_SD_iiiii.num_named_barrier, 0
	.set _ZN4vllm25paged_attention_v1_kernelI14__hip_bfloat16S1_Li128ELi8ELi128ELNS_18Fp8KVCacheDataTypeE0ELb1EEEvPT_PKS3_PKT0_S9_ifPKiSB_iPKfiiiSD_SD_iiiii.private_seg_size, 0
	.set _ZN4vllm25paged_attention_v1_kernelI14__hip_bfloat16S1_Li128ELi8ELi128ELNS_18Fp8KVCacheDataTypeE0ELb1EEEvPT_PKS3_PKT0_S9_ifPKiSB_iPKfiiiSD_SD_iiiii.uses_vcc, 1
	.set _ZN4vllm25paged_attention_v1_kernelI14__hip_bfloat16S1_Li128ELi8ELi128ELNS_18Fp8KVCacheDataTypeE0ELb1EEEvPT_PKS3_PKT0_S9_ifPKiSB_iPKfiiiSD_SD_iiiii.uses_flat_scratch, 0
	.set _ZN4vllm25paged_attention_v1_kernelI14__hip_bfloat16S1_Li128ELi8ELi128ELNS_18Fp8KVCacheDataTypeE0ELb1EEEvPT_PKS3_PKT0_S9_ifPKiSB_iPKfiiiSD_SD_iiiii.has_dyn_sized_stack, 0
	.set _ZN4vllm25paged_attention_v1_kernelI14__hip_bfloat16S1_Li128ELi8ELi128ELNS_18Fp8KVCacheDataTypeE0ELb1EEEvPT_PKS3_PKT0_S9_ifPKiSB_iPKfiiiSD_SD_iiiii.has_recursion, 0
	.set _ZN4vllm25paged_attention_v1_kernelI14__hip_bfloat16S1_Li128ELi8ELi128ELNS_18Fp8KVCacheDataTypeE0ELb1EEEvPT_PKS3_PKT0_S9_ifPKiSB_iPKfiiiSD_SD_iiiii.has_indirect_call, 0
	.section	.AMDGPU.csdata,"",@progbits
; Kernel info:
; codeLenInByte = 4896
; TotalNumSgprs: 50
; NumVgprs: 57
; NumAgprs: 0
; TotalNumVgprs: 57
; ScratchSize: 0
; MemoryBound: 0
; FloatMode: 240
; IeeeMode: 1
; LDSByteSize: 272 bytes/workgroup (compile time only)
; SGPRBlocks: 6
; VGPRBlocks: 7
; NumSGPRsForWavesPerEU: 50
; NumVGPRsForWavesPerEU: 57
; AccumOffset: 60
; Occupancy: 8
; WaveLimiterHint : 1
; COMPUTE_PGM_RSRC2:SCRATCH_EN: 0
; COMPUTE_PGM_RSRC2:USER_SGPR: 2
; COMPUTE_PGM_RSRC2:TRAP_HANDLER: 0
; COMPUTE_PGM_RSRC2:TGID_X_EN: 1
; COMPUTE_PGM_RSRC2:TGID_Y_EN: 1
; COMPUTE_PGM_RSRC2:TGID_Z_EN: 1
; COMPUTE_PGM_RSRC2:TIDIG_COMP_CNT: 0
; COMPUTE_PGM_RSRC3_GFX90A:ACCUM_OFFSET: 14
; COMPUTE_PGM_RSRC3_GFX90A:TG_SPLIT: 0
	.section	.text._ZN4vllm25paged_attention_v1_kernelI14__hip_bfloat16S1_Li192ELi8ELi128ELNS_18Fp8KVCacheDataTypeE0ELb1EEEvPT_PKS3_PKT0_S9_ifPKiSB_iPKfiiiSD_SD_iiiii,"axG",@progbits,_ZN4vllm25paged_attention_v1_kernelI14__hip_bfloat16S1_Li192ELi8ELi128ELNS_18Fp8KVCacheDataTypeE0ELb1EEEvPT_PKS3_PKT0_S9_ifPKiSB_iPKfiiiSD_SD_iiiii,comdat
	.protected	_ZN4vllm25paged_attention_v1_kernelI14__hip_bfloat16S1_Li192ELi8ELi128ELNS_18Fp8KVCacheDataTypeE0ELb1EEEvPT_PKS3_PKT0_S9_ifPKiSB_iPKfiiiSD_SD_iiiii ; -- Begin function _ZN4vllm25paged_attention_v1_kernelI14__hip_bfloat16S1_Li192ELi8ELi128ELNS_18Fp8KVCacheDataTypeE0ELb1EEEvPT_PKS3_PKT0_S9_ifPKiSB_iPKfiiiSD_SD_iiiii
	.globl	_ZN4vllm25paged_attention_v1_kernelI14__hip_bfloat16S1_Li192ELi8ELi128ELNS_18Fp8KVCacheDataTypeE0ELb1EEEvPT_PKS3_PKT0_S9_ifPKiSB_iPKfiiiSD_SD_iiiii
	.p2align	8
	.type	_ZN4vllm25paged_attention_v1_kernelI14__hip_bfloat16S1_Li192ELi8ELi128ELNS_18Fp8KVCacheDataTypeE0ELb1EEEvPT_PKS3_PKT0_S9_ifPKiSB_iPKfiiiSD_SD_iiiii,@function
_ZN4vllm25paged_attention_v1_kernelI14__hip_bfloat16S1_Li192ELi8ELi128ELNS_18Fp8KVCacheDataTypeE0ELb1EEEvPT_PKS3_PKT0_S9_ifPKiSB_iPKfiiiSD_SD_iiiii: ; @_ZN4vllm25paged_attention_v1_kernelI14__hip_bfloat16S1_Li192ELi8ELi128ELNS_18Fp8KVCacheDataTypeE0ELb1EEEvPT_PKS3_PKT0_S9_ifPKiSB_iPKfiiiSD_SD_iiiii
; %bb.0:
	s_load_dword s5, s[0:1], 0x80
	s_load_dwordx2 s[6:7], s[0:1], 0x30
	s_load_dwordx2 s[30:31], s[0:1], 0x20
	s_mov_b32 s10, s3
	s_ashr_i32 s11, s3, 31
	s_lshl_b64 s[8:9], s[10:11], 2
	s_waitcnt lgkmcnt(0)
	s_add_u32 s6, s6, s8
	s_addc_u32 s7, s7, s9
	s_abs_i32 s3, s30
	v_cvt_f32_u32_e32 v1, s3
	s_sub_i32 s11, 0, s3
	s_abs_i32 s9, s5
	s_xor_b32 s8, s5, s30
	v_rcp_iflag_f32_e32 v1, v1
	s_ashr_i32 s8, s8, 31
	s_mov_b32 s42, 0
	v_mul_f32_e32 v1, 0x4f7ffffe, v1
	v_cvt_u32_f32_e32 v1, v1
	s_nop 0
	v_readfirstlane_b32 s12, v1
	s_mul_i32 s11, s11, s12
	s_mul_hi_u32 s11, s12, s11
	s_add_i32 s12, s12, s11
	s_mul_hi_u32 s11, s9, s12
	s_mul_i32 s12, s11, s3
	s_sub_i32 s9, s9, s12
	s_add_i32 s12, s11, 1
	s_sub_i32 s13, s9, s3
	s_cmp_ge_u32 s9, s3
	s_cselect_b32 s11, s12, s11
	s_cselect_b32 s9, s13, s9
	s_add_i32 s12, s11, 1
	s_cmp_ge_u32 s9, s3
	s_cselect_b32 s3, s12, s11
	s_xor_b32 s3, s3, s8
	s_sub_i32 s11, s3, s8
	s_abs_i32 s22, s11
	v_cvt_f32_u32_e32 v1, s22
	s_load_dwordx2 s[8:9], s[0:1], 0x40
	s_sub_i32 s3, 0, s22
	s_abs_i32 s23, s2
	v_rcp_iflag_f32_e32 v1, v1
	s_nop 0
	v_mul_f32_e32 v1, 0x4f7ffffe, v1
	v_cvt_u32_f32_e32 v1, v1
	s_nop 0
	v_readfirstlane_b32 s12, v1
	s_mul_i32 s3, s3, s12
	s_mul_hi_u32 s3, s12, s3
	s_add_i32 s12, s12, s3
	s_waitcnt lgkmcnt(0)
	s_cmp_eq_u64 s[8:9], 0
	s_mul_hi_u32 s24, s23, s12
	s_cbranch_scc1 .LBB115_2
; %bb.1:
	s_ashr_i32 s3, s2, 31
	s_lshl_b64 s[12:13], s[2:3], 2
	s_add_u32 s8, s8, s12
	s_addc_u32 s9, s9, s13
	s_load_dword s42, s[8:9], 0x0
.LBB115_2:
	s_load_dword s33, s[6:7], 0x0
	s_ashr_i32 s25, s11, 31
	s_load_dword s11, s[0:1], 0x88
	s_load_dwordx4 s[12:15], s[0:1], 0x48
	s_movk_i32 s6, 0xc0
	s_ashr_i32 s3, s2, 31
	v_and_b32_e32 v4, 7, v0
	s_mul_i32 s20, s2, 0xc0
	v_cmp_gt_u32_e32 vcc, s6, v0
	v_lshlrev_b32_e32 v1, 1, v0
	s_and_saveexec_b64 s[6:7], vcc
	s_cbranch_execz .LBB115_5
; %bb.3:
	s_load_dwordx2 s[8:9], s[0:1], 0x8
	s_waitcnt lgkmcnt(0)
	s_mul_i32 s16, s12, s10
	s_ashr_i32 s17, s16, 31
	s_lshl_b64 s[16:17], s[16:17], 1
	v_lshrrev_b32_e32 v3, 3, v0
	s_add_u32 s12, s8, s16
	s_addc_u32 s15, s9, s17
	s_ashr_i32 s21, s20, 31
	s_lshl_b64 s[8:9], s[20:21], 1
	s_add_u32 s8, s12, s8
	s_addc_u32 s9, s15, s9
	global_load_ushort v5, v1, s[8:9]
	v_lshlrev_b32_e32 v2, 1, v3
	v_mad_u32_u24 v2, v4, 48, v2
	v_cmp_gt_u32_e32 vcc, 64, v0
	s_waitcnt vmcnt(0)
	ds_write_b16 v2, v5
	s_and_b64 exec, exec, vcc
	s_cbranch_execz .LBB115_5
; %bb.4:
	v_lshlrev_b32_e32 v3, 4, v3
	v_lshlrev_b32_e32 v5, 1, v4
	s_movk_i32 s12, 0x100
	v_or3_b32 v3, v3, v5, s12
	global_load_ushort v3, v3, s[8:9]
	s_waitcnt vmcnt(0)
	ds_write_b16 v2, v3 offset:32
.LBB115_5:
	s_or_b64 exec, exec, s[6:7]
	s_mul_i32 s6, s24, s22
	s_sub_i32 s6, s23, s6
	s_xor_b32 s3, s3, s25
	s_add_i32 s7, s24, 1
	s_sub_i32 s9, s6, s22
	s_load_dwordx4 s[16:19], s[0:1], 0x68
	s_load_dword s8, s[0:1], 0x78
	s_cmp_ge_u32 s6, s22
	s_cselect_b32 s7, s7, s24
	s_cselect_b32 s6, s9, s6
	s_add_i32 s9, s7, 1
	s_cmp_ge_u32 s6, s22
	s_cselect_b32 s6, s9, s7
	s_waitcnt lgkmcnt(0)
	s_abs_i32 s21, s19
	v_cvt_f32_u32_e32 v2, s21
	s_xor_b32 s6, s6, s3
	s_sub_i32 s3, s6, s3
	s_sub_i32 s6, 0, s21
	v_rcp_iflag_f32_e32 v2, v2
	s_add_i32 s15, s33, -1
	s_abs_i32 s9, s15
	v_mul_f32_e32 v2, 0x4f7ffffe, v2
	v_cvt_u32_f32_e32 v2, v2
	s_barrier
	v_readfirstlane_b32 s40, v2
	s_mul_i32 s6, s6, s40
	s_mul_hi_u32 s6, s40, s6
	s_add_i32 s40, s40, s6
	s_cmp_lt_i32 s8, 0
	s_mul_hi_u32 s12, s9, s40
	s_cbranch_scc0 .LBB115_7
; %bb.6:
	s_mul_i32 s6, s16, s30
	s_add_i32 s6, s3, s6
	s_mul_i32 s6, s6, s8
	s_sub_i32 s41, 1, s6
	s_mov_b64 s[6:7], 0
	s_branch .LBB115_8
.LBB115_7:
	s_mov_b64 s[6:7], -1
                                        ; implicit-def: $sgpr41
.LBB115_8:
	s_load_dwordx2 s[24:25], s[0:1], 0x28
	s_ashr_i32 s15, s15, 31
	s_andn2_b64 vcc, exec, s[6:7]
	s_ashr_i32 s19, s19, 31
	s_cbranch_vccnz .LBB115_10
; %bb.9:
	s_mul_i32 s6, s5, s16
	s_add_i32 s2, s6, s2
	s_mul_i32 s2, s2, s8
	s_add_i32 s41, s2, 1
.LBB115_10:
	s_load_dword s2, s[0:1], 0x38
	s_load_dwordx2 s[22:23], s[0:1], 0x0
	s_load_dwordx2 s[28:29], s[0:1], 0x18
	s_mul_i32 s7, s12, s21
	s_xor_b32 s6, s15, s19
	s_waitcnt lgkmcnt(0)
	s_mul_i32 s26, s2, s10
	s_sub_i32 s2, s9, s7
	s_ashr_i32 s27, s26, 31
	s_add_i32 s7, s12, 1
	s_sub_i32 s8, s2, s21
	s_cmp_ge_u32 s2, s21
	s_cselect_b32 s7, s7, s12
	s_cselect_b32 s2, s8, s2
	s_add_i32 s8, s7, 1
	s_cmp_ge_u32 s2, s21
	s_cselect_b32 s2, s8, s7
	s_xor_b32 s2, s2, s6
	s_sub_i32 s12, s2, s6
	s_add_i32 s2, s33, 7
	s_ashr_i32 s6, s2, 31
	s_lshr_b32 s6, s6, 29
	s_add_i32 s2, s2, s6
	s_ashr_i32 s16, s2, 3
	v_lshrrev_b32_e32 v30, 6, v0
	v_cmp_gt_i32_e64 s[6:7], s16, v30
	v_mov_b32_e32 v10, 0xff7fffff
	s_mul_i32 s14, s3, s14
	v_lshrrev_b32_e32 v6, 4, v0
	v_lshlrev_b32_e32 v31, 3, v30
	v_mbcnt_lo_u32_b32 v7, -1, 0
	s_and_saveexec_b64 s[34:35], s[6:7]
	s_cbranch_execz .LBB115_22
; %bb.11:
	s_load_dwordx2 s[0:1], s[0:1], 0x10
	s_ashr_i32 s15, s14, 31
	s_sub_i32 s30, s12, s17
	s_lshl_b64 s[2:3], s[14:15], 1
	v_bfe_u32 v8, v0, 3, 3
	s_waitcnt lgkmcnt(0)
	s_add_u32 s0, s0, s2
	s_addc_u32 s1, s1, s3
	s_abs_i32 s15, s18
	v_cvt_f32_u32_e32 v2, s15
	v_lshlrev_b32_e32 v12, 4, v8
	v_mov_b32_e32 v13, 0
	v_cmp_eq_u32_e32 vcc, 0, v4
	v_rcp_iflag_f32_e32 v5, v2
	v_lshl_add_u64 v[2:3], s[0:1], 0, v[12:13]
	s_sub_i32 s0, 0, s15
	v_lshlrev_b32_e32 v12, 1, v4
	v_mul_f32_e32 v5, 0x4f7ffffe, v5
	v_cvt_u32_f32_e32 v5, v5
	v_mul_u32_u24_e32 v9, 48, v4
	v_lshl_add_u64 v[2:3], v[2:3], 0, v[12:13]
	v_and_b32_e32 v12, 60, v6
	v_mul_lo_u32 v4, s0, v5
	s_lshl_b64 s[0:1], s[26:27], 2
	s_add_u32 s0, s24, s0
	v_mul_hi_u32 v4, v5, v4
	s_addc_u32 s1, s25, s1
	v_subrev_u32_e32 v10, s33, v8
	v_add_u32_e32 v11, v5, v4
	v_lshl_add_u64 v[4:5], s[0:1], 0, v[12:13]
	v_add_u32_e32 v13, 1, v10
	v_lshlrev_b32_e32 v10, 2, v8
	v_lshl_or_b32 v10, v30, 5, v10
	v_mbcnt_hi_u32_b32 v16, -1, v7
	v_add_u32_e32 v14, 0x190, v10
	v_and_b32_e32 v10, 64, v16
	s_mov_b32 s43, s13
	v_cmp_neq_f32_e64 s[2:3], s42, 0
	v_lshlrev_b32_e32 v12, 3, v30
	v_mov_b32_e32 v15, 0xff7fffff
	s_mov_b64 s[36:37], 0
	v_add_u32_e32 v17, 64, v10
	v_xor_b32_e32 v18, 4, v16
	v_xor_b32_e32 v19, 2, v16
	;; [unrolled: 1-line block ×3, first 2 shown]
	v_mov_b32_e32 v10, 0xff7fffff
	v_mov_b32_e32 v21, v30
	s_branch .LBB115_14
.LBB115_12:                             ;   in Loop: Header=BB115_14 Depth=1
	s_or_b64 exec, exec, s[38:39]
.LBB115_13:                             ;   in Loop: Header=BB115_14 Depth=1
	s_or_b64 exec, exec, s[8:9]
	v_add_u32_e32 v21, 2, v21
	v_cmp_le_i32_e64 s[0:1], s16, v21
	v_lshl_add_u64 v[4:5], v[4:5], 0, 8
	v_add_u32_e32 v12, 16, v12
	s_or_b64 s[36:37], s[0:1], s[36:37]
	v_add_u32_e32 v14, 64, v14
	s_andn2_b64 exec, exec, s[36:37]
	s_cbranch_execz .LBB115_21
.LBB115_14:                             ; =>This Inner Loop Header: Depth=1
	v_mul_hi_u32 v22, v12, s40
	s_waitcnt lgkmcnt(0)
	v_mul_lo_u32 v23, v22, s21
	v_sub_u32_e32 v23, v12, v23
	v_add_u32_e32 v24, 1, v22
	v_cmp_le_u32_e64 s[0:1], s21, v23
	s_nop 1
	v_cndmask_b32_e64 v22, v22, v24, s[0:1]
	v_subrev_u32_e32 v24, s21, v23
	v_cndmask_b32_e64 v23, v23, v24, s[0:1]
	v_add_u32_e32 v24, 1, v22
	v_cmp_le_u32_e64 s[0:1], s21, v23
	s_nop 1
	v_cndmask_b32_e64 v22, v22, v24, s[0:1]
	v_xor_b32_e32 v22, s19, v22
	v_subrev_u32_e32 v22, s19, v22
	v_add_u32_e32 v23, s41, v22
	v_sub_u32_e32 v25, 0, v23
	v_ashrrev_i32_e32 v24, 31, v23
	v_max_i32_e32 v23, v23, v25
	v_mul_hi_u32 v25, v23, v11
	v_mul_lo_u32 v25, v25, s15
	v_sub_u32_e32 v23, v23, v25
	v_subrev_u32_e32 v25, s15, v23
	v_cmp_le_u32_e64 s[0:1], s15, v23
	v_cmp_ge_i32_e64 s[8:9], s30, v22
	s_nop 0
	v_cndmask_b32_e64 v23, v23, v25, s[0:1]
	v_subrev_u32_e32 v25, s15, v23
	v_cmp_le_u32_e64 s[0:1], s15, v23
	s_nop 1
	v_cndmask_b32_e64 v23, v23, v25, s[0:1]
	v_xor_b32_e32 v23, v23, v24
	v_sub_u32_e32 v23, v23, v24
	v_cmp_ne_u32_e64 s[0:1], 0, v23
	s_and_b64 s[0:1], s[0:1], s[8:9]
	s_and_saveexec_b64 s[8:9], s[0:1]
	s_xor_b64 s[0:1], exec, s[8:9]
	s_cbranch_execz .LBB115_18
; %bb.15:                               ;   in Loop: Header=BB115_14 Depth=1
	s_and_saveexec_b64 s[8:9], vcc
; %bb.16:                               ;   in Loop: Header=BB115_14 Depth=1
	ds_write_b32 v14, v15
; %bb.17:                               ;   in Loop: Header=BB115_14 Depth=1
	s_or_b64 exec, exec, s[8:9]
.LBB115_18:                             ;   in Loop: Header=BB115_14 Depth=1
	s_andn2_saveexec_b64 s[8:9], s[0:1]
	s_cbranch_execz .LBB115_13
; %bb.19:                               ;   in Loop: Header=BB115_14 Depth=1
	global_load_dword v22, v[4:5], off
	s_waitcnt vmcnt(0)
	v_mad_i64_i32 v[22:23], s[0:1], v22, s43, 0
	v_lshl_add_u64 v[22:23], v[22:23], 1, v[2:3]
	global_load_ushort v36, v[22:23], off
	global_load_ushort v37, v[22:23], off offset:128
	global_load_ushort v38, v[22:23], off offset:256
	global_load_ushort v39, v[22:23], off offset:384
	global_load_ushort v40, v[22:23], off offset:512
	global_load_ushort v41, v[22:23], off offset:640
	global_load_ushort v42, v[22:23], off offset:768
	global_load_ushort v43, v[22:23], off offset:896
	global_load_ushort v44, v[22:23], off offset:1024
	global_load_ushort v45, v[22:23], off offset:1152
	global_load_ushort v46, v[22:23], off offset:1280
	global_load_ushort v47, v[22:23], off offset:1408
	global_load_ushort v48, v[22:23], off offset:1536
	global_load_ushort v49, v[22:23], off offset:1664
	global_load_ushort v50, v[22:23], off offset:1792
	global_load_ushort v51, v[22:23], off offset:1920
	global_load_ushort v52, v[22:23], off offset:2048
	global_load_ushort v53, v[22:23], off offset:2176
	global_load_ushort v54, v[22:23], off offset:2304
	global_load_ushort v55, v[22:23], off offset:2432
	global_load_ushort v56, v[22:23], off offset:2560
	global_load_ushort v57, v[22:23], off offset:2688
	global_load_ushort v58, v[22:23], off offset:2816
	global_load_ushort v59, v[22:23], off offset:2944
	ds_read_b128 v[22:25], v9
	ds_read_b128 v[26:29], v9 offset:16
	ds_read_b128 v[32:35], v9 offset:32
	v_cmp_lt_i32_e64 s[0:1], v18, v17
	s_waitcnt lgkmcnt(2)
	v_lshlrev_b32_e32 v61, 16, v22
	v_and_b32_e32 v22, 0xffff0000, v22
	v_lshlrev_b32_e32 v62, 16, v23
	v_and_b32_e32 v23, 0xffff0000, v23
	;; [unrolled: 2-line block ×4, first 2 shown]
	s_waitcnt lgkmcnt(1)
	v_lshlrev_b32_e32 v65, 16, v26
	v_and_b32_e32 v26, 0xffff0000, v26
	v_lshlrev_b32_e32 v66, 16, v27
	v_and_b32_e32 v27, 0xffff0000, v27
	;; [unrolled: 2-line block ×4, first 2 shown]
	s_waitcnt lgkmcnt(0)
	v_lshlrev_b32_e32 v69, 16, v32
	v_and_b32_e32 v32, 0xffff0000, v32
	v_lshlrev_b32_e32 v70, 16, v33
	v_and_b32_e32 v33, 0xffff0000, v33
	;; [unrolled: 2-line block ×3, first 2 shown]
	v_lshlrev_b32_e32 v72, 16, v35
	v_cndmask_b32_e64 v60, v16, v18, s[0:1]
	v_and_b32_e32 v35, 0xffff0000, v35
	v_lshlrev_b32_e32 v60, 2, v60
	v_cmp_lt_i32_e64 s[0:1], v19, v17
	s_waitcnt vmcnt(23)
	v_lshlrev_b32_e32 v36, 16, v36
	s_waitcnt vmcnt(22)
	v_lshlrev_b32_e32 v37, 16, v37
	v_mul_f32_e32 v22, v22, v37
	s_waitcnt vmcnt(21)
	v_lshlrev_b32_e32 v38, 16, v38
	v_fmac_f32_e32 v22, v61, v36
	s_waitcnt vmcnt(20)
	v_lshlrev_b32_e32 v39, 16, v39
	v_fmac_f32_e32 v22, v62, v38
	;; [unrolled: 3-line block ×21, first 2 shown]
	v_fmac_f32_e32 v22, v72, v58
	s_waitcnt vmcnt(0)
	v_lshlrev_b32_e32 v23, 16, v59
	v_fmac_f32_e32 v22, v35, v23
	ds_bpermute_b32 v23, v60, v22
	v_cndmask_b32_e64 v24, v16, v19, s[0:1]
	v_lshlrev_b32_e32 v24, 2, v24
	v_cmp_lt_i32_e64 s[0:1], v20, v17
	s_waitcnt lgkmcnt(0)
	v_add_f32_e32 v22, v22, v23
	ds_bpermute_b32 v23, v24, v22
	v_cndmask_b32_e64 v24, v16, v20, s[0:1]
	v_lshlrev_b32_e32 v24, 2, v24
	s_waitcnt lgkmcnt(0)
	v_add_f32_e32 v22, v22, v23
	ds_bpermute_b32 v23, v24, v22
	s_and_saveexec_b64 s[38:39], vcc
	s_cbranch_execz .LBB115_12
; %bb.20:                               ;   in Loop: Header=BB115_14 Depth=1
	v_add_u32_e32 v24, v13, v12
	v_cvt_f32_i32_e32 v24, v24
	s_waitcnt lgkmcnt(0)
	v_add_f32_e32 v22, v22, v23
	v_add_u32_e32 v25, v8, v12
	v_cmp_gt_i32_e64 s[0:1], s33, v25
	v_mul_f32_e32 v23, s42, v24
	v_cndmask_b32_e64 v23, 0, v23, s[2:3]
	v_fmac_f32_e32 v23, s31, v22
	v_cndmask_b32_e64 v22, 0, v23, s[0:1]
	ds_write_b32 v14, v22
	v_max_f32_e32 v22, v10, v10
	v_max_f32_e32 v22, v22, v23
	v_cndmask_b32_e64 v10, v10, v22, s[0:1]
	s_branch .LBB115_12
.LBB115_21:
	s_or_b64 exec, exec, s[36:37]
.LBB115_22:
	s_or_b64 exec, exec, s[34:35]
	v_mbcnt_hi_u32_b32 v2, -1, v7
	v_and_b32_e32 v11, 64, v2
	v_add_u32_e32 v3, 64, v11
	v_xor_b32_e32 v4, 32, v2
	v_cmp_lt_i32_e32 vcc, v4, v3
	v_xor_b32_e32 v8, 16, v2
	v_max_f32_e32 v7, v10, v10
	v_cndmask_b32_e32 v4, v2, v4, vcc
	v_lshlrev_b32_e32 v5, 2, v4
	ds_bpermute_b32 v4, v5, v10
	v_cmp_lt_i32_e32 vcc, v8, v3
	v_xor_b32_e32 v9, 8, v2
	v_and_b32_e32 v32, 63, v0
	s_waitcnt lgkmcnt(0)
	v_max_f32_e32 v4, v4, v4
	v_max_f32_e32 v4, v7, v4
	v_cndmask_b32_e32 v7, v2, v8, vcc
	v_lshlrev_b32_e32 v8, 2, v7
	ds_bpermute_b32 v7, v8, v4
	v_cmp_lt_i32_e32 vcc, v9, v3
	s_waitcnt lgkmcnt(0)
	v_max_f32_e32 v7, v7, v7
	v_max_f32_e32 v7, v4, v7
	v_cndmask_b32_e32 v4, v2, v9, vcc
	v_lshlrev_b32_e32 v10, 2, v4
	ds_bpermute_b32 v9, v10, v7
	v_cmp_eq_u32_e32 vcc, 0, v32
	v_lshlrev_b32_e32 v4, 2, v30
	s_and_saveexec_b64 s[0:1], vcc
	s_cbranch_execz .LBB115_24
; %bb.23:
	s_waitcnt lgkmcnt(0)
	v_max_f32_e32 v9, v9, v9
	v_max_f32_e32 v7, v7, v7
	;; [unrolled: 1-line block ×3, first 2 shown]
	ds_write_b32 v4, v7 offset:384
.LBB115_24:
	s_or_b64 exec, exec, s[0:1]
	v_cmp_gt_u32_e64 s[0:1], 2, v32
	v_mov_b32_e32 v12, 0xff7fffff
	v_lshlrev_b32_e32 v7, 2, v32
	s_waitcnt lgkmcnt(0)
	s_barrier
	s_and_saveexec_b64 s[2:3], s[0:1]
; %bb.25:
	ds_read_b32 v12, v7 offset:384
; %bb.26:
	s_or_b64 exec, exec, s[2:3]
	v_xor_b32_e32 v9, 1, v2
	v_cmp_lt_i32_e64 s[2:3], v9, v3
	v_lshlrev_b32_e32 v11, 2, v11
	s_nop 0
	v_cndmask_b32_e64 v9, v2, v9, s[2:3]
	v_lshlrev_b32_e32 v9, 2, v9
	s_waitcnt lgkmcnt(0)
	ds_bpermute_b32 v13, v9, v12
	v_max_f32_e32 v12, v12, v12
	s_lshl_b32 s2, s16, 3
	s_min_i32 s15, s2, s33
	v_cmp_gt_i32_e64 s[2:3], s15, v0
	s_waitcnt lgkmcnt(0)
	v_max_f32_e32 v13, v13, v13
	v_max_f32_e32 v12, v12, v13
	ds_bpermute_b32 v12, v11, v12
	v_mov_b32_e32 v11, 0
	s_and_saveexec_b64 s[30:31], s[2:3]
	s_cbranch_execz .LBB115_30
; %bb.27:
	v_mov_b32_e32 v11, 0x190
	v_lshl_add_u32 v13, v0, 2, v11
	v_mov_b32_e32 v11, 0
	s_mov_b64 s[34:35], 0
	v_mov_b32_e32 v14, v0
.LBB115_28:                             ; =>This Inner Loop Header: Depth=1
	ds_read_b32 v15, v13
	v_add_u32_e32 v14, 0x80, v14
	v_cmp_le_i32_e64 s[8:9], s15, v14
	s_or_b64 s[34:35], s[8:9], s[34:35]
	s_waitcnt lgkmcnt(0)
	v_sub_f32_e32 v15, v15, v12
	v_mul_f32_e32 v15, 0x3fb8aa3b, v15
	v_exp_f32_e32 v15, v15
	ds_write_b32 v13, v15
	v_add_f32_e32 v11, v11, v15
	v_add_u32_e32 v13, 0x200, v13
	s_andn2_b64 exec, exec, s[34:35]
	s_cbranch_execnz .LBB115_28
; %bb.29:
	s_or_b64 exec, exec, s[34:35]
.LBB115_30:
	s_or_b64 exec, exec, s[30:31]
	ds_bpermute_b32 v5, v5, v11
	s_waitcnt lgkmcnt(0)
	v_add_f32_e32 v5, v11, v5
	ds_bpermute_b32 v8, v8, v5
	s_waitcnt lgkmcnt(0)
	v_add_f32_e32 v5, v5, v8
	ds_bpermute_b32 v8, v10, v5
	v_xor_b32_e32 v10, 4, v2
	v_cmp_lt_i32_e64 s[8:9], v10, v3
	s_waitcnt lgkmcnt(0)
	v_add_f32_e32 v5, v5, v8
	v_cndmask_b32_e64 v10, v2, v10, s[8:9]
	v_lshlrev_b32_e32 v10, 2, v10
	ds_bpermute_b32 v8, v10, v5
	v_xor_b32_e32 v10, 2, v2
	v_cmp_lt_i32_e64 s[8:9], v10, v3
	s_waitcnt lgkmcnt(0)
	v_add_f32_e32 v5, v5, v8
	v_cndmask_b32_e64 v3, v2, v10, s[8:9]
	v_lshlrev_b32_e32 v3, 2, v3
	ds_bpermute_b32 v3, v3, v5
	s_waitcnt lgkmcnt(0)
	v_add_f32_e32 v3, v5, v3
	ds_bpermute_b32 v5, v9, v3
	s_waitcnt lgkmcnt(0)
	v_add_f32_e32 v3, v3, v5
	s_and_saveexec_b64 s[8:9], vcc
; %bb.31:
	ds_write_b32 v4, v3 offset:392
; %bb.32:
	s_or_b64 exec, exec, s[8:9]
	s_waitcnt lgkmcnt(0)
	s_barrier
	s_and_saveexec_b64 s[8:9], s[0:1]
; %bb.33:
	ds_read_b32 v3, v7 offset:392
; %bb.34:
	s_or_b64 exec, exec, s[8:9]
	s_waitcnt lgkmcnt(0)
	ds_bpermute_b32 v4, v9, v3
	v_lshlrev_b32_e32 v2, 2, v2
	v_and_b32_e32 v2, 0x100, v2
	s_waitcnt lgkmcnt(0)
	v_add_f32_e32 v3, v3, v4
	ds_bpermute_b32 v2, v2, v3
	s_and_saveexec_b64 s[0:1], s[2:3]
	s_cbranch_execz .LBB115_47
; %bb.35:
	s_waitcnt lgkmcnt(0)
	v_add_f32_e32 v2, 0x358637bd, v2
	v_div_scale_f32 v3, s[2:3], v2, v2, 1.0
	v_rcp_f32_e32 v4, v3
	v_div_scale_f32 v5, vcc, 1.0, v2, 1.0
	s_movk_i32 s2, 0x7f
	v_fma_f32 v7, -v3, v4, 1.0
	v_fmac_f32_e32 v4, v7, v4
	v_mul_f32_e32 v7, v5, v4
	v_fma_f32 v8, -v3, v7, v5
	v_fmac_f32_e32 v7, v8, v4
	v_fma_f32 v3, -v3, v7, v5
	v_div_fmas_f32 v3, v3, v4, v7
	v_xad_u32 v4, v0, -1, s15
	v_div_fixup_f32 v2, v3, v2, 1.0
	v_cmp_lt_u32_e32 vcc, s2, v4
	s_mov_b64 s[8:9], -1
	v_mov_b32_e32 v3, v0
	s_and_saveexec_b64 s[2:3], vcc
	s_cbranch_execz .LBB115_44
; %bb.36:
	v_lshrrev_b32_e32 v4, 7, v4
	v_add_u32_e32 v7, -1, v4
	v_lshrrev_b32_e32 v5, 1, v7
	v_mov_b32_e32 v3, v2
	v_add_u32_e32 v5, 1, v5
	v_cmp_lt_u32_e32 vcc, 13, v7
	v_mov_b32_e32 v9, 0
	s_and_saveexec_b64 s[8:9], vcc
	s_cbranch_execz .LBB115_40
; %bb.37:
	v_mov_b32_e32 v8, 0x190
	v_and_b32_e32 v7, -8, v5
	v_lshl_add_u32 v8, v0, 2, v8
	s_mov_b32 s34, 0
	s_mov_b64 s[30:31], 0
.LBB115_38:                             ; =>This Inner Loop Header: Depth=1
	ds_read2st64_b32 v[10:11], v8 offset1:2
	ds_read2st64_b32 v[12:13], v8 offset0:4 offset1:6
	ds_read2st64_b32 v[14:15], v8 offset0:8 offset1:10
	;; [unrolled: 1-line block ×3, first 2 shown]
	v_add_u32_e32 v7, -8, v7
	s_waitcnt lgkmcnt(3)
	v_pk_mul_f32 v[10:11], v[2:3], v[10:11]
	s_waitcnt lgkmcnt(2)
	v_pk_mul_f32 v[12:13], v[2:3], v[12:13]
	ds_write2st64_b32 v8, v10, v11 offset1:2
	ds_write2st64_b32 v8, v12, v13 offset0:4 offset1:6
	ds_read2st64_b32 v[12:13], v8 offset0:16 offset1:18
	s_waitcnt lgkmcnt(4)
	v_pk_mul_f32 v[10:11], v[2:3], v[14:15]
	ds_write2st64_b32 v8, v10, v11 offset0:8 offset1:10
	s_waitcnt lgkmcnt(4)
	v_pk_mul_f32 v[10:11], v[2:3], v[16:17]
	ds_write2st64_b32 v8, v10, v11 offset0:12 offset1:14
	ds_read2st64_b32 v[10:11], v8 offset0:20 offset1:22
	s_waitcnt lgkmcnt(3)
	v_pk_mul_f32 v[12:13], v[2:3], v[12:13]
	ds_read2st64_b32 v[14:15], v8 offset0:24 offset1:26
	ds_write2st64_b32 v8, v12, v13 offset0:16 offset1:18
	ds_read2st64_b32 v[12:13], v8 offset0:28 offset1:30
	s_waitcnt lgkmcnt(3)
	v_pk_mul_f32 v[10:11], v[2:3], v[10:11]
	ds_write2st64_b32 v8, v10, v11 offset0:20 offset1:22
	s_waitcnt lgkmcnt(3)
	v_pk_mul_f32 v[10:11], v[2:3], v[14:15]
	ds_write2st64_b32 v8, v10, v11 offset0:24 offset1:26
	s_waitcnt lgkmcnt(2)
	v_pk_mul_f32 v[10:11], v[2:3], v[12:13]
	s_add_i32 s34, s34, 16
	v_cmp_eq_u32_e32 vcc, 0, v7
	ds_write2st64_b32 v8, v10, v11 offset0:28 offset1:30
	v_add_u32_e32 v8, 0x2000, v8
	s_or_b64 s[30:31], vcc, s[30:31]
	v_mov_b32_e32 v9, s34
	s_andn2_b64 exec, exec, s[30:31]
	s_cbranch_execnz .LBB115_38
; %bb.39:
	s_or_b64 exec, exec, s[30:31]
.LBB115_40:
	s_or_b64 exec, exec, s[8:9]
	v_and_b32_e32 v5, 7, v5
	v_cmp_ne_u32_e32 vcc, 0, v5
	s_and_saveexec_b64 s[8:9], vcc
	s_cbranch_execz .LBB115_43
; %bb.41:
	v_lshlrev_b32_e32 v7, 9, v9
	v_lshlrev_b32_e32 v8, 2, v0
	s_movk_i32 s30, 0x190
	v_add3_u32 v7, v7, v8, s30
	s_mov_b64 s[30:31], 0
.LBB115_42:                             ; =>This Inner Loop Header: Depth=1
	ds_read2st64_b32 v[8:9], v7 offset1:2
	v_add_u32_e32 v5, -1, v5
	v_cmp_eq_u32_e32 vcc, 0, v5
	s_or_b64 s[30:31], vcc, s[30:31]
	s_waitcnt lgkmcnt(0)
	v_pk_mul_f32 v[8:9], v[2:3], v[8:9]
	ds_write2st64_b32 v7, v8, v9 offset1:2
	v_add_u32_e32 v7, 0x400, v7
	s_andn2_b64 exec, exec, s[30:31]
	s_cbranch_execnz .LBB115_42
.LBB115_43:
	s_or_b64 exec, exec, s[8:9]
	v_add_u32_e32 v4, 1, v4
	v_and_b32_e32 v5, 0x3fffffe, v4
	v_cmp_ne_u32_e32 vcc, v4, v5
	v_lshl_add_u32 v3, v5, 7, v0
	s_orn2_b64 s[8:9], vcc, exec
.LBB115_44:
	s_or_b64 exec, exec, s[2:3]
	s_and_b64 exec, exec, s[8:9]
	s_cbranch_execz .LBB115_47
; %bb.45:
	v_mov_b32_e32 v4, 0x190
	v_lshl_add_u32 v4, v3, 2, v4
	s_mov_b64 s[2:3], 0
.LBB115_46:                             ; =>This Inner Loop Header: Depth=1
	ds_read_b32 v5, v4
	v_add_u32_e32 v3, 0x80, v3
	v_cmp_le_i32_e32 vcc, s15, v3
	s_or_b64 s[2:3], vcc, s[2:3]
	s_waitcnt lgkmcnt(0)
	v_mul_f32_e32 v5, v2, v5
	ds_write_b32 v4, v5
	v_add_u32_e32 v4, 0x200, v4
	s_andn2_b64 exec, exec, s[2:3]
	s_cbranch_execnz .LBB115_46
.LBB115_47:
	s_or_b64 exec, exec, s[0:1]
	v_mov_b32_e32 v23, 0
	v_mov_b32_e32 v22, 0
	;; [unrolled: 1-line block ×3, first 2 shown]
	s_waitcnt lgkmcnt(0)
	s_barrier
	s_and_saveexec_b64 s[8:9], s[6:7]
	s_cbranch_execz .LBB115_59
; %bb.48:
	s_ashr_i32 s15, s14, 31
	s_sub_i32 s17, s12, s17
	s_lshl_b64 s[0:1], s[14:15], 1
	s_add_u32 s0, s28, s0
	s_addc_u32 s1, s29, s1
	s_abs_i32 s18, s18
	v_cvt_f32_u32_e32 v2, s18
	v_lshlrev_b32_e32 v24, 4, v32
	v_mov_b32_e32 v25, 0
	v_lshl_add_u64 v[26:27], s[0:1], 0, v[24:25]
	v_rcp_iflag_f32_e32 v2, v2
	s_sub_i32 s0, 0, s18
	s_add_i32 s30, s16, -1
	v_and_b32_e32 v24, 60, v6
	v_mul_f32_e32 v2, 0x4f7ffffe, v2
	v_cvt_u32_f32_e32 v2, v2
	s_mov_b32 s28, s13
	s_mov_b32 s29, s33
	s_mov_b64 s[6:7], 0
	v_mul_lo_u32 v3, s0, v2
	s_lshl_b64 s[0:1], s[26:27], 2
	v_mul_hi_u32 v3, v2, v3
	s_add_u32 s0, s24, s0
	v_add_u32_e32 v33, v2, v3
	s_addc_u32 s1, s25, s1
	v_mov_b32_e32 v2, 0x190
	v_lshl_add_u64 v[28:29], s[0:1], 0, v[24:25]
	v_lshl_add_u32 v34, v30, 5, v2
	s_mov_b32 s24, 0x5040100
	v_mov_b32_e32 v24, 0
	v_mov_b32_e32 v22, 0
	;; [unrolled: 1-line block ×3, first 2 shown]
	s_branch .LBB115_51
.LBB115_49:                             ;   in Loop: Header=BB115_51 Depth=1
	s_or_b64 exec, exec, s[2:3]
	s_waitcnt lgkmcnt(1)
	v_cvt_pk_bf16_f32 v14, v14, s0
	v_cvt_pk_bf16_f32 v15, v15, s0
	;; [unrolled: 1-line block ×4, first 2 shown]
	s_waitcnt vmcnt(1)
	v_and_b32_e32 v35, 0xffff0000, v18
	v_lshlrev_b32_e32 v15, 16, v15
	v_lshlrev_b32_e32 v18, 16, v18
	;; [unrolled: 1-line block ×3, first 2 shown]
	v_mul_f32_e32 v35, v15, v35
	v_mul_f32_e32 v18, v14, v18
	v_and_b32_e32 v36, 0xffff0000, v19
	v_lshlrev_b32_e32 v17, 16, v17
	v_lshlrev_b32_e32 v19, 16, v19
	;; [unrolled: 1-line block ×3, first 2 shown]
	s_waitcnt lgkmcnt(0)
	v_cvt_pk_bf16_f32 v10, v10, s0
	v_cvt_pk_bf16_f32 v11, v11, s0
	;; [unrolled: 1-line block ×4, first 2 shown]
	v_mul_f32_e32 v36, v17, v36
	v_mul_f32_e32 v19, v16, v19
	v_cvt_pk_bf16_f32 v36, v36, s0
	v_cvt_pk_bf16_f32 v19, v19, s0
	v_and_b32_e32 v37, 0xffff0000, v20
	v_lshlrev_b32_e32 v11, 16, v11
	v_lshlrev_b32_e32 v20, 16, v20
	;; [unrolled: 1-line block ×5, first 2 shown]
	v_cvt_pk_bf16_f32 v12, v12, s0
	v_cvt_pk_bf16_f32 v13, v13, s0
	v_mul_f32_e32 v37, v11, v37
	v_mul_f32_e32 v20, v10, v20
	v_add_f32_e32 v18, v18, v35
	v_lshlrev_b32_e32 v19, 16, v19
	v_lshlrev_b32_e32 v35, 16, v36
	v_cvt_pk_bf16_f32 v37, v37, s0
	v_cvt_pk_bf16_f32 v20, v20, s0
	v_and_b32_e32 v38, 0xffff0000, v21
	v_lshlrev_b32_e32 v13, 16, v13
	v_lshlrev_b32_e32 v21, 16, v21
	;; [unrolled: 1-line block ×3, first 2 shown]
	v_add_f32_e32 v19, v19, v35
	v_mul_f32_e32 v38, v13, v38
	v_mul_f32_e32 v21, v12, v21
	v_add_f32_e32 v18, v19, v18
	v_lshlrev_b32_e32 v19, 16, v20
	v_lshlrev_b32_e32 v20, 16, v37
	v_cvt_pk_bf16_f32 v38, v38, s0
	v_cvt_pk_bf16_f32 v21, v21, s0
	v_add_f32_e32 v19, v19, v20
	v_add_f32_e32 v18, v19, v18
	v_lshlrev_b32_e32 v19, 16, v21
	v_lshlrev_b32_e32 v20, 16, v38
	v_add_f32_e32 v19, v19, v20
	v_add_f32_e32 v18, v19, v18
	;; [unrolled: 1-line block ×3, first 2 shown]
	v_and_b32_e32 v18, 0xffff0000, v2
	v_lshlrev_b32_e32 v2, 16, v2
	v_mul_f32_e32 v18, v15, v18
	v_mul_f32_e32 v2, v14, v2
	v_and_b32_e32 v19, 0xffff0000, v3
	v_lshlrev_b32_e32 v3, 16, v3
	v_cvt_pk_bf16_f32 v18, v18, s0
	v_cvt_pk_bf16_f32 v2, v2, s0
	v_mul_f32_e32 v19, v17, v19
	v_mul_f32_e32 v3, v16, v3
	v_cvt_pk_bf16_f32 v19, v19, s0
	v_cvt_pk_bf16_f32 v3, v3, s0
	v_and_b32_e32 v20, 0xffff0000, v4
	v_lshlrev_b32_e32 v4, 16, v4
	v_lshlrev_b32_e32 v2, 16, v2
	v_lshlrev_b32_e32 v18, 16, v18
	v_mul_f32_e32 v20, v11, v20
	v_mul_f32_e32 v4, v10, v4
	v_add_f32_e32 v2, v2, v18
	v_lshlrev_b32_e32 v3, 16, v3
	v_lshlrev_b32_e32 v18, 16, v19
	v_cvt_pk_bf16_f32 v20, v20, s0
	v_cvt_pk_bf16_f32 v4, v4, s0
	v_and_b32_e32 v21, 0xffff0000, v5
	v_lshlrev_b32_e32 v5, 16, v5
	v_add_f32_e32 v3, v3, v18
	v_mul_f32_e32 v21, v13, v21
	v_mul_f32_e32 v5, v12, v5
	v_add_f32_e32 v2, v3, v2
	v_lshlrev_b32_e32 v3, 16, v4
	v_lshlrev_b32_e32 v4, 16, v20
	v_cvt_pk_bf16_f32 v21, v21, s0
	v_cvt_pk_bf16_f32 v5, v5, s0
	v_add_f32_e32 v3, v3, v4
	v_add_f32_e32 v2, v3, v2
	v_lshlrev_b32_e32 v3, 16, v5
	v_lshlrev_b32_e32 v4, 16, v21
	v_add_f32_e32 v3, v3, v4
	v_add_f32_e32 v2, v3, v2
	;; [unrolled: 1-line block ×3, first 2 shown]
	s_waitcnt vmcnt(0)
	v_and_b32_e32 v2, 0xffff0000, v6
	v_lshlrev_b32_e32 v3, 16, v6
	v_and_b32_e32 v4, 0xffff0000, v7
	v_lshlrev_b32_e32 v5, 16, v7
	v_mul_f32_e32 v2, v15, v2
	v_mul_f32_e32 v3, v14, v3
	v_mul_f32_e32 v4, v17, v4
	v_mul_f32_e32 v5, v16, v5
	v_and_b32_e32 v6, 0xffff0000, v8
	v_lshlrev_b32_e32 v7, 16, v8
	v_cvt_pk_bf16_f32 v2, v2, s0
	v_cvt_pk_bf16_f32 v3, v3, s0
	;; [unrolled: 1-line block ×4, first 2 shown]
	v_mul_f32_e32 v6, v11, v6
	v_mul_f32_e32 v7, v10, v7
	v_and_b32_e32 v8, 0xffff0000, v9
	v_lshlrev_b32_e32 v9, 16, v9
	v_cvt_pk_bf16_f32 v6, v6, s0
	v_cvt_pk_bf16_f32 v7, v7, s0
	v_mul_f32_e32 v8, v13, v8
	v_mul_f32_e32 v9, v12, v9
	v_lshlrev_b32_e32 v3, 16, v3
	v_lshlrev_b32_e32 v2, 16, v2
	;; [unrolled: 1-line block ×4, first 2 shown]
	v_cvt_pk_bf16_f32 v8, v8, s0
	v_cvt_pk_bf16_f32 v9, v9, s0
	v_lshlrev_b32_e32 v7, 16, v7
	v_lshlrev_b32_e32 v6, 16, v6
	v_add_f32_e32 v2, v2, v3
	v_add_f32_e32 v3, v4, v5
	v_lshlrev_b32_e32 v9, 16, v9
	v_lshlrev_b32_e32 v8, 16, v8
	v_add_f32_e32 v2, v3, v2
	v_add_f32_e32 v3, v6, v7
	;; [unrolled: 1-line block ×6, first 2 shown]
.LBB115_50:                             ;   in Loop: Header=BB115_51 Depth=1
	s_or_b64 exec, exec, s[12:13]
	v_add_u32_e32 v30, 2, v30
	v_cmp_le_i32_e32 vcc, s16, v30
	v_lshl_add_u64 v[28:29], v[28:29], 0, 8
	v_add_u32_e32 v31, 16, v31
	s_or_b64 s[6:7], vcc, s[6:7]
	v_add_u32_e32 v34, 64, v34
	s_andn2_b64 exec, exec, s[6:7]
	s_cbranch_execz .LBB115_58
.LBB115_51:                             ; =>This Inner Loop Header: Depth=1
	v_mul_hi_u32 v2, v31, s40
	v_mul_lo_u32 v3, v2, s21
	v_sub_u32_e32 v3, v31, v3
	v_add_u32_e32 v4, 1, v2
	v_cmp_le_u32_e32 vcc, s21, v3
	s_nop 1
	v_cndmask_b32_e32 v2, v2, v4, vcc
	v_subrev_u32_e32 v4, s21, v3
	v_cndmask_b32_e32 v3, v3, v4, vcc
	v_add_u32_e32 v4, 1, v2
	v_cmp_le_u32_e32 vcc, s21, v3
	s_nop 1
	v_cndmask_b32_e32 v2, v2, v4, vcc
	v_xor_b32_e32 v2, s19, v2
	v_subrev_u32_e32 v2, s19, v2
	v_add_u32_e32 v3, s41, v2
	v_sub_u32_e32 v5, 0, v3
	v_ashrrev_i32_e32 v4, 31, v3
	v_max_i32_e32 v3, v3, v5
	v_mul_hi_u32 v5, v3, v33
	v_mul_lo_u32 v5, v5, s18
	v_sub_u32_e32 v3, v3, v5
	v_subrev_u32_e32 v5, s18, v3
	v_cmp_le_u32_e32 vcc, s18, v3
	v_cmp_lt_i32_e64 s[0:1], s17, v2
	s_nop 0
	v_cndmask_b32_e32 v3, v3, v5, vcc
	v_subrev_u32_e32 v5, s18, v3
	v_cmp_le_u32_e32 vcc, s18, v3
	s_nop 1
	v_cndmask_b32_e32 v3, v3, v5, vcc
	v_xor_b32_e32 v3, v3, v4
	v_sub_u32_e32 v3, v3, v4
	v_cmp_eq_u32_e32 vcc, 0, v3
	s_or_b64 s[0:1], vcc, s[0:1]
	s_and_saveexec_b64 s[12:13], s[0:1]
	s_cbranch_execz .LBB115_50
; %bb.52:                               ;   in Loop: Header=BB115_51 Depth=1
	global_load_dword v2, v[28:29], off
	v_add_u32_e32 v41, 1, v31
	v_or_b32_e32 v39, 3, v31
	v_or_b32_e32 v40, 2, v31
	;; [unrolled: 1-line block ×6, first 2 shown]
	s_waitcnt vmcnt(0)
	v_mad_i64_i32 v[2:3], s[0:1], v2, s28, 0
	v_lshl_add_u64 v[6:7], v[2:3], 1, v[26:27]
	global_load_dwordx4 v[2:5], v[6:7], off
	ds_read2_b64 v[14:17], v34 offset1:1
	ds_read2_b64 v[10:13], v34 offset0:2 offset1:3
	v_cmp_eq_u32_e64 s[0:1], s30, v30
	s_and_saveexec_b64 s[14:15], s[0:1]
	s_cbranch_execnz .LBB115_55
; %bb.53:                               ;   in Loop: Header=BB115_51 Depth=1
	s_or_b64 exec, exec, s[14:15]
	global_load_dwordx4 v[18:21], v[6:7], off offset:1024
	s_and_saveexec_b64 s[14:15], s[0:1]
	s_cbranch_execnz .LBB115_56
.LBB115_54:                             ;   in Loop: Header=BB115_51 Depth=1
	s_or_b64 exec, exec, s[14:15]
	global_load_dwordx4 v[6:9], v[6:7], off offset:2048
	s_and_saveexec_b64 s[2:3], s[0:1]
	s_cbranch_execz .LBB115_49
	s_branch .LBB115_57
.LBB115_55:                             ;   in Loop: Header=BB115_51 Depth=1
	v_cmp_gt_i32_e32 vcc, s29, v41
	v_cmp_gt_i32_e64 s[2:3], s33, v40
	s_waitcnt vmcnt(0)
	v_cndmask_b32_sdwa v8, v25, v2, vcc dst_sel:DWORD dst_unused:UNUSED_PAD src0_sel:DWORD src1_sel:WORD_1
	v_cmp_gt_i32_e32 vcc, s33, v31
	s_nop 1
	v_cndmask_b32_e32 v2, 0, v2, vcc
	v_cmp_gt_i32_e32 vcc, s29, v39
	v_perm_b32 v2, v8, v2, s24
	v_cndmask_b32_e64 v8, 0, v3, s[2:3]
	v_cndmask_b32_sdwa v3, v25, v3, vcc dst_sel:DWORD dst_unused:UNUSED_PAD src0_sel:DWORD src1_sel:WORD_1
	v_cmp_gt_i32_e32 vcc, s29, v37
	v_cmp_gt_i32_e64 s[2:3], s33, v38
	v_perm_b32 v3, v3, v8, s24
	s_nop 0
	v_cndmask_b32_e64 v8, 0, v4, s[2:3]
	v_cndmask_b32_sdwa v4, v25, v4, vcc dst_sel:DWORD dst_unused:UNUSED_PAD src0_sel:DWORD src1_sel:WORD_1
	v_cmp_gt_i32_e32 vcc, s29, v35
	v_cmp_gt_i32_e64 s[2:3], s33, v36
	v_perm_b32 v4, v4, v8, s24
	s_nop 0
	v_cndmask_b32_e64 v8, 0, v5, s[2:3]
	v_cndmask_b32_sdwa v5, v25, v5, vcc dst_sel:DWORD dst_unused:UNUSED_PAD src0_sel:DWORD src1_sel:WORD_1
	v_perm_b32 v5, v5, v8, s24
	s_or_b64 exec, exec, s[14:15]
	global_load_dwordx4 v[18:21], v[6:7], off offset:1024
	s_and_saveexec_b64 s[14:15], s[0:1]
	s_cbranch_execz .LBB115_54
.LBB115_56:                             ;   in Loop: Header=BB115_51 Depth=1
	v_cmp_gt_i32_e32 vcc, s29, v41
	v_cmp_gt_i32_e64 s[2:3], s33, v40
	s_waitcnt vmcnt(0)
	v_cndmask_b32_sdwa v8, v25, v18, vcc dst_sel:DWORD dst_unused:UNUSED_PAD src0_sel:DWORD src1_sel:WORD_1
	v_cmp_gt_i32_e32 vcc, s33, v31
	s_nop 1
	v_cndmask_b32_e32 v9, 0, v18, vcc
	v_cmp_gt_i32_e32 vcc, s29, v39
	v_perm_b32 v18, v8, v9, s24
	v_cndmask_b32_e64 v8, 0, v19, s[2:3]
	v_cndmask_b32_sdwa v9, v25, v19, vcc dst_sel:DWORD dst_unused:UNUSED_PAD src0_sel:DWORD src1_sel:WORD_1
	v_cmp_gt_i32_e32 vcc, s29, v37
	v_cmp_gt_i32_e64 s[2:3], s33, v38
	v_perm_b32 v19, v9, v8, s24
	v_cndmask_b32_sdwa v9, v25, v20, vcc dst_sel:DWORD dst_unused:UNUSED_PAD src0_sel:DWORD src1_sel:WORD_1
	v_cndmask_b32_e64 v8, 0, v20, s[2:3]
	v_cmp_gt_i32_e32 vcc, s29, v35
	v_cmp_gt_i32_e64 s[2:3], s33, v36
	v_perm_b32 v20, v9, v8, s24
	v_cndmask_b32_sdwa v9, v25, v21, vcc dst_sel:DWORD dst_unused:UNUSED_PAD src0_sel:DWORD src1_sel:WORD_1
	v_cndmask_b32_e64 v8, 0, v21, s[2:3]
	v_perm_b32 v21, v9, v8, s24
	s_or_b64 exec, exec, s[14:15]
	global_load_dwordx4 v[6:9], v[6:7], off offset:2048
	s_and_saveexec_b64 s[2:3], s[0:1]
	s_cbranch_execz .LBB115_49
.LBB115_57:                             ;   in Loop: Header=BB115_51 Depth=1
	v_cmp_gt_i32_e32 vcc, s29, v41
	v_cmp_gt_i32_e64 s[0:1], s33, v40
	s_waitcnt vmcnt(0)
	v_cndmask_b32_sdwa v41, v25, v6, vcc dst_sel:DWORD dst_unused:UNUSED_PAD src0_sel:DWORD src1_sel:WORD_1
	v_cmp_gt_i32_e32 vcc, s33, v31
	s_nop 1
	v_cndmask_b32_e32 v6, 0, v6, vcc
	v_cmp_gt_i32_e32 vcc, s29, v39
	v_cndmask_b32_e64 v39, 0, v7, s[0:1]
	v_cmp_gt_i32_e64 s[0:1], s33, v38
	v_cndmask_b32_sdwa v7, v25, v7, vcc dst_sel:DWORD dst_unused:UNUSED_PAD src0_sel:DWORD src1_sel:WORD_1
	v_cmp_gt_i32_e32 vcc, s29, v37
	v_cndmask_b32_e64 v37, 0, v8, s[0:1]
	v_cmp_gt_i32_e64 s[0:1], s33, v36
	v_cndmask_b32_sdwa v8, v25, v8, vcc dst_sel:DWORD dst_unused:UNUSED_PAD src0_sel:DWORD src1_sel:WORD_1
	v_cmp_gt_i32_e32 vcc, s29, v35
	v_cndmask_b32_e64 v35, 0, v9, s[0:1]
	v_perm_b32 v6, v41, v6, s24
	v_cndmask_b32_sdwa v9, v25, v9, vcc dst_sel:DWORD dst_unused:UNUSED_PAD src0_sel:DWORD src1_sel:WORD_1
	v_perm_b32 v7, v7, v39, s24
	v_perm_b32 v8, v8, v37, s24
	;; [unrolled: 1-line block ×3, first 2 shown]
	s_branch .LBB115_49
.LBB115_58:
	s_or_b64 exec, exec, s[6:7]
.LBB115_59:
	s_or_b64 exec, exec, s[8:9]
	v_and_b32_e32 v2, 0x3c0, v0
	v_cmp_eq_u32_e32 vcc, 64, v2
	s_barrier
	s_and_saveexec_b64 s[0:1], vcc
	s_cbranch_execz .LBB115_61
; %bb.60:
	v_mov_b32_e32 v2, 0x190
	v_lshl_add_u32 v2, v32, 2, v2
	ds_write2st64_b32 v2, v22, v23 offset1:1
	ds_write_b32 v2, v24 offset:512
.LBB115_61:
	s_or_b64 exec, exec, s[0:1]
	v_cmp_gt_u32_e32 vcc, 64, v0
	s_waitcnt lgkmcnt(0)
	s_barrier
	s_and_saveexec_b64 s[0:1], vcc
	s_cbranch_execz .LBB115_63
; %bb.62:
	v_mov_b32_e32 v2, 0x190
	v_lshl_add_u32 v0, v0, 2, v2
	ds_read2st64_b32 v[2:3], v0 offset1:1
	ds_read_b32 v0, v0 offset:512
	s_waitcnt lgkmcnt(1)
	v_pk_add_f32 v[22:23], v[22:23], v[2:3]
	s_waitcnt lgkmcnt(0)
	v_add_f32_e32 v24, v24, v0
.LBB115_63:
	s_or_b64 exec, exec, s[0:1]
	s_barrier
	s_and_saveexec_b64 s[0:1], vcc
	s_cbranch_execz .LBB115_65
; %bb.64:
	s_mul_i32 s0, s10, s11
	s_mul_i32 s0, s0, s5
	s_mulk_i32 s0, 0xc0
	s_ashr_i32 s1, s0, 31
	s_lshl_b64 s[0:1], s[0:1], 1
	s_add_u32 s2, s22, s0
	s_mul_i32 s0, s11, s20
	s_addc_u32 s3, s23, s1
	s_ashr_i32 s1, s0, 31
	s_lshl_b64 s[0:1], s[0:1], 1
	s_add_u32 s2, s2, s0
	s_mul_i32 s0, s4, 0xc0
	s_addc_u32 s3, s3, s1
	s_ashr_i32 s1, s0, 31
	s_lshl_b64 s[0:1], s[0:1], 1
	s_add_u32 s0, s2, s0
	s_addc_u32 s1, s3, s1
	v_cvt_pk_bf16_f32 v0, v22, s0
	global_store_short v1, v0, s[0:1]
	v_cvt_pk_bf16_f32 v0, v23, s0
	global_store_short v1, v0, s[0:1] offset:128
	v_cvt_pk_bf16_f32 v0, v24, s0
	global_store_short v1, v0, s[0:1] offset:256
.LBB115_65:
	s_endpgm
	.section	.rodata,"a",@progbits
	.p2align	6, 0x0
	.amdhsa_kernel _ZN4vllm25paged_attention_v1_kernelI14__hip_bfloat16S1_Li192ELi8ELi128ELNS_18Fp8KVCacheDataTypeE0ELb1EEEvPT_PKS3_PKT0_S9_ifPKiSB_iPKfiiiSD_SD_iiiii
		.amdhsa_group_segment_fixed_size 400
		.amdhsa_private_segment_fixed_size 0
		.amdhsa_kernarg_size 384
		.amdhsa_user_sgpr_count 2
		.amdhsa_user_sgpr_dispatch_ptr 0
		.amdhsa_user_sgpr_queue_ptr 0
		.amdhsa_user_sgpr_kernarg_segment_ptr 1
		.amdhsa_user_sgpr_dispatch_id 0
		.amdhsa_user_sgpr_kernarg_preload_length 0
		.amdhsa_user_sgpr_kernarg_preload_offset 0
		.amdhsa_user_sgpr_private_segment_size 0
		.amdhsa_uses_dynamic_stack 0
		.amdhsa_enable_private_segment 0
		.amdhsa_system_sgpr_workgroup_id_x 1
		.amdhsa_system_sgpr_workgroup_id_y 1
		.amdhsa_system_sgpr_workgroup_id_z 1
		.amdhsa_system_sgpr_workgroup_info 0
		.amdhsa_system_vgpr_workitem_id 0
		.amdhsa_next_free_vgpr 73
		.amdhsa_next_free_sgpr 44
		.amdhsa_accum_offset 76
		.amdhsa_reserve_vcc 1
		.amdhsa_float_round_mode_32 0
		.amdhsa_float_round_mode_16_64 0
		.amdhsa_float_denorm_mode_32 3
		.amdhsa_float_denorm_mode_16_64 3
		.amdhsa_dx10_clamp 1
		.amdhsa_ieee_mode 1
		.amdhsa_fp16_overflow 0
		.amdhsa_tg_split 0
		.amdhsa_exception_fp_ieee_invalid_op 0
		.amdhsa_exception_fp_denorm_src 0
		.amdhsa_exception_fp_ieee_div_zero 0
		.amdhsa_exception_fp_ieee_overflow 0
		.amdhsa_exception_fp_ieee_underflow 0
		.amdhsa_exception_fp_ieee_inexact 0
		.amdhsa_exception_int_div_zero 0
	.end_amdhsa_kernel
	.section	.text._ZN4vllm25paged_attention_v1_kernelI14__hip_bfloat16S1_Li192ELi8ELi128ELNS_18Fp8KVCacheDataTypeE0ELb1EEEvPT_PKS3_PKT0_S9_ifPKiSB_iPKfiiiSD_SD_iiiii,"axG",@progbits,_ZN4vllm25paged_attention_v1_kernelI14__hip_bfloat16S1_Li192ELi8ELi128ELNS_18Fp8KVCacheDataTypeE0ELb1EEEvPT_PKS3_PKT0_S9_ifPKiSB_iPKfiiiSD_SD_iiiii,comdat
.Lfunc_end115:
	.size	_ZN4vllm25paged_attention_v1_kernelI14__hip_bfloat16S1_Li192ELi8ELi128ELNS_18Fp8KVCacheDataTypeE0ELb1EEEvPT_PKS3_PKT0_S9_ifPKiSB_iPKfiiiSD_SD_iiiii, .Lfunc_end115-_ZN4vllm25paged_attention_v1_kernelI14__hip_bfloat16S1_Li192ELi8ELi128ELNS_18Fp8KVCacheDataTypeE0ELb1EEEvPT_PKS3_PKT0_S9_ifPKiSB_iPKfiiiSD_SD_iiiii
                                        ; -- End function
	.set _ZN4vllm25paged_attention_v1_kernelI14__hip_bfloat16S1_Li192ELi8ELi128ELNS_18Fp8KVCacheDataTypeE0ELb1EEEvPT_PKS3_PKT0_S9_ifPKiSB_iPKfiiiSD_SD_iiiii.num_vgpr, 73
	.set _ZN4vllm25paged_attention_v1_kernelI14__hip_bfloat16S1_Li192ELi8ELi128ELNS_18Fp8KVCacheDataTypeE0ELb1EEEvPT_PKS3_PKT0_S9_ifPKiSB_iPKfiiiSD_SD_iiiii.num_agpr, 0
	.set _ZN4vllm25paged_attention_v1_kernelI14__hip_bfloat16S1_Li192ELi8ELi128ELNS_18Fp8KVCacheDataTypeE0ELb1EEEvPT_PKS3_PKT0_S9_ifPKiSB_iPKfiiiSD_SD_iiiii.numbered_sgpr, 44
	.set _ZN4vllm25paged_attention_v1_kernelI14__hip_bfloat16S1_Li192ELi8ELi128ELNS_18Fp8KVCacheDataTypeE0ELb1EEEvPT_PKS3_PKT0_S9_ifPKiSB_iPKfiiiSD_SD_iiiii.num_named_barrier, 0
	.set _ZN4vllm25paged_attention_v1_kernelI14__hip_bfloat16S1_Li192ELi8ELi128ELNS_18Fp8KVCacheDataTypeE0ELb1EEEvPT_PKS3_PKT0_S9_ifPKiSB_iPKfiiiSD_SD_iiiii.private_seg_size, 0
	.set _ZN4vllm25paged_attention_v1_kernelI14__hip_bfloat16S1_Li192ELi8ELi128ELNS_18Fp8KVCacheDataTypeE0ELb1EEEvPT_PKS3_PKT0_S9_ifPKiSB_iPKfiiiSD_SD_iiiii.uses_vcc, 1
	.set _ZN4vllm25paged_attention_v1_kernelI14__hip_bfloat16S1_Li192ELi8ELi128ELNS_18Fp8KVCacheDataTypeE0ELb1EEEvPT_PKS3_PKT0_S9_ifPKiSB_iPKfiiiSD_SD_iiiii.uses_flat_scratch, 0
	.set _ZN4vllm25paged_attention_v1_kernelI14__hip_bfloat16S1_Li192ELi8ELi128ELNS_18Fp8KVCacheDataTypeE0ELb1EEEvPT_PKS3_PKT0_S9_ifPKiSB_iPKfiiiSD_SD_iiiii.has_dyn_sized_stack, 0
	.set _ZN4vllm25paged_attention_v1_kernelI14__hip_bfloat16S1_Li192ELi8ELi128ELNS_18Fp8KVCacheDataTypeE0ELb1EEEvPT_PKS3_PKT0_S9_ifPKiSB_iPKfiiiSD_SD_iiiii.has_recursion, 0
	.set _ZN4vllm25paged_attention_v1_kernelI14__hip_bfloat16S1_Li192ELi8ELi128ELNS_18Fp8KVCacheDataTypeE0ELb1EEEvPT_PKS3_PKT0_S9_ifPKiSB_iPKfiiiSD_SD_iiiii.has_indirect_call, 0
	.section	.AMDGPU.csdata,"",@progbits
; Kernel info:
; codeLenInByte = 5616
; TotalNumSgprs: 50
; NumVgprs: 73
; NumAgprs: 0
; TotalNumVgprs: 73
; ScratchSize: 0
; MemoryBound: 0
; FloatMode: 240
; IeeeMode: 1
; LDSByteSize: 400 bytes/workgroup (compile time only)
; SGPRBlocks: 6
; VGPRBlocks: 9
; NumSGPRsForWavesPerEU: 50
; NumVGPRsForWavesPerEU: 73
; AccumOffset: 76
; Occupancy: 6
; WaveLimiterHint : 1
; COMPUTE_PGM_RSRC2:SCRATCH_EN: 0
; COMPUTE_PGM_RSRC2:USER_SGPR: 2
; COMPUTE_PGM_RSRC2:TRAP_HANDLER: 0
; COMPUTE_PGM_RSRC2:TGID_X_EN: 1
; COMPUTE_PGM_RSRC2:TGID_Y_EN: 1
; COMPUTE_PGM_RSRC2:TGID_Z_EN: 1
; COMPUTE_PGM_RSRC2:TIDIG_COMP_CNT: 0
; COMPUTE_PGM_RSRC3_GFX90A:ACCUM_OFFSET: 18
; COMPUTE_PGM_RSRC3_GFX90A:TG_SPLIT: 0
	.section	.text._ZN4vllm25paged_attention_v1_kernelI14__hip_bfloat16S1_Li256ELi8ELi128ELNS_18Fp8KVCacheDataTypeE0ELb1EEEvPT_PKS3_PKT0_S9_ifPKiSB_iPKfiiiSD_SD_iiiii,"axG",@progbits,_ZN4vllm25paged_attention_v1_kernelI14__hip_bfloat16S1_Li256ELi8ELi128ELNS_18Fp8KVCacheDataTypeE0ELb1EEEvPT_PKS3_PKT0_S9_ifPKiSB_iPKfiiiSD_SD_iiiii,comdat
	.protected	_ZN4vllm25paged_attention_v1_kernelI14__hip_bfloat16S1_Li256ELi8ELi128ELNS_18Fp8KVCacheDataTypeE0ELb1EEEvPT_PKS3_PKT0_S9_ifPKiSB_iPKfiiiSD_SD_iiiii ; -- Begin function _ZN4vllm25paged_attention_v1_kernelI14__hip_bfloat16S1_Li256ELi8ELi128ELNS_18Fp8KVCacheDataTypeE0ELb1EEEvPT_PKS3_PKT0_S9_ifPKiSB_iPKfiiiSD_SD_iiiii
	.globl	_ZN4vllm25paged_attention_v1_kernelI14__hip_bfloat16S1_Li256ELi8ELi128ELNS_18Fp8KVCacheDataTypeE0ELb1EEEvPT_PKS3_PKT0_S9_ifPKiSB_iPKfiiiSD_SD_iiiii
	.p2align	8
	.type	_ZN4vllm25paged_attention_v1_kernelI14__hip_bfloat16S1_Li256ELi8ELi128ELNS_18Fp8KVCacheDataTypeE0ELb1EEEvPT_PKS3_PKT0_S9_ifPKiSB_iPKfiiiSD_SD_iiiii,@function
_ZN4vllm25paged_attention_v1_kernelI14__hip_bfloat16S1_Li256ELi8ELi128ELNS_18Fp8KVCacheDataTypeE0ELb1EEEvPT_PKS3_PKT0_S9_ifPKiSB_iPKfiiiSD_SD_iiiii: ; @_ZN4vllm25paged_attention_v1_kernelI14__hip_bfloat16S1_Li256ELi8ELi128ELNS_18Fp8KVCacheDataTypeE0ELb1EEEvPT_PKS3_PKT0_S9_ifPKiSB_iPKfiiiSD_SD_iiiii
; %bb.0:
	s_load_dword s5, s[0:1], 0x80
	s_load_dwordx2 s[6:7], s[0:1], 0x30
	s_load_dwordx2 s[30:31], s[0:1], 0x20
	s_mov_b32 s10, s3
	s_ashr_i32 s11, s3, 31
	s_lshl_b64 s[8:9], s[10:11], 2
	s_waitcnt lgkmcnt(0)
	s_add_u32 s6, s6, s8
	s_addc_u32 s7, s7, s9
	s_abs_i32 s3, s30
	v_cvt_f32_u32_e32 v1, s3
	s_sub_i32 s11, 0, s3
	s_abs_i32 s9, s5
	s_xor_b32 s8, s5, s30
	v_rcp_iflag_f32_e32 v1, v1
	s_ashr_i32 s8, s8, 31
	s_mov_b32 s42, 0
	v_mul_f32_e32 v1, 0x4f7ffffe, v1
	v_cvt_u32_f32_e32 v1, v1
	s_nop 0
	v_readfirstlane_b32 s12, v1
	s_mul_i32 s11, s11, s12
	s_mul_hi_u32 s11, s12, s11
	s_add_i32 s12, s12, s11
	s_mul_hi_u32 s11, s9, s12
	s_mul_i32 s12, s11, s3
	s_sub_i32 s9, s9, s12
	s_add_i32 s12, s11, 1
	s_sub_i32 s13, s9, s3
	s_cmp_ge_u32 s9, s3
	s_cselect_b32 s11, s12, s11
	s_cselect_b32 s9, s13, s9
	s_add_i32 s12, s11, 1
	s_cmp_ge_u32 s9, s3
	s_cselect_b32 s3, s12, s11
	s_xor_b32 s3, s3, s8
	s_sub_i32 s11, s3, s8
	s_abs_i32 s22, s11
	v_cvt_f32_u32_e32 v1, s22
	s_load_dwordx2 s[8:9], s[0:1], 0x40
	s_sub_i32 s3, 0, s22
	s_abs_i32 s23, s2
	v_rcp_iflag_f32_e32 v1, v1
	s_nop 0
	v_mul_f32_e32 v1, 0x4f7ffffe, v1
	v_cvt_u32_f32_e32 v1, v1
	s_nop 0
	v_readfirstlane_b32 s12, v1
	s_mul_i32 s3, s3, s12
	s_mul_hi_u32 s3, s12, s3
	s_add_i32 s12, s12, s3
	s_waitcnt lgkmcnt(0)
	s_cmp_eq_u64 s[8:9], 0
	s_mul_hi_u32 s24, s23, s12
	s_cbranch_scc1 .LBB116_2
; %bb.1:
	s_ashr_i32 s3, s2, 31
	s_lshl_b64 s[12:13], s[2:3], 2
	s_add_u32 s8, s8, s12
	s_addc_u32 s9, s9, s13
	s_load_dword s42, s[8:9], 0x0
.LBB116_2:
	s_load_dword s33, s[6:7], 0x0
	s_ashr_i32 s25, s11, 31
	s_load_dword s11, s[0:1], 0x88
	s_load_dwordx4 s[12:15], s[0:1], 0x48
	s_movk_i32 s6, 0x100
	s_ashr_i32 s3, s2, 31
	v_and_b32_e32 v4, 7, v0
	s_lshl_b32 s20, s2, 8
	v_cmp_gt_u32_e32 vcc, s6, v0
	v_lshlrev_b32_e32 v1, 1, v0
	s_and_saveexec_b64 s[6:7], vcc
	s_cbranch_execz .LBB116_5
; %bb.3:
	s_load_dwordx2 s[8:9], s[0:1], 0x8
	s_waitcnt lgkmcnt(0)
	s_mul_i32 s16, s12, s10
	s_ashr_i32 s17, s16, 31
	s_lshl_b64 s[16:17], s[16:17], 1
	v_lshrrev_b32_e32 v3, 3, v0
	s_add_u32 s12, s8, s16
	s_addc_u32 s15, s9, s17
	s_ashr_i32 s21, s20, 31
	s_lshl_b64 s[8:9], s[20:21], 1
	s_add_u32 s8, s12, s8
	s_addc_u32 s9, s15, s9
	global_load_ushort v5, v1, s[8:9]
	s_movk_i32 s12, 0x80
	v_lshlrev_b32_e32 v2, 1, v3
	v_lshl_add_u32 v2, v4, 6, v2
	v_cmp_gt_u32_e32 vcc, s12, v0
	s_waitcnt vmcnt(0)
	ds_write_b16 v2, v5
	s_and_b64 exec, exec, vcc
	s_cbranch_execz .LBB116_5
; %bb.4:
	v_lshlrev_b32_e32 v3, 4, v3
	v_lshlrev_b32_e32 v5, 1, v4
	s_movk_i32 s12, 0x100
	v_or3_b32 v3, v3, v5, s12
	global_load_ushort v3, v3, s[8:9]
	s_waitcnt vmcnt(0)
	ds_write_b16 v2, v3 offset:32
.LBB116_5:
	s_or_b64 exec, exec, s[6:7]
	s_mul_i32 s6, s24, s22
	s_sub_i32 s6, s23, s6
	s_xor_b32 s3, s3, s25
	s_add_i32 s7, s24, 1
	s_sub_i32 s9, s6, s22
	s_load_dwordx4 s[16:19], s[0:1], 0x68
	s_load_dword s8, s[0:1], 0x78
	s_cmp_ge_u32 s6, s22
	s_cselect_b32 s7, s7, s24
	s_cselect_b32 s6, s9, s6
	s_add_i32 s9, s7, 1
	s_cmp_ge_u32 s6, s22
	s_cselect_b32 s6, s9, s7
	s_waitcnt lgkmcnt(0)
	s_abs_i32 s21, s19
	v_cvt_f32_u32_e32 v2, s21
	s_xor_b32 s6, s6, s3
	s_sub_i32 s3, s6, s3
	s_sub_i32 s6, 0, s21
	v_rcp_iflag_f32_e32 v2, v2
	s_add_i32 s15, s33, -1
	s_abs_i32 s9, s15
	v_mul_f32_e32 v2, 0x4f7ffffe, v2
	v_cvt_u32_f32_e32 v2, v2
	s_barrier
	v_readfirstlane_b32 s40, v2
	s_mul_i32 s6, s6, s40
	s_mul_hi_u32 s6, s40, s6
	s_add_i32 s40, s40, s6
	s_cmp_lt_i32 s8, 0
	s_mul_hi_u32 s12, s9, s40
	s_cbranch_scc0 .LBB116_7
; %bb.6:
	s_mul_i32 s6, s16, s30
	s_add_i32 s6, s3, s6
	s_mul_i32 s6, s6, s8
	s_sub_i32 s41, 1, s6
	s_mov_b64 s[6:7], 0
	s_branch .LBB116_8
.LBB116_7:
	s_mov_b64 s[6:7], -1
                                        ; implicit-def: $sgpr41
.LBB116_8:
	s_load_dwordx2 s[24:25], s[0:1], 0x28
	s_ashr_i32 s15, s15, 31
	s_andn2_b64 vcc, exec, s[6:7]
	s_ashr_i32 s19, s19, 31
	s_cbranch_vccnz .LBB116_10
; %bb.9:
	s_mul_i32 s6, s5, s16
	s_add_i32 s2, s6, s2
	s_mul_i32 s2, s2, s8
	s_add_i32 s41, s2, 1
.LBB116_10:
	s_load_dword s2, s[0:1], 0x38
	s_load_dwordx2 s[22:23], s[0:1], 0x0
	s_load_dwordx2 s[28:29], s[0:1], 0x18
	s_mul_i32 s7, s12, s21
	s_xor_b32 s6, s15, s19
	s_waitcnt lgkmcnt(0)
	s_mul_i32 s26, s2, s10
	s_sub_i32 s2, s9, s7
	s_ashr_i32 s27, s26, 31
	s_add_i32 s7, s12, 1
	s_sub_i32 s8, s2, s21
	s_cmp_ge_u32 s2, s21
	s_cselect_b32 s7, s7, s12
	s_cselect_b32 s2, s8, s2
	s_add_i32 s8, s7, 1
	s_cmp_ge_u32 s2, s21
	s_cselect_b32 s2, s8, s7
	s_xor_b32 s2, s2, s6
	s_sub_i32 s12, s2, s6
	s_add_i32 s2, s33, 7
	s_ashr_i32 s6, s2, 31
	s_lshr_b32 s6, s6, 29
	s_add_i32 s2, s2, s6
	s_ashr_i32 s16, s2, 3
	v_lshrrev_b32_e32 v36, 6, v0
	v_cmp_gt_i32_e64 s[6:7], s16, v36
	v_mov_b32_e32 v12, 0xff7fffff
	s_mul_i32 s14, s3, s14
	v_lshrrev_b32_e32 v8, 4, v0
	v_lshlrev_b32_e32 v37, 3, v36
	v_mbcnt_lo_u32_b32 v9, -1, 0
	s_and_saveexec_b64 s[34:35], s[6:7]
	s_cbranch_execz .LBB116_22
; %bb.11:
	s_load_dwordx2 s[0:1], s[0:1], 0x10
	s_ashr_i32 s15, s14, 31
	s_sub_i32 s30, s12, s17
	s_lshl_b64 s[2:3], s[14:15], 1
	v_bfe_u32 v10, v0, 3, 3
	s_waitcnt lgkmcnt(0)
	s_add_u32 s0, s0, s2
	s_addc_u32 s1, s1, s3
	s_abs_i32 s15, s18
	v_cvt_f32_u32_e32 v2, s15
	v_lshlrev_b32_e32 v6, 4, v10
	v_mov_b32_e32 v7, 0
	v_cmp_eq_u32_e32 vcc, 0, v4
	v_rcp_iflag_f32_e32 v5, v2
	v_lshl_add_u64 v[2:3], s[0:1], 0, v[6:7]
	s_sub_i32 s0, 0, s15
	v_lshlrev_b32_e32 v6, 1, v4
	v_mul_f32_e32 v5, 0x4f7ffffe, v5
	v_cvt_u32_f32_e32 v5, v5
	v_lshlrev_b32_e32 v11, 6, v4
	v_lshl_add_u64 v[2:3], v[2:3], 0, v[6:7]
	v_and_b32_e32 v6, 60, v8
	v_mul_lo_u32 v4, s0, v5
	s_lshl_b64 s[0:1], s[26:27], 2
	s_add_u32 s0, s24, s0
	v_mul_hi_u32 v4, v5, v4
	s_addc_u32 s1, s25, s1
	v_add_u32_e32 v13, v5, v4
	v_lshl_add_u64 v[4:5], s[0:1], 0, v[6:7]
	v_subrev_u32_e32 v6, s33, v10
	v_add_u32_e32 v15, 1, v6
	v_lshlrev_b32_e32 v6, 2, v10
	v_lshl_or_b32 v6, v36, 5, v6
	v_mbcnt_hi_u32_b32 v18, -1, v9
	v_add_u32_e32 v16, 0x210, v6
	v_and_b32_e32 v6, 64, v18
	s_mov_b32 s43, s13
	v_cmp_neq_f32_e64 s[2:3], s42, 0
	v_lshlrev_b32_e32 v14, 3, v36
	v_mov_b32_e32 v17, 0xff7fffff
	s_mov_b64 s[36:37], 0
	v_add_u32_e32 v19, 64, v6
	v_xor_b32_e32 v20, 4, v18
	v_xor_b32_e32 v21, 2, v18
	;; [unrolled: 1-line block ×3, first 2 shown]
	v_mov_b32_e32 v12, 0xff7fffff
	v_mov_b32_e32 v23, v36
	s_branch .LBB116_14
.LBB116_12:                             ;   in Loop: Header=BB116_14 Depth=1
	s_or_b64 exec, exec, s[38:39]
.LBB116_13:                             ;   in Loop: Header=BB116_14 Depth=1
	s_or_b64 exec, exec, s[8:9]
	v_add_u32_e32 v23, 2, v23
	v_cmp_le_i32_e64 s[0:1], s16, v23
	v_lshl_add_u64 v[4:5], v[4:5], 0, 8
	v_add_u32_e32 v14, 16, v14
	s_or_b64 s[36:37], s[0:1], s[36:37]
	v_add_u32_e32 v16, 64, v16
	s_andn2_b64 exec, exec, s[36:37]
	s_cbranch_execz .LBB116_21
.LBB116_14:                             ; =>This Inner Loop Header: Depth=1
	v_mul_hi_u32 v6, v14, s40
	s_waitcnt lgkmcnt(0)
	v_mul_lo_u32 v7, v6, s21
	v_sub_u32_e32 v7, v14, v7
	v_add_u32_e32 v24, 1, v6
	v_cmp_le_u32_e64 s[0:1], s21, v7
	s_nop 1
	v_cndmask_b32_e64 v6, v6, v24, s[0:1]
	v_subrev_u32_e32 v24, s21, v7
	v_cndmask_b32_e64 v7, v7, v24, s[0:1]
	v_add_u32_e32 v24, 1, v6
	v_cmp_le_u32_e64 s[0:1], s21, v7
	s_nop 1
	v_cndmask_b32_e64 v6, v6, v24, s[0:1]
	v_xor_b32_e32 v6, s19, v6
	v_subrev_u32_e32 v6, s19, v6
	v_add_u32_e32 v7, s41, v6
	v_sub_u32_e32 v25, 0, v7
	v_ashrrev_i32_e32 v24, 31, v7
	v_max_i32_e32 v7, v7, v25
	v_mul_hi_u32 v25, v7, v13
	v_mul_lo_u32 v25, v25, s15
	v_sub_u32_e32 v7, v7, v25
	v_subrev_u32_e32 v25, s15, v7
	v_cmp_le_u32_e64 s[0:1], s15, v7
	v_cmp_ge_i32_e64 s[8:9], s30, v6
	s_nop 0
	v_cndmask_b32_e64 v7, v7, v25, s[0:1]
	v_subrev_u32_e32 v25, s15, v7
	v_cmp_le_u32_e64 s[0:1], s15, v7
	s_nop 1
	v_cndmask_b32_e64 v7, v7, v25, s[0:1]
	v_xor_b32_e32 v7, v7, v24
	v_sub_u32_e32 v7, v7, v24
	v_cmp_ne_u32_e64 s[0:1], 0, v7
	s_and_b64 s[0:1], s[0:1], s[8:9]
	s_and_saveexec_b64 s[8:9], s[0:1]
	s_xor_b64 s[0:1], exec, s[8:9]
	s_cbranch_execz .LBB116_18
; %bb.15:                               ;   in Loop: Header=BB116_14 Depth=1
	s_and_saveexec_b64 s[8:9], vcc
; %bb.16:                               ;   in Loop: Header=BB116_14 Depth=1
	ds_write_b32 v16, v17
; %bb.17:                               ;   in Loop: Header=BB116_14 Depth=1
	s_or_b64 exec, exec, s[8:9]
.LBB116_18:                             ;   in Loop: Header=BB116_14 Depth=1
	s_andn2_saveexec_b64 s[8:9], s[0:1]
	s_cbranch_execz .LBB116_13
; %bb.19:                               ;   in Loop: Header=BB116_14 Depth=1
	global_load_dword v6, v[4:5], off
	ds_read_b128 v[24:27], v11
	ds_read_b128 v[28:31], v11 offset:16
	ds_read_b128 v[32:35], v11 offset:32
	;; [unrolled: 1-line block ×3, first 2 shown]
	s_waitcnt lgkmcnt(3)
	v_lshlrev_b32_e32 v42, 16, v24
	v_and_b32_e32 v24, 0xffff0000, v24
	v_lshlrev_b32_e32 v43, 16, v25
	v_and_b32_e32 v25, 0xffff0000, v25
	v_lshlrev_b32_e32 v44, 16, v26
	v_and_b32_e32 v26, 0xffff0000, v26
	v_lshlrev_b32_e32 v45, 16, v27
	v_and_b32_e32 v27, 0xffff0000, v27
	s_waitcnt lgkmcnt(2)
	v_lshlrev_b32_e32 v46, 16, v28
	v_and_b32_e32 v28, 0xffff0000, v28
	v_lshlrev_b32_e32 v47, 16, v29
	v_and_b32_e32 v29, 0xffff0000, v29
	v_lshlrev_b32_e32 v48, 16, v30
	v_and_b32_e32 v30, 0xffff0000, v30
	v_lshlrev_b32_e32 v49, 16, v31
	v_and_b32_e32 v31, 0xffff0000, v31
	;; [unrolled: 9-line block ×4, first 2 shown]
	s_waitcnt vmcnt(0)
	v_mad_i64_i32 v[6:7], s[0:1], v6, s43, 0
	v_lshl_add_u64 v[6:7], v[6:7], 1, v[2:3]
	global_load_ushort v55, v[6:7], off offset:128
	global_load_ushort v56, v[6:7], off offset:256
	;; [unrolled: 1-line block ×7, first 2 shown]
	global_load_ushort v62, v[6:7], off
	global_load_ushort v66, v[6:7], off offset:1024
	global_load_ushort v67, v[6:7], off offset:1152
	;; [unrolled: 1-line block ×23, first 2 shown]
	s_nop 0
	global_load_ushort v6, v[6:7], off offset:3968
	v_cmp_lt_i32_e64 s[0:1], v20, v19
	s_waitcnt vmcnt(23)
	v_lshlrev_b32_e32 v66, 16, v66
	s_waitcnt vmcnt(22)
	v_lshlrev_b32_e32 v67, 16, v67
	;; [unrolled: 2-line block ×15, first 2 shown]
	v_lshlrev_b32_e32 v55, 16, v55
	v_mul_f32_e32 v24, v24, v55
	v_lshlrev_b32_e32 v56, 16, v56
	v_lshlrev_b32_e32 v57, 16, v57
	v_lshlrev_b32_e32 v58, 16, v58
	v_lshlrev_b32_e32 v59, 16, v59
	v_lshlrev_b32_e32 v60, 16, v60
	v_lshlrev_b32_e32 v62, 16, v62
	v_fmac_f32_e32 v24, v42, v62
	v_fmac_f32_e32 v24, v43, v56
	;; [unrolled: 1-line block ×5, first 2 shown]
	v_lshlrev_b32_e32 v61, 16, v61
	v_fmac_f32_e32 v24, v45, v60
	v_fmac_f32_e32 v24, v27, v61
	;; [unrolled: 1-line block ×16, first 2 shown]
	s_waitcnt vmcnt(8)
	v_lshlrev_b32_e32 v81, 16, v81
	v_fmac_f32_e32 v24, v53, v80
	s_waitcnt vmcnt(7)
	v_lshlrev_b32_e32 v82, 16, v82
	v_fmac_f32_e32 v24, v35, v81
	;; [unrolled: 3-line block ×8, first 2 shown]
	v_cndmask_b32_e64 v7, v18, v20, s[0:1]
	v_fmac_f32_e32 v24, v65, v88
	s_waitcnt vmcnt(0)
	v_lshlrev_b32_e32 v6, 16, v6
	v_lshlrev_b32_e32 v7, 2, v7
	v_fmac_f32_e32 v24, v41, v6
	ds_bpermute_b32 v6, v7, v24
	v_cmp_lt_i32_e64 s[0:1], v21, v19
	s_waitcnt lgkmcnt(0)
	v_add_f32_e32 v6, v24, v6
	v_cndmask_b32_e64 v7, v18, v21, s[0:1]
	v_lshlrev_b32_e32 v7, 2, v7
	ds_bpermute_b32 v7, v7, v6
	v_cmp_lt_i32_e64 s[0:1], v22, v19
	s_waitcnt lgkmcnt(0)
	v_add_f32_e32 v6, v6, v7
	v_cndmask_b32_e64 v24, v18, v22, s[0:1]
	v_lshlrev_b32_e32 v24, 2, v24
	ds_bpermute_b32 v7, v24, v6
	s_and_saveexec_b64 s[38:39], vcc
	s_cbranch_execz .LBB116_12
; %bb.20:                               ;   in Loop: Header=BB116_14 Depth=1
	v_add_u32_e32 v24, v15, v14
	v_cvt_f32_i32_e32 v24, v24
	s_waitcnt lgkmcnt(0)
	v_add_f32_e32 v6, v6, v7
	v_add_u32_e32 v25, v10, v14
	v_cmp_gt_i32_e64 s[0:1], s33, v25
	v_mul_f32_e32 v7, s42, v24
	v_cndmask_b32_e64 v7, 0, v7, s[2:3]
	v_fmac_f32_e32 v7, s31, v6
	v_cndmask_b32_e64 v6, 0, v7, s[0:1]
	ds_write_b32 v16, v6
	v_max_f32_e32 v6, v12, v12
	v_max_f32_e32 v6, v6, v7
	v_cndmask_b32_e64 v12, v12, v6, s[0:1]
	s_branch .LBB116_12
.LBB116_21:
	s_or_b64 exec, exec, s[36:37]
.LBB116_22:
	s_or_b64 exec, exec, s[34:35]
	v_mbcnt_hi_u32_b32 v2, -1, v9
	v_and_b32_e32 v11, 64, v2
	v_add_u32_e32 v3, 64, v11
	v_xor_b32_e32 v4, 32, v2
	v_cmp_lt_i32_e32 vcc, v4, v3
	s_waitcnt lgkmcnt(0)
	v_xor_b32_e32 v7, 16, v2
	v_max_f32_e32 v6, v12, v12
	v_cndmask_b32_e32 v4, v2, v4, vcc
	v_lshlrev_b32_e32 v5, 2, v4
	ds_bpermute_b32 v4, v5, v12
	v_cmp_lt_i32_e32 vcc, v7, v3
	v_xor_b32_e32 v9, 8, v2
	v_and_b32_e32 v38, 63, v0
	s_waitcnt lgkmcnt(0)
	v_max_f32_e32 v4, v4, v4
	v_max_f32_e32 v4, v6, v4
	v_cndmask_b32_e32 v6, v2, v7, vcc
	v_lshlrev_b32_e32 v7, 2, v6
	ds_bpermute_b32 v6, v7, v4
	v_cmp_lt_i32_e32 vcc, v9, v3
	s_waitcnt lgkmcnt(0)
	v_max_f32_e32 v6, v6, v6
	v_max_f32_e32 v6, v4, v6
	v_cndmask_b32_e32 v4, v2, v9, vcc
	v_lshlrev_b32_e32 v10, 2, v4
	ds_bpermute_b32 v9, v10, v6
	v_cmp_eq_u32_e32 vcc, 0, v38
	v_lshlrev_b32_e32 v4, 2, v36
	s_and_saveexec_b64 s[0:1], vcc
	s_cbranch_execz .LBB116_24
; %bb.23:
	s_waitcnt lgkmcnt(0)
	v_max_f32_e32 v9, v9, v9
	v_max_f32_e32 v6, v6, v6
	;; [unrolled: 1-line block ×3, first 2 shown]
	ds_write_b32 v4, v6 offset:512
.LBB116_24:
	s_or_b64 exec, exec, s[0:1]
	v_cmp_gt_u32_e64 s[0:1], 2, v38
	v_mov_b32_e32 v12, 0xff7fffff
	v_lshlrev_b32_e32 v6, 2, v38
	s_waitcnt lgkmcnt(0)
	s_barrier
	s_and_saveexec_b64 s[2:3], s[0:1]
; %bb.25:
	ds_read_b32 v12, v6 offset:512
; %bb.26:
	s_or_b64 exec, exec, s[2:3]
	v_xor_b32_e32 v9, 1, v2
	v_cmp_lt_i32_e64 s[2:3], v9, v3
	v_lshlrev_b32_e32 v11, 2, v11
	s_nop 0
	v_cndmask_b32_e64 v9, v2, v9, s[2:3]
	v_lshlrev_b32_e32 v9, 2, v9
	s_waitcnt lgkmcnt(0)
	ds_bpermute_b32 v13, v9, v12
	v_max_f32_e32 v12, v12, v12
	s_lshl_b32 s2, s16, 3
	s_min_i32 s15, s2, s33
	v_cmp_gt_i32_e64 s[2:3], s15, v0
	s_waitcnt lgkmcnt(0)
	v_max_f32_e32 v13, v13, v13
	v_max_f32_e32 v12, v12, v13
	ds_bpermute_b32 v12, v11, v12
	v_mov_b32_e32 v11, 0
	s_and_saveexec_b64 s[30:31], s[2:3]
	s_cbranch_execz .LBB116_30
; %bb.27:
	v_mov_b32_e32 v11, 0x210
	v_lshl_add_u32 v13, v0, 2, v11
	v_mov_b32_e32 v11, 0
	s_mov_b64 s[34:35], 0
	v_mov_b32_e32 v14, v0
.LBB116_28:                             ; =>This Inner Loop Header: Depth=1
	ds_read_b32 v15, v13
	v_add_u32_e32 v14, 0x80, v14
	v_cmp_le_i32_e64 s[8:9], s15, v14
	s_or_b64 s[34:35], s[8:9], s[34:35]
	s_waitcnt lgkmcnt(0)
	v_sub_f32_e32 v15, v15, v12
	v_mul_f32_e32 v15, 0x3fb8aa3b, v15
	v_exp_f32_e32 v15, v15
	ds_write_b32 v13, v15
	v_add_f32_e32 v11, v11, v15
	v_add_u32_e32 v13, 0x200, v13
	s_andn2_b64 exec, exec, s[34:35]
	s_cbranch_execnz .LBB116_28
; %bb.29:
	s_or_b64 exec, exec, s[34:35]
.LBB116_30:
	s_or_b64 exec, exec, s[30:31]
	ds_bpermute_b32 v5, v5, v11
	s_waitcnt lgkmcnt(0)
	v_add_f32_e32 v5, v11, v5
	ds_bpermute_b32 v7, v7, v5
	s_waitcnt lgkmcnt(0)
	v_add_f32_e32 v5, v5, v7
	ds_bpermute_b32 v7, v10, v5
	v_xor_b32_e32 v10, 4, v2
	v_cmp_lt_i32_e64 s[8:9], v10, v3
	s_waitcnt lgkmcnt(0)
	v_add_f32_e32 v5, v5, v7
	v_cndmask_b32_e64 v10, v2, v10, s[8:9]
	v_lshlrev_b32_e32 v10, 2, v10
	ds_bpermute_b32 v7, v10, v5
	v_xor_b32_e32 v10, 2, v2
	v_cmp_lt_i32_e64 s[8:9], v10, v3
	s_waitcnt lgkmcnt(0)
	v_add_f32_e32 v5, v5, v7
	v_cndmask_b32_e64 v3, v2, v10, s[8:9]
	v_lshlrev_b32_e32 v3, 2, v3
	ds_bpermute_b32 v3, v3, v5
	s_waitcnt lgkmcnt(0)
	v_add_f32_e32 v3, v5, v3
	ds_bpermute_b32 v5, v9, v3
	s_waitcnt lgkmcnt(0)
	v_add_f32_e32 v3, v3, v5
	s_and_saveexec_b64 s[8:9], vcc
; %bb.31:
	ds_write_b32 v4, v3 offset:520
; %bb.32:
	s_or_b64 exec, exec, s[8:9]
	s_waitcnt lgkmcnt(0)
	s_barrier
	s_and_saveexec_b64 s[8:9], s[0:1]
; %bb.33:
	ds_read_b32 v3, v6 offset:520
; %bb.34:
	s_or_b64 exec, exec, s[8:9]
	s_waitcnt lgkmcnt(0)
	ds_bpermute_b32 v4, v9, v3
	v_lshlrev_b32_e32 v2, 2, v2
	v_and_b32_e32 v2, 0x100, v2
	s_waitcnt lgkmcnt(0)
	v_add_f32_e32 v3, v3, v4
	ds_bpermute_b32 v2, v2, v3
	s_and_saveexec_b64 s[0:1], s[2:3]
	s_cbranch_execz .LBB116_47
; %bb.35:
	s_waitcnt lgkmcnt(0)
	v_add_f32_e32 v2, 0x358637bd, v2
	v_div_scale_f32 v3, s[2:3], v2, v2, 1.0
	v_rcp_f32_e32 v4, v3
	v_div_scale_f32 v5, vcc, 1.0, v2, 1.0
	s_movk_i32 s2, 0x7f
	v_fma_f32 v6, -v3, v4, 1.0
	v_fmac_f32_e32 v4, v6, v4
	v_mul_f32_e32 v6, v5, v4
	v_fma_f32 v7, -v3, v6, v5
	v_fmac_f32_e32 v6, v7, v4
	v_fma_f32 v3, -v3, v6, v5
	v_div_fmas_f32 v3, v3, v4, v6
	v_xad_u32 v4, v0, -1, s15
	v_div_fixup_f32 v2, v3, v2, 1.0
	v_cmp_lt_u32_e32 vcc, s2, v4
	s_mov_b64 s[8:9], -1
	v_mov_b32_e32 v3, v0
	s_and_saveexec_b64 s[2:3], vcc
	s_cbranch_execz .LBB116_44
; %bb.36:
	v_lshrrev_b32_e32 v4, 7, v4
	v_add_u32_e32 v6, -1, v4
	v_lshrrev_b32_e32 v5, 1, v6
	v_mov_b32_e32 v3, v2
	v_add_u32_e32 v5, 1, v5
	v_cmp_lt_u32_e32 vcc, 13, v6
	v_mov_b32_e32 v9, 0
	s_and_saveexec_b64 s[8:9], vcc
	s_cbranch_execz .LBB116_40
; %bb.37:
	v_mov_b32_e32 v7, 0x210
	v_and_b32_e32 v6, -8, v5
	v_lshl_add_u32 v7, v0, 2, v7
	s_mov_b32 s34, 0
	s_mov_b64 s[30:31], 0
.LBB116_38:                             ; =>This Inner Loop Header: Depth=1
	ds_read2st64_b32 v[10:11], v7 offset1:2
	ds_read2st64_b32 v[12:13], v7 offset0:4 offset1:6
	ds_read2st64_b32 v[14:15], v7 offset0:8 offset1:10
	;; [unrolled: 1-line block ×3, first 2 shown]
	v_add_u32_e32 v6, -8, v6
	s_waitcnt lgkmcnt(3)
	v_pk_mul_f32 v[10:11], v[2:3], v[10:11]
	s_waitcnt lgkmcnt(2)
	v_pk_mul_f32 v[12:13], v[2:3], v[12:13]
	ds_write2st64_b32 v7, v10, v11 offset1:2
	ds_write2st64_b32 v7, v12, v13 offset0:4 offset1:6
	ds_read2st64_b32 v[12:13], v7 offset0:16 offset1:18
	s_waitcnt lgkmcnt(4)
	v_pk_mul_f32 v[10:11], v[2:3], v[14:15]
	ds_write2st64_b32 v7, v10, v11 offset0:8 offset1:10
	s_waitcnt lgkmcnt(4)
	v_pk_mul_f32 v[10:11], v[2:3], v[16:17]
	ds_write2st64_b32 v7, v10, v11 offset0:12 offset1:14
	ds_read2st64_b32 v[10:11], v7 offset0:20 offset1:22
	s_waitcnt lgkmcnt(3)
	v_pk_mul_f32 v[12:13], v[2:3], v[12:13]
	ds_read2st64_b32 v[14:15], v7 offset0:24 offset1:26
	ds_write2st64_b32 v7, v12, v13 offset0:16 offset1:18
	ds_read2st64_b32 v[12:13], v7 offset0:28 offset1:30
	s_waitcnt lgkmcnt(3)
	v_pk_mul_f32 v[10:11], v[2:3], v[10:11]
	ds_write2st64_b32 v7, v10, v11 offset0:20 offset1:22
	s_waitcnt lgkmcnt(3)
	v_pk_mul_f32 v[10:11], v[2:3], v[14:15]
	ds_write2st64_b32 v7, v10, v11 offset0:24 offset1:26
	s_waitcnt lgkmcnt(2)
	v_pk_mul_f32 v[10:11], v[2:3], v[12:13]
	s_add_i32 s34, s34, 16
	v_cmp_eq_u32_e32 vcc, 0, v6
	ds_write2st64_b32 v7, v10, v11 offset0:28 offset1:30
	v_add_u32_e32 v7, 0x2000, v7
	s_or_b64 s[30:31], vcc, s[30:31]
	v_mov_b32_e32 v9, s34
	s_andn2_b64 exec, exec, s[30:31]
	s_cbranch_execnz .LBB116_38
; %bb.39:
	s_or_b64 exec, exec, s[30:31]
.LBB116_40:
	s_or_b64 exec, exec, s[8:9]
	v_and_b32_e32 v5, 7, v5
	v_cmp_ne_u32_e32 vcc, 0, v5
	s_and_saveexec_b64 s[8:9], vcc
	s_cbranch_execz .LBB116_43
; %bb.41:
	v_lshlrev_b32_e32 v6, 9, v9
	v_lshlrev_b32_e32 v7, 2, v0
	s_movk_i32 s30, 0x210
	v_add3_u32 v6, v6, v7, s30
	s_mov_b64 s[30:31], 0
.LBB116_42:                             ; =>This Inner Loop Header: Depth=1
	ds_read2st64_b32 v[10:11], v6 offset1:2
	v_add_u32_e32 v5, -1, v5
	v_cmp_eq_u32_e32 vcc, 0, v5
	s_or_b64 s[30:31], vcc, s[30:31]
	s_waitcnt lgkmcnt(0)
	v_pk_mul_f32 v[10:11], v[2:3], v[10:11]
	ds_write2st64_b32 v6, v10, v11 offset1:2
	v_add_u32_e32 v6, 0x400, v6
	s_andn2_b64 exec, exec, s[30:31]
	s_cbranch_execnz .LBB116_42
.LBB116_43:
	s_or_b64 exec, exec, s[8:9]
	v_add_u32_e32 v4, 1, v4
	v_and_b32_e32 v5, 0x3fffffe, v4
	v_cmp_ne_u32_e32 vcc, v4, v5
	v_lshl_add_u32 v3, v5, 7, v0
	s_orn2_b64 s[8:9], vcc, exec
.LBB116_44:
	s_or_b64 exec, exec, s[2:3]
	s_and_b64 exec, exec, s[8:9]
	s_cbranch_execz .LBB116_47
; %bb.45:
	v_mov_b32_e32 v4, 0x210
	v_lshl_add_u32 v4, v3, 2, v4
	s_mov_b64 s[2:3], 0
.LBB116_46:                             ; =>This Inner Loop Header: Depth=1
	ds_read_b32 v5, v4
	v_add_u32_e32 v3, 0x80, v3
	v_cmp_le_i32_e32 vcc, s15, v3
	s_or_b64 s[2:3], vcc, s[2:3]
	s_waitcnt lgkmcnt(0)
	v_mul_f32_e32 v5, v2, v5
	ds_write_b32 v4, v5
	v_add_u32_e32 v4, 0x200, v4
	s_andn2_b64 exec, exec, s[2:3]
	s_cbranch_execnz .LBB116_46
.LBB116_47:
	s_or_b64 exec, exec, s[0:1]
	v_mov_b32_e32 v30, 0
	v_mov_b32_e32 v31, v30
	;; [unrolled: 1-line block ×3, first 2 shown]
	v_mov_b64_e32 v[28:29], v[30:31]
	s_waitcnt lgkmcnt(0)
	s_barrier
	s_and_saveexec_b64 s[8:9], s[6:7]
	s_cbranch_execz .LBB116_61
; %bb.48:
	s_ashr_i32 s15, s14, 31
	s_sub_i32 s17, s12, s17
	s_lshl_b64 s[0:1], s[14:15], 1
	s_add_u32 s0, s28, s0
	s_addc_u32 s1, s29, s1
	s_abs_i32 s18, s18
	v_cvt_f32_u32_e32 v2, s18
	v_lshlrev_b32_e32 v26, 4, v38
	v_mov_b32_e32 v27, 0
	v_lshl_add_u64 v[32:33], s[0:1], 0, v[26:27]
	v_rcp_iflag_f32_e32 v2, v2
	s_sub_i32 s0, 0, s18
	s_add_i32 s30, s16, -1
	v_and_b32_e32 v26, 60, v8
	v_mul_f32_e32 v2, 0x4f7ffffe, v2
	v_cvt_u32_f32_e32 v2, v2
	s_mov_b32 s28, s13
	s_mov_b32 s29, s33
	s_mov_b64 s[6:7], 0
	v_mul_lo_u32 v3, s0, v2
	s_lshl_b64 s[0:1], s[26:27], 2
	s_add_u32 s0, s24, s0
	v_mul_hi_u32 v3, v2, v3
	s_addc_u32 s1, s25, s1
	v_add_u32_e32 v31, v2, v3
	v_lshl_add_u64 v[34:35], s[0:1], 0, v[26:27]
	v_mov_b32_e32 v2, 0x210
	v_mov_b32_e32 v26, v27
	v_lshl_add_u32 v39, v36, 5, v2
	s_mov_b32 s24, 0x5040100
	v_mov_b64_e32 v[28:29], v[26:27]
	v_mov_b32_e32 v26, 0
	v_mov_b32_e32 v30, 0
	s_branch .LBB116_51
.LBB116_49:                             ;   in Loop: Header=BB116_51 Depth=1
	s_or_b64 exec, exec, s[2:3]
	s_waitcnt lgkmcnt(1)
	v_cvt_pk_bf16_f32 v14, v14, s0
	v_cvt_pk_bf16_f32 v15, v15, s0
	;; [unrolled: 1-line block ×4, first 2 shown]
	s_waitcnt vmcnt(1)
	v_and_b32_e32 v40, 0xffff0000, v22
	v_lshlrev_b32_e32 v15, 16, v15
	v_lshlrev_b32_e32 v22, 16, v22
	;; [unrolled: 1-line block ×3, first 2 shown]
	v_mul_f32_e32 v40, v15, v40
	v_mul_f32_e32 v22, v14, v22
	v_and_b32_e32 v41, 0xffff0000, v23
	v_lshlrev_b32_e32 v17, 16, v17
	v_lshlrev_b32_e32 v23, 16, v23
	;; [unrolled: 1-line block ×3, first 2 shown]
	s_waitcnt lgkmcnt(0)
	v_cvt_pk_bf16_f32 v10, v10, s0
	v_cvt_pk_bf16_f32 v11, v11, s0
	;; [unrolled: 1-line block ×4, first 2 shown]
	v_mul_f32_e32 v41, v17, v41
	v_mul_f32_e32 v23, v16, v23
	v_cvt_pk_bf16_f32 v41, v41, s0
	v_cvt_pk_bf16_f32 v23, v23, s0
	v_and_b32_e32 v42, 0xffff0000, v24
	v_lshlrev_b32_e32 v11, 16, v11
	v_lshlrev_b32_e32 v24, 16, v24
	v_lshlrev_b32_e32 v43, 16, v10
	v_lshlrev_b32_e32 v22, 16, v22
	v_lshlrev_b32_e32 v40, 16, v40
	v_cvt_pk_bf16_f32 v12, v12, s0
	v_cvt_pk_bf16_f32 v13, v13, s0
	v_mul_f32_e32 v42, v11, v42
	v_mul_f32_e32 v10, v43, v24
	v_add_f32_e32 v22, v22, v40
	v_lshlrev_b32_e32 v23, 16, v23
	v_lshlrev_b32_e32 v40, 16, v41
	v_cvt_pk_bf16_f32 v42, v42, s0
	v_cvt_pk_bf16_f32 v10, v10, s0
	v_and_b32_e32 v24, 0xffff0000, v25
	v_lshlrev_b32_e32 v13, 16, v13
	v_lshlrev_b32_e32 v25, 16, v25
	;; [unrolled: 1-line block ×3, first 2 shown]
	v_add_f32_e32 v23, v23, v40
	v_mul_f32_e32 v24, v13, v24
	v_mul_f32_e32 v25, v12, v25
	v_add_f32_e32 v22, v23, v22
	v_lshlrev_b32_e32 v10, 16, v10
	v_lshlrev_b32_e32 v23, 16, v42
	v_cvt_pk_bf16_f32 v24, v24, s0
	v_cvt_pk_bf16_f32 v25, v25, s0
	v_add_f32_e32 v10, v10, v23
	v_add_f32_e32 v10, v10, v22
	v_lshlrev_b32_e32 v22, 16, v25
	v_lshlrev_b32_e32 v23, 16, v24
	v_add_f32_e32 v22, v22, v23
	v_add_f32_e32 v10, v22, v10
	v_and_b32_e32 v22, 0xffff0000, v6
	v_lshlrev_b32_e32 v6, 16, v6
	v_mul_f32_e32 v22, v15, v22
	v_mul_f32_e32 v6, v14, v6
	v_and_b32_e32 v23, 0xffff0000, v7
	v_lshlrev_b32_e32 v7, 16, v7
	v_cvt_pk_bf16_f32 v22, v22, s0
	v_cvt_pk_bf16_f32 v6, v6, s0
	v_mul_f32_e32 v23, v17, v23
	v_mul_f32_e32 v7, v16, v7
	v_cvt_pk_bf16_f32 v23, v23, s0
	v_cvt_pk_bf16_f32 v7, v7, s0
	v_and_b32_e32 v24, 0xffff0000, v8
	v_lshlrev_b32_e32 v8, 16, v8
	v_lshlrev_b32_e32 v6, 16, v6
	;; [unrolled: 1-line block ×3, first 2 shown]
	v_mul_f32_e32 v24, v11, v24
	v_mul_f32_e32 v8, v43, v8
	v_add_f32_e32 v6, v6, v22
	v_lshlrev_b32_e32 v7, 16, v7
	v_lshlrev_b32_e32 v22, 16, v23
	v_cvt_pk_bf16_f32 v24, v24, s0
	v_cvt_pk_bf16_f32 v8, v8, s0
	v_and_b32_e32 v25, 0xffff0000, v9
	v_lshlrev_b32_e32 v9, 16, v9
	v_add_f32_e32 v7, v7, v22
	v_mul_f32_e32 v25, v13, v25
	v_mul_f32_e32 v9, v12, v9
	v_add_f32_e32 v6, v7, v6
	v_lshlrev_b32_e32 v7, 16, v8
	v_lshlrev_b32_e32 v8, 16, v24
	v_cvt_pk_bf16_f32 v25, v25, s0
	v_cvt_pk_bf16_f32 v9, v9, s0
	v_add_f32_e32 v7, v7, v8
	v_add_f32_e32 v6, v7, v6
	v_lshlrev_b32_e32 v7, 16, v9
	v_lshlrev_b32_e32 v8, 16, v25
	v_add_f32_e32 v7, v7, v8
	v_add_f32_e32 v6, v7, v6
	v_add_f32_e32 v30, v30, v6
	v_and_b32_e32 v6, 0xffff0000, v2
	v_lshlrev_b32_e32 v2, 16, v2
	v_mul_f32_e32 v6, v15, v6
	v_mul_f32_e32 v2, v14, v2
	v_and_b32_e32 v7, 0xffff0000, v3
	v_lshlrev_b32_e32 v3, 16, v3
	v_cvt_pk_bf16_f32 v6, v6, s0
	v_cvt_pk_bf16_f32 v2, v2, s0
	v_mul_f32_e32 v7, v17, v7
	v_mul_f32_e32 v3, v16, v3
	v_cvt_pk_bf16_f32 v7, v7, s0
	v_cvt_pk_bf16_f32 v3, v3, s0
	v_and_b32_e32 v8, 0xffff0000, v4
	v_lshlrev_b32_e32 v4, 16, v4
	v_lshlrev_b32_e32 v2, 16, v2
	;; [unrolled: 1-line block ×3, first 2 shown]
	v_mul_f32_e32 v8, v11, v8
	v_mul_f32_e32 v4, v43, v4
	v_add_f32_e32 v2, v2, v6
	v_lshlrev_b32_e32 v3, 16, v3
	v_lshlrev_b32_e32 v6, 16, v7
	v_cvt_pk_bf16_f32 v8, v8, s0
	v_cvt_pk_bf16_f32 v4, v4, s0
	v_and_b32_e32 v9, 0xffff0000, v5
	v_lshlrev_b32_e32 v5, 16, v5
	v_add_f32_e32 v3, v3, v6
	v_mul_f32_e32 v5, v12, v5
	v_add_f32_e32 v2, v3, v2
	v_lshlrev_b32_e32 v3, 16, v4
	v_lshlrev_b32_e32 v4, 16, v8
	v_cvt_pk_bf16_f32 v5, v5, s0
	v_add_f32_e32 v3, v3, v4
	v_add_f32_e32 v2, v3, v2
	v_lshlrev_b32_e32 v3, 16, v5
	s_waitcnt vmcnt(0)
	v_and_b32_e32 v5, 0xffff0000, v19
	v_mul_f32_e32 v5, v17, v5
	v_mul_f32_e32 v9, v13, v9
	v_cvt_pk_bf16_f32 v6, v5, s0
	v_lshlrev_b32_e32 v5, 16, v20
	v_cvt_pk_bf16_f32 v9, v9, s0
	v_mul_f32_e32 v5, v43, v5
	v_lshlrev_b32_e32 v4, 16, v9
	v_cvt_pk_bf16_f32 v7, v5, s0
	v_and_b32_e32 v5, 0xffff0000, v20
	v_add_f32_e32 v3, v3, v4
	v_mul_f32_e32 v5, v11, v5
	v_add_f32_e32 v2, v3, v2
	v_cvt_pk_bf16_f32 v8, v5, s0
	v_lshlrev_b32_e32 v5, 16, v21
	v_add_f32_e32 v26, v26, v2
	v_lshlrev_b32_e32 v2, 16, v18
	v_and_b32_e32 v3, 0xffff0000, v18
	v_lshlrev_b32_e32 v4, 16, v19
	v_mul_f32_e32 v5, v12, v5
	v_mul_f32_e32 v2, v14, v2
	;; [unrolled: 1-line block ×4, first 2 shown]
	v_cvt_pk_bf16_f32 v9, v5, s0
	v_and_b32_e32 v5, 0xffff0000, v21
	v_cvt_pk_bf16_f32 v2, v2, s0
	v_cvt_pk_bf16_f32 v3, v3, s0
	;; [unrolled: 1-line block ×3, first 2 shown]
	v_mul_f32_e32 v5, v13, v5
	v_cvt_pk_bf16_f32 v11, v5, s0
	v_lshlrev_b32_e32 v3, 16, v3
	v_lshlrev_b32_e32 v5, 16, v2
	;; [unrolled: 1-line block ×4, first 2 shown]
	v_pk_add_f32 v[2:3], v[4:5], v[2:3]
	v_lshlrev_b32_e32 v5, 16, v8
	v_lshlrev_b32_e32 v7, 16, v7
	;; [unrolled: 1-line block ×4, first 2 shown]
	v_pk_add_f32 v[4:5], v[6:7], v[4:5]
	v_add_f32_e32 v2, v2, v3
	v_add_f32_e32 v2, v5, v2
	;; [unrolled: 1-line block ×3, first 2 shown]
	v_pk_add_f32 v[2:3], v[28:29], v[2:3] op_sel_hi:[1,0]
	v_add_f32_e32 v10, v28, v10
	v_mov_b32_e32 v11, v3
	v_mov_b64_e32 v[28:29], v[10:11]
.LBB116_50:                             ;   in Loop: Header=BB116_51 Depth=1
	s_or_b64 exec, exec, s[12:13]
	v_add_u32_e32 v36, 2, v36
	v_cmp_le_i32_e32 vcc, s16, v36
	v_lshl_add_u64 v[34:35], v[34:35], 0, 8
	v_add_u32_e32 v37, 16, v37
	s_or_b64 s[6:7], vcc, s[6:7]
	v_add_u32_e32 v39, 64, v39
	s_andn2_b64 exec, exec, s[6:7]
	s_cbranch_execz .LBB116_60
.LBB116_51:                             ; =>This Inner Loop Header: Depth=1
	v_mul_hi_u32 v2, v37, s40
	v_mul_lo_u32 v3, v2, s21
	v_sub_u32_e32 v3, v37, v3
	v_add_u32_e32 v4, 1, v2
	v_cmp_le_u32_e32 vcc, s21, v3
	s_nop 1
	v_cndmask_b32_e32 v2, v2, v4, vcc
	v_subrev_u32_e32 v4, s21, v3
	v_cndmask_b32_e32 v3, v3, v4, vcc
	v_add_u32_e32 v4, 1, v2
	v_cmp_le_u32_e32 vcc, s21, v3
	s_nop 1
	v_cndmask_b32_e32 v2, v2, v4, vcc
	v_xor_b32_e32 v2, s19, v2
	v_subrev_u32_e32 v2, s19, v2
	v_add_u32_e32 v3, s41, v2
	v_sub_u32_e32 v5, 0, v3
	v_ashrrev_i32_e32 v4, 31, v3
	v_max_i32_e32 v3, v3, v5
	v_mul_hi_u32 v5, v3, v31
	v_mul_lo_u32 v5, v5, s18
	v_sub_u32_e32 v3, v3, v5
	v_subrev_u32_e32 v5, s18, v3
	v_cmp_le_u32_e32 vcc, s18, v3
	v_cmp_lt_i32_e64 s[0:1], s17, v2
	s_nop 0
	v_cndmask_b32_e32 v3, v3, v5, vcc
	v_subrev_u32_e32 v5, s18, v3
	v_cmp_le_u32_e32 vcc, s18, v3
	s_nop 1
	v_cndmask_b32_e32 v3, v3, v5, vcc
	v_xor_b32_e32 v3, v3, v4
	v_sub_u32_e32 v3, v3, v4
	v_cmp_eq_u32_e32 vcc, 0, v3
	s_or_b64 s[0:1], vcc, s[0:1]
	s_and_saveexec_b64 s[12:13], s[0:1]
	s_cbranch_execz .LBB116_50
; %bb.52:                               ;   in Loop: Header=BB116_51 Depth=1
	global_load_dword v2, v[34:35], off
	v_add_u32_e32 v46, 1, v37
	v_or_b32_e32 v44, 3, v37
	v_or_b32_e32 v45, 2, v37
	;; [unrolled: 1-line block ×6, first 2 shown]
	s_waitcnt vmcnt(0)
	v_mad_i64_i32 v[2:3], s[0:1], v2, s28, 0
	v_lshl_add_u64 v[18:19], v[2:3], 1, v[32:33]
	global_load_dwordx4 v[2:5], v[18:19], off
	ds_read2_b64 v[14:17], v39 offset1:1
	ds_read2_b64 v[10:13], v39 offset0:2 offset1:3
	v_cmp_eq_u32_e64 s[0:1], s30, v36
	s_and_saveexec_b64 s[14:15], s[0:1]
	s_cbranch_execnz .LBB116_56
; %bb.53:                               ;   in Loop: Header=BB116_51 Depth=1
	s_or_b64 exec, exec, s[14:15]
	global_load_dwordx4 v[6:9], v[18:19], off offset:1024
	s_and_saveexec_b64 s[14:15], s[0:1]
	s_cbranch_execnz .LBB116_57
.LBB116_54:                             ;   in Loop: Header=BB116_51 Depth=1
	s_or_b64 exec, exec, s[14:15]
	global_load_dwordx4 v[22:25], v[18:19], off offset:2048
	s_and_saveexec_b64 s[14:15], s[0:1]
	s_cbranch_execnz .LBB116_58
.LBB116_55:                             ;   in Loop: Header=BB116_51 Depth=1
	s_or_b64 exec, exec, s[14:15]
	global_load_dwordx4 v[18:21], v[18:19], off offset:3072
	s_and_saveexec_b64 s[2:3], s[0:1]
	s_cbranch_execz .LBB116_49
	s_branch .LBB116_59
.LBB116_56:                             ;   in Loop: Header=BB116_51 Depth=1
	v_cmp_gt_i32_e32 vcc, s29, v46
	v_cmp_gt_i32_e64 s[2:3], s33, v45
	s_waitcnt vmcnt(0)
	v_cndmask_b32_sdwa v6, v27, v2, vcc dst_sel:DWORD dst_unused:UNUSED_PAD src0_sel:DWORD src1_sel:WORD_1
	v_cmp_gt_i32_e32 vcc, s33, v37
	s_nop 1
	v_cndmask_b32_e32 v2, 0, v2, vcc
	v_cmp_gt_i32_e32 vcc, s29, v44
	v_perm_b32 v2, v6, v2, s24
	v_cndmask_b32_e64 v6, 0, v3, s[2:3]
	v_cndmask_b32_sdwa v3, v27, v3, vcc dst_sel:DWORD dst_unused:UNUSED_PAD src0_sel:DWORD src1_sel:WORD_1
	v_cmp_gt_i32_e32 vcc, s29, v42
	v_cmp_gt_i32_e64 s[2:3], s33, v43
	v_perm_b32 v3, v3, v6, s24
	s_nop 0
	v_cndmask_b32_e64 v6, 0, v4, s[2:3]
	v_cndmask_b32_sdwa v4, v27, v4, vcc dst_sel:DWORD dst_unused:UNUSED_PAD src0_sel:DWORD src1_sel:WORD_1
	v_cmp_gt_i32_e32 vcc, s29, v40
	v_cmp_gt_i32_e64 s[2:3], s33, v41
	v_perm_b32 v4, v4, v6, s24
	s_nop 0
	v_cndmask_b32_e64 v6, 0, v5, s[2:3]
	v_cndmask_b32_sdwa v5, v27, v5, vcc dst_sel:DWORD dst_unused:UNUSED_PAD src0_sel:DWORD src1_sel:WORD_1
	v_perm_b32 v5, v5, v6, s24
	s_or_b64 exec, exec, s[14:15]
	global_load_dwordx4 v[6:9], v[18:19], off offset:1024
	s_and_saveexec_b64 s[14:15], s[0:1]
	s_cbranch_execz .LBB116_54
.LBB116_57:                             ;   in Loop: Header=BB116_51 Depth=1
	v_cmp_gt_i32_e32 vcc, s29, v46
	v_cmp_gt_i32_e64 s[2:3], s33, v45
	s_waitcnt vmcnt(0)
	v_cndmask_b32_sdwa v20, v27, v6, vcc dst_sel:DWORD dst_unused:UNUSED_PAD src0_sel:DWORD src1_sel:WORD_1
	v_cmp_gt_i32_e32 vcc, s33, v37
	s_nop 1
	v_cndmask_b32_e32 v6, 0, v6, vcc
	v_cmp_gt_i32_e32 vcc, s29, v44
	v_perm_b32 v6, v20, v6, s24
	v_cndmask_b32_e64 v20, 0, v7, s[2:3]
	v_cndmask_b32_sdwa v7, v27, v7, vcc dst_sel:DWORD dst_unused:UNUSED_PAD src0_sel:DWORD src1_sel:WORD_1
	v_cmp_gt_i32_e32 vcc, s29, v42
	v_cmp_gt_i32_e64 s[2:3], s33, v43
	v_perm_b32 v7, v7, v20, s24
	s_nop 0
	v_cndmask_b32_e64 v20, 0, v8, s[2:3]
	v_cndmask_b32_sdwa v8, v27, v8, vcc dst_sel:DWORD dst_unused:UNUSED_PAD src0_sel:DWORD src1_sel:WORD_1
	v_cmp_gt_i32_e32 vcc, s29, v40
	v_cmp_gt_i32_e64 s[2:3], s33, v41
	v_perm_b32 v8, v8, v20, s24
	s_nop 0
	v_cndmask_b32_e64 v20, 0, v9, s[2:3]
	v_cndmask_b32_sdwa v9, v27, v9, vcc dst_sel:DWORD dst_unused:UNUSED_PAD src0_sel:DWORD src1_sel:WORD_1
	v_perm_b32 v9, v9, v20, s24
	s_or_b64 exec, exec, s[14:15]
	global_load_dwordx4 v[22:25], v[18:19], off offset:2048
	s_and_saveexec_b64 s[14:15], s[0:1]
	s_cbranch_execz .LBB116_55
.LBB116_58:                             ;   in Loop: Header=BB116_51 Depth=1
	v_cmp_gt_i32_e32 vcc, s29, v46
	v_cmp_gt_i32_e64 s[2:3], s33, v45
	s_waitcnt vmcnt(0)
	v_cndmask_b32_sdwa v20, v27, v22, vcc dst_sel:DWORD dst_unused:UNUSED_PAD src0_sel:DWORD src1_sel:WORD_1
	v_cmp_gt_i32_e32 vcc, s33, v37
	s_nop 1
	v_cndmask_b32_e32 v21, 0, v22, vcc
	v_cmp_gt_i32_e32 vcc, s29, v44
	v_perm_b32 v22, v20, v21, s24
	v_cndmask_b32_e64 v20, 0, v23, s[2:3]
	v_cndmask_b32_sdwa v21, v27, v23, vcc dst_sel:DWORD dst_unused:UNUSED_PAD src0_sel:DWORD src1_sel:WORD_1
	v_cmp_gt_i32_e32 vcc, s29, v42
	v_cmp_gt_i32_e64 s[2:3], s33, v43
	v_perm_b32 v23, v21, v20, s24
	v_cndmask_b32_sdwa v21, v27, v24, vcc dst_sel:DWORD dst_unused:UNUSED_PAD src0_sel:DWORD src1_sel:WORD_1
	v_cndmask_b32_e64 v20, 0, v24, s[2:3]
	v_cmp_gt_i32_e32 vcc, s29, v40
	v_cmp_gt_i32_e64 s[2:3], s33, v41
	v_perm_b32 v24, v21, v20, s24
	v_cndmask_b32_sdwa v21, v27, v25, vcc dst_sel:DWORD dst_unused:UNUSED_PAD src0_sel:DWORD src1_sel:WORD_1
	v_cndmask_b32_e64 v20, 0, v25, s[2:3]
	v_perm_b32 v25, v21, v20, s24
	s_or_b64 exec, exec, s[14:15]
	global_load_dwordx4 v[18:21], v[18:19], off offset:3072
	s_and_saveexec_b64 s[2:3], s[0:1]
	s_cbranch_execz .LBB116_49
.LBB116_59:                             ;   in Loop: Header=BB116_51 Depth=1
	v_cmp_gt_i32_e32 vcc, s29, v46
	v_cmp_gt_i32_e64 s[0:1], s33, v45
	s_waitcnt vmcnt(0)
	v_cndmask_b32_sdwa v46, v27, v18, vcc dst_sel:DWORD dst_unused:UNUSED_PAD src0_sel:DWORD src1_sel:WORD_1
	v_cmp_gt_i32_e32 vcc, s33, v37
	s_nop 1
	v_cndmask_b32_e32 v18, 0, v18, vcc
	v_cmp_gt_i32_e32 vcc, s29, v44
	v_cndmask_b32_e64 v44, 0, v19, s[0:1]
	v_cmp_gt_i32_e64 s[0:1], s33, v43
	v_cndmask_b32_sdwa v19, v27, v19, vcc dst_sel:DWORD dst_unused:UNUSED_PAD src0_sel:DWORD src1_sel:WORD_1
	v_cmp_gt_i32_e32 vcc, s29, v42
	v_cndmask_b32_e64 v42, 0, v20, s[0:1]
	v_cmp_gt_i32_e64 s[0:1], s33, v41
	v_cndmask_b32_sdwa v20, v27, v20, vcc dst_sel:DWORD dst_unused:UNUSED_PAD src0_sel:DWORD src1_sel:WORD_1
	v_cmp_gt_i32_e32 vcc, s29, v40
	v_cndmask_b32_e64 v40, 0, v21, s[0:1]
	v_perm_b32 v18, v46, v18, s24
	v_cndmask_b32_sdwa v21, v27, v21, vcc dst_sel:DWORD dst_unused:UNUSED_PAD src0_sel:DWORD src1_sel:WORD_1
	v_perm_b32 v19, v19, v44, s24
	v_perm_b32 v20, v20, v42, s24
	;; [unrolled: 1-line block ×3, first 2 shown]
	s_branch .LBB116_49
.LBB116_60:
	s_or_b64 exec, exec, s[6:7]
.LBB116_61:
	s_or_b64 exec, exec, s[8:9]
	v_and_b32_e32 v2, 0x3c0, v0
	v_cmp_eq_u32_e32 vcc, 64, v2
	s_barrier
	s_and_saveexec_b64 s[0:1], vcc
	s_cbranch_execz .LBB116_63
; %bb.62:
	v_mov_b32_e32 v2, 0x210
	v_lshl_add_u32 v2, v38, 2, v2
	ds_write2st64_b32 v2, v26, v30 offset1:1
	ds_write2st64_b32 v2, v28, v29 offset0:2 offset1:3
.LBB116_63:
	s_or_b64 exec, exec, s[0:1]
	v_cmp_gt_u32_e32 vcc, 64, v0
	s_waitcnt lgkmcnt(0)
	s_barrier
	s_and_saveexec_b64 s[0:1], vcc
	s_cbranch_execz .LBB116_65
; %bb.64:
	v_mov_b32_e32 v2, 0x210
	v_lshl_add_u32 v0, v0, 2, v2
	ds_read2st64_b32 v[2:3], v0 offset1:1
	ds_read2st64_b32 v[4:5], v0 offset0:2 offset1:3
	v_mov_b32_e32 v27, v30
	s_waitcnt lgkmcnt(1)
	v_pk_add_f32 v[26:27], v[26:27], v[2:3]
	s_waitcnt lgkmcnt(0)
	v_pk_add_f32 v[28:29], v[28:29], v[4:5]
	v_mov_b32_e32 v30, v27
.LBB116_65:
	s_or_b64 exec, exec, s[0:1]
	s_barrier
	s_and_saveexec_b64 s[0:1], vcc
	s_cbranch_execz .LBB116_67
; %bb.66:
	s_mul_i32 s0, s10, s11
	s_mul_i32 s0, s0, s5
	s_lshl_b32 s0, s0, 8
	s_ashr_i32 s1, s0, 31
	s_lshl_b64 s[0:1], s[0:1], 1
	s_add_u32 s2, s22, s0
	s_mul_i32 s0, s11, s20
	s_addc_u32 s3, s23, s1
	s_ashr_i32 s1, s0, 31
	s_lshl_b64 s[0:1], s[0:1], 1
	s_add_u32 s2, s2, s0
	s_addc_u32 s3, s3, s1
	s_lshl_b32 s0, s4, 8
	s_ashr_i32 s1, s0, 31
	s_lshl_b64 s[0:1], s[0:1], 1
	s_add_u32 s0, s2, s0
	s_addc_u32 s1, s3, s1
	v_cvt_pk_bf16_f32 v0, v26, s0
	global_store_short v1, v0, s[0:1]
	v_cvt_pk_bf16_f32 v0, v30, s0
	global_store_short v1, v0, s[0:1] offset:128
	v_cvt_pk_bf16_f32 v0, v28, s0
	global_store_short v1, v0, s[0:1] offset:256
	;; [unrolled: 2-line block ×3, first 2 shown]
.LBB116_67:
	s_endpgm
	.section	.rodata,"a",@progbits
	.p2align	6, 0x0
	.amdhsa_kernel _ZN4vllm25paged_attention_v1_kernelI14__hip_bfloat16S1_Li256ELi8ELi128ELNS_18Fp8KVCacheDataTypeE0ELb1EEEvPT_PKS3_PKT0_S9_ifPKiSB_iPKfiiiSD_SD_iiiii
		.amdhsa_group_segment_fixed_size 528
		.amdhsa_private_segment_fixed_size 0
		.amdhsa_kernarg_size 384
		.amdhsa_user_sgpr_count 2
		.amdhsa_user_sgpr_dispatch_ptr 0
		.amdhsa_user_sgpr_queue_ptr 0
		.amdhsa_user_sgpr_kernarg_segment_ptr 1
		.amdhsa_user_sgpr_dispatch_id 0
		.amdhsa_user_sgpr_kernarg_preload_length 0
		.amdhsa_user_sgpr_kernarg_preload_offset 0
		.amdhsa_user_sgpr_private_segment_size 0
		.amdhsa_uses_dynamic_stack 0
		.amdhsa_enable_private_segment 0
		.amdhsa_system_sgpr_workgroup_id_x 1
		.amdhsa_system_sgpr_workgroup_id_y 1
		.amdhsa_system_sgpr_workgroup_id_z 1
		.amdhsa_system_sgpr_workgroup_info 0
		.amdhsa_system_vgpr_workitem_id 0
		.amdhsa_next_free_vgpr 89
		.amdhsa_next_free_sgpr 44
		.amdhsa_accum_offset 92
		.amdhsa_reserve_vcc 1
		.amdhsa_float_round_mode_32 0
		.amdhsa_float_round_mode_16_64 0
		.amdhsa_float_denorm_mode_32 3
		.amdhsa_float_denorm_mode_16_64 3
		.amdhsa_dx10_clamp 1
		.amdhsa_ieee_mode 1
		.amdhsa_fp16_overflow 0
		.amdhsa_tg_split 0
		.amdhsa_exception_fp_ieee_invalid_op 0
		.amdhsa_exception_fp_denorm_src 0
		.amdhsa_exception_fp_ieee_div_zero 0
		.amdhsa_exception_fp_ieee_overflow 0
		.amdhsa_exception_fp_ieee_underflow 0
		.amdhsa_exception_fp_ieee_inexact 0
		.amdhsa_exception_int_div_zero 0
	.end_amdhsa_kernel
	.section	.text._ZN4vllm25paged_attention_v1_kernelI14__hip_bfloat16S1_Li256ELi8ELi128ELNS_18Fp8KVCacheDataTypeE0ELb1EEEvPT_PKS3_PKT0_S9_ifPKiSB_iPKfiiiSD_SD_iiiii,"axG",@progbits,_ZN4vllm25paged_attention_v1_kernelI14__hip_bfloat16S1_Li256ELi8ELi128ELNS_18Fp8KVCacheDataTypeE0ELb1EEEvPT_PKS3_PKT0_S9_ifPKiSB_iPKfiiiSD_SD_iiiii,comdat
.Lfunc_end116:
	.size	_ZN4vllm25paged_attention_v1_kernelI14__hip_bfloat16S1_Li256ELi8ELi128ELNS_18Fp8KVCacheDataTypeE0ELb1EEEvPT_PKS3_PKT0_S9_ifPKiSB_iPKfiiiSD_SD_iiiii, .Lfunc_end116-_ZN4vllm25paged_attention_v1_kernelI14__hip_bfloat16S1_Li256ELi8ELi128ELNS_18Fp8KVCacheDataTypeE0ELb1EEEvPT_PKS3_PKT0_S9_ifPKiSB_iPKfiiiSD_SD_iiiii
                                        ; -- End function
	.set _ZN4vllm25paged_attention_v1_kernelI14__hip_bfloat16S1_Li256ELi8ELi128ELNS_18Fp8KVCacheDataTypeE0ELb1EEEvPT_PKS3_PKT0_S9_ifPKiSB_iPKfiiiSD_SD_iiiii.num_vgpr, 89
	.set _ZN4vllm25paged_attention_v1_kernelI14__hip_bfloat16S1_Li256ELi8ELi128ELNS_18Fp8KVCacheDataTypeE0ELb1EEEvPT_PKS3_PKT0_S9_ifPKiSB_iPKfiiiSD_SD_iiiii.num_agpr, 0
	.set _ZN4vllm25paged_attention_v1_kernelI14__hip_bfloat16S1_Li256ELi8ELi128ELNS_18Fp8KVCacheDataTypeE0ELb1EEEvPT_PKS3_PKT0_S9_ifPKiSB_iPKfiiiSD_SD_iiiii.numbered_sgpr, 44
	.set _ZN4vllm25paged_attention_v1_kernelI14__hip_bfloat16S1_Li256ELi8ELi128ELNS_18Fp8KVCacheDataTypeE0ELb1EEEvPT_PKS3_PKT0_S9_ifPKiSB_iPKfiiiSD_SD_iiiii.num_named_barrier, 0
	.set _ZN4vllm25paged_attention_v1_kernelI14__hip_bfloat16S1_Li256ELi8ELi128ELNS_18Fp8KVCacheDataTypeE0ELb1EEEvPT_PKS3_PKT0_S9_ifPKiSB_iPKfiiiSD_SD_iiiii.private_seg_size, 0
	.set _ZN4vllm25paged_attention_v1_kernelI14__hip_bfloat16S1_Li256ELi8ELi128ELNS_18Fp8KVCacheDataTypeE0ELb1EEEvPT_PKS3_PKT0_S9_ifPKiSB_iPKfiiiSD_SD_iiiii.uses_vcc, 1
	.set _ZN4vllm25paged_attention_v1_kernelI14__hip_bfloat16S1_Li256ELi8ELi128ELNS_18Fp8KVCacheDataTypeE0ELb1EEEvPT_PKS3_PKT0_S9_ifPKiSB_iPKfiiiSD_SD_iiiii.uses_flat_scratch, 0
	.set _ZN4vllm25paged_attention_v1_kernelI14__hip_bfloat16S1_Li256ELi8ELi128ELNS_18Fp8KVCacheDataTypeE0ELb1EEEvPT_PKS3_PKT0_S9_ifPKiSB_iPKfiiiSD_SD_iiiii.has_dyn_sized_stack, 0
	.set _ZN4vllm25paged_attention_v1_kernelI14__hip_bfloat16S1_Li256ELi8ELi128ELNS_18Fp8KVCacheDataTypeE0ELb1EEEvPT_PKS3_PKT0_S9_ifPKiSB_iPKfiiiSD_SD_iiiii.has_recursion, 0
	.set _ZN4vllm25paged_attention_v1_kernelI14__hip_bfloat16S1_Li256ELi8ELi128ELNS_18Fp8KVCacheDataTypeE0ELb1EEEvPT_PKS3_PKT0_S9_ifPKiSB_iPKfiiiSD_SD_iiiii.has_indirect_call, 0
	.section	.AMDGPU.csdata,"",@progbits
; Kernel info:
; codeLenInByte = 6256
; TotalNumSgprs: 50
; NumVgprs: 89
; NumAgprs: 0
; TotalNumVgprs: 89
; ScratchSize: 0
; MemoryBound: 0
; FloatMode: 240
; IeeeMode: 1
; LDSByteSize: 528 bytes/workgroup (compile time only)
; SGPRBlocks: 6
; VGPRBlocks: 11
; NumSGPRsForWavesPerEU: 50
; NumVGPRsForWavesPerEU: 89
; AccumOffset: 92
; Occupancy: 5
; WaveLimiterHint : 1
; COMPUTE_PGM_RSRC2:SCRATCH_EN: 0
; COMPUTE_PGM_RSRC2:USER_SGPR: 2
; COMPUTE_PGM_RSRC2:TRAP_HANDLER: 0
; COMPUTE_PGM_RSRC2:TGID_X_EN: 1
; COMPUTE_PGM_RSRC2:TGID_Y_EN: 1
; COMPUTE_PGM_RSRC2:TGID_Z_EN: 1
; COMPUTE_PGM_RSRC2:TIDIG_COMP_CNT: 0
; COMPUTE_PGM_RSRC3_GFX90A:ACCUM_OFFSET: 22
; COMPUTE_PGM_RSRC3_GFX90A:TG_SPLIT: 0
	.section	.text._ZN4vllm25paged_attention_v1_kernelI14__hip_bfloat16S1_Li32ELi8ELi128ELNS_18Fp8KVCacheDataTypeE0ELb0EEEvPT_PKS3_PKT0_S9_ifPKiSB_iPKfiiiSD_SD_iiiii,"axG",@progbits,_ZN4vllm25paged_attention_v1_kernelI14__hip_bfloat16S1_Li32ELi8ELi128ELNS_18Fp8KVCacheDataTypeE0ELb0EEEvPT_PKS3_PKT0_S9_ifPKiSB_iPKfiiiSD_SD_iiiii,comdat
	.protected	_ZN4vllm25paged_attention_v1_kernelI14__hip_bfloat16S1_Li32ELi8ELi128ELNS_18Fp8KVCacheDataTypeE0ELb0EEEvPT_PKS3_PKT0_S9_ifPKiSB_iPKfiiiSD_SD_iiiii ; -- Begin function _ZN4vllm25paged_attention_v1_kernelI14__hip_bfloat16S1_Li32ELi8ELi128ELNS_18Fp8KVCacheDataTypeE0ELb0EEEvPT_PKS3_PKT0_S9_ifPKiSB_iPKfiiiSD_SD_iiiii
	.globl	_ZN4vllm25paged_attention_v1_kernelI14__hip_bfloat16S1_Li32ELi8ELi128ELNS_18Fp8KVCacheDataTypeE0ELb0EEEvPT_PKS3_PKT0_S9_ifPKiSB_iPKfiiiSD_SD_iiiii
	.p2align	8
	.type	_ZN4vllm25paged_attention_v1_kernelI14__hip_bfloat16S1_Li32ELi8ELi128ELNS_18Fp8KVCacheDataTypeE0ELb0EEEvPT_PKS3_PKT0_S9_ifPKiSB_iPKfiiiSD_SD_iiiii,@function
_ZN4vllm25paged_attention_v1_kernelI14__hip_bfloat16S1_Li32ELi8ELi128ELNS_18Fp8KVCacheDataTypeE0ELb0EEEvPT_PKS3_PKT0_S9_ifPKiSB_iPKfiiiSD_SD_iiiii: ; @_ZN4vllm25paged_attention_v1_kernelI14__hip_bfloat16S1_Li32ELi8ELi128ELNS_18Fp8KVCacheDataTypeE0ELb0EEEvPT_PKS3_PKT0_S9_ifPKiSB_iPKfiiiSD_SD_iiiii
; %bb.0:
	s_load_dword s5, s[0:1], 0x80
	s_load_dwordx2 s[6:7], s[0:1], 0x30
	s_load_dwordx2 s[8:9], s[0:1], 0x20
	s_mov_b32 s10, s3
	s_ashr_i32 s11, s3, 31
	s_lshl_b64 s[12:13], s[10:11], 2
	s_waitcnt lgkmcnt(0)
	s_add_u32 s6, s6, s12
	s_addc_u32 s7, s7, s13
	s_abs_i32 s3, s8
	v_cvt_f32_u32_e32 v1, s3
	s_sub_i32 s12, 0, s3
	s_abs_i32 s11, s5
	s_xor_b32 s8, s5, s8
	v_rcp_iflag_f32_e32 v1, v1
	s_ashr_i32 s8, s8, 31
	v_mul_f32_e32 v1, 0x4f7ffffe, v1
	v_cvt_u32_f32_e32 v1, v1
	s_nop 0
	v_readfirstlane_b32 s13, v1
	s_mul_i32 s12, s12, s13
	s_mul_hi_u32 s12, s13, s12
	s_add_i32 s13, s13, s12
	s_mul_hi_u32 s12, s11, s13
	s_mul_i32 s13, s12, s3
	s_sub_i32 s11, s11, s13
	s_add_i32 s13, s12, 1
	s_sub_i32 s14, s11, s3
	s_cmp_ge_u32 s11, s3
	s_cselect_b32 s12, s13, s12
	s_cselect_b32 s11, s14, s11
	s_add_i32 s13, s12, 1
	s_cmp_ge_u32 s11, s3
	s_cselect_b32 s3, s13, s12
	s_xor_b32 s3, s3, s8
	s_sub_i32 s16, s3, s8
	s_abs_i32 s18, s16
	v_cvt_f32_u32_e32 v1, s18
	s_load_dwordx2 s[12:13], s[0:1], 0x40
	s_sub_i32 s3, 0, s18
	s_abs_i32 s19, s2
	v_rcp_iflag_f32_e32 v1, v1
	s_mov_b32 s8, 0
	v_mul_f32_e32 v1, 0x4f7ffffe, v1
	v_cvt_u32_f32_e32 v1, v1
	s_nop 0
	v_readfirstlane_b32 s11, v1
	s_mul_i32 s3, s3, s11
	s_mul_hi_u32 s3, s11, s3
	s_add_i32 s11, s11, s3
	s_waitcnt lgkmcnt(0)
	s_cmp_eq_u64 s[12:13], 0
	s_mul_hi_u32 s22, s19, s11
	s_cbranch_scc1 .LBB117_2
; %bb.1:
	s_ashr_i32 s3, s2, 31
	s_lshl_b64 s[14:15], s[2:3], 2
	s_add_u32 s12, s12, s14
	s_addc_u32 s13, s13, s15
	s_load_dword s8, s[12:13], 0x0
.LBB117_2:
	s_load_dword s11, s[6:7], 0x0
	s_nop 0
	s_load_dwordx4 s[12:15], s[0:1], 0x48
	s_ashr_i32 s6, s2, 31
	s_ashr_i32 s7, s16, 31
	v_and_b32_e32 v4, 7, v0
	s_lshl_b32 s16, s2, 5
	v_cmp_gt_u32_e32 vcc, 32, v0
	s_and_saveexec_b64 s[2:3], vcc
	s_cbranch_execz .LBB117_4
; %bb.3:
	s_load_dwordx2 s[20:21], s[0:1], 0x8
	s_waitcnt lgkmcnt(0)
	s_mul_i32 s24, s12, s10
	s_ashr_i32 s25, s24, 31
	s_lshl_b64 s[24:25], s[24:25], 1
	v_lshlrev_b32_e32 v1, 1, v0
	s_add_u32 s12, s20, s24
	s_addc_u32 s15, s21, s25
	s_ashr_i32 s17, s16, 31
	s_lshl_b64 s[20:21], s[16:17], 1
	s_add_u32 s20, s12, s20
	s_addc_u32 s21, s15, s21
	global_load_ushort v1, v1, s[20:21]
	v_lshrrev_b32_e32 v2, 2, v0
	v_and_b32_e32 v2, 0xfe, v2
	v_lshl_add_u32 v2, v4, 3, v2
	s_waitcnt vmcnt(0)
	ds_write_b16 v2, v1
.LBB117_4:
	s_or_b64 exec, exec, s[2:3]
	s_waitcnt lgkmcnt(0)
	s_add_i32 s3, s11, 7
	s_ashr_i32 s12, s3, 31
	s_lshr_b32 s12, s12, 29
	s_add_i32 s3, s3, s12
	s_ashr_i32 s33, s3, 3
	s_xor_b32 s3, s6, s7
	s_mul_i32 s6, s22, s18
	s_sub_i32 s6, s19, s6
	s_add_i32 s7, s22, 1
	s_sub_i32 s12, s6, s18
	s_load_dwordx2 s[20:21], s[0:1], 0x28
	s_load_dword s2, s[0:1], 0x38
	s_cmp_ge_u32 s6, s18
	s_cselect_b32 s7, s7, s22
	s_cselect_b32 s6, s12, s6
	s_add_i32 s12, s7, 1
	s_cmp_ge_u32 s6, s18
	s_cselect_b32 s6, s12, s7
	v_lshrrev_b32_e32 v1, 6, v0
	s_xor_b32 s6, s6, s3
	s_waitcnt lgkmcnt(0)
	s_mul_i32 s22, s2, s10
	s_sub_i32 s12, s6, s3
	s_ashr_i32 s23, s22, 31
	v_cmp_gt_i32_e64 s[2:3], s33, v1
	v_cmp_le_i32_e32 vcc, s33, v1
	v_mbcnt_lo_u32_b32 v5, -1, 0
	s_barrier
                                        ; implicit-def: $vgpr7
                                        ; implicit-def: $vgpr9
                                        ; implicit-def: $vgpr8
	s_and_saveexec_b64 s[6:7], vcc
	s_xor_b64 s[6:7], exec, s[6:7]
; %bb.5:
	v_mbcnt_hi_u32_b32 v7, -1, v5
	v_and_b32_e32 v9, 64, v7
	v_add_u32_e32 v8, 64, v9
                                        ; implicit-def: $vgpr4
                                        ; implicit-def: $vgpr5
; %bb.6:
	s_or_saveexec_b64 s[26:27], s[6:7]
	s_load_dwordx2 s[18:19], s[0:1], 0x0
	s_load_dwordx2 s[24:25], s[0:1], 0x18
	s_load_dword s17, s[0:1], 0x88
	v_mov_b32_e32 v11, 0xff7fffff
	s_mul_i32 s14, s12, s14
	v_lshrrev_b32_e32 v6, 4, v0
	s_xor_b64 exec, exec, s[26:27]
	s_cbranch_execz .LBB117_12
; %bb.7:
	v_lshlrev_b32_e32 v2, 3, v4
	ds_read_b64 v[8:9], v2
	v_mbcnt_hi_u32_b32 v7, -1, v5
	v_xor_b32_e32 v5, 4, v7
	s_load_dwordx2 s[0:1], s[0:1], 0x10
	s_ashr_i32 s15, s14, 31
	s_waitcnt lgkmcnt(0)
	v_lshlrev_b32_e32 v13, 16, v9
	v_and_b32_e32 v14, 0xffff0000, v9
	v_and_b32_e32 v9, 64, v7
	v_lshlrev_b32_e32 v10, 16, v8
	v_and_b32_e32 v12, 0xffff0000, v8
	v_add_u32_e32 v8, 64, v9
	v_cmp_lt_i32_e32 vcc, v5, v8
	s_lshl_b64 s[6:7], s[14:15], 1
	v_bfe_u32 v11, v0, 3, 3
	v_cndmask_b32_e32 v5, v7, v5, vcc
	v_lshlrev_b32_e32 v15, 2, v5
	v_xor_b32_e32 v5, 2, v7
	v_cmp_lt_i32_e32 vcc, v5, v8
	s_add_u32 s0, s0, s6
	s_addc_u32 s1, s1, s7
	v_cndmask_b32_e32 v5, v7, v5, vcc
	v_lshlrev_b32_e32 v16, 2, v5
	v_xor_b32_e32 v5, 1, v7
	v_lshlrev_b32_e32 v20, 4, v11
	v_mov_b32_e32 v21, 0
	v_cmp_lt_i32_e32 vcc, v5, v8
	s_sub_i32 s15, 1, s11
	s_lshl_b64 s[6:7], s[22:23], 2
	v_lshl_add_u64 v[2:3], s[0:1], 0, v[20:21]
	v_lshlrev_b32_e32 v20, 1, v4
	v_cndmask_b32_e32 v5, v7, v5, vcc
	v_cmp_eq_u32_e32 vcc, 0, v4
	v_lshlrev_b32_e32 v4, 2, v11
	s_add_u32 s6, s20, s6
	v_lshl_add_u64 v[2:3], v[2:3], 0, v[20:21]
	v_lshl_or_b32 v4, v1, 5, v4
	v_and_b32_e32 v20, 60, v6
	s_addc_u32 s7, s21, s7
	s_mov_b32 s12, s13
	v_lshlrev_b32_e32 v17, 2, v5
	v_cmp_neq_f32_e64 s[0:1], s8, 0
	v_lshl_or_b32 v18, v1, 3, v11
	v_add_u32_e32 v19, 0x50, v4
	v_lshl_add_u64 v[4:5], s[6:7], 0, v[20:21]
	v_mov_b32_e32 v11, 0xff7fffff
	s_mov_b64 s[28:29], 0
	v_mov_b32_e32 v20, v1
	s_branch .LBB117_9
.LBB117_8:                              ;   in Loop: Header=BB117_9 Depth=1
	s_or_b64 exec, exec, s[30:31]
	v_add_u32_e32 v20, 2, v20
	v_cmp_le_i32_e64 s[6:7], s33, v20
	v_add_u32_e32 v18, 16, v18
	v_add_u32_e32 v19, 64, v19
	s_or_b64 s[28:29], s[6:7], s[28:29]
	v_lshl_add_u64 v[4:5], v[4:5], 0, 8
	s_andn2_b64 exec, exec, s[28:29]
	s_cbranch_execz .LBB117_11
.LBB117_9:                              ; =>This Inner Loop Header: Depth=1
	global_load_dword v21, v[4:5], off
	s_waitcnt vmcnt(0) lgkmcnt(0)
	v_mad_i64_i32 v[22:23], s[6:7], v21, s12, 0
	v_lshl_add_u64 v[22:23], v[22:23], 1, v[2:3]
	global_load_ushort v21, v[22:23], off
	global_load_ushort v24, v[22:23], off offset:128
	global_load_ushort v25, v[22:23], off offset:256
	;; [unrolled: 1-line block ×3, first 2 shown]
	s_waitcnt vmcnt(3)
	v_lshlrev_b32_e32 v21, 16, v21
	s_waitcnt vmcnt(2)
	v_lshlrev_b32_e32 v22, 16, v24
	v_mul_f32_e32 v22, v12, v22
	s_waitcnt vmcnt(1)
	v_lshlrev_b32_e32 v23, 16, v25
	v_fmac_f32_e32 v22, v10, v21
	v_fmac_f32_e32 v22, v13, v23
	s_waitcnt vmcnt(0)
	v_lshlrev_b32_e32 v21, 16, v26
	v_fmac_f32_e32 v22, v14, v21
	ds_bpermute_b32 v21, v15, v22
	s_waitcnt lgkmcnt(0)
	v_add_f32_e32 v21, v22, v21
	ds_bpermute_b32 v22, v16, v21
	s_waitcnt lgkmcnt(0)
	v_add_f32_e32 v21, v21, v22
	ds_bpermute_b32 v22, v17, v21
	s_and_saveexec_b64 s[30:31], vcc
	s_cbranch_execz .LBB117_8
; %bb.10:                               ;   in Loop: Header=BB117_9 Depth=1
	v_add_u32_e32 v23, s15, v18
	v_cvt_f32_i32_e32 v23, v23
	s_waitcnt lgkmcnt(0)
	v_add_f32_e32 v21, v21, v22
	v_cmp_gt_i32_e64 s[6:7], s11, v18
	v_max_f32_e32 v22, v11, v11
	v_mul_f32_e32 v23, s8, v23
	v_cndmask_b32_e64 v23, 0, v23, s[0:1]
	v_fmac_f32_e32 v23, s9, v21
	v_cndmask_b32_e64 v21, 0, v23, s[6:7]
	ds_write_b32 v19, v21
	v_max_f32_e32 v21, v22, v23
	v_cndmask_b32_e64 v11, v11, v21, s[6:7]
	s_branch .LBB117_8
.LBB117_11:
	s_or_b64 exec, exec, s[28:29]
.LBB117_12:
	s_or_b64 exec, exec, s[26:27]
	v_xor_b32_e32 v2, 32, v7
	v_cmp_lt_i32_e32 vcc, v2, v8
	v_xor_b32_e32 v5, 16, v7
	v_max_f32_e32 v4, v11, v11
	v_cndmask_b32_e32 v2, v7, v2, vcc
	v_lshlrev_b32_e32 v3, 2, v2
	ds_bpermute_b32 v2, v3, v11
	v_cmp_lt_i32_e32 vcc, v5, v8
	v_xor_b32_e32 v10, 8, v7
	v_and_b32_e32 v20, 63, v0
	s_waitcnt lgkmcnt(0)
	v_max_f32_e32 v2, v2, v2
	v_max_f32_e32 v2, v4, v2
	v_cndmask_b32_e32 v4, v7, v5, vcc
	v_lshlrev_b32_e32 v5, 2, v4
	ds_bpermute_b32 v4, v5, v2
	v_cmp_lt_i32_e32 vcc, v10, v8
	s_waitcnt lgkmcnt(0)
	v_max_f32_e32 v4, v4, v4
	v_max_f32_e32 v4, v2, v4
	v_cndmask_b32_e32 v2, v7, v10, vcc
	v_lshlrev_b32_e32 v11, 2, v2
	ds_bpermute_b32 v10, v11, v4
	v_cmp_eq_u32_e32 vcc, 0, v20
	v_lshlrev_b32_e32 v2, 2, v1
	s_and_saveexec_b64 s[0:1], vcc
	s_cbranch_execz .LBB117_14
; %bb.13:
	s_waitcnt lgkmcnt(0)
	v_max_f32_e32 v10, v10, v10
	v_max_f32_e32 v4, v4, v4
	v_max_f32_e32 v4, v4, v10
	ds_write_b32 v2, v4 offset:64
.LBB117_14:
	s_or_b64 exec, exec, s[0:1]
	v_cmp_gt_u32_e64 s[0:1], 2, v20
	v_mov_b32_e32 v12, 0xff7fffff
	v_lshlrev_b32_e32 v4, 2, v20
	s_waitcnt lgkmcnt(0)
	s_barrier
	s_and_saveexec_b64 s[6:7], s[0:1]
; %bb.15:
	ds_read_b32 v12, v4 offset:64
; %bb.16:
	s_or_b64 exec, exec, s[6:7]
	v_xor_b32_e32 v10, 1, v7
	v_cmp_lt_i32_e64 s[6:7], v10, v8
	v_lshlrev_b32_e32 v9, 2, v9
	s_nop 0
	v_cndmask_b32_e64 v10, v7, v10, s[6:7]
	v_lshlrev_b32_e32 v10, 2, v10
	s_waitcnt lgkmcnt(0)
	ds_bpermute_b32 v13, v10, v12
	v_max_f32_e32 v12, v12, v12
	s_lshl_b32 s6, s33, 3
	s_min_i32 s12, s6, s11
	v_cmp_gt_i32_e64 s[6:7], s12, v0
	s_waitcnt lgkmcnt(0)
	v_max_f32_e32 v13, v13, v13
	v_max_f32_e32 v12, v12, v13
	ds_bpermute_b32 v12, v9, v12
	v_mov_b32_e32 v9, 0
	s_and_saveexec_b64 s[26:27], s[6:7]
	s_cbranch_execz .LBB117_20
; %bb.17:
	v_mov_b32_e32 v9, 0x50
	v_lshl_add_u32 v13, v0, 2, v9
	v_mov_b32_e32 v9, 0
	s_mov_b64 s[28:29], 0
	v_mov_b32_e32 v14, v0
.LBB117_18:                             ; =>This Inner Loop Header: Depth=1
	ds_read_b32 v15, v13
	v_add_u32_e32 v14, 0x80, v14
	v_cmp_le_i32_e64 s[8:9], s12, v14
	s_or_b64 s[28:29], s[8:9], s[28:29]
	s_waitcnt lgkmcnt(0)
	v_sub_f32_e32 v15, v15, v12
	v_mul_f32_e32 v15, 0x3fb8aa3b, v15
	v_exp_f32_e32 v15, v15
	ds_write_b32 v13, v15
	v_add_f32_e32 v9, v9, v15
	v_add_u32_e32 v13, 0x200, v13
	s_andn2_b64 exec, exec, s[28:29]
	s_cbranch_execnz .LBB117_18
; %bb.19:
	s_or_b64 exec, exec, s[28:29]
.LBB117_20:
	s_or_b64 exec, exec, s[26:27]
	ds_bpermute_b32 v3, v3, v9
	s_waitcnt lgkmcnt(0)
	v_add_f32_e32 v3, v9, v3
	ds_bpermute_b32 v5, v5, v3
	v_xor_b32_e32 v9, 4, v7
	v_cmp_lt_i32_e64 s[8:9], v9, v8
	s_waitcnt lgkmcnt(0)
	v_add_f32_e32 v3, v3, v5
	ds_bpermute_b32 v5, v11, v3
	v_cndmask_b32_e64 v9, v7, v9, s[8:9]
	v_lshlrev_b32_e32 v9, 2, v9
	s_waitcnt lgkmcnt(0)
	v_add_f32_e32 v3, v3, v5
	ds_bpermute_b32 v5, v9, v3
	v_xor_b32_e32 v9, 2, v7
	v_cmp_lt_i32_e64 s[8:9], v9, v8
	s_waitcnt lgkmcnt(0)
	v_add_f32_e32 v3, v3, v5
	v_cndmask_b32_e64 v8, v7, v9, s[8:9]
	v_lshlrev_b32_e32 v5, 2, v8
	ds_bpermute_b32 v5, v5, v3
	s_waitcnt lgkmcnt(0)
	v_add_f32_e32 v3, v3, v5
	ds_bpermute_b32 v5, v10, v3
	s_waitcnt lgkmcnt(0)
	v_add_f32_e32 v3, v3, v5
	s_and_saveexec_b64 s[8:9], vcc
; %bb.21:
	ds_write_b32 v2, v3 offset:72
; %bb.22:
	s_or_b64 exec, exec, s[8:9]
	s_waitcnt lgkmcnt(0)
	s_barrier
	s_and_saveexec_b64 s[8:9], s[0:1]
; %bb.23:
	ds_read_b32 v3, v4 offset:72
; %bb.24:
	s_or_b64 exec, exec, s[8:9]
	s_waitcnt lgkmcnt(0)
	ds_bpermute_b32 v2, v10, v3
	v_lshlrev_b32_e32 v4, 2, v7
	s_waitcnt lgkmcnt(0)
	v_add_f32_e32 v2, v3, v2
	v_and_b32_e32 v3, 0xffffff00, v4
	ds_bpermute_b32 v2, v3, v2
	s_and_saveexec_b64 s[0:1], s[6:7]
	s_cbranch_execz .LBB117_37
; %bb.25:
	s_waitcnt lgkmcnt(0)
	v_add_f32_e32 v2, 0x358637bd, v2
	v_div_scale_f32 v3, s[6:7], v2, v2, 1.0
	v_rcp_f32_e32 v4, v3
	v_div_scale_f32 v5, vcc, 1.0, v2, 1.0
	s_movk_i32 s6, 0x7f
	v_fma_f32 v7, -v3, v4, 1.0
	v_fmac_f32_e32 v4, v7, v4
	v_mul_f32_e32 v7, v5, v4
	v_fma_f32 v8, -v3, v7, v5
	v_fmac_f32_e32 v7, v8, v4
	v_fma_f32 v3, -v3, v7, v5
	v_div_fmas_f32 v3, v3, v4, v7
	v_xad_u32 v4, v0, -1, s12
	v_div_fixup_f32 v2, v3, v2, 1.0
	v_cmp_lt_u32_e32 vcc, s6, v4
	s_mov_b64 s[8:9], -1
	v_mov_b32_e32 v3, v0
	s_and_saveexec_b64 s[6:7], vcc
	s_cbranch_execz .LBB117_34
; %bb.26:
	v_lshrrev_b32_e32 v4, 7, v4
	v_add_u32_e32 v7, -1, v4
	v_lshrrev_b32_e32 v5, 1, v7
	v_mov_b32_e32 v3, v2
	v_add_u32_e32 v5, 1, v5
	v_cmp_lt_u32_e32 vcc, 13, v7
	v_mov_b32_e32 v9, 0
	s_and_saveexec_b64 s[8:9], vcc
	s_cbranch_execz .LBB117_30
; %bb.27:
	v_mov_b32_e32 v8, 0x50
	v_and_b32_e32 v7, -8, v5
	v_lshl_add_u32 v8, v0, 2, v8
	s_mov_b32 s15, 0
	s_mov_b64 s[26:27], 0
.LBB117_28:                             ; =>This Inner Loop Header: Depth=1
	ds_read2st64_b32 v[10:11], v8 offset1:2
	ds_read2st64_b32 v[12:13], v8 offset0:4 offset1:6
	ds_read2st64_b32 v[14:15], v8 offset0:8 offset1:10
	;; [unrolled: 1-line block ×3, first 2 shown]
	v_add_u32_e32 v7, -8, v7
	s_waitcnt lgkmcnt(3)
	v_pk_mul_f32 v[10:11], v[2:3], v[10:11]
	s_waitcnt lgkmcnt(2)
	v_pk_mul_f32 v[12:13], v[2:3], v[12:13]
	ds_write2st64_b32 v8, v10, v11 offset1:2
	ds_write2st64_b32 v8, v12, v13 offset0:4 offset1:6
	ds_read2st64_b32 v[12:13], v8 offset0:16 offset1:18
	s_waitcnt lgkmcnt(4)
	v_pk_mul_f32 v[10:11], v[2:3], v[14:15]
	ds_write2st64_b32 v8, v10, v11 offset0:8 offset1:10
	s_waitcnt lgkmcnt(4)
	v_pk_mul_f32 v[10:11], v[2:3], v[16:17]
	ds_write2st64_b32 v8, v10, v11 offset0:12 offset1:14
	ds_read2st64_b32 v[10:11], v8 offset0:20 offset1:22
	s_waitcnt lgkmcnt(3)
	v_pk_mul_f32 v[12:13], v[2:3], v[12:13]
	ds_read2st64_b32 v[14:15], v8 offset0:24 offset1:26
	ds_write2st64_b32 v8, v12, v13 offset0:16 offset1:18
	ds_read2st64_b32 v[12:13], v8 offset0:28 offset1:30
	s_waitcnt lgkmcnt(3)
	v_pk_mul_f32 v[10:11], v[2:3], v[10:11]
	ds_write2st64_b32 v8, v10, v11 offset0:20 offset1:22
	s_waitcnt lgkmcnt(3)
	v_pk_mul_f32 v[10:11], v[2:3], v[14:15]
	ds_write2st64_b32 v8, v10, v11 offset0:24 offset1:26
	s_waitcnt lgkmcnt(2)
	v_pk_mul_f32 v[10:11], v[2:3], v[12:13]
	s_add_i32 s15, s15, 16
	v_cmp_eq_u32_e32 vcc, 0, v7
	ds_write2st64_b32 v8, v10, v11 offset0:28 offset1:30
	v_add_u32_e32 v8, 0x2000, v8
	s_or_b64 s[26:27], vcc, s[26:27]
	v_mov_b32_e32 v9, s15
	s_andn2_b64 exec, exec, s[26:27]
	s_cbranch_execnz .LBB117_28
; %bb.29:
	s_or_b64 exec, exec, s[26:27]
.LBB117_30:
	s_or_b64 exec, exec, s[8:9]
	v_and_b32_e32 v5, 7, v5
	v_cmp_ne_u32_e32 vcc, 0, v5
	s_and_saveexec_b64 s[8:9], vcc
	s_cbranch_execz .LBB117_33
; %bb.31:
	v_lshlrev_b32_e32 v7, 9, v9
	v_lshlrev_b32_e32 v8, 2, v0
	s_movk_i32 s15, 0x50
	v_add3_u32 v7, v7, v8, s15
	s_mov_b64 s[26:27], 0
.LBB117_32:                             ; =>This Inner Loop Header: Depth=1
	ds_read2st64_b32 v[8:9], v7 offset1:2
	v_add_u32_e32 v5, -1, v5
	v_cmp_eq_u32_e32 vcc, 0, v5
	s_or_b64 s[26:27], vcc, s[26:27]
	s_waitcnt lgkmcnt(0)
	v_pk_mul_f32 v[8:9], v[2:3], v[8:9]
	ds_write2st64_b32 v7, v8, v9 offset1:2
	v_add_u32_e32 v7, 0x400, v7
	s_andn2_b64 exec, exec, s[26:27]
	s_cbranch_execnz .LBB117_32
.LBB117_33:
	s_or_b64 exec, exec, s[8:9]
	v_add_u32_e32 v4, 1, v4
	v_and_b32_e32 v5, 0x3fffffe, v4
	v_cmp_ne_u32_e32 vcc, v4, v5
	v_lshl_add_u32 v3, v5, 7, v0
	s_orn2_b64 s[8:9], vcc, exec
.LBB117_34:
	s_or_b64 exec, exec, s[6:7]
	s_and_b64 exec, exec, s[8:9]
	s_cbranch_execz .LBB117_37
; %bb.35:
	v_mov_b32_e32 v4, 0x50
	v_lshl_add_u32 v4, v3, 2, v4
	s_mov_b64 s[6:7], 0
.LBB117_36:                             ; =>This Inner Loop Header: Depth=1
	ds_read_b32 v5, v4
	v_add_u32_e32 v3, 0x80, v3
	v_cmp_le_i32_e32 vcc, s12, v3
	s_or_b64 s[6:7], vcc, s[6:7]
	s_waitcnt lgkmcnt(0)
	v_mul_f32_e32 v5, v2, v5
	ds_write_b32 v4, v5
	v_add_u32_e32 v4, 0x200, v4
	s_andn2_b64 exec, exec, s[6:7]
	s_cbranch_execnz .LBB117_36
.LBB117_37:
	s_or_b64 exec, exec, s[0:1]
	v_mov_b32_e32 v14, 0
	s_waitcnt lgkmcnt(0)
	s_barrier
	s_and_saveexec_b64 s[6:7], s[2:3]
	s_cbranch_execz .LBB117_45
; %bb.38:
	s_ashr_i32 s15, s14, 31
	s_lshl_b64 s[0:1], s[14:15], 1
	s_add_u32 s2, s24, s0
	s_addc_u32 s3, s25, s1
	v_lshlrev_b32_e32 v14, 4, v20
	v_mov_b32_e32 v15, 0
	v_lshl_add_u64 v[16:17], s[2:3], 0, v[14:15]
	s_add_i32 s24, s33, -1
	s_lshl_b64 s[2:3], s[22:23], 2
	s_add_u32 s2, s20, s2
	v_and_b32_e32 v14, 60, v6
	s_addc_u32 s3, s21, s3
	v_mov_b32_e32 v2, 0x50
	s_mov_b32 s26, s13
	v_cmp_gt_u32_e64 s[0:1], 32, v20
	s_mov_b32 s25, s11
	v_lshl_add_u64 v[18:19], s[2:3], 0, v[14:15]
	v_lshlrev_b32_e32 v21, 3, v1
	v_lshl_add_u32 v22, v1, 5, v2
	s_mov_b64 s[8:9], 0
	s_mov_b32 s20, 0x5040100
	v_mov_b32_e32 v14, 0
	s_branch .LBB117_41
.LBB117_39:                             ;   in Loop: Header=BB117_41 Depth=1
	s_or_b64 exec, exec, s[14:15]
	s_waitcnt lgkmcnt(1)
	v_cvt_pk_bf16_f32 v10, v10, s0
	v_cvt_pk_bf16_f32 v11, v11, s0
	;; [unrolled: 1-line block ×4, first 2 shown]
	s_waitcnt vmcnt(0)
	v_and_b32_e32 v23, 0xffff0000, v2
	v_lshlrev_b32_e32 v2, 16, v2
	v_lshlrev_b32_e32 v10, 16, v10
	s_waitcnt lgkmcnt(0)
	v_cvt_pk_bf16_f32 v6, v6, s0
	v_cvt_pk_bf16_f32 v7, v7, s0
	v_lshlrev_b32_e32 v11, 16, v11
	v_mul_f32_e32 v2, v10, v2
	v_and_b32_e32 v10, 0xffff0000, v3
	v_lshlrev_b32_e32 v13, 16, v13
	v_lshlrev_b32_e32 v3, 16, v3
	v_lshlrev_b32_e32 v12, 16, v12
	v_cvt_pk_bf16_f32 v8, v8, s0
	v_cvt_pk_bf16_f32 v9, v9, s0
	v_mul_f32_e32 v11, v11, v23
	v_mul_f32_e32 v10, v13, v10
	v_mul_f32_e32 v3, v12, v3
	v_and_b32_e32 v12, 0xffff0000, v4
	v_lshlrev_b32_e32 v7, 16, v7
	v_lshlrev_b32_e32 v4, 16, v4
	;; [unrolled: 1-line block ×3, first 2 shown]
	v_cvt_pk_bf16_f32 v11, v11, s0
	v_cvt_pk_bf16_f32 v2, v2, s0
	;; [unrolled: 1-line block ×4, first 2 shown]
	v_mul_f32_e32 v7, v7, v12
	v_mul_f32_e32 v4, v6, v4
	v_and_b32_e32 v6, 0xffff0000, v5
	v_lshlrev_b32_e32 v9, 16, v9
	v_lshlrev_b32_e32 v5, 16, v5
	;; [unrolled: 1-line block ×3, first 2 shown]
	v_cvt_pk_bf16_f32 v7, v7, s0
	v_cvt_pk_bf16_f32 v4, v4, s0
	v_mul_f32_e32 v6, v9, v6
	v_mul_f32_e32 v5, v8, v5
	v_lshlrev_b32_e32 v2, 16, v2
	v_lshlrev_b32_e32 v8, 16, v11
	;; [unrolled: 1-line block ×4, first 2 shown]
	v_cvt_pk_bf16_f32 v6, v6, s0
	v_cvt_pk_bf16_f32 v5, v5, s0
	v_lshlrev_b32_e32 v4, 16, v4
	v_lshlrev_b32_e32 v7, 16, v7
	v_add_f32_e32 v2, v8, v2
	v_add_f32_e32 v3, v9, v3
	v_lshlrev_b32_e32 v5, 16, v5
	v_lshlrev_b32_e32 v6, 16, v6
	v_add_f32_e32 v2, v3, v2
	v_add_f32_e32 v3, v7, v4
	;; [unrolled: 1-line block ×6, first 2 shown]
.LBB117_40:                             ;   in Loop: Header=BB117_41 Depth=1
	s_or_b64 exec, exec, s[12:13]
	v_add_u32_e32 v1, 2, v1
	v_cmp_le_i32_e32 vcc, s33, v1
	v_lshl_add_u64 v[18:19], v[18:19], 0, 8
	v_add_u32_e32 v21, 16, v21
	s_or_b64 s[8:9], vcc, s[8:9]
	v_add_u32_e32 v22, 64, v22
	s_andn2_b64 exec, exec, s[8:9]
	s_cbranch_execz .LBB117_44
.LBB117_41:                             ; =>This Inner Loop Header: Depth=1
	s_and_saveexec_b64 s[12:13], s[0:1]
	s_cbranch_execz .LBB117_40
; %bb.42:                               ;   in Loop: Header=BB117_41 Depth=1
	global_load_dword v2, v[18:19], off
	v_cmp_eq_u32_e32 vcc, s24, v1
	s_waitcnt vmcnt(0)
	v_mad_i64_i32 v[2:3], s[2:3], v2, s26, 0
	v_lshl_add_u64 v[2:3], v[2:3], 1, v[16:17]
	global_load_dwordx4 v[2:5], v[2:3], off
	ds_read2_b64 v[10:13], v22 offset1:1
	ds_read2_b64 v[6:9], v22 offset0:2 offset1:3
	s_and_saveexec_b64 s[14:15], vcc
	s_cbranch_execz .LBB117_39
; %bb.43:                               ;   in Loop: Header=BB117_41 Depth=1
	v_add_u32_e32 v23, 1, v21
	v_cmp_gt_i32_e32 vcc, s25, v23
	v_or_b32_e32 v24, 2, v21
	v_cmp_gt_i32_e64 s[2:3], s11, v24
	s_waitcnt vmcnt(0)
	v_cndmask_b32_sdwa v23, v15, v2, vcc dst_sel:DWORD dst_unused:UNUSED_PAD src0_sel:DWORD src1_sel:WORD_1
	v_cmp_gt_i32_e32 vcc, s11, v21
	v_or_b32_e32 v24, 4, v21
	s_nop 0
	v_cndmask_b32_e32 v2, 0, v2, vcc
	v_perm_b32 v2, v23, v2, s20
	v_or_b32_e32 v23, 3, v21
	v_cmp_gt_i32_e32 vcc, s25, v23
	v_cndmask_b32_e64 v23, 0, v3, s[2:3]
	v_cmp_gt_i32_e64 s[2:3], s11, v24
	v_cndmask_b32_sdwa v3, v15, v3, vcc dst_sel:DWORD dst_unused:UNUSED_PAD src0_sel:DWORD src1_sel:WORD_1
	v_perm_b32 v3, v3, v23, s20
	v_or_b32_e32 v23, 5, v21
	v_cmp_gt_i32_e32 vcc, s25, v23
	v_cndmask_b32_e64 v23, 0, v4, s[2:3]
	v_or_b32_e32 v24, 6, v21
	v_cndmask_b32_sdwa v4, v15, v4, vcc dst_sel:DWORD dst_unused:UNUSED_PAD src0_sel:DWORD src1_sel:WORD_1
	v_perm_b32 v4, v4, v23, s20
	v_or_b32_e32 v23, 7, v21
	v_cmp_gt_i32_e32 vcc, s25, v23
	v_cmp_gt_i32_e64 s[2:3], s11, v24
	s_nop 1
	v_cndmask_b32_e64 v23, 0, v5, s[2:3]
	v_cndmask_b32_sdwa v5, v15, v5, vcc dst_sel:DWORD dst_unused:UNUSED_PAD src0_sel:DWORD src1_sel:WORD_1
	v_perm_b32 v5, v5, v23, s20
	s_branch .LBB117_39
.LBB117_44:
	s_or_b64 exec, exec, s[8:9]
.LBB117_45:
	s_or_b64 exec, exec, s[6:7]
	v_and_b32_e32 v1, 0x3c0, v0
	v_cmp_eq_u32_e64 s[0:1], 64, v1
	v_cmp_gt_u32_e64 s[2:3], 32, v20
	v_mov_b32_e32 v1, 0x50
	v_cmp_lt_u32_e32 vcc, 31, v20
	v_lshl_add_u32 v1, v20, 2, v1
	s_and_b64 s[2:3], s[0:1], s[2:3]
	s_barrier
	s_and_saveexec_b64 s[0:1], s[2:3]
; %bb.46:
	ds_write_b32 v1, v14
; %bb.47:
	s_or_b64 exec, exec, s[0:1]
	v_cmp_gt_u32_e64 s[0:1], 64, v0
	s_xor_b64 s[2:3], vcc, -1
	s_and_b64 s[2:3], s[0:1], s[2:3]
	s_waitcnt lgkmcnt(0)
	s_barrier
	s_and_saveexec_b64 s[0:1], s[2:3]
	s_cbranch_execz .LBB117_49
; %bb.48:
	ds_read_b32 v1, v1
	s_waitcnt lgkmcnt(0)
	v_add_f32_e32 v14, v14, v1
.LBB117_49:
	s_or_b64 exec, exec, s[0:1]
	v_cmp_gt_u32_e32 vcc, 64, v0
	v_cmp_gt_u32_e64 s[0:1], 32, v20
	s_and_b64 s[0:1], vcc, s[0:1]
	s_barrier
	s_and_saveexec_b64 s[2:3], s[0:1]
	s_cbranch_execz .LBB117_51
; %bb.50:
	s_mul_i32 s0, s10, s17
	s_mul_i32 s0, s0, s5
	s_lshl_b32 s0, s0, 5
	s_ashr_i32 s1, s0, 31
	s_lshl_b64 s[0:1], s[0:1], 1
	s_add_u32 s2, s18, s0
	s_mul_i32 s0, s17, s16
	s_addc_u32 s3, s19, s1
	s_ashr_i32 s1, s0, 31
	s_lshl_b64 s[0:1], s[0:1], 1
	s_add_u32 s2, s2, s0
	s_addc_u32 s3, s3, s1
	s_lshl_b32 s0, s4, 5
	s_ashr_i32 s1, s0, 31
	s_lshl_b64 s[0:1], s[0:1], 1
	s_add_u32 s0, s2, s0
	s_addc_u32 s1, s3, s1
	v_lshlrev_b32_e32 v0, 1, v20
	v_cvt_pk_bf16_f32 v1, v14, s0
	global_store_short v0, v1, s[0:1]
.LBB117_51:
	s_endpgm
	.section	.rodata,"a",@progbits
	.p2align	6, 0x0
	.amdhsa_kernel _ZN4vllm25paged_attention_v1_kernelI14__hip_bfloat16S1_Li32ELi8ELi128ELNS_18Fp8KVCacheDataTypeE0ELb0EEEvPT_PKS3_PKT0_S9_ifPKiSB_iPKfiiiSD_SD_iiiii
		.amdhsa_group_segment_fixed_size 80
		.amdhsa_private_segment_fixed_size 0
		.amdhsa_kernarg_size 384
		.amdhsa_user_sgpr_count 2
		.amdhsa_user_sgpr_dispatch_ptr 0
		.amdhsa_user_sgpr_queue_ptr 0
		.amdhsa_user_sgpr_kernarg_segment_ptr 1
		.amdhsa_user_sgpr_dispatch_id 0
		.amdhsa_user_sgpr_kernarg_preload_length 0
		.amdhsa_user_sgpr_kernarg_preload_offset 0
		.amdhsa_user_sgpr_private_segment_size 0
		.amdhsa_uses_dynamic_stack 0
		.amdhsa_enable_private_segment 0
		.amdhsa_system_sgpr_workgroup_id_x 1
		.amdhsa_system_sgpr_workgroup_id_y 1
		.amdhsa_system_sgpr_workgroup_id_z 1
		.amdhsa_system_sgpr_workgroup_info 0
		.amdhsa_system_vgpr_workitem_id 0
		.amdhsa_next_free_vgpr 27
		.amdhsa_next_free_sgpr 34
		.amdhsa_accum_offset 28
		.amdhsa_reserve_vcc 1
		.amdhsa_float_round_mode_32 0
		.amdhsa_float_round_mode_16_64 0
		.amdhsa_float_denorm_mode_32 3
		.amdhsa_float_denorm_mode_16_64 3
		.amdhsa_dx10_clamp 1
		.amdhsa_ieee_mode 1
		.amdhsa_fp16_overflow 0
		.amdhsa_tg_split 0
		.amdhsa_exception_fp_ieee_invalid_op 0
		.amdhsa_exception_fp_denorm_src 0
		.amdhsa_exception_fp_ieee_div_zero 0
		.amdhsa_exception_fp_ieee_overflow 0
		.amdhsa_exception_fp_ieee_underflow 0
		.amdhsa_exception_fp_ieee_inexact 0
		.amdhsa_exception_int_div_zero 0
	.end_amdhsa_kernel
	.section	.text._ZN4vllm25paged_attention_v1_kernelI14__hip_bfloat16S1_Li32ELi8ELi128ELNS_18Fp8KVCacheDataTypeE0ELb0EEEvPT_PKS3_PKT0_S9_ifPKiSB_iPKfiiiSD_SD_iiiii,"axG",@progbits,_ZN4vllm25paged_attention_v1_kernelI14__hip_bfloat16S1_Li32ELi8ELi128ELNS_18Fp8KVCacheDataTypeE0ELb0EEEvPT_PKS3_PKT0_S9_ifPKiSB_iPKfiiiSD_SD_iiiii,comdat
.Lfunc_end117:
	.size	_ZN4vllm25paged_attention_v1_kernelI14__hip_bfloat16S1_Li32ELi8ELi128ELNS_18Fp8KVCacheDataTypeE0ELb0EEEvPT_PKS3_PKT0_S9_ifPKiSB_iPKfiiiSD_SD_iiiii, .Lfunc_end117-_ZN4vllm25paged_attention_v1_kernelI14__hip_bfloat16S1_Li32ELi8ELi128ELNS_18Fp8KVCacheDataTypeE0ELb0EEEvPT_PKS3_PKT0_S9_ifPKiSB_iPKfiiiSD_SD_iiiii
                                        ; -- End function
	.set _ZN4vllm25paged_attention_v1_kernelI14__hip_bfloat16S1_Li32ELi8ELi128ELNS_18Fp8KVCacheDataTypeE0ELb0EEEvPT_PKS3_PKT0_S9_ifPKiSB_iPKfiiiSD_SD_iiiii.num_vgpr, 27
	.set _ZN4vllm25paged_attention_v1_kernelI14__hip_bfloat16S1_Li32ELi8ELi128ELNS_18Fp8KVCacheDataTypeE0ELb0EEEvPT_PKS3_PKT0_S9_ifPKiSB_iPKfiiiSD_SD_iiiii.num_agpr, 0
	.set _ZN4vllm25paged_attention_v1_kernelI14__hip_bfloat16S1_Li32ELi8ELi128ELNS_18Fp8KVCacheDataTypeE0ELb0EEEvPT_PKS3_PKT0_S9_ifPKiSB_iPKfiiiSD_SD_iiiii.numbered_sgpr, 34
	.set _ZN4vllm25paged_attention_v1_kernelI14__hip_bfloat16S1_Li32ELi8ELi128ELNS_18Fp8KVCacheDataTypeE0ELb0EEEvPT_PKS3_PKT0_S9_ifPKiSB_iPKfiiiSD_SD_iiiii.num_named_barrier, 0
	.set _ZN4vllm25paged_attention_v1_kernelI14__hip_bfloat16S1_Li32ELi8ELi128ELNS_18Fp8KVCacheDataTypeE0ELb0EEEvPT_PKS3_PKT0_S9_ifPKiSB_iPKfiiiSD_SD_iiiii.private_seg_size, 0
	.set _ZN4vllm25paged_attention_v1_kernelI14__hip_bfloat16S1_Li32ELi8ELi128ELNS_18Fp8KVCacheDataTypeE0ELb0EEEvPT_PKS3_PKT0_S9_ifPKiSB_iPKfiiiSD_SD_iiiii.uses_vcc, 1
	.set _ZN4vllm25paged_attention_v1_kernelI14__hip_bfloat16S1_Li32ELi8ELi128ELNS_18Fp8KVCacheDataTypeE0ELb0EEEvPT_PKS3_PKT0_S9_ifPKiSB_iPKfiiiSD_SD_iiiii.uses_flat_scratch, 0
	.set _ZN4vllm25paged_attention_v1_kernelI14__hip_bfloat16S1_Li32ELi8ELi128ELNS_18Fp8KVCacheDataTypeE0ELb0EEEvPT_PKS3_PKT0_S9_ifPKiSB_iPKfiiiSD_SD_iiiii.has_dyn_sized_stack, 0
	.set _ZN4vllm25paged_attention_v1_kernelI14__hip_bfloat16S1_Li32ELi8ELi128ELNS_18Fp8KVCacheDataTypeE0ELb0EEEvPT_PKS3_PKT0_S9_ifPKiSB_iPKfiiiSD_SD_iiiii.has_recursion, 0
	.set _ZN4vllm25paged_attention_v1_kernelI14__hip_bfloat16S1_Li32ELi8ELi128ELNS_18Fp8KVCacheDataTypeE0ELb0EEEvPT_PKS3_PKT0_S9_ifPKiSB_iPKfiiiSD_SD_iiiii.has_indirect_call, 0
	.section	.AMDGPU.csdata,"",@progbits
; Kernel info:
; codeLenInByte = 3452
; TotalNumSgprs: 40
; NumVgprs: 27
; NumAgprs: 0
; TotalNumVgprs: 27
; ScratchSize: 0
; MemoryBound: 0
; FloatMode: 240
; IeeeMode: 1
; LDSByteSize: 80 bytes/workgroup (compile time only)
; SGPRBlocks: 4
; VGPRBlocks: 3
; NumSGPRsForWavesPerEU: 40
; NumVGPRsForWavesPerEU: 27
; AccumOffset: 28
; Occupancy: 8
; WaveLimiterHint : 1
; COMPUTE_PGM_RSRC2:SCRATCH_EN: 0
; COMPUTE_PGM_RSRC2:USER_SGPR: 2
; COMPUTE_PGM_RSRC2:TRAP_HANDLER: 0
; COMPUTE_PGM_RSRC2:TGID_X_EN: 1
; COMPUTE_PGM_RSRC2:TGID_Y_EN: 1
; COMPUTE_PGM_RSRC2:TGID_Z_EN: 1
; COMPUTE_PGM_RSRC2:TIDIG_COMP_CNT: 0
; COMPUTE_PGM_RSRC3_GFX90A:ACCUM_OFFSET: 6
; COMPUTE_PGM_RSRC3_GFX90A:TG_SPLIT: 0
	.section	.text._ZN4vllm25paged_attention_v1_kernelI14__hip_bfloat16S1_Li64ELi8ELi128ELNS_18Fp8KVCacheDataTypeE0ELb0EEEvPT_PKS3_PKT0_S9_ifPKiSB_iPKfiiiSD_SD_iiiii,"axG",@progbits,_ZN4vllm25paged_attention_v1_kernelI14__hip_bfloat16S1_Li64ELi8ELi128ELNS_18Fp8KVCacheDataTypeE0ELb0EEEvPT_PKS3_PKT0_S9_ifPKiSB_iPKfiiiSD_SD_iiiii,comdat
	.protected	_ZN4vllm25paged_attention_v1_kernelI14__hip_bfloat16S1_Li64ELi8ELi128ELNS_18Fp8KVCacheDataTypeE0ELb0EEEvPT_PKS3_PKT0_S9_ifPKiSB_iPKfiiiSD_SD_iiiii ; -- Begin function _ZN4vllm25paged_attention_v1_kernelI14__hip_bfloat16S1_Li64ELi8ELi128ELNS_18Fp8KVCacheDataTypeE0ELb0EEEvPT_PKS3_PKT0_S9_ifPKiSB_iPKfiiiSD_SD_iiiii
	.globl	_ZN4vllm25paged_attention_v1_kernelI14__hip_bfloat16S1_Li64ELi8ELi128ELNS_18Fp8KVCacheDataTypeE0ELb0EEEvPT_PKS3_PKT0_S9_ifPKiSB_iPKfiiiSD_SD_iiiii
	.p2align	8
	.type	_ZN4vllm25paged_attention_v1_kernelI14__hip_bfloat16S1_Li64ELi8ELi128ELNS_18Fp8KVCacheDataTypeE0ELb0EEEvPT_PKS3_PKT0_S9_ifPKiSB_iPKfiiiSD_SD_iiiii,@function
_ZN4vllm25paged_attention_v1_kernelI14__hip_bfloat16S1_Li64ELi8ELi128ELNS_18Fp8KVCacheDataTypeE0ELb0EEEvPT_PKS3_PKT0_S9_ifPKiSB_iPKfiiiSD_SD_iiiii: ; @_ZN4vllm25paged_attention_v1_kernelI14__hip_bfloat16S1_Li64ELi8ELi128ELNS_18Fp8KVCacheDataTypeE0ELb0EEEvPT_PKS3_PKT0_S9_ifPKiSB_iPKfiiiSD_SD_iiiii
; %bb.0:
	s_load_dword s5, s[0:1], 0x80
	s_load_dwordx2 s[6:7], s[0:1], 0x30
	s_load_dwordx2 s[10:11], s[0:1], 0x20
	s_mov_b32 s16, s3
	s_ashr_i32 s17, s3, 31
	s_lshl_b64 s[8:9], s[16:17], 2
	s_waitcnt lgkmcnt(0)
	s_add_u32 s6, s6, s8
	s_addc_u32 s7, s7, s9
	s_abs_i32 s3, s10
	v_cvt_f32_u32_e32 v1, s3
	s_xor_b32 s8, s5, s10
	s_sub_i32 s10, 0, s3
	s_abs_i32 s9, s5
	v_rcp_iflag_f32_e32 v1, v1
	s_ashr_i32 s8, s8, 31
	v_mul_f32_e32 v1, 0x4f7ffffe, v1
	v_cvt_u32_f32_e32 v1, v1
	s_nop 0
	v_readfirstlane_b32 s12, v1
	s_mul_i32 s10, s10, s12
	s_mul_hi_u32 s10, s12, s10
	s_add_i32 s12, s12, s10
	s_mul_hi_u32 s10, s9, s12
	s_mul_i32 s12, s10, s3
	s_sub_i32 s9, s9, s12
	s_add_i32 s12, s10, 1
	s_sub_i32 s13, s9, s3
	s_cmp_ge_u32 s9, s3
	s_cselect_b32 s10, s12, s10
	s_cselect_b32 s9, s13, s9
	s_add_i32 s12, s10, 1
	s_cmp_ge_u32 s9, s3
	s_cselect_b32 s3, s12, s10
	s_xor_b32 s3, s3, s8
	s_sub_i32 s18, s3, s8
	s_abs_i32 s20, s18
	v_cvt_f32_u32_e32 v1, s20
	s_load_dwordx2 s[8:9], s[0:1], 0x40
	s_sub_i32 s3, 0, s20
	s_abs_i32 s21, s2
	v_rcp_iflag_f32_e32 v1, v1
	s_mov_b32 s10, 0
	v_mul_f32_e32 v1, 0x4f7ffffe, v1
	v_cvt_u32_f32_e32 v1, v1
	s_nop 0
	v_readfirstlane_b32 s12, v1
	s_mul_i32 s3, s3, s12
	s_mul_hi_u32 s3, s12, s3
	s_add_i32 s12, s12, s3
	s_waitcnt lgkmcnt(0)
	s_cmp_eq_u64 s[8:9], 0
	s_mul_hi_u32 s24, s21, s12
	s_cbranch_scc1 .LBB118_2
; %bb.1:
	s_ashr_i32 s3, s2, 31
	s_lshl_b64 s[12:13], s[2:3], 2
	s_add_u32 s8, s8, s12
	s_addc_u32 s9, s9, s13
	s_load_dword s10, s[8:9], 0x0
.LBB118_2:
	s_load_dword s17, s[6:7], 0x0
	s_load_dwordx4 s[12:15], s[0:1], 0x48
	s_ashr_i32 s6, s2, 31
	s_ashr_i32 s7, s18, 31
	v_and_b32_e32 v4, 7, v0
	s_lshl_b32 s18, s2, 6
	v_cmp_gt_u32_e64 s[8:9], 64, v0
	s_and_saveexec_b64 s[2:3], s[8:9]
	s_cbranch_execz .LBB118_4
; %bb.3:
	s_load_dwordx2 s[22:23], s[0:1], 0x8
	s_waitcnt lgkmcnt(0)
	s_mul_i32 s26, s12, s16
	s_ashr_i32 s27, s26, 31
	s_lshl_b64 s[26:27], s[26:27], 1
	v_lshlrev_b32_e32 v1, 1, v0
	s_add_u32 s12, s22, s26
	s_addc_u32 s15, s23, s27
	s_ashr_i32 s19, s18, 31
	s_lshl_b64 s[22:23], s[18:19], 1
	s_add_u32 s22, s12, s22
	s_addc_u32 s23, s15, s23
	global_load_ushort v1, v1, s[22:23]
	v_lshrrev_b32_e32 v2, 2, v0
	v_and_b32_e32 v2, 0xfe, v2
	v_lshl_add_u32 v2, v4, 4, v2
	s_waitcnt vmcnt(0)
	ds_write_b16 v2, v1
.LBB118_4:
	s_or_b64 exec, exec, s[2:3]
	s_waitcnt lgkmcnt(0)
	s_add_i32 s3, s17, 7
	s_ashr_i32 s12, s3, 31
	s_lshr_b32 s12, s12, 29
	s_add_i32 s3, s3, s12
	s_ashr_i32 s19, s3, 3
	s_xor_b32 s3, s6, s7
	s_mul_i32 s6, s24, s20
	s_sub_i32 s6, s21, s6
	s_add_i32 s7, s24, 1
	s_sub_i32 s12, s6, s20
	s_load_dwordx2 s[22:23], s[0:1], 0x28
	s_load_dword s2, s[0:1], 0x38
	s_cmp_ge_u32 s6, s20
	s_cselect_b32 s7, s7, s24
	s_cselect_b32 s6, s12, s6
	s_add_i32 s12, s7, 1
	s_cmp_ge_u32 s6, s20
	s_cselect_b32 s6, s12, s7
	v_lshrrev_b32_e32 v1, 6, v0
	s_xor_b32 s6, s6, s3
	s_waitcnt lgkmcnt(0)
	s_mul_i32 s24, s2, s16
	s_sub_i32 s15, s6, s3
	s_ashr_i32 s25, s24, 31
	v_cmp_gt_i32_e64 s[2:3], s19, v1
	v_cmp_le_i32_e32 vcc, s19, v1
	v_mbcnt_lo_u32_b32 v5, -1, 0
	s_barrier
                                        ; implicit-def: $vgpr7
                                        ; implicit-def: $vgpr9
                                        ; implicit-def: $vgpr8
	s_and_saveexec_b64 s[6:7], vcc
	s_xor_b64 s[6:7], exec, s[6:7]
; %bb.5:
	v_mbcnt_hi_u32_b32 v7, -1, v5
	v_and_b32_e32 v9, 64, v7
	v_add_u32_e32 v8, 64, v9
                                        ; implicit-def: $vgpr4
                                        ; implicit-def: $vgpr5
; %bb.6:
	s_or_saveexec_b64 s[28:29], s[6:7]
	s_load_dwordx2 s[20:21], s[0:1], 0x0
	s_load_dwordx2 s[26:27], s[0:1], 0x18
	s_load_dword s12, s[0:1], 0x88
	v_mov_b32_e32 v15, 0xff7fffff
	s_mul_i32 s14, s15, s14
	v_lshrrev_b32_e32 v6, 4, v0
	s_xor_b64 exec, exec, s[28:29]
	s_cbranch_execz .LBB118_12
; %bb.7:
	v_lshlrev_b32_e32 v2, 4, v4
	ds_read_b128 v[16:19], v2
	v_mbcnt_hi_u32_b32 v7, -1, v5
	v_and_b32_e32 v9, 64, v7
	v_add_u32_e32 v8, 64, v9
	v_xor_b32_e32 v5, 4, v7
	s_load_dwordx2 s[0:1], s[0:1], 0x10
	v_cmp_lt_i32_e32 vcc, v5, v8
	s_waitcnt lgkmcnt(0)
	v_lshlrev_b32_e32 v10, 16, v16
	v_and_b32_e32 v11, 0xffff0000, v16
	v_cndmask_b32_e32 v5, v7, v5, vcc
	v_lshlrev_b32_e32 v12, 16, v17
	v_and_b32_e32 v13, 0xffff0000, v17
	v_lshlrev_b32_e32 v14, 16, v18
	v_and_b32_e32 v16, 0xffff0000, v18
	;; [unrolled: 2-line block ×3, first 2 shown]
	v_lshlrev_b32_e32 v19, 2, v5
	v_xor_b32_e32 v5, 2, v7
	s_ashr_i32 s15, s14, 31
	v_cmp_lt_i32_e32 vcc, v5, v8
	s_lshl_b64 s[6:7], s[14:15], 1
	v_bfe_u32 v15, v0, 3, 3
	v_cndmask_b32_e32 v5, v7, v5, vcc
	s_add_u32 s0, s0, s6
	v_lshlrev_b32_e32 v20, 2, v5
	v_xor_b32_e32 v5, 1, v7
	s_addc_u32 s1, s1, s7
	v_lshlrev_b32_e32 v24, 4, v15
	v_mov_b32_e32 v25, 0
	v_cmp_lt_i32_e32 vcc, v5, v8
	s_sub_i32 s15, 1, s17
	s_lshl_b64 s[6:7], s[24:25], 2
	v_lshl_add_u64 v[2:3], s[0:1], 0, v[24:25]
	v_lshlrev_b32_e32 v24, 1, v4
	v_cndmask_b32_e32 v5, v7, v5, vcc
	v_cmp_eq_u32_e32 vcc, 0, v4
	v_lshlrev_b32_e32 v4, 2, v15
	s_add_u32 s6, s22, s6
	v_lshl_add_u64 v[2:3], v[2:3], 0, v[24:25]
	v_lshl_or_b32 v4, v1, 5, v4
	v_and_b32_e32 v24, 60, v6
	s_addc_u32 s7, s23, s7
	s_mov_b32 s33, s13
	v_lshlrev_b32_e32 v21, 2, v5
	v_cmp_neq_f32_e64 s[0:1], s10, 0
	v_lshl_or_b32 v22, v1, 3, v15
	v_add_u32_e32 v23, 0x90, v4
	v_lshl_add_u64 v[4:5], s[6:7], 0, v[24:25]
	v_mov_b32_e32 v15, 0xff7fffff
	s_mov_b64 s[30:31], 0
	v_mov_b32_e32 v24, v1
	s_branch .LBB118_9
.LBB118_8:                              ;   in Loop: Header=BB118_9 Depth=1
	s_or_b64 exec, exec, s[34:35]
	v_add_u32_e32 v24, 2, v24
	v_cmp_le_i32_e64 s[6:7], s19, v24
	v_add_u32_e32 v22, 16, v22
	v_add_u32_e32 v23, 64, v23
	s_or_b64 s[30:31], s[6:7], s[30:31]
	v_lshl_add_u64 v[4:5], v[4:5], 0, 8
	s_andn2_b64 exec, exec, s[30:31]
	s_cbranch_execz .LBB118_11
.LBB118_9:                              ; =>This Inner Loop Header: Depth=1
	global_load_dword v25, v[4:5], off
	s_waitcnt vmcnt(0) lgkmcnt(0)
	v_mad_i64_i32 v[26:27], s[6:7], v25, s33, 0
	v_lshl_add_u64 v[26:27], v[26:27], 1, v[2:3]
	global_load_ushort v25, v[26:27], off
	global_load_ushort v28, v[26:27], off offset:128
	global_load_ushort v29, v[26:27], off offset:256
	;; [unrolled: 1-line block ×7, first 2 shown]
	s_waitcnt vmcnt(7)
	v_lshlrev_b32_e32 v25, 16, v25
	s_waitcnt vmcnt(6)
	v_lshlrev_b32_e32 v26, 16, v28
	v_mul_f32_e32 v26, v11, v26
	s_waitcnt vmcnt(5)
	v_lshlrev_b32_e32 v27, 16, v29
	v_fmac_f32_e32 v26, v10, v25
	s_waitcnt vmcnt(4)
	v_lshlrev_b32_e32 v28, 16, v30
	v_fmac_f32_e32 v26, v12, v27
	s_waitcnt vmcnt(3)
	v_lshlrev_b32_e32 v29, 16, v31
	v_fmac_f32_e32 v26, v13, v28
	s_waitcnt vmcnt(2)
	v_lshlrev_b32_e32 v30, 16, v32
	v_fmac_f32_e32 v26, v14, v29
	s_waitcnt vmcnt(1)
	v_lshlrev_b32_e32 v31, 16, v33
	v_fmac_f32_e32 v26, v16, v30
	v_fmac_f32_e32 v26, v17, v31
	s_waitcnt vmcnt(0)
	v_lshlrev_b32_e32 v25, 16, v34
	v_fmac_f32_e32 v26, v18, v25
	ds_bpermute_b32 v25, v19, v26
	s_waitcnt lgkmcnt(0)
	v_add_f32_e32 v25, v26, v25
	ds_bpermute_b32 v26, v20, v25
	s_waitcnt lgkmcnt(0)
	v_add_f32_e32 v25, v25, v26
	ds_bpermute_b32 v26, v21, v25
	s_and_saveexec_b64 s[34:35], vcc
	s_cbranch_execz .LBB118_8
; %bb.10:                               ;   in Loop: Header=BB118_9 Depth=1
	v_add_u32_e32 v27, s15, v22
	v_cvt_f32_i32_e32 v27, v27
	s_waitcnt lgkmcnt(0)
	v_add_f32_e32 v25, v25, v26
	v_cmp_gt_i32_e64 s[6:7], s17, v22
	v_max_f32_e32 v26, v15, v15
	v_mul_f32_e32 v27, s10, v27
	v_cndmask_b32_e64 v27, 0, v27, s[0:1]
	v_fmac_f32_e32 v27, s11, v25
	v_cndmask_b32_e64 v25, 0, v27, s[6:7]
	ds_write_b32 v23, v25
	v_max_f32_e32 v25, v26, v27
	v_cndmask_b32_e64 v15, v15, v25, s[6:7]
	s_branch .LBB118_8
.LBB118_11:
	s_or_b64 exec, exec, s[30:31]
.LBB118_12:
	s_or_b64 exec, exec, s[28:29]
	v_xor_b32_e32 v2, 32, v7
	v_cmp_lt_i32_e32 vcc, v2, v8
	v_xor_b32_e32 v5, 16, v7
	v_max_f32_e32 v4, v15, v15
	v_cndmask_b32_e32 v2, v7, v2, vcc
	v_lshlrev_b32_e32 v3, 2, v2
	ds_bpermute_b32 v2, v3, v15
	v_cmp_lt_i32_e32 vcc, v5, v8
	v_xor_b32_e32 v10, 8, v7
	v_and_b32_e32 v20, 63, v0
	s_waitcnt lgkmcnt(0)
	v_max_f32_e32 v2, v2, v2
	v_max_f32_e32 v2, v4, v2
	v_cndmask_b32_e32 v4, v7, v5, vcc
	v_lshlrev_b32_e32 v5, 2, v4
	ds_bpermute_b32 v4, v5, v2
	v_cmp_lt_i32_e32 vcc, v10, v8
	s_waitcnt lgkmcnt(0)
	v_max_f32_e32 v4, v4, v4
	v_max_f32_e32 v4, v2, v4
	v_cndmask_b32_e32 v2, v7, v10, vcc
	v_lshlrev_b32_e32 v11, 2, v2
	ds_bpermute_b32 v10, v11, v4
	v_cmp_eq_u32_e32 vcc, 0, v20
	v_lshlrev_b32_e32 v2, 2, v1
	s_and_saveexec_b64 s[0:1], vcc
	s_cbranch_execz .LBB118_14
; %bb.13:
	s_waitcnt lgkmcnt(0)
	v_max_f32_e32 v10, v10, v10
	v_max_f32_e32 v4, v4, v4
	v_max_f32_e32 v4, v4, v10
	ds_write_b32 v2, v4 offset:128
.LBB118_14:
	s_or_b64 exec, exec, s[0:1]
	v_cmp_gt_u32_e64 s[0:1], 2, v20
	v_mov_b32_e32 v12, 0xff7fffff
	v_lshlrev_b32_e32 v4, 2, v20
	s_waitcnt lgkmcnt(0)
	s_barrier
	s_and_saveexec_b64 s[6:7], s[0:1]
; %bb.15:
	ds_read_b32 v12, v4 offset:128
; %bb.16:
	s_or_b64 exec, exec, s[6:7]
	v_xor_b32_e32 v10, 1, v7
	v_cmp_lt_i32_e64 s[6:7], v10, v8
	v_lshlrev_b32_e32 v9, 2, v9
	s_nop 0
	v_cndmask_b32_e64 v10, v7, v10, s[6:7]
	v_lshlrev_b32_e32 v10, 2, v10
	s_waitcnt lgkmcnt(0)
	ds_bpermute_b32 v13, v10, v12
	v_max_f32_e32 v12, v12, v12
	s_lshl_b32 s6, s19, 3
	s_min_i32 s15, s6, s17
	v_cmp_gt_i32_e64 s[6:7], s15, v0
	s_waitcnt lgkmcnt(0)
	v_max_f32_e32 v13, v13, v13
	v_max_f32_e32 v12, v12, v13
	ds_bpermute_b32 v12, v9, v12
	v_mov_b32_e32 v9, 0
	s_and_saveexec_b64 s[28:29], s[6:7]
	s_cbranch_execz .LBB118_20
; %bb.17:
	v_mov_b32_e32 v9, 0x90
	v_lshl_add_u32 v13, v0, 2, v9
	v_mov_b32_e32 v9, 0
	s_mov_b64 s[30:31], 0
	v_mov_b32_e32 v14, v0
.LBB118_18:                             ; =>This Inner Loop Header: Depth=1
	ds_read_b32 v15, v13
	v_add_u32_e32 v14, 0x80, v14
	v_cmp_le_i32_e64 s[10:11], s15, v14
	s_or_b64 s[30:31], s[10:11], s[30:31]
	s_waitcnt lgkmcnt(0)
	v_sub_f32_e32 v15, v15, v12
	v_mul_f32_e32 v15, 0x3fb8aa3b, v15
	v_exp_f32_e32 v15, v15
	ds_write_b32 v13, v15
	v_add_f32_e32 v9, v9, v15
	v_add_u32_e32 v13, 0x200, v13
	s_andn2_b64 exec, exec, s[30:31]
	s_cbranch_execnz .LBB118_18
; %bb.19:
	s_or_b64 exec, exec, s[30:31]
.LBB118_20:
	s_or_b64 exec, exec, s[28:29]
	ds_bpermute_b32 v3, v3, v9
	s_waitcnt lgkmcnt(0)
	v_add_f32_e32 v3, v9, v3
	ds_bpermute_b32 v5, v5, v3
	v_xor_b32_e32 v9, 4, v7
	v_cmp_lt_i32_e64 s[10:11], v9, v8
	s_waitcnt lgkmcnt(0)
	v_add_f32_e32 v3, v3, v5
	ds_bpermute_b32 v5, v11, v3
	v_cndmask_b32_e64 v9, v7, v9, s[10:11]
	v_lshlrev_b32_e32 v9, 2, v9
	s_waitcnt lgkmcnt(0)
	v_add_f32_e32 v3, v3, v5
	ds_bpermute_b32 v5, v9, v3
	v_xor_b32_e32 v9, 2, v7
	v_cmp_lt_i32_e64 s[10:11], v9, v8
	s_waitcnt lgkmcnt(0)
	v_add_f32_e32 v3, v3, v5
	v_cndmask_b32_e64 v8, v7, v9, s[10:11]
	v_lshlrev_b32_e32 v5, 2, v8
	ds_bpermute_b32 v5, v5, v3
	s_waitcnt lgkmcnt(0)
	v_add_f32_e32 v3, v3, v5
	ds_bpermute_b32 v5, v10, v3
	s_waitcnt lgkmcnt(0)
	v_add_f32_e32 v3, v3, v5
	s_and_saveexec_b64 s[10:11], vcc
; %bb.21:
	ds_write_b32 v2, v3 offset:136
; %bb.22:
	s_or_b64 exec, exec, s[10:11]
	s_waitcnt lgkmcnt(0)
	s_barrier
	s_and_saveexec_b64 s[10:11], s[0:1]
; %bb.23:
	ds_read_b32 v3, v4 offset:136
; %bb.24:
	s_or_b64 exec, exec, s[10:11]
	s_waitcnt lgkmcnt(0)
	ds_bpermute_b32 v2, v10, v3
	v_lshlrev_b32_e32 v4, 2, v7
	s_waitcnt lgkmcnt(0)
	v_add_f32_e32 v2, v3, v2
	v_and_b32_e32 v3, 0xffffff00, v4
	ds_bpermute_b32 v2, v3, v2
	s_and_saveexec_b64 s[0:1], s[6:7]
	s_cbranch_execz .LBB118_37
; %bb.25:
	s_waitcnt lgkmcnt(0)
	v_add_f32_e32 v2, 0x358637bd, v2
	v_div_scale_f32 v3, s[6:7], v2, v2, 1.0
	v_rcp_f32_e32 v4, v3
	v_div_scale_f32 v5, vcc, 1.0, v2, 1.0
	s_movk_i32 s6, 0x7f
	v_fma_f32 v7, -v3, v4, 1.0
	v_fmac_f32_e32 v4, v7, v4
	v_mul_f32_e32 v7, v5, v4
	v_fma_f32 v8, -v3, v7, v5
	v_fmac_f32_e32 v7, v8, v4
	v_fma_f32 v3, -v3, v7, v5
	v_div_fmas_f32 v3, v3, v4, v7
	v_xad_u32 v4, v0, -1, s15
	v_div_fixup_f32 v2, v3, v2, 1.0
	v_cmp_lt_u32_e32 vcc, s6, v4
	s_mov_b64 s[10:11], -1
	v_mov_b32_e32 v3, v0
	s_and_saveexec_b64 s[6:7], vcc
	s_cbranch_execz .LBB118_34
; %bb.26:
	v_lshrrev_b32_e32 v4, 7, v4
	v_add_u32_e32 v7, -1, v4
	v_lshrrev_b32_e32 v5, 1, v7
	v_mov_b32_e32 v3, v2
	v_add_u32_e32 v5, 1, v5
	v_cmp_lt_u32_e32 vcc, 13, v7
	v_mov_b32_e32 v9, 0
	s_and_saveexec_b64 s[10:11], vcc
	s_cbranch_execz .LBB118_30
; %bb.27:
	v_mov_b32_e32 v8, 0x90
	v_and_b32_e32 v7, -8, v5
	v_lshl_add_u32 v8, v0, 2, v8
	s_mov_b32 s30, 0
	s_mov_b64 s[28:29], 0
.LBB118_28:                             ; =>This Inner Loop Header: Depth=1
	ds_read2st64_b32 v[10:11], v8 offset1:2
	ds_read2st64_b32 v[12:13], v8 offset0:4 offset1:6
	ds_read2st64_b32 v[14:15], v8 offset0:8 offset1:10
	;; [unrolled: 1-line block ×3, first 2 shown]
	v_add_u32_e32 v7, -8, v7
	s_waitcnt lgkmcnt(3)
	v_pk_mul_f32 v[10:11], v[2:3], v[10:11]
	s_waitcnt lgkmcnt(2)
	v_pk_mul_f32 v[12:13], v[2:3], v[12:13]
	ds_write2st64_b32 v8, v10, v11 offset1:2
	ds_write2st64_b32 v8, v12, v13 offset0:4 offset1:6
	ds_read2st64_b32 v[12:13], v8 offset0:16 offset1:18
	s_waitcnt lgkmcnt(4)
	v_pk_mul_f32 v[10:11], v[2:3], v[14:15]
	ds_write2st64_b32 v8, v10, v11 offset0:8 offset1:10
	s_waitcnt lgkmcnt(4)
	v_pk_mul_f32 v[10:11], v[2:3], v[16:17]
	ds_write2st64_b32 v8, v10, v11 offset0:12 offset1:14
	ds_read2st64_b32 v[10:11], v8 offset0:20 offset1:22
	s_waitcnt lgkmcnt(3)
	v_pk_mul_f32 v[12:13], v[2:3], v[12:13]
	ds_read2st64_b32 v[14:15], v8 offset0:24 offset1:26
	ds_write2st64_b32 v8, v12, v13 offset0:16 offset1:18
	ds_read2st64_b32 v[12:13], v8 offset0:28 offset1:30
	s_waitcnt lgkmcnt(3)
	v_pk_mul_f32 v[10:11], v[2:3], v[10:11]
	ds_write2st64_b32 v8, v10, v11 offset0:20 offset1:22
	s_waitcnt lgkmcnt(3)
	v_pk_mul_f32 v[10:11], v[2:3], v[14:15]
	ds_write2st64_b32 v8, v10, v11 offset0:24 offset1:26
	s_waitcnt lgkmcnt(2)
	v_pk_mul_f32 v[10:11], v[2:3], v[12:13]
	s_add_i32 s30, s30, 16
	v_cmp_eq_u32_e32 vcc, 0, v7
	ds_write2st64_b32 v8, v10, v11 offset0:28 offset1:30
	v_add_u32_e32 v8, 0x2000, v8
	s_or_b64 s[28:29], vcc, s[28:29]
	v_mov_b32_e32 v9, s30
	s_andn2_b64 exec, exec, s[28:29]
	s_cbranch_execnz .LBB118_28
; %bb.29:
	s_or_b64 exec, exec, s[28:29]
.LBB118_30:
	s_or_b64 exec, exec, s[10:11]
	v_and_b32_e32 v5, 7, v5
	v_cmp_ne_u32_e32 vcc, 0, v5
	s_and_saveexec_b64 s[10:11], vcc
	s_cbranch_execz .LBB118_33
; %bb.31:
	v_lshlrev_b32_e32 v7, 9, v9
	v_lshlrev_b32_e32 v8, 2, v0
	s_movk_i32 s28, 0x90
	v_add3_u32 v7, v7, v8, s28
	s_mov_b64 s[28:29], 0
.LBB118_32:                             ; =>This Inner Loop Header: Depth=1
	ds_read2st64_b32 v[8:9], v7 offset1:2
	v_add_u32_e32 v5, -1, v5
	v_cmp_eq_u32_e32 vcc, 0, v5
	s_or_b64 s[28:29], vcc, s[28:29]
	s_waitcnt lgkmcnt(0)
	v_pk_mul_f32 v[8:9], v[2:3], v[8:9]
	ds_write2st64_b32 v7, v8, v9 offset1:2
	v_add_u32_e32 v7, 0x400, v7
	s_andn2_b64 exec, exec, s[28:29]
	s_cbranch_execnz .LBB118_32
.LBB118_33:
	s_or_b64 exec, exec, s[10:11]
	v_add_u32_e32 v4, 1, v4
	v_and_b32_e32 v5, 0x3fffffe, v4
	v_cmp_ne_u32_e32 vcc, v4, v5
	v_lshl_add_u32 v3, v5, 7, v0
	s_orn2_b64 s[10:11], vcc, exec
.LBB118_34:
	s_or_b64 exec, exec, s[6:7]
	s_and_b64 exec, exec, s[10:11]
	s_cbranch_execz .LBB118_37
; %bb.35:
	v_mov_b32_e32 v4, 0x90
	v_lshl_add_u32 v4, v3, 2, v4
	s_mov_b64 s[6:7], 0
.LBB118_36:                             ; =>This Inner Loop Header: Depth=1
	ds_read_b32 v5, v4
	v_add_u32_e32 v3, 0x80, v3
	v_cmp_le_i32_e32 vcc, s15, v3
	s_or_b64 s[6:7], vcc, s[6:7]
	s_waitcnt lgkmcnt(0)
	v_mul_f32_e32 v5, v2, v5
	ds_write_b32 v4, v5
	v_add_u32_e32 v4, 0x200, v4
	s_andn2_b64 exec, exec, s[6:7]
	s_cbranch_execnz .LBB118_36
.LBB118_37:
	s_or_b64 exec, exec, s[0:1]
	v_mov_b32_e32 v14, 0
	s_waitcnt lgkmcnt(0)
	s_barrier
	s_and_saveexec_b64 s[6:7], s[2:3]
	s_cbranch_execz .LBB118_43
; %bb.38:
	s_ashr_i32 s15, s14, 31
	s_lshl_b64 s[0:1], s[14:15], 1
	s_add_u32 s0, s26, s0
	s_addc_u32 s1, s27, s1
	v_lshlrev_b32_e32 v14, 4, v20
	v_mov_b32_e32 v15, 0
	v_lshl_add_u64 v[16:17], s[0:1], 0, v[14:15]
	s_add_i32 s14, s19, -1
	s_lshl_b64 s[0:1], s[24:25], 2
	s_add_u32 s0, s22, s0
	v_mov_b32_e32 v2, 0x90
	v_and_b32_e32 v14, 60, v6
	s_addc_u32 s1, s23, s1
	s_mov_b32 s15, s17
	v_lshlrev_b32_e32 v21, 3, v1
	v_lshl_add_u32 v22, v1, 5, v2
	v_lshl_add_u64 v[18:19], s[0:1], 0, v[14:15]
	s_mov_b64 s[2:3], 0
	s_mov_b32 s22, 0x5040100
	v_mov_b32_e32 v14, 0
	s_branch .LBB118_40
.LBB118_39:                             ;   in Loop: Header=BB118_40 Depth=1
	s_or_b64 exec, exec, s[10:11]
	s_waitcnt lgkmcnt(1)
	v_cvt_pk_bf16_f32 v11, v11, s0
	v_cvt_pk_bf16_f32 v12, v12, s0
	s_waitcnt vmcnt(0)
	v_lshlrev_b32_e32 v23, 16, v2
	v_and_b32_e32 v2, 0xffff0000, v2
	v_lshlrev_b32_e32 v11, 16, v11
	v_cvt_pk_bf16_f32 v13, v13, s0
	v_mul_f32_e32 v2, v11, v2
	v_lshlrev_b32_e32 v11, 16, v3
	v_lshlrev_b32_e32 v12, 16, v12
	v_mul_f32_e32 v11, v12, v11
	v_and_b32_e32 v3, 0xffff0000, v3
	v_lshlrev_b32_e32 v12, 16, v13
	s_waitcnt lgkmcnt(0)
	v_cvt_pk_bf16_f32 v6, v6, s0
	v_mul_f32_e32 v3, v12, v3
	v_cvt_pk_bf16_f32 v12, v3, s0
	v_lshlrev_b32_e32 v3, 16, v4
	v_lshlrev_b32_e32 v6, 16, v6
	v_cvt_pk_bf16_f32 v7, v7, s0
	v_mul_f32_e32 v3, v6, v3
	v_cvt_pk_bf16_f32 v6, v3, s0
	v_and_b32_e32 v3, 0xffff0000, v4
	v_lshlrev_b32_e32 v4, 16, v7
	v_cvt_pk_bf16_f32 v8, v8, s0
	v_mul_f32_e32 v3, v4, v3
	v_cvt_pk_bf16_f32 v10, v10, s0
	v_cvt_pk_bf16_f32 v7, v3, s0
	v_lshlrev_b32_e32 v3, 16, v5
	v_lshlrev_b32_e32 v4, 16, v8
	v_cvt_pk_bf16_f32 v9, v9, s0
	v_lshlrev_b32_e32 v10, 16, v10
	v_mul_f32_e32 v3, v4, v3
	v_mul_f32_e32 v10, v10, v23
	v_cvt_pk_bf16_f32 v8, v3, s0
	v_and_b32_e32 v3, 0xffff0000, v5
	v_lshlrev_b32_e32 v4, 16, v9
	v_cvt_pk_bf16_f32 v10, v10, s0
	v_cvt_pk_bf16_f32 v2, v2, s0
	;; [unrolled: 1-line block ×3, first 2 shown]
	v_mul_f32_e32 v3, v4, v3
	v_cvt_pk_bf16_f32 v9, v3, s0
	v_lshlrev_b32_e32 v3, 16, v2
	v_lshlrev_b32_e32 v5, 16, v10
	;; [unrolled: 1-line block ×4, first 2 shown]
	v_pk_add_f32 v[2:3], v[4:5], v[2:3]
	v_lshlrev_b32_e32 v5, 16, v7
	v_lshlrev_b32_e32 v7, 16, v6
	;; [unrolled: 1-line block ×4, first 2 shown]
	v_pk_add_f32 v[4:5], v[6:7], v[4:5]
	v_add_f32_e32 v2, v2, v3
	v_add_f32_e32 v2, v5, v2
	v_add_u32_e32 v1, 2, v1
	v_add_f32_e32 v2, v4, v2
	v_cmp_le_i32_e32 vcc, s19, v1
	v_add_f32_e32 v14, v14, v2
	v_add_u32_e32 v21, 16, v21
	v_add_u32_e32 v22, 64, v22
	s_or_b64 s[2:3], vcc, s[2:3]
	v_lshl_add_u64 v[18:19], v[18:19], 0, 8
	s_andn2_b64 exec, exec, s[2:3]
	s_cbranch_execz .LBB118_42
.LBB118_40:                             ; =>This Inner Loop Header: Depth=1
	global_load_dword v2, v[18:19], off
	v_cmp_eq_u32_e32 vcc, s14, v1
	s_waitcnt vmcnt(0)
	v_mad_i64_i32 v[2:3], s[0:1], v2, s13, 0
	v_lshl_add_u64 v[2:3], v[2:3], 1, v[16:17]
	global_load_dwordx4 v[2:5], v[2:3], off
	ds_read2_b64 v[10:13], v22 offset1:1
	ds_read2_b64 v[6:9], v22 offset0:2 offset1:3
	s_and_saveexec_b64 s[10:11], vcc
	s_cbranch_execz .LBB118_39
; %bb.41:                               ;   in Loop: Header=BB118_40 Depth=1
	v_add_u32_e32 v23, 1, v21
	v_cmp_gt_i32_e32 vcc, s15, v23
	v_or_b32_e32 v24, 2, v21
	v_cmp_gt_i32_e64 s[0:1], s17, v24
	s_waitcnt vmcnt(0)
	v_cndmask_b32_sdwa v23, v15, v2, vcc dst_sel:DWORD dst_unused:UNUSED_PAD src0_sel:DWORD src1_sel:WORD_1
	v_cmp_gt_i32_e32 vcc, s17, v21
	v_or_b32_e32 v24, 4, v21
	s_nop 0
	v_cndmask_b32_e32 v2, 0, v2, vcc
	v_perm_b32 v2, v23, v2, s22
	v_or_b32_e32 v23, 3, v21
	v_cmp_gt_i32_e32 vcc, s15, v23
	v_cndmask_b32_e64 v23, 0, v3, s[0:1]
	v_cmp_gt_i32_e64 s[0:1], s17, v24
	v_cndmask_b32_sdwa v3, v15, v3, vcc dst_sel:DWORD dst_unused:UNUSED_PAD src0_sel:DWORD src1_sel:WORD_1
	v_perm_b32 v3, v3, v23, s22
	v_or_b32_e32 v23, 5, v21
	v_cmp_gt_i32_e32 vcc, s15, v23
	v_cndmask_b32_e64 v23, 0, v4, s[0:1]
	v_or_b32_e32 v24, 6, v21
	v_cndmask_b32_sdwa v4, v15, v4, vcc dst_sel:DWORD dst_unused:UNUSED_PAD src0_sel:DWORD src1_sel:WORD_1
	v_perm_b32 v4, v4, v23, s22
	v_or_b32_e32 v23, 7, v21
	v_cmp_gt_i32_e32 vcc, s15, v23
	v_cmp_gt_i32_e64 s[0:1], s17, v24
	s_nop 1
	v_cndmask_b32_e64 v23, 0, v5, s[0:1]
	v_cndmask_b32_sdwa v5, v15, v5, vcc dst_sel:DWORD dst_unused:UNUSED_PAD src0_sel:DWORD src1_sel:WORD_1
	v_perm_b32 v5, v5, v23, s22
	s_branch .LBB118_39
.LBB118_42:
	s_or_b64 exec, exec, s[2:3]
.LBB118_43:
	s_or_b64 exec, exec, s[6:7]
	v_and_b32_e32 v0, 0x3c0, v0
	v_cmp_eq_u32_e32 vcc, 64, v0
	v_mov_b32_e32 v0, 0x90
	v_lshl_add_u32 v0, v20, 2, v0
	s_barrier
	s_and_saveexec_b64 s[0:1], vcc
; %bb.44:
	ds_write_b32 v0, v14
; %bb.45:
	s_or_b64 exec, exec, s[0:1]
	s_waitcnt lgkmcnt(0)
	s_barrier
	s_and_saveexec_b64 s[0:1], s[8:9]
	s_cbranch_execz .LBB118_47
; %bb.46:
	ds_read_b32 v0, v0
	s_waitcnt lgkmcnt(0)
	v_add_f32_e32 v14, v14, v0
.LBB118_47:
	s_or_b64 exec, exec, s[0:1]
	s_barrier
	s_and_saveexec_b64 s[0:1], s[8:9]
	s_cbranch_execz .LBB118_49
; %bb.48:
	s_mul_i32 s0, s16, s12
	s_mul_i32 s0, s0, s5
	s_lshl_b32 s0, s0, 6
	s_ashr_i32 s1, s0, 31
	s_lshl_b64 s[0:1], s[0:1], 1
	s_add_u32 s2, s20, s0
	s_mul_i32 s0, s12, s18
	s_addc_u32 s3, s21, s1
	s_ashr_i32 s1, s0, 31
	s_lshl_b64 s[0:1], s[0:1], 1
	s_add_u32 s2, s2, s0
	s_addc_u32 s3, s3, s1
	s_lshl_b32 s0, s4, 6
	s_ashr_i32 s1, s0, 31
	s_lshl_b64 s[0:1], s[0:1], 1
	s_add_u32 s0, s2, s0
	s_addc_u32 s1, s3, s1
	v_lshlrev_b32_e32 v0, 1, v20
	v_cvt_pk_bf16_f32 v1, v14, s0
	global_store_short v0, v1, s[0:1]
.LBB118_49:
	s_endpgm
	.section	.rodata,"a",@progbits
	.p2align	6, 0x0
	.amdhsa_kernel _ZN4vllm25paged_attention_v1_kernelI14__hip_bfloat16S1_Li64ELi8ELi128ELNS_18Fp8KVCacheDataTypeE0ELb0EEEvPT_PKS3_PKT0_S9_ifPKiSB_iPKfiiiSD_SD_iiiii
		.amdhsa_group_segment_fixed_size 144
		.amdhsa_private_segment_fixed_size 0
		.amdhsa_kernarg_size 384
		.amdhsa_user_sgpr_count 2
		.amdhsa_user_sgpr_dispatch_ptr 0
		.amdhsa_user_sgpr_queue_ptr 0
		.amdhsa_user_sgpr_kernarg_segment_ptr 1
		.amdhsa_user_sgpr_dispatch_id 0
		.amdhsa_user_sgpr_kernarg_preload_length 0
		.amdhsa_user_sgpr_kernarg_preload_offset 0
		.amdhsa_user_sgpr_private_segment_size 0
		.amdhsa_uses_dynamic_stack 0
		.amdhsa_enable_private_segment 0
		.amdhsa_system_sgpr_workgroup_id_x 1
		.amdhsa_system_sgpr_workgroup_id_y 1
		.amdhsa_system_sgpr_workgroup_id_z 1
		.amdhsa_system_sgpr_workgroup_info 0
		.amdhsa_system_vgpr_workitem_id 0
		.amdhsa_next_free_vgpr 35
		.amdhsa_next_free_sgpr 36
		.amdhsa_accum_offset 36
		.amdhsa_reserve_vcc 1
		.amdhsa_float_round_mode_32 0
		.amdhsa_float_round_mode_16_64 0
		.amdhsa_float_denorm_mode_32 3
		.amdhsa_float_denorm_mode_16_64 3
		.amdhsa_dx10_clamp 1
		.amdhsa_ieee_mode 1
		.amdhsa_fp16_overflow 0
		.amdhsa_tg_split 0
		.amdhsa_exception_fp_ieee_invalid_op 0
		.amdhsa_exception_fp_denorm_src 0
		.amdhsa_exception_fp_ieee_div_zero 0
		.amdhsa_exception_fp_ieee_overflow 0
		.amdhsa_exception_fp_ieee_underflow 0
		.amdhsa_exception_fp_ieee_inexact 0
		.amdhsa_exception_int_div_zero 0
	.end_amdhsa_kernel
	.section	.text._ZN4vllm25paged_attention_v1_kernelI14__hip_bfloat16S1_Li64ELi8ELi128ELNS_18Fp8KVCacheDataTypeE0ELb0EEEvPT_PKS3_PKT0_S9_ifPKiSB_iPKfiiiSD_SD_iiiii,"axG",@progbits,_ZN4vllm25paged_attention_v1_kernelI14__hip_bfloat16S1_Li64ELi8ELi128ELNS_18Fp8KVCacheDataTypeE0ELb0EEEvPT_PKS3_PKT0_S9_ifPKiSB_iPKfiiiSD_SD_iiiii,comdat
.Lfunc_end118:
	.size	_ZN4vllm25paged_attention_v1_kernelI14__hip_bfloat16S1_Li64ELi8ELi128ELNS_18Fp8KVCacheDataTypeE0ELb0EEEvPT_PKS3_PKT0_S9_ifPKiSB_iPKfiiiSD_SD_iiiii, .Lfunc_end118-_ZN4vllm25paged_attention_v1_kernelI14__hip_bfloat16S1_Li64ELi8ELi128ELNS_18Fp8KVCacheDataTypeE0ELb0EEEvPT_PKS3_PKT0_S9_ifPKiSB_iPKfiiiSD_SD_iiiii
                                        ; -- End function
	.set _ZN4vllm25paged_attention_v1_kernelI14__hip_bfloat16S1_Li64ELi8ELi128ELNS_18Fp8KVCacheDataTypeE0ELb0EEEvPT_PKS3_PKT0_S9_ifPKiSB_iPKfiiiSD_SD_iiiii.num_vgpr, 35
	.set _ZN4vllm25paged_attention_v1_kernelI14__hip_bfloat16S1_Li64ELi8ELi128ELNS_18Fp8KVCacheDataTypeE0ELb0EEEvPT_PKS3_PKT0_S9_ifPKiSB_iPKfiiiSD_SD_iiiii.num_agpr, 0
	.set _ZN4vllm25paged_attention_v1_kernelI14__hip_bfloat16S1_Li64ELi8ELi128ELNS_18Fp8KVCacheDataTypeE0ELb0EEEvPT_PKS3_PKT0_S9_ifPKiSB_iPKfiiiSD_SD_iiiii.numbered_sgpr, 36
	.set _ZN4vllm25paged_attention_v1_kernelI14__hip_bfloat16S1_Li64ELi8ELi128ELNS_18Fp8KVCacheDataTypeE0ELb0EEEvPT_PKS3_PKT0_S9_ifPKiSB_iPKfiiiSD_SD_iiiii.num_named_barrier, 0
	.set _ZN4vllm25paged_attention_v1_kernelI14__hip_bfloat16S1_Li64ELi8ELi128ELNS_18Fp8KVCacheDataTypeE0ELb0EEEvPT_PKS3_PKT0_S9_ifPKiSB_iPKfiiiSD_SD_iiiii.private_seg_size, 0
	.set _ZN4vllm25paged_attention_v1_kernelI14__hip_bfloat16S1_Li64ELi8ELi128ELNS_18Fp8KVCacheDataTypeE0ELb0EEEvPT_PKS3_PKT0_S9_ifPKiSB_iPKfiiiSD_SD_iiiii.uses_vcc, 1
	.set _ZN4vllm25paged_attention_v1_kernelI14__hip_bfloat16S1_Li64ELi8ELi128ELNS_18Fp8KVCacheDataTypeE0ELb0EEEvPT_PKS3_PKT0_S9_ifPKiSB_iPKfiiiSD_SD_iiiii.uses_flat_scratch, 0
	.set _ZN4vllm25paged_attention_v1_kernelI14__hip_bfloat16S1_Li64ELi8ELi128ELNS_18Fp8KVCacheDataTypeE0ELb0EEEvPT_PKS3_PKT0_S9_ifPKiSB_iPKfiiiSD_SD_iiiii.has_dyn_sized_stack, 0
	.set _ZN4vllm25paged_attention_v1_kernelI14__hip_bfloat16S1_Li64ELi8ELi128ELNS_18Fp8KVCacheDataTypeE0ELb0EEEvPT_PKS3_PKT0_S9_ifPKiSB_iPKfiiiSD_SD_iiiii.has_recursion, 0
	.set _ZN4vllm25paged_attention_v1_kernelI14__hip_bfloat16S1_Li64ELi8ELi128ELNS_18Fp8KVCacheDataTypeE0ELb0EEEvPT_PKS3_PKT0_S9_ifPKiSB_iPKfiiiSD_SD_iiiii.has_indirect_call, 0
	.section	.AMDGPU.csdata,"",@progbits
; Kernel info:
; codeLenInByte = 3480
; TotalNumSgprs: 42
; NumVgprs: 35
; NumAgprs: 0
; TotalNumVgprs: 35
; ScratchSize: 0
; MemoryBound: 0
; FloatMode: 240
; IeeeMode: 1
; LDSByteSize: 144 bytes/workgroup (compile time only)
; SGPRBlocks: 5
; VGPRBlocks: 4
; NumSGPRsForWavesPerEU: 42
; NumVGPRsForWavesPerEU: 35
; AccumOffset: 36
; Occupancy: 8
; WaveLimiterHint : 1
; COMPUTE_PGM_RSRC2:SCRATCH_EN: 0
; COMPUTE_PGM_RSRC2:USER_SGPR: 2
; COMPUTE_PGM_RSRC2:TRAP_HANDLER: 0
; COMPUTE_PGM_RSRC2:TGID_X_EN: 1
; COMPUTE_PGM_RSRC2:TGID_Y_EN: 1
; COMPUTE_PGM_RSRC2:TGID_Z_EN: 1
; COMPUTE_PGM_RSRC2:TIDIG_COMP_CNT: 0
; COMPUTE_PGM_RSRC3_GFX90A:ACCUM_OFFSET: 8
; COMPUTE_PGM_RSRC3_GFX90A:TG_SPLIT: 0
	.section	.text._ZN4vllm25paged_attention_v1_kernelI14__hip_bfloat16S1_Li80ELi8ELi128ELNS_18Fp8KVCacheDataTypeE0ELb0EEEvPT_PKS3_PKT0_S9_ifPKiSB_iPKfiiiSD_SD_iiiii,"axG",@progbits,_ZN4vllm25paged_attention_v1_kernelI14__hip_bfloat16S1_Li80ELi8ELi128ELNS_18Fp8KVCacheDataTypeE0ELb0EEEvPT_PKS3_PKT0_S9_ifPKiSB_iPKfiiiSD_SD_iiiii,comdat
	.protected	_ZN4vllm25paged_attention_v1_kernelI14__hip_bfloat16S1_Li80ELi8ELi128ELNS_18Fp8KVCacheDataTypeE0ELb0EEEvPT_PKS3_PKT0_S9_ifPKiSB_iPKfiiiSD_SD_iiiii ; -- Begin function _ZN4vllm25paged_attention_v1_kernelI14__hip_bfloat16S1_Li80ELi8ELi128ELNS_18Fp8KVCacheDataTypeE0ELb0EEEvPT_PKS3_PKT0_S9_ifPKiSB_iPKfiiiSD_SD_iiiii
	.globl	_ZN4vllm25paged_attention_v1_kernelI14__hip_bfloat16S1_Li80ELi8ELi128ELNS_18Fp8KVCacheDataTypeE0ELb0EEEvPT_PKS3_PKT0_S9_ifPKiSB_iPKfiiiSD_SD_iiiii
	.p2align	8
	.type	_ZN4vllm25paged_attention_v1_kernelI14__hip_bfloat16S1_Li80ELi8ELi128ELNS_18Fp8KVCacheDataTypeE0ELb0EEEvPT_PKS3_PKT0_S9_ifPKiSB_iPKfiiiSD_SD_iiiii,@function
_ZN4vllm25paged_attention_v1_kernelI14__hip_bfloat16S1_Li80ELi8ELi128ELNS_18Fp8KVCacheDataTypeE0ELb0EEEvPT_PKS3_PKT0_S9_ifPKiSB_iPKfiiiSD_SD_iiiii: ; @_ZN4vllm25paged_attention_v1_kernelI14__hip_bfloat16S1_Li80ELi8ELi128ELNS_18Fp8KVCacheDataTypeE0ELb0EEEvPT_PKS3_PKT0_S9_ifPKiSB_iPKfiiiSD_SD_iiiii
; %bb.0:
	s_load_dword s5, s[0:1], 0x80
	s_load_dwordx2 s[6:7], s[0:1], 0x30
	s_load_dwordx2 s[10:11], s[0:1], 0x20
	s_mov_b32 s16, s3
	s_ashr_i32 s17, s3, 31
	s_lshl_b64 s[8:9], s[16:17], 2
	s_waitcnt lgkmcnt(0)
	s_add_u32 s6, s6, s8
	s_addc_u32 s7, s7, s9
	s_abs_i32 s3, s10
	v_cvt_f32_u32_e32 v1, s3
	s_xor_b32 s8, s5, s10
	s_sub_i32 s10, 0, s3
	s_abs_i32 s9, s5
	v_rcp_iflag_f32_e32 v1, v1
	s_ashr_i32 s8, s8, 31
	v_mul_f32_e32 v1, 0x4f7ffffe, v1
	v_cvt_u32_f32_e32 v1, v1
	s_nop 0
	v_readfirstlane_b32 s12, v1
	s_mul_i32 s10, s10, s12
	s_mul_hi_u32 s10, s12, s10
	s_add_i32 s12, s12, s10
	s_mul_hi_u32 s10, s9, s12
	s_mul_i32 s12, s10, s3
	s_sub_i32 s9, s9, s12
	s_add_i32 s12, s10, 1
	s_sub_i32 s13, s9, s3
	s_cmp_ge_u32 s9, s3
	s_cselect_b32 s10, s12, s10
	s_cselect_b32 s9, s13, s9
	s_add_i32 s12, s10, 1
	s_cmp_ge_u32 s9, s3
	s_cselect_b32 s3, s12, s10
	s_xor_b32 s3, s3, s8
	s_sub_i32 s12, s3, s8
	s_abs_i32 s20, s12
	v_cvt_f32_u32_e32 v1, s20
	s_load_dwordx2 s[8:9], s[0:1], 0x40
	s_sub_i32 s3, 0, s20
	s_abs_i32 s21, s2
	v_rcp_iflag_f32_e32 v1, v1
	s_mov_b32 s10, 0
	v_mul_f32_e32 v1, 0x4f7ffffe, v1
	v_cvt_u32_f32_e32 v1, v1
	s_nop 0
	v_readfirstlane_b32 s13, v1
	s_mul_i32 s3, s3, s13
	s_mul_hi_u32 s3, s13, s3
	s_add_i32 s13, s13, s3
	s_waitcnt lgkmcnt(0)
	s_cmp_eq_u64 s[8:9], 0
	s_mul_hi_u32 s24, s21, s13
	s_cbranch_scc1 .LBB119_2
; %bb.1:
	s_ashr_i32 s3, s2, 31
	s_lshl_b64 s[14:15], s[2:3], 2
	s_add_u32 s8, s8, s14
	s_addc_u32 s9, s9, s15
	s_load_dword s10, s[8:9], 0x0
.LBB119_2:
	s_load_dword s17, s[6:7], 0x0
	s_ashr_i32 s7, s12, 31
	s_load_dwordx4 s[12:15], s[0:1], 0x48
	s_movk_i32 s3, 0x50
	s_ashr_i32 s6, s2, 31
	v_and_b32_e32 v4, 7, v0
	s_mul_i32 s18, s2, 0x50
	v_cmp_gt_u32_e64 s[8:9], s3, v0
	v_lshlrev_b32_e32 v14, 1, v0
	s_and_saveexec_b64 s[2:3], s[8:9]
	s_cbranch_execz .LBB119_4
; %bb.3:
	s_load_dwordx2 s[22:23], s[0:1], 0x8
	s_waitcnt lgkmcnt(0)
	s_mul_i32 s26, s12, s16
	s_ashr_i32 s27, s26, 31
	s_lshl_b64 s[26:27], s[26:27], 1
	v_lshrrev_b32_e32 v2, 2, v0
	s_add_u32 s12, s22, s26
	s_addc_u32 s15, s23, s27
	s_ashr_i32 s19, s18, 31
	s_lshl_b64 s[22:23], s[18:19], 1
	s_add_u32 s22, s12, s22
	s_addc_u32 s23, s15, s23
	global_load_ushort v1, v14, s[22:23]
	v_and_b32_e32 v2, 0xfe, v2
	v_mad_u32_u24 v2, v4, 20, v2
	s_waitcnt vmcnt(0)
	ds_write_b16 v2, v1
.LBB119_4:
	s_or_b64 exec, exec, s[2:3]
	s_waitcnt lgkmcnt(0)
	s_add_i32 s3, s17, 7
	s_ashr_i32 s12, s3, 31
	s_lshr_b32 s12, s12, 29
	s_add_i32 s3, s3, s12
	s_ashr_i32 s33, s3, 3
	s_xor_b32 s3, s6, s7
	s_mul_i32 s6, s24, s20
	s_sub_i32 s6, s21, s6
	s_add_i32 s7, s24, 1
	s_sub_i32 s12, s6, s20
	s_load_dwordx2 s[22:23], s[0:1], 0x28
	s_load_dword s2, s[0:1], 0x38
	s_cmp_ge_u32 s6, s20
	s_cselect_b32 s7, s7, s24
	s_cselect_b32 s6, s12, s6
	s_add_i32 s12, s7, 1
	s_cmp_ge_u32 s6, s20
	s_cselect_b32 s6, s12, s7
	v_lshrrev_b32_e32 v1, 6, v0
	s_xor_b32 s6, s6, s3
	s_waitcnt lgkmcnt(0)
	s_mul_i32 s24, s2, s16
	s_sub_i32 s12, s6, s3
	s_ashr_i32 s25, s24, 31
	v_cmp_gt_i32_e64 s[2:3], s33, v1
	v_cmp_le_i32_e32 vcc, s33, v1
	v_mbcnt_lo_u32_b32 v5, -1, 0
	s_barrier
                                        ; implicit-def: $vgpr7
                                        ; implicit-def: $vgpr9
                                        ; implicit-def: $vgpr8
	s_and_saveexec_b64 s[6:7], vcc
	s_xor_b64 s[6:7], exec, s[6:7]
; %bb.5:
	v_mbcnt_hi_u32_b32 v7, -1, v5
	v_and_b32_e32 v9, 64, v7
	v_add_u32_e32 v8, 64, v9
                                        ; implicit-def: $vgpr4
                                        ; implicit-def: $vgpr5
; %bb.6:
	s_or_saveexec_b64 s[28:29], s[6:7]
	s_load_dwordx2 s[20:21], s[0:1], 0x0
	s_load_dwordx2 s[26:27], s[0:1], 0x18
	s_load_dword s19, s[0:1], 0x88
	v_mov_b32_e32 v18, 0xff7fffff
	s_mul_i32 s14, s12, s14
	v_lshrrev_b32_e32 v6, 4, v0
	s_xor_b64 exec, exec, s[28:29]
	s_cbranch_execz .LBB119_12
; %bb.7:
	v_mul_u32_u24_e32 v7, 20, v4
	ds_read2_b32 v[8:9], v7 offset1:1
	ds_read2_b32 v[18:19], v7 offset0:2 offset1:3
	ds_read_b32 v7, v7 offset:16
	s_load_dwordx2 s[0:1], s[0:1], 0x10
	s_ashr_i32 s15, s14, 31
	s_lshl_b64 s[6:7], s[14:15], 1
	s_waitcnt lgkmcnt(0)
	v_lshlrev_b32_e32 v12, 16, v9
	v_lshlrev_b32_e32 v20, 16, v7
	v_and_b32_e32 v21, 0xffff0000, v7
	v_mbcnt_hi_u32_b32 v7, -1, v5
	v_and_b32_e32 v13, 0xffff0000, v9
	v_and_b32_e32 v9, 64, v7
	v_lshlrev_b32_e32 v10, 16, v8
	v_and_b32_e32 v11, 0xffff0000, v8
	v_add_u32_e32 v8, 64, v9
	v_xor_b32_e32 v5, 4, v7
	v_cmp_lt_i32_e32 vcc, v5, v8
	v_bfe_u32 v26, v0, 3, 3
	s_add_u32 s0, s0, s6
	v_cndmask_b32_e32 v5, v7, v5, vcc
	v_lshlrev_b32_e32 v22, 2, v5
	v_xor_b32_e32 v5, 2, v7
	v_cmp_lt_i32_e32 vcc, v5, v8
	s_addc_u32 s1, s1, s7
	v_lshlrev_b32_e32 v28, 4, v26
	v_cndmask_b32_e32 v5, v7, v5, vcc
	v_lshlrev_b32_e32 v23, 2, v5
	v_xor_b32_e32 v5, 1, v7
	v_mov_b32_e32 v29, 0
	v_cmp_lt_i32_e32 vcc, v5, v8
	s_sub_i32 s15, 1, s17
	s_lshl_b64 s[6:7], s[24:25], 2
	v_lshl_add_u64 v[2:3], s[0:1], 0, v[28:29]
	v_lshlrev_b32_e32 v28, 1, v4
	v_cndmask_b32_e32 v5, v7, v5, vcc
	v_cmp_eq_u32_e32 vcc, 0, v4
	v_lshlrev_b32_e32 v4, 2, v26
	s_add_u32 s6, s22, s6
	v_lshl_add_u64 v[2:3], v[2:3], 0, v[28:29]
	v_lshl_or_b32 v4, v1, 5, v4
	v_and_b32_e32 v28, 60, v6
	s_addc_u32 s7, s23, s7
	s_mov_b32 s12, s13
	v_lshlrev_b32_e32 v15, 16, v18
	v_and_b32_e32 v16, 0xffff0000, v18
	v_lshlrev_b32_e32 v17, 16, v19
	v_and_b32_e32 v19, 0xffff0000, v19
	v_lshlrev_b32_e32 v24, 2, v5
	v_cmp_neq_f32_e64 s[0:1], s10, 0
	v_lshl_or_b32 v25, v1, 3, v26
	v_add_u32_e32 v26, 0xb0, v4
	v_lshl_add_u64 v[4:5], s[6:7], 0, v[28:29]
	v_mov_b32_e32 v18, 0xff7fffff
	s_mov_b64 s[30:31], 0
	v_mov_b32_e32 v27, v1
	s_branch .LBB119_9
.LBB119_8:                              ;   in Loop: Header=BB119_9 Depth=1
	s_or_b64 exec, exec, s[34:35]
	v_add_u32_e32 v27, 2, v27
	v_cmp_le_i32_e64 s[6:7], s33, v27
	v_add_u32_e32 v25, 16, v25
	v_add_u32_e32 v26, 64, v26
	s_or_b64 s[30:31], s[6:7], s[30:31]
	v_lshl_add_u64 v[4:5], v[4:5], 0, 8
	s_andn2_b64 exec, exec, s[30:31]
	s_cbranch_execz .LBB119_11
.LBB119_9:                              ; =>This Inner Loop Header: Depth=1
	global_load_dword v28, v[4:5], off
	s_waitcnt vmcnt(0) lgkmcnt(0)
	v_mad_i64_i32 v[28:29], s[6:7], v28, s12, 0
	v_lshl_add_u64 v[28:29], v[28:29], 1, v[2:3]
	global_load_ushort v30, v[28:29], off
	global_load_ushort v31, v[28:29], off offset:128
	global_load_ushort v32, v[28:29], off offset:256
	;; [unrolled: 1-line block ×9, first 2 shown]
	s_waitcnt vmcnt(9)
	v_lshlrev_b32_e32 v28, 16, v30
	s_waitcnt vmcnt(8)
	v_lshlrev_b32_e32 v29, 16, v31
	v_mul_f32_e32 v29, v11, v29
	s_waitcnt vmcnt(7)
	v_lshlrev_b32_e32 v30, 16, v32
	v_fmac_f32_e32 v29, v10, v28
	s_waitcnt vmcnt(6)
	v_lshlrev_b32_e32 v31, 16, v33
	v_fmac_f32_e32 v29, v12, v30
	;; [unrolled: 3-line block ×7, first 2 shown]
	v_fmac_f32_e32 v29, v20, v36
	s_waitcnt vmcnt(0)
	v_lshlrev_b32_e32 v28, 16, v39
	v_fmac_f32_e32 v29, v21, v28
	ds_bpermute_b32 v28, v22, v29
	s_waitcnt lgkmcnt(0)
	v_add_f32_e32 v28, v29, v28
	ds_bpermute_b32 v29, v23, v28
	s_waitcnt lgkmcnt(0)
	v_add_f32_e32 v28, v28, v29
	ds_bpermute_b32 v29, v24, v28
	s_and_saveexec_b64 s[34:35], vcc
	s_cbranch_execz .LBB119_8
; %bb.10:                               ;   in Loop: Header=BB119_9 Depth=1
	v_add_u32_e32 v30, s15, v25
	v_cvt_f32_i32_e32 v30, v30
	s_waitcnt lgkmcnt(0)
	v_add_f32_e32 v28, v28, v29
	v_cmp_gt_i32_e64 s[6:7], s17, v25
	v_max_f32_e32 v29, v18, v18
	v_mul_f32_e32 v30, s10, v30
	v_cndmask_b32_e64 v30, 0, v30, s[0:1]
	v_fmac_f32_e32 v30, s11, v28
	v_cndmask_b32_e64 v28, 0, v30, s[6:7]
	ds_write_b32 v26, v28
	v_max_f32_e32 v28, v29, v30
	v_cndmask_b32_e64 v18, v18, v28, s[6:7]
	s_branch .LBB119_8
.LBB119_11:
	s_or_b64 exec, exec, s[30:31]
.LBB119_12:
	s_or_b64 exec, exec, s[28:29]
	v_xor_b32_e32 v2, 32, v7
	v_cmp_lt_i32_e32 vcc, v2, v8
	v_xor_b32_e32 v5, 16, v7
	v_max_f32_e32 v4, v18, v18
	v_cndmask_b32_e32 v2, v7, v2, vcc
	v_lshlrev_b32_e32 v3, 2, v2
	ds_bpermute_b32 v2, v3, v18
	v_cmp_lt_i32_e32 vcc, v5, v8
	v_xor_b32_e32 v10, 8, v7
	v_and_b32_e32 v15, 63, v0
	s_waitcnt lgkmcnt(0)
	v_max_f32_e32 v2, v2, v2
	v_max_f32_e32 v2, v4, v2
	v_cndmask_b32_e32 v4, v7, v5, vcc
	v_lshlrev_b32_e32 v5, 2, v4
	ds_bpermute_b32 v4, v5, v2
	v_cmp_lt_i32_e32 vcc, v10, v8
	s_waitcnt lgkmcnt(0)
	v_max_f32_e32 v4, v4, v4
	v_max_f32_e32 v4, v2, v4
	v_cndmask_b32_e32 v2, v7, v10, vcc
	v_lshlrev_b32_e32 v11, 2, v2
	ds_bpermute_b32 v10, v11, v4
	v_cmp_eq_u32_e32 vcc, 0, v15
	v_lshlrev_b32_e32 v2, 2, v1
	s_and_saveexec_b64 s[0:1], vcc
	s_cbranch_execz .LBB119_14
; %bb.13:
	s_waitcnt lgkmcnt(0)
	v_max_f32_e32 v10, v10, v10
	v_max_f32_e32 v4, v4, v4
	;; [unrolled: 1-line block ×3, first 2 shown]
	ds_write_b32 v2, v4 offset:160
.LBB119_14:
	s_or_b64 exec, exec, s[0:1]
	v_cmp_gt_u32_e64 s[0:1], 2, v15
	v_mov_b32_e32 v12, 0xff7fffff
	v_lshlrev_b32_e32 v4, 2, v15
	s_waitcnt lgkmcnt(0)
	s_barrier
	s_and_saveexec_b64 s[6:7], s[0:1]
; %bb.15:
	ds_read_b32 v12, v4 offset:160
; %bb.16:
	s_or_b64 exec, exec, s[6:7]
	v_xor_b32_e32 v10, 1, v7
	v_cmp_lt_i32_e64 s[6:7], v10, v8
	v_lshlrev_b32_e32 v9, 2, v9
	s_nop 0
	v_cndmask_b32_e64 v10, v7, v10, s[6:7]
	v_lshlrev_b32_e32 v10, 2, v10
	s_waitcnt lgkmcnt(0)
	ds_bpermute_b32 v13, v10, v12
	v_max_f32_e32 v12, v12, v12
	s_lshl_b32 s6, s33, 3
	s_min_i32 s12, s6, s17
	v_cmp_gt_i32_e64 s[6:7], s12, v0
	s_waitcnt lgkmcnt(0)
	v_max_f32_e32 v13, v13, v13
	v_max_f32_e32 v12, v12, v13
	ds_bpermute_b32 v12, v9, v12
	v_mov_b32_e32 v9, 0
	s_and_saveexec_b64 s[28:29], s[6:7]
	s_cbranch_execz .LBB119_20
; %bb.17:
	v_mov_b32_e32 v9, 0xb0
	v_lshl_add_u32 v13, v0, 2, v9
	v_mov_b32_e32 v9, 0
	s_mov_b64 s[30:31], 0
	v_mov_b32_e32 v16, v0
.LBB119_18:                             ; =>This Inner Loop Header: Depth=1
	ds_read_b32 v17, v13
	v_add_u32_e32 v16, 0x80, v16
	v_cmp_le_i32_e64 s[10:11], s12, v16
	s_or_b64 s[30:31], s[10:11], s[30:31]
	s_waitcnt lgkmcnt(0)
	v_sub_f32_e32 v17, v17, v12
	v_mul_f32_e32 v17, 0x3fb8aa3b, v17
	v_exp_f32_e32 v17, v17
	ds_write_b32 v13, v17
	v_add_f32_e32 v9, v9, v17
	v_add_u32_e32 v13, 0x200, v13
	s_andn2_b64 exec, exec, s[30:31]
	s_cbranch_execnz .LBB119_18
; %bb.19:
	s_or_b64 exec, exec, s[30:31]
.LBB119_20:
	s_or_b64 exec, exec, s[28:29]
	ds_bpermute_b32 v3, v3, v9
	s_waitcnt lgkmcnt(0)
	v_add_f32_e32 v3, v9, v3
	ds_bpermute_b32 v5, v5, v3
	v_xor_b32_e32 v9, 4, v7
	v_cmp_lt_i32_e64 s[10:11], v9, v8
	s_waitcnt lgkmcnt(0)
	v_add_f32_e32 v3, v3, v5
	ds_bpermute_b32 v5, v11, v3
	v_cndmask_b32_e64 v9, v7, v9, s[10:11]
	v_lshlrev_b32_e32 v9, 2, v9
	s_waitcnt lgkmcnt(0)
	v_add_f32_e32 v3, v3, v5
	ds_bpermute_b32 v5, v9, v3
	v_xor_b32_e32 v9, 2, v7
	v_cmp_lt_i32_e64 s[10:11], v9, v8
	s_waitcnt lgkmcnt(0)
	v_add_f32_e32 v3, v3, v5
	v_cndmask_b32_e64 v8, v7, v9, s[10:11]
	v_lshlrev_b32_e32 v5, 2, v8
	ds_bpermute_b32 v5, v5, v3
	s_waitcnt lgkmcnt(0)
	v_add_f32_e32 v3, v3, v5
	ds_bpermute_b32 v5, v10, v3
	s_waitcnt lgkmcnt(0)
	v_add_f32_e32 v3, v3, v5
	s_and_saveexec_b64 s[10:11], vcc
; %bb.21:
	ds_write_b32 v2, v3 offset:168
; %bb.22:
	s_or_b64 exec, exec, s[10:11]
	s_waitcnt lgkmcnt(0)
	s_barrier
	s_and_saveexec_b64 s[10:11], s[0:1]
; %bb.23:
	ds_read_b32 v3, v4 offset:168
; %bb.24:
	s_or_b64 exec, exec, s[10:11]
	s_waitcnt lgkmcnt(0)
	ds_bpermute_b32 v2, v10, v3
	v_lshlrev_b32_e32 v4, 2, v7
	s_waitcnt lgkmcnt(0)
	v_add_f32_e32 v2, v3, v2
	v_and_b32_e32 v3, 0xffffff00, v4
	ds_bpermute_b32 v2, v3, v2
	s_and_saveexec_b64 s[0:1], s[6:7]
	s_cbranch_execz .LBB119_37
; %bb.25:
	s_waitcnt lgkmcnt(0)
	v_add_f32_e32 v2, 0x358637bd, v2
	v_div_scale_f32 v3, s[6:7], v2, v2, 1.0
	v_rcp_f32_e32 v4, v3
	v_div_scale_f32 v5, vcc, 1.0, v2, 1.0
	s_movk_i32 s6, 0x7f
	v_fma_f32 v7, -v3, v4, 1.0
	v_fmac_f32_e32 v4, v7, v4
	v_mul_f32_e32 v7, v5, v4
	v_fma_f32 v8, -v3, v7, v5
	v_fmac_f32_e32 v7, v8, v4
	v_fma_f32 v3, -v3, v7, v5
	v_div_fmas_f32 v3, v3, v4, v7
	v_xad_u32 v4, v0, -1, s12
	v_div_fixup_f32 v2, v3, v2, 1.0
	v_cmp_lt_u32_e32 vcc, s6, v4
	s_mov_b64 s[10:11], -1
	v_mov_b32_e32 v3, v0
	s_and_saveexec_b64 s[6:7], vcc
	s_cbranch_execz .LBB119_34
; %bb.26:
	v_lshrrev_b32_e32 v4, 7, v4
	v_add_u32_e32 v7, -1, v4
	v_lshrrev_b32_e32 v5, 1, v7
	v_mov_b32_e32 v3, v2
	v_add_u32_e32 v5, 1, v5
	v_cmp_lt_u32_e32 vcc, 13, v7
	v_mov_b32_e32 v9, 0
	s_and_saveexec_b64 s[10:11], vcc
	s_cbranch_execz .LBB119_30
; %bb.27:
	v_mov_b32_e32 v8, 0xb0
	v_and_b32_e32 v7, -8, v5
	v_lshl_add_u32 v8, v0, 2, v8
	s_mov_b32 s15, 0
	s_mov_b64 s[28:29], 0
.LBB119_28:                             ; =>This Inner Loop Header: Depth=1
	ds_read2st64_b32 v[10:11], v8 offset1:2
	ds_read2st64_b32 v[12:13], v8 offset0:4 offset1:6
	ds_read2st64_b32 v[16:17], v8 offset0:8 offset1:10
	;; [unrolled: 1-line block ×3, first 2 shown]
	v_add_u32_e32 v7, -8, v7
	s_waitcnt lgkmcnt(3)
	v_pk_mul_f32 v[10:11], v[2:3], v[10:11]
	s_waitcnt lgkmcnt(2)
	v_pk_mul_f32 v[12:13], v[2:3], v[12:13]
	ds_write2st64_b32 v8, v10, v11 offset1:2
	ds_write2st64_b32 v8, v12, v13 offset0:4 offset1:6
	ds_read2st64_b32 v[12:13], v8 offset0:16 offset1:18
	s_waitcnt lgkmcnt(4)
	v_pk_mul_f32 v[10:11], v[2:3], v[16:17]
	ds_write2st64_b32 v8, v10, v11 offset0:8 offset1:10
	s_waitcnt lgkmcnt(4)
	v_pk_mul_f32 v[10:11], v[2:3], v[18:19]
	ds_write2st64_b32 v8, v10, v11 offset0:12 offset1:14
	ds_read2st64_b32 v[10:11], v8 offset0:20 offset1:22
	s_waitcnt lgkmcnt(3)
	v_pk_mul_f32 v[12:13], v[2:3], v[12:13]
	ds_read2st64_b32 v[16:17], v8 offset0:24 offset1:26
	ds_write2st64_b32 v8, v12, v13 offset0:16 offset1:18
	ds_read2st64_b32 v[12:13], v8 offset0:28 offset1:30
	s_waitcnt lgkmcnt(3)
	v_pk_mul_f32 v[10:11], v[2:3], v[10:11]
	ds_write2st64_b32 v8, v10, v11 offset0:20 offset1:22
	s_waitcnt lgkmcnt(3)
	v_pk_mul_f32 v[10:11], v[2:3], v[16:17]
	ds_write2st64_b32 v8, v10, v11 offset0:24 offset1:26
	s_waitcnt lgkmcnt(2)
	v_pk_mul_f32 v[10:11], v[2:3], v[12:13]
	s_add_i32 s15, s15, 16
	v_cmp_eq_u32_e32 vcc, 0, v7
	ds_write2st64_b32 v8, v10, v11 offset0:28 offset1:30
	v_add_u32_e32 v8, 0x2000, v8
	s_or_b64 s[28:29], vcc, s[28:29]
	v_mov_b32_e32 v9, s15
	s_andn2_b64 exec, exec, s[28:29]
	s_cbranch_execnz .LBB119_28
; %bb.29:
	s_or_b64 exec, exec, s[28:29]
.LBB119_30:
	s_or_b64 exec, exec, s[10:11]
	v_and_b32_e32 v5, 7, v5
	v_cmp_ne_u32_e32 vcc, 0, v5
	s_and_saveexec_b64 s[10:11], vcc
	s_cbranch_execz .LBB119_33
; %bb.31:
	v_lshlrev_b32_e32 v7, 9, v9
	v_lshlrev_b32_e32 v8, 2, v0
	s_movk_i32 s15, 0xb0
	v_add3_u32 v7, v7, v8, s15
	s_mov_b64 s[28:29], 0
.LBB119_32:                             ; =>This Inner Loop Header: Depth=1
	ds_read2st64_b32 v[8:9], v7 offset1:2
	v_add_u32_e32 v5, -1, v5
	v_cmp_eq_u32_e32 vcc, 0, v5
	s_or_b64 s[28:29], vcc, s[28:29]
	s_waitcnt lgkmcnt(0)
	v_pk_mul_f32 v[8:9], v[2:3], v[8:9]
	ds_write2st64_b32 v7, v8, v9 offset1:2
	v_add_u32_e32 v7, 0x400, v7
	s_andn2_b64 exec, exec, s[28:29]
	s_cbranch_execnz .LBB119_32
.LBB119_33:
	s_or_b64 exec, exec, s[10:11]
	v_add_u32_e32 v4, 1, v4
	v_and_b32_e32 v5, 0x3fffffe, v4
	v_cmp_ne_u32_e32 vcc, v4, v5
	v_lshl_add_u32 v3, v5, 7, v0
	s_orn2_b64 s[10:11], vcc, exec
.LBB119_34:
	s_or_b64 exec, exec, s[6:7]
	s_and_b64 exec, exec, s[10:11]
	s_cbranch_execz .LBB119_37
; %bb.35:
	v_mov_b32_e32 v4, 0xb0
	v_lshl_add_u32 v4, v3, 2, v4
	s_mov_b64 s[6:7], 0
.LBB119_36:                             ; =>This Inner Loop Header: Depth=1
	ds_read_b32 v5, v4
	v_add_u32_e32 v3, 0x80, v3
	v_cmp_le_i32_e32 vcc, s12, v3
	s_or_b64 s[6:7], vcc, s[6:7]
	s_waitcnt lgkmcnt(0)
	v_mul_f32_e32 v5, v2, v5
	ds_write_b32 v4, v5
	v_add_u32_e32 v4, 0x200, v4
	s_andn2_b64 exec, exec, s[6:7]
	s_cbranch_execnz .LBB119_36
.LBB119_37:
	s_or_b64 exec, exec, s[0:1]
	v_mov_b32_e32 v17, 0
	v_mov_b32_e32 v24, v17
	s_waitcnt lgkmcnt(0)
	s_barrier
	s_and_saveexec_b64 s[10:11], s[2:3]
	s_cbranch_execz .LBB119_47
; %bb.38:
	s_ashr_i32 s15, s14, 31
	s_lshl_b64 s[0:1], s[14:15], 1
	s_add_u32 s12, s26, s0
	v_or_b32_e32 v3, 64, v15
	s_movk_i32 s0, 0x50
	s_mov_b32 s28, s13
	s_addc_u32 s13, s27, s1
	s_add_i32 s26, s33, -1
	v_cmp_gt_u32_e64 s[2:3], s0, v3
	s_lshl_b64 s[0:1], s[24:25], 2
	s_add_u32 s0, s22, s0
	v_lshlrev_b32_e32 v2, 3, v15
	v_mov_b32_e32 v19, 0
	v_lshlrev_b32_e32 v4, 3, v3
	v_mov_b32_e32 v3, 0xb0
	v_and_b32_e32 v18, 60, v6
	s_addc_u32 s1, s23, s1
	s_mov_b32 s27, s17
	v_lshlrev_b32_e32 v28, 3, v1
	v_lshl_add_u32 v29, v1, 5, v3
	v_lshl_add_u64 v[20:21], s[0:1], 0, v[18:19]
	s_mov_b64 s[14:15], 0
	v_lshlrev_b32_e32 v22, 1, v2
	v_mov_b32_e32 v23, v19
	s_mov_b32 s24, 0x5040100
	v_lshlrev_b32_e32 v18, 1, v4
	v_mov_b32_e32 v16, v19
	v_mov_b32_e32 v17, v19
	s_branch .LBB119_41
.LBB119_39:                             ;   in Loop: Header=BB119_41 Depth=1
	s_or_b64 exec, exec, s[22:23]
	v_cvt_pk_bf16_f32 v6, v6, v7
	v_cvt_pk_bf16_f32 v2, v2, v3
	;; [unrolled: 1-line block ×3, first 2 shown]
	s_waitcnt vmcnt(0)
	v_lshlrev_b32_e32 v4, 16, v10
	v_lshlrev_b32_e32 v5, 16, v6
	v_cvt_pk_bf16_f32 v7, v8, v9
	v_mul_f32_e32 v4, v5, v4
	v_and_b32_e32 v5, 0xffff0000, v10
	v_and_b32_e32 v6, 0xffff0000, v6
	v_mul_f32_e32 v5, v6, v5
	v_lshlrev_b32_e32 v6, 16, v11
	v_lshlrev_b32_e32 v8, 16, v7
	v_mul_f32_e32 v6, v8, v6
	v_and_b32_e32 v8, 0xffff0000, v11
	v_and_b32_e32 v7, 0xffff0000, v7
	v_mul_f32_e32 v7, v7, v8
	v_lshlrev_b32_e32 v8, 16, v12
	v_lshlrev_b32_e32 v9, 16, v2
	v_mul_f32_e32 v8, v9, v8
	v_and_b32_e32 v9, 0xffff0000, v12
	v_and_b32_e32 v2, 0xffff0000, v2
	v_mul_f32_e32 v2, v2, v9
	v_cvt_pk_bf16_f32 v9, v2, s0
	v_lshlrev_b32_e32 v2, 16, v13
	v_lshlrev_b32_e32 v10, 16, v3
	v_mul_f32_e32 v2, v10, v2
	v_cvt_pk_bf16_f32 v10, v2, s0
	v_and_b32_e32 v2, 0xffff0000, v13
	v_and_b32_e32 v3, 0xffff0000, v3
	v_cvt_pk_bf16_f32 v4, v4, s0
	v_cvt_pk_bf16_f32 v5, v5, s0
	;; [unrolled: 1-line block ×4, first 2 shown]
	v_mul_f32_e32 v2, v3, v2
	v_cvt_pk_bf16_f32 v8, v8, s0
	v_cvt_pk_bf16_f32 v11, v2, s0
	v_lshlrev_b32_e32 v3, 16, v5
	v_lshlrev_b32_e32 v5, 16, v4
	v_lshlrev_b32_e32 v2, 16, v7
	v_lshlrev_b32_e32 v4, 16, v6
	v_pk_add_f32 v[2:3], v[4:5], v[2:3]
	v_lshlrev_b32_e32 v5, 16, v9
	v_lshlrev_b32_e32 v7, 16, v8
	v_lshlrev_b32_e32 v4, 16, v11
	v_lshlrev_b32_e32 v6, 16, v10
	v_pk_add_f32 v[4:5], v[6:7], v[4:5]
	v_add_f32_e32 v2, v2, v3
	v_add_f32_e32 v2, v5, v2
	;; [unrolled: 1-line block ×3, first 2 shown]
	v_pk_add_f32 v[16:17], v[16:17], v[2:3] op_sel_hi:[1,0]
.LBB119_40:                             ;   in Loop: Header=BB119_41 Depth=1
	s_or_b64 exec, exec, s[6:7]
	v_add_u32_e32 v1, 2, v1
	v_cmp_le_i32_e32 vcc, s33, v1
	v_add_u32_e32 v28, 16, v28
	v_add_u32_e32 v29, 64, v29
	v_lshl_add_u64 v[20:21], v[20:21], 0, 8
	s_or_b64 s[14:15], vcc, s[14:15]
	v_mov_b32_e32 v16, v24
	s_andn2_b64 exec, exec, s[14:15]
	s_cbranch_execz .LBB119_46
.LBB119_41:                             ; =>This Inner Loop Header: Depth=1
	global_load_dword v2, v[20:21], off
	s_waitcnt vmcnt(0)
	v_mad_i64_i32 v[2:3], s[0:1], v2, s28, 0
	v_lshl_add_u64 v[26:27], v[2:3], 1, s[12:13]
	v_lshl_add_u64 v[2:3], v[26:27], 0, v[22:23]
	global_load_dwordx4 v[10:13], v[2:3], off
	ds_read2_b64 v[6:9], v29 offset1:1
	ds_read2_b64 v[2:5], v29 offset0:2 offset1:3
	v_cmp_eq_u32_e64 s[0:1], s26, v1
	s_and_saveexec_b64 s[22:23], s[0:1]
	s_cbranch_execz .LBB119_43
; %bb.42:                               ;   in Loop: Header=BB119_41 Depth=1
	v_add_u32_e32 v24, 1, v28
	v_cmp_gt_i32_e32 vcc, s27, v24
	v_or_b32_e32 v25, 2, v28
	v_cmp_gt_i32_e64 s[6:7], s17, v25
	s_waitcnt vmcnt(0)
	v_cndmask_b32_sdwa v24, v19, v10, vcc dst_sel:DWORD dst_unused:UNUSED_PAD src0_sel:DWORD src1_sel:WORD_1
	v_cmp_gt_i32_e32 vcc, s17, v28
	v_or_b32_e32 v25, 4, v28
	s_nop 0
	v_cndmask_b32_e32 v10, 0, v10, vcc
	v_perm_b32 v10, v24, v10, s24
	v_or_b32_e32 v24, 3, v28
	v_cmp_gt_i32_e32 vcc, s27, v24
	v_cndmask_b32_e64 v24, 0, v11, s[6:7]
	v_cmp_gt_i32_e64 s[6:7], s17, v25
	v_cndmask_b32_sdwa v11, v19, v11, vcc dst_sel:DWORD dst_unused:UNUSED_PAD src0_sel:DWORD src1_sel:WORD_1
	v_perm_b32 v11, v11, v24, s24
	v_or_b32_e32 v24, 5, v28
	v_cmp_gt_i32_e32 vcc, s27, v24
	v_cndmask_b32_e64 v24, 0, v12, s[6:7]
	v_or_b32_e32 v25, 6, v28
	v_cndmask_b32_sdwa v12, v19, v12, vcc dst_sel:DWORD dst_unused:UNUSED_PAD src0_sel:DWORD src1_sel:WORD_1
	v_perm_b32 v12, v12, v24, s24
	v_or_b32_e32 v24, 7, v28
	v_cmp_gt_i32_e32 vcc, s27, v24
	v_cmp_gt_i32_e64 s[6:7], s17, v25
	s_nop 1
	v_cndmask_b32_e64 v24, 0, v13, s[6:7]
	v_cndmask_b32_sdwa v13, v19, v13, vcc dst_sel:DWORD dst_unused:UNUSED_PAD src0_sel:DWORD src1_sel:WORD_1
	v_perm_b32 v13, v13, v24, s24
.LBB119_43:                             ;   in Loop: Header=BB119_41 Depth=1
	s_or_b64 exec, exec, s[22:23]
	s_waitcnt lgkmcnt(1)
	v_cvt_pk_bf16_f32 v25, v7, s0
	v_cvt_pk_bf16_f32 v30, v8, s0
	s_waitcnt vmcnt(0)
	v_lshlrev_b32_e32 v36, 16, v10
	v_and_b32_e32 v10, 0xffff0000, v10
	v_lshlrev_b32_e32 v25, 16, v25
	v_cvt_pk_bf16_f32 v31, v9, s0
	v_mul_f32_e32 v10, v25, v10
	v_lshlrev_b32_e32 v25, 16, v11
	v_lshlrev_b32_e32 v30, 16, v30
	v_mul_f32_e32 v25, v30, v25
	v_and_b32_e32 v11, 0xffff0000, v11
	v_lshlrev_b32_e32 v30, 16, v31
	s_waitcnt lgkmcnt(0)
	v_cvt_pk_bf16_f32 v32, v2, s0
	v_mul_f32_e32 v11, v30, v11
	v_cvt_pk_bf16_f32 v30, v11, s0
	v_lshlrev_b32_e32 v11, 16, v12
	v_lshlrev_b32_e32 v31, 16, v32
	v_cvt_pk_bf16_f32 v33, v3, s0
	v_mul_f32_e32 v11, v31, v11
	v_cvt_pk_bf16_f32 v31, v11, s0
	v_and_b32_e32 v11, 0xffff0000, v12
	v_lshlrev_b32_e32 v12, 16, v33
	v_cvt_pk_bf16_f32 v34, v4, s0
	v_mul_f32_e32 v11, v12, v11
	v_cvt_pk_bf16_f32 v24, v6, s0
	v_cvt_pk_bf16_f32 v32, v11, s0
	v_lshlrev_b32_e32 v11, 16, v13
	v_lshlrev_b32_e32 v12, 16, v34
	v_cvt_pk_bf16_f32 v35, v5, s0
	v_lshlrev_b32_e32 v24, 16, v24
	v_mul_f32_e32 v11, v12, v11
	v_mul_f32_e32 v24, v24, v36
	v_cvt_pk_bf16_f32 v33, v11, s0
	v_and_b32_e32 v11, 0xffff0000, v13
	v_lshlrev_b32_e32 v12, 16, v35
	v_cvt_pk_bf16_f32 v24, v24, s0
	v_cvt_pk_bf16_f32 v10, v10, s0
	;; [unrolled: 1-line block ×3, first 2 shown]
	v_mul_f32_e32 v11, v12, v11
	v_cvt_pk_bf16_f32 v34, v11, s0
	v_lshlrev_b32_e32 v11, 16, v10
	v_lshlrev_b32_e32 v13, 16, v24
	;; [unrolled: 1-line block ×4, first 2 shown]
	v_pk_add_f32 v[10:11], v[12:13], v[10:11]
	v_lshlrev_b32_e32 v13, 16, v32
	v_lshlrev_b32_e32 v25, 16, v31
	;; [unrolled: 1-line block ×4, first 2 shown]
	v_pk_add_f32 v[10:11], v[10:11], v[10:11] op_sel:[0,1] op_sel_hi:[1,0]
	v_pk_add_f32 v[12:13], v[24:25], v[12:13]
	s_nop 0
	v_pk_add_f32 v[10:11], v[12:13], v[10:11] op_sel:[1,0] op_sel_hi:[0,1]
	v_pk_add_f32 v[10:11], v[12:13], v[10:11]
	s_nop 0
	v_pk_add_f32 v[24:25], v[16:17], v[10:11]
	s_and_saveexec_b64 s[6:7], s[2:3]
	s_cbranch_execz .LBB119_40
; %bb.44:                               ;   in Loop: Header=BB119_41 Depth=1
	v_lshl_add_u64 v[10:11], v[26:27], 0, v[18:19]
	global_load_dwordx4 v[10:13], v[10:11], off
	s_and_saveexec_b64 s[22:23], s[0:1]
	s_cbranch_execz .LBB119_39
; %bb.45:                               ;   in Loop: Header=BB119_41 Depth=1
	v_add_u32_e32 v25, 1, v28
	v_cmp_gt_i32_e32 vcc, s27, v25
	v_or_b32_e32 v26, 2, v28
	v_cmp_gt_i32_e64 s[0:1], s17, v26
	s_waitcnt vmcnt(0)
	v_cndmask_b32_sdwa v25, v19, v10, vcc dst_sel:DWORD dst_unused:UNUSED_PAD src0_sel:DWORD src1_sel:WORD_1
	v_cmp_gt_i32_e32 vcc, s17, v28
	v_or_b32_e32 v26, 4, v28
	s_nop 0
	v_cndmask_b32_e32 v10, 0, v10, vcc
	v_perm_b32 v10, v25, v10, s24
	v_or_b32_e32 v25, 3, v28
	v_cmp_gt_i32_e32 vcc, s27, v25
	v_cndmask_b32_e64 v25, 0, v11, s[0:1]
	v_cmp_gt_i32_e64 s[0:1], s17, v26
	v_cndmask_b32_sdwa v11, v19, v11, vcc dst_sel:DWORD dst_unused:UNUSED_PAD src0_sel:DWORD src1_sel:WORD_1
	v_perm_b32 v11, v11, v25, s24
	v_or_b32_e32 v25, 5, v28
	v_cmp_gt_i32_e32 vcc, s27, v25
	v_cndmask_b32_e64 v25, 0, v12, s[0:1]
	v_or_b32_e32 v26, 6, v28
	v_cndmask_b32_sdwa v12, v19, v12, vcc dst_sel:DWORD dst_unused:UNUSED_PAD src0_sel:DWORD src1_sel:WORD_1
	v_perm_b32 v12, v12, v25, s24
	v_or_b32_e32 v25, 7, v28
	v_cmp_gt_i32_e32 vcc, s27, v25
	v_cmp_gt_i32_e64 s[0:1], s17, v26
	s_nop 1
	v_cndmask_b32_e64 v25, 0, v13, s[0:1]
	v_cndmask_b32_sdwa v13, v19, v13, vcc dst_sel:DWORD dst_unused:UNUSED_PAD src0_sel:DWORD src1_sel:WORD_1
	v_perm_b32 v13, v13, v25, s24
	s_branch .LBB119_39
.LBB119_46:
	s_or_b64 exec, exec, s[14:15]
.LBB119_47:
	s_or_b64 exec, exec, s[10:11]
	v_and_b32_e32 v1, 0x3c0, v0
	v_cmp_eq_u32_e32 vcc, 64, v1
	s_barrier
	s_and_saveexec_b64 s[0:1], vcc
	s_cbranch_execz .LBB119_50
; %bb.48:
	v_mov_b32_e32 v1, 0xb0
	v_lshl_add_u32 v2, v15, 2, v1
	ds_write_b32 v2, v24
	s_and_b64 exec, exec, s[8:9]
; %bb.49:
	v_lshl_add_u32 v1, v0, 2, v1
	ds_write_b32 v1, v17
.LBB119_50:
	s_or_b64 exec, exec, s[0:1]
	v_cmp_gt_u32_e32 vcc, 64, v0
	v_or_b32_e32 v1, 64, v0
	s_waitcnt lgkmcnt(0)
	s_barrier
	s_and_saveexec_b64 s[2:3], vcc
	s_cbranch_execz .LBB119_54
; %bb.51:
	v_mov_b32_e32 v2, 0xb0
	v_lshl_add_u32 v2, v0, 2, v2
	ds_read_b32 v0, v2
	s_movk_i32 s0, 0x50
	v_cmp_gt_u32_e64 s[0:1], s0, v1
	s_and_saveexec_b64 s[6:7], s[0:1]
	s_cbranch_execz .LBB119_53
; %bb.52:
	ds_read_b32 v2, v2 offset:256
	s_waitcnt lgkmcnt(0)
	v_add_f32_e32 v17, v17, v2
.LBB119_53:
	s_or_b64 exec, exec, s[6:7]
	s_waitcnt lgkmcnt(0)
	v_add_f32_e32 v24, v24, v0
.LBB119_54:
	s_or_b64 exec, exec, s[2:3]
	s_barrier
	s_and_saveexec_b64 s[0:1], vcc
	s_cbranch_execz .LBB119_57
; %bb.55:
	s_mul_i32 s0, s16, s19
	s_mul_i32 s0, s0, s5
	s_mulk_i32 s0, 0x50
	s_ashr_i32 s1, s0, 31
	s_lshl_b64 s[0:1], s[0:1], 1
	s_add_u32 s3, s20, s0
	s_mul_i32 s0, s19, s18
	s_addc_u32 s5, s21, s1
	s_ashr_i32 s1, s0, 31
	s_lshl_b64 s[0:1], s[0:1], 1
	s_add_u32 s3, s3, s0
	s_mul_i32 s0, s4, 0x50
	s_addc_u32 s5, s5, s1
	s_ashr_i32 s1, s0, 31
	s_lshl_b64 s[0:1], s[0:1], 1
	s_movk_i32 s2, 0x50
	s_add_u32 s0, s3, s0
	s_addc_u32 s1, s5, s1
	v_cvt_pk_bf16_f32 v0, v24, s0
	v_cmp_gt_u32_e32 vcc, s2, v1
	global_store_short v14, v0, s[0:1]
	s_and_b64 exec, exec, vcc
	s_cbranch_execz .LBB119_57
; %bb.56:
	v_mov_b32_e32 v15, 0
	v_lshl_add_u64 v[0:1], s[0:1], 0, v[14:15]
	v_cvt_pk_bf16_f32 v2, v17, s0
	global_store_short v[0:1], v2, off offset:128
.LBB119_57:
	s_endpgm
	.section	.rodata,"a",@progbits
	.p2align	6, 0x0
	.amdhsa_kernel _ZN4vllm25paged_attention_v1_kernelI14__hip_bfloat16S1_Li80ELi8ELi128ELNS_18Fp8KVCacheDataTypeE0ELb0EEEvPT_PKS3_PKT0_S9_ifPKiSB_iPKfiiiSD_SD_iiiii
		.amdhsa_group_segment_fixed_size 176
		.amdhsa_private_segment_fixed_size 0
		.amdhsa_kernarg_size 384
		.amdhsa_user_sgpr_count 2
		.amdhsa_user_sgpr_dispatch_ptr 0
		.amdhsa_user_sgpr_queue_ptr 0
		.amdhsa_user_sgpr_kernarg_segment_ptr 1
		.amdhsa_user_sgpr_dispatch_id 0
		.amdhsa_user_sgpr_kernarg_preload_length 0
		.amdhsa_user_sgpr_kernarg_preload_offset 0
		.amdhsa_user_sgpr_private_segment_size 0
		.amdhsa_uses_dynamic_stack 0
		.amdhsa_enable_private_segment 0
		.amdhsa_system_sgpr_workgroup_id_x 1
		.amdhsa_system_sgpr_workgroup_id_y 1
		.amdhsa_system_sgpr_workgroup_id_z 1
		.amdhsa_system_sgpr_workgroup_info 0
		.amdhsa_system_vgpr_workitem_id 0
		.amdhsa_next_free_vgpr 40
		.amdhsa_next_free_sgpr 36
		.amdhsa_accum_offset 40
		.amdhsa_reserve_vcc 1
		.amdhsa_float_round_mode_32 0
		.amdhsa_float_round_mode_16_64 0
		.amdhsa_float_denorm_mode_32 3
		.amdhsa_float_denorm_mode_16_64 3
		.amdhsa_dx10_clamp 1
		.amdhsa_ieee_mode 1
		.amdhsa_fp16_overflow 0
		.amdhsa_tg_split 0
		.amdhsa_exception_fp_ieee_invalid_op 0
		.amdhsa_exception_fp_denorm_src 0
		.amdhsa_exception_fp_ieee_div_zero 0
		.amdhsa_exception_fp_ieee_overflow 0
		.amdhsa_exception_fp_ieee_underflow 0
		.amdhsa_exception_fp_ieee_inexact 0
		.amdhsa_exception_int_div_zero 0
	.end_amdhsa_kernel
	.section	.text._ZN4vllm25paged_attention_v1_kernelI14__hip_bfloat16S1_Li80ELi8ELi128ELNS_18Fp8KVCacheDataTypeE0ELb0EEEvPT_PKS3_PKT0_S9_ifPKiSB_iPKfiiiSD_SD_iiiii,"axG",@progbits,_ZN4vllm25paged_attention_v1_kernelI14__hip_bfloat16S1_Li80ELi8ELi128ELNS_18Fp8KVCacheDataTypeE0ELb0EEEvPT_PKS3_PKT0_S9_ifPKiSB_iPKfiiiSD_SD_iiiii,comdat
.Lfunc_end119:
	.size	_ZN4vllm25paged_attention_v1_kernelI14__hip_bfloat16S1_Li80ELi8ELi128ELNS_18Fp8KVCacheDataTypeE0ELb0EEEvPT_PKS3_PKT0_S9_ifPKiSB_iPKfiiiSD_SD_iiiii, .Lfunc_end119-_ZN4vllm25paged_attention_v1_kernelI14__hip_bfloat16S1_Li80ELi8ELi128ELNS_18Fp8KVCacheDataTypeE0ELb0EEEvPT_PKS3_PKT0_S9_ifPKiSB_iPKfiiiSD_SD_iiiii
                                        ; -- End function
	.set _ZN4vllm25paged_attention_v1_kernelI14__hip_bfloat16S1_Li80ELi8ELi128ELNS_18Fp8KVCacheDataTypeE0ELb0EEEvPT_PKS3_PKT0_S9_ifPKiSB_iPKfiiiSD_SD_iiiii.num_vgpr, 40
	.set _ZN4vllm25paged_attention_v1_kernelI14__hip_bfloat16S1_Li80ELi8ELi128ELNS_18Fp8KVCacheDataTypeE0ELb0EEEvPT_PKS3_PKT0_S9_ifPKiSB_iPKfiiiSD_SD_iiiii.num_agpr, 0
	.set _ZN4vllm25paged_attention_v1_kernelI14__hip_bfloat16S1_Li80ELi8ELi128ELNS_18Fp8KVCacheDataTypeE0ELb0EEEvPT_PKS3_PKT0_S9_ifPKiSB_iPKfiiiSD_SD_iiiii.numbered_sgpr, 36
	.set _ZN4vllm25paged_attention_v1_kernelI14__hip_bfloat16S1_Li80ELi8ELi128ELNS_18Fp8KVCacheDataTypeE0ELb0EEEvPT_PKS3_PKT0_S9_ifPKiSB_iPKfiiiSD_SD_iiiii.num_named_barrier, 0
	.set _ZN4vllm25paged_attention_v1_kernelI14__hip_bfloat16S1_Li80ELi8ELi128ELNS_18Fp8KVCacheDataTypeE0ELb0EEEvPT_PKS3_PKT0_S9_ifPKiSB_iPKfiiiSD_SD_iiiii.private_seg_size, 0
	.set _ZN4vllm25paged_attention_v1_kernelI14__hip_bfloat16S1_Li80ELi8ELi128ELNS_18Fp8KVCacheDataTypeE0ELb0EEEvPT_PKS3_PKT0_S9_ifPKiSB_iPKfiiiSD_SD_iiiii.uses_vcc, 1
	.set _ZN4vllm25paged_attention_v1_kernelI14__hip_bfloat16S1_Li80ELi8ELi128ELNS_18Fp8KVCacheDataTypeE0ELb0EEEvPT_PKS3_PKT0_S9_ifPKiSB_iPKfiiiSD_SD_iiiii.uses_flat_scratch, 0
	.set _ZN4vllm25paged_attention_v1_kernelI14__hip_bfloat16S1_Li80ELi8ELi128ELNS_18Fp8KVCacheDataTypeE0ELb0EEEvPT_PKS3_PKT0_S9_ifPKiSB_iPKfiiiSD_SD_iiiii.has_dyn_sized_stack, 0
	.set _ZN4vllm25paged_attention_v1_kernelI14__hip_bfloat16S1_Li80ELi8ELi128ELNS_18Fp8KVCacheDataTypeE0ELb0EEEvPT_PKS3_PKT0_S9_ifPKiSB_iPKfiiiSD_SD_iiiii.has_recursion, 0
	.set _ZN4vllm25paged_attention_v1_kernelI14__hip_bfloat16S1_Li80ELi8ELi128ELNS_18Fp8KVCacheDataTypeE0ELb0EEEvPT_PKS3_PKT0_S9_ifPKiSB_iPKfiiiSD_SD_iiiii.has_indirect_call, 0
	.section	.AMDGPU.csdata,"",@progbits
; Kernel info:
; codeLenInByte = 4276
; TotalNumSgprs: 42
; NumVgprs: 40
; NumAgprs: 0
; TotalNumVgprs: 40
; ScratchSize: 0
; MemoryBound: 0
; FloatMode: 240
; IeeeMode: 1
; LDSByteSize: 176 bytes/workgroup (compile time only)
; SGPRBlocks: 5
; VGPRBlocks: 4
; NumSGPRsForWavesPerEU: 42
; NumVGPRsForWavesPerEU: 40
; AccumOffset: 40
; Occupancy: 8
; WaveLimiterHint : 1
; COMPUTE_PGM_RSRC2:SCRATCH_EN: 0
; COMPUTE_PGM_RSRC2:USER_SGPR: 2
; COMPUTE_PGM_RSRC2:TRAP_HANDLER: 0
; COMPUTE_PGM_RSRC2:TGID_X_EN: 1
; COMPUTE_PGM_RSRC2:TGID_Y_EN: 1
; COMPUTE_PGM_RSRC2:TGID_Z_EN: 1
; COMPUTE_PGM_RSRC2:TIDIG_COMP_CNT: 0
; COMPUTE_PGM_RSRC3_GFX90A:ACCUM_OFFSET: 9
; COMPUTE_PGM_RSRC3_GFX90A:TG_SPLIT: 0
	.section	.text._ZN4vllm25paged_attention_v1_kernelI14__hip_bfloat16S1_Li96ELi8ELi128ELNS_18Fp8KVCacheDataTypeE0ELb0EEEvPT_PKS3_PKT0_S9_ifPKiSB_iPKfiiiSD_SD_iiiii,"axG",@progbits,_ZN4vllm25paged_attention_v1_kernelI14__hip_bfloat16S1_Li96ELi8ELi128ELNS_18Fp8KVCacheDataTypeE0ELb0EEEvPT_PKS3_PKT0_S9_ifPKiSB_iPKfiiiSD_SD_iiiii,comdat
	.protected	_ZN4vllm25paged_attention_v1_kernelI14__hip_bfloat16S1_Li96ELi8ELi128ELNS_18Fp8KVCacheDataTypeE0ELb0EEEvPT_PKS3_PKT0_S9_ifPKiSB_iPKfiiiSD_SD_iiiii ; -- Begin function _ZN4vllm25paged_attention_v1_kernelI14__hip_bfloat16S1_Li96ELi8ELi128ELNS_18Fp8KVCacheDataTypeE0ELb0EEEvPT_PKS3_PKT0_S9_ifPKiSB_iPKfiiiSD_SD_iiiii
	.globl	_ZN4vllm25paged_attention_v1_kernelI14__hip_bfloat16S1_Li96ELi8ELi128ELNS_18Fp8KVCacheDataTypeE0ELb0EEEvPT_PKS3_PKT0_S9_ifPKiSB_iPKfiiiSD_SD_iiiii
	.p2align	8
	.type	_ZN4vllm25paged_attention_v1_kernelI14__hip_bfloat16S1_Li96ELi8ELi128ELNS_18Fp8KVCacheDataTypeE0ELb0EEEvPT_PKS3_PKT0_S9_ifPKiSB_iPKfiiiSD_SD_iiiii,@function
_ZN4vllm25paged_attention_v1_kernelI14__hip_bfloat16S1_Li96ELi8ELi128ELNS_18Fp8KVCacheDataTypeE0ELb0EEEvPT_PKS3_PKT0_S9_ifPKiSB_iPKfiiiSD_SD_iiiii: ; @_ZN4vllm25paged_attention_v1_kernelI14__hip_bfloat16S1_Li96ELi8ELi128ELNS_18Fp8KVCacheDataTypeE0ELb0EEEvPT_PKS3_PKT0_S9_ifPKiSB_iPKfiiiSD_SD_iiiii
; %bb.0:
	s_load_dword s5, s[0:1], 0x80
	s_load_dwordx2 s[6:7], s[0:1], 0x30
	s_load_dwordx2 s[10:11], s[0:1], 0x20
	s_mov_b32 s16, s3
	s_ashr_i32 s17, s3, 31
	s_lshl_b64 s[8:9], s[16:17], 2
	s_waitcnt lgkmcnt(0)
	s_add_u32 s6, s6, s8
	s_addc_u32 s7, s7, s9
	s_abs_i32 s3, s10
	v_cvt_f32_u32_e32 v1, s3
	s_xor_b32 s8, s5, s10
	s_sub_i32 s10, 0, s3
	s_abs_i32 s9, s5
	v_rcp_iflag_f32_e32 v1, v1
	s_ashr_i32 s8, s8, 31
	v_mul_f32_e32 v1, 0x4f7ffffe, v1
	v_cvt_u32_f32_e32 v1, v1
	s_nop 0
	v_readfirstlane_b32 s12, v1
	s_mul_i32 s10, s10, s12
	s_mul_hi_u32 s10, s12, s10
	s_add_i32 s12, s12, s10
	s_mul_hi_u32 s10, s9, s12
	s_mul_i32 s12, s10, s3
	s_sub_i32 s9, s9, s12
	s_add_i32 s12, s10, 1
	s_sub_i32 s13, s9, s3
	s_cmp_ge_u32 s9, s3
	s_cselect_b32 s10, s12, s10
	s_cselect_b32 s9, s13, s9
	s_add_i32 s12, s10, 1
	s_cmp_ge_u32 s9, s3
	s_cselect_b32 s3, s12, s10
	s_xor_b32 s3, s3, s8
	s_sub_i32 s12, s3, s8
	s_abs_i32 s20, s12
	v_cvt_f32_u32_e32 v1, s20
	s_load_dwordx2 s[8:9], s[0:1], 0x40
	s_sub_i32 s3, 0, s20
	s_abs_i32 s21, s2
	v_rcp_iflag_f32_e32 v1, v1
	s_mov_b32 s10, 0
	v_mul_f32_e32 v1, 0x4f7ffffe, v1
	v_cvt_u32_f32_e32 v1, v1
	s_nop 0
	v_readfirstlane_b32 s13, v1
	s_mul_i32 s3, s3, s13
	s_mul_hi_u32 s3, s13, s3
	s_add_i32 s13, s13, s3
	s_waitcnt lgkmcnt(0)
	s_cmp_eq_u64 s[8:9], 0
	s_mul_hi_u32 s24, s21, s13
	s_cbranch_scc1 .LBB120_2
; %bb.1:
	s_ashr_i32 s3, s2, 31
	s_lshl_b64 s[14:15], s[2:3], 2
	s_add_u32 s8, s8, s14
	s_addc_u32 s9, s9, s15
	s_load_dword s10, s[8:9], 0x0
.LBB120_2:
	s_load_dword s17, s[6:7], 0x0
	s_ashr_i32 s7, s12, 31
	s_load_dwordx4 s[12:15], s[0:1], 0x48
	s_movk_i32 s3, 0x60
	s_ashr_i32 s6, s2, 31
	v_and_b32_e32 v4, 7, v0
	s_mul_i32 s18, s2, 0x60
	v_cmp_gt_u32_e64 s[8:9], s3, v0
	v_lshlrev_b32_e32 v14, 1, v0
	s_and_saveexec_b64 s[2:3], s[8:9]
	s_cbranch_execz .LBB120_4
; %bb.3:
	s_load_dwordx2 s[22:23], s[0:1], 0x8
	s_waitcnt lgkmcnt(0)
	s_mul_i32 s26, s12, s16
	s_ashr_i32 s27, s26, 31
	s_lshl_b64 s[26:27], s[26:27], 1
	v_lshrrev_b32_e32 v2, 2, v0
	s_add_u32 s12, s22, s26
	s_addc_u32 s15, s23, s27
	s_ashr_i32 s19, s18, 31
	s_lshl_b64 s[22:23], s[18:19], 1
	s_add_u32 s22, s12, s22
	s_addc_u32 s23, s15, s23
	global_load_ushort v1, v14, s[22:23]
	v_and_b32_e32 v2, 0xfe, v2
	v_mad_u32_u24 v2, v4, 24, v2
	s_waitcnt vmcnt(0)
	ds_write_b16 v2, v1
.LBB120_4:
	s_or_b64 exec, exec, s[2:3]
	s_waitcnt lgkmcnt(0)
	s_add_i32 s3, s17, 7
	s_ashr_i32 s12, s3, 31
	s_lshr_b32 s12, s12, 29
	s_add_i32 s3, s3, s12
	s_ashr_i32 s33, s3, 3
	s_xor_b32 s3, s6, s7
	s_mul_i32 s6, s24, s20
	s_sub_i32 s6, s21, s6
	s_add_i32 s7, s24, 1
	s_sub_i32 s12, s6, s20
	s_load_dwordx2 s[22:23], s[0:1], 0x28
	s_load_dword s2, s[0:1], 0x38
	s_cmp_ge_u32 s6, s20
	s_cselect_b32 s7, s7, s24
	s_cselect_b32 s6, s12, s6
	s_add_i32 s12, s7, 1
	s_cmp_ge_u32 s6, s20
	s_cselect_b32 s6, s12, s7
	v_lshrrev_b32_e32 v1, 6, v0
	s_xor_b32 s6, s6, s3
	s_waitcnt lgkmcnt(0)
	s_mul_i32 s24, s2, s16
	s_sub_i32 s12, s6, s3
	s_ashr_i32 s25, s24, 31
	v_cmp_gt_i32_e64 s[2:3], s33, v1
	v_cmp_le_i32_e32 vcc, s33, v1
	v_mbcnt_lo_u32_b32 v5, -1, 0
	s_barrier
                                        ; implicit-def: $vgpr7
                                        ; implicit-def: $vgpr9
                                        ; implicit-def: $vgpr8
	s_and_saveexec_b64 s[6:7], vcc
	s_xor_b64 s[6:7], exec, s[6:7]
; %bb.5:
	v_mbcnt_hi_u32_b32 v7, -1, v5
	v_and_b32_e32 v9, 64, v7
	v_add_u32_e32 v8, 64, v9
                                        ; implicit-def: $vgpr4
                                        ; implicit-def: $vgpr5
; %bb.6:
	s_or_saveexec_b64 s[28:29], s[6:7]
	s_load_dwordx2 s[20:21], s[0:1], 0x0
	s_load_dwordx2 s[26:27], s[0:1], 0x18
	s_load_dword s19, s[0:1], 0x88
	v_mov_b32_e32 v20, 0xff7fffff
	s_mul_i32 s14, s12, s14
	v_lshrrev_b32_e32 v6, 4, v0
	s_xor_b64 exec, exec, s[28:29]
	s_cbranch_execz .LBB120_12
; %bb.7:
	v_mul_u32_u24_e32 v7, 24, v4
	ds_read2_b64 v[16:19], v7 offset1:1
	ds_read_b64 v[8:9], v7 offset:16
	v_mbcnt_hi_u32_b32 v7, -1, v5
	v_xor_b32_e32 v5, 4, v7
	s_load_dwordx2 s[0:1], s[0:1], 0x10
	s_waitcnt lgkmcnt(0)
	v_lshlrev_b32_e32 v10, 16, v16
	v_lshlrev_b32_e32 v22, 16, v9
	v_and_b32_e32 v23, 0xffff0000, v9
	v_and_b32_e32 v9, 64, v7
	;; [unrolled: 1-line block ×3, first 2 shown]
	v_lshlrev_b32_e32 v12, 16, v17
	v_and_b32_e32 v13, 0xffff0000, v17
	v_lshlrev_b32_e32 v15, 16, v18
	v_and_b32_e32 v16, 0xffff0000, v18
	;; [unrolled: 2-line block ×4, first 2 shown]
	v_add_u32_e32 v8, 64, v9
	v_cmp_lt_i32_e32 vcc, v5, v8
	s_ashr_i32 s15, s14, 31
	s_lshl_b64 s[6:7], s[14:15], 1
	v_cndmask_b32_e32 v5, v7, v5, vcc
	v_lshlrev_b32_e32 v24, 2, v5
	v_xor_b32_e32 v5, 2, v7
	v_cmp_lt_i32_e32 vcc, v5, v8
	v_bfe_u32 v20, v0, 3, 3
	s_add_u32 s0, s0, s6
	v_cndmask_b32_e32 v5, v7, v5, vcc
	v_lshlrev_b32_e32 v25, 2, v5
	v_xor_b32_e32 v5, 1, v7
	s_addc_u32 s1, s1, s7
	v_lshlrev_b32_e32 v30, 4, v20
	v_mov_b32_e32 v31, 0
	v_cmp_lt_i32_e32 vcc, v5, v8
	s_sub_i32 s15, 1, s17
	s_lshl_b64 s[6:7], s[24:25], 2
	v_lshl_add_u64 v[2:3], s[0:1], 0, v[30:31]
	v_lshlrev_b32_e32 v30, 1, v4
	v_cndmask_b32_e32 v5, v7, v5, vcc
	v_cmp_eq_u32_e32 vcc, 0, v4
	v_lshlrev_b32_e32 v4, 2, v20
	s_add_u32 s6, s22, s6
	v_lshl_add_u64 v[2:3], v[2:3], 0, v[30:31]
	v_lshl_or_b32 v4, v1, 5, v4
	v_and_b32_e32 v30, 60, v6
	s_addc_u32 s7, s23, s7
	s_mov_b32 s12, s13
	v_lshlrev_b32_e32 v26, 2, v5
	v_cmp_neq_f32_e64 s[0:1], s10, 0
	v_lshl_or_b32 v27, v1, 3, v20
	v_add_u32_e32 v28, 0xd0, v4
	v_lshl_add_u64 v[4:5], s[6:7], 0, v[30:31]
	v_mov_b32_e32 v20, 0xff7fffff
	s_mov_b64 s[30:31], 0
	v_mov_b32_e32 v29, v1
	s_branch .LBB120_9
.LBB120_8:                              ;   in Loop: Header=BB120_9 Depth=1
	s_or_b64 exec, exec, s[34:35]
	v_add_u32_e32 v29, 2, v29
	v_cmp_le_i32_e64 s[6:7], s33, v29
	v_add_u32_e32 v27, 16, v27
	v_add_u32_e32 v28, 64, v28
	s_or_b64 s[30:31], s[6:7], s[30:31]
	v_lshl_add_u64 v[4:5], v[4:5], 0, 8
	s_andn2_b64 exec, exec, s[30:31]
	s_cbranch_execz .LBB120_11
.LBB120_9:                              ; =>This Inner Loop Header: Depth=1
	global_load_dword v30, v[4:5], off
	s_waitcnt vmcnt(0) lgkmcnt(0)
	v_mad_i64_i32 v[30:31], s[6:7], v30, s12, 0
	v_lshl_add_u64 v[30:31], v[30:31], 1, v[2:3]
	global_load_ushort v32, v[30:31], off
	global_load_ushort v33, v[30:31], off offset:128
	global_load_ushort v34, v[30:31], off offset:256
	;; [unrolled: 1-line block ×11, first 2 shown]
	s_waitcnt vmcnt(11)
	v_lshlrev_b32_e32 v30, 16, v32
	s_waitcnt vmcnt(10)
	v_lshlrev_b32_e32 v31, 16, v33
	v_mul_f32_e32 v31, v11, v31
	s_waitcnt vmcnt(9)
	v_lshlrev_b32_e32 v32, 16, v34
	v_fmac_f32_e32 v31, v10, v30
	s_waitcnt vmcnt(8)
	v_lshlrev_b32_e32 v33, 16, v35
	v_fmac_f32_e32 v31, v12, v32
	;; [unrolled: 3-line block ×9, first 2 shown]
	v_fmac_f32_e32 v31, v22, v40
	s_waitcnt vmcnt(0)
	v_lshlrev_b32_e32 v30, 16, v43
	v_fmac_f32_e32 v31, v23, v30
	ds_bpermute_b32 v30, v24, v31
	s_waitcnt lgkmcnt(0)
	v_add_f32_e32 v30, v31, v30
	ds_bpermute_b32 v31, v25, v30
	s_waitcnt lgkmcnt(0)
	v_add_f32_e32 v30, v30, v31
	ds_bpermute_b32 v31, v26, v30
	s_and_saveexec_b64 s[34:35], vcc
	s_cbranch_execz .LBB120_8
; %bb.10:                               ;   in Loop: Header=BB120_9 Depth=1
	v_add_u32_e32 v32, s15, v27
	v_cvt_f32_i32_e32 v32, v32
	s_waitcnt lgkmcnt(0)
	v_add_f32_e32 v30, v30, v31
	v_cmp_gt_i32_e64 s[6:7], s17, v27
	v_max_f32_e32 v31, v20, v20
	v_mul_f32_e32 v32, s10, v32
	v_cndmask_b32_e64 v32, 0, v32, s[0:1]
	v_fmac_f32_e32 v32, s11, v30
	v_cndmask_b32_e64 v30, 0, v32, s[6:7]
	ds_write_b32 v28, v30
	v_max_f32_e32 v30, v31, v32
	v_cndmask_b32_e64 v20, v20, v30, s[6:7]
	s_branch .LBB120_8
.LBB120_11:
	s_or_b64 exec, exec, s[30:31]
.LBB120_12:
	s_or_b64 exec, exec, s[28:29]
	v_xor_b32_e32 v2, 32, v7
	v_cmp_lt_i32_e32 vcc, v2, v8
	v_xor_b32_e32 v5, 16, v7
	v_max_f32_e32 v4, v20, v20
	v_cndmask_b32_e32 v2, v7, v2, vcc
	v_lshlrev_b32_e32 v3, 2, v2
	ds_bpermute_b32 v2, v3, v20
	v_cmp_lt_i32_e32 vcc, v5, v8
	v_xor_b32_e32 v10, 8, v7
	v_and_b32_e32 v15, 63, v0
	s_waitcnt lgkmcnt(0)
	v_max_f32_e32 v2, v2, v2
	v_max_f32_e32 v2, v4, v2
	v_cndmask_b32_e32 v4, v7, v5, vcc
	v_lshlrev_b32_e32 v5, 2, v4
	ds_bpermute_b32 v4, v5, v2
	v_cmp_lt_i32_e32 vcc, v10, v8
	s_waitcnt lgkmcnt(0)
	v_max_f32_e32 v4, v4, v4
	v_max_f32_e32 v4, v2, v4
	v_cndmask_b32_e32 v2, v7, v10, vcc
	v_lshlrev_b32_e32 v11, 2, v2
	ds_bpermute_b32 v10, v11, v4
	v_cmp_eq_u32_e32 vcc, 0, v15
	v_lshlrev_b32_e32 v2, 2, v1
	s_and_saveexec_b64 s[0:1], vcc
	s_cbranch_execz .LBB120_14
; %bb.13:
	s_waitcnt lgkmcnt(0)
	v_max_f32_e32 v10, v10, v10
	v_max_f32_e32 v4, v4, v4
	;; [unrolled: 1-line block ×3, first 2 shown]
	ds_write_b32 v2, v4 offset:192
.LBB120_14:
	s_or_b64 exec, exec, s[0:1]
	v_cmp_gt_u32_e64 s[0:1], 2, v15
	v_mov_b32_e32 v12, 0xff7fffff
	v_lshlrev_b32_e32 v4, 2, v15
	s_waitcnt lgkmcnt(0)
	s_barrier
	s_and_saveexec_b64 s[6:7], s[0:1]
; %bb.15:
	ds_read_b32 v12, v4 offset:192
; %bb.16:
	s_or_b64 exec, exec, s[6:7]
	v_xor_b32_e32 v10, 1, v7
	v_cmp_lt_i32_e64 s[6:7], v10, v8
	v_lshlrev_b32_e32 v9, 2, v9
	s_nop 0
	v_cndmask_b32_e64 v10, v7, v10, s[6:7]
	v_lshlrev_b32_e32 v10, 2, v10
	s_waitcnt lgkmcnt(0)
	ds_bpermute_b32 v13, v10, v12
	v_max_f32_e32 v12, v12, v12
	s_lshl_b32 s6, s33, 3
	s_min_i32 s12, s6, s17
	v_cmp_gt_i32_e64 s[6:7], s12, v0
	s_waitcnt lgkmcnt(0)
	v_max_f32_e32 v13, v13, v13
	v_max_f32_e32 v12, v12, v13
	ds_bpermute_b32 v12, v9, v12
	v_mov_b32_e32 v9, 0
	s_and_saveexec_b64 s[28:29], s[6:7]
	s_cbranch_execz .LBB120_20
; %bb.17:
	v_mov_b32_e32 v9, 0xd0
	v_lshl_add_u32 v13, v0, 2, v9
	v_mov_b32_e32 v9, 0
	s_mov_b64 s[30:31], 0
	v_mov_b32_e32 v16, v0
.LBB120_18:                             ; =>This Inner Loop Header: Depth=1
	ds_read_b32 v17, v13
	v_add_u32_e32 v16, 0x80, v16
	v_cmp_le_i32_e64 s[10:11], s12, v16
	s_or_b64 s[30:31], s[10:11], s[30:31]
	s_waitcnt lgkmcnt(0)
	v_sub_f32_e32 v17, v17, v12
	v_mul_f32_e32 v17, 0x3fb8aa3b, v17
	v_exp_f32_e32 v17, v17
	ds_write_b32 v13, v17
	v_add_f32_e32 v9, v9, v17
	v_add_u32_e32 v13, 0x200, v13
	s_andn2_b64 exec, exec, s[30:31]
	s_cbranch_execnz .LBB120_18
; %bb.19:
	s_or_b64 exec, exec, s[30:31]
.LBB120_20:
	s_or_b64 exec, exec, s[28:29]
	ds_bpermute_b32 v3, v3, v9
	s_waitcnt lgkmcnt(0)
	v_add_f32_e32 v3, v9, v3
	ds_bpermute_b32 v5, v5, v3
	v_xor_b32_e32 v9, 4, v7
	v_cmp_lt_i32_e64 s[10:11], v9, v8
	s_waitcnt lgkmcnt(0)
	v_add_f32_e32 v3, v3, v5
	ds_bpermute_b32 v5, v11, v3
	v_cndmask_b32_e64 v9, v7, v9, s[10:11]
	v_lshlrev_b32_e32 v9, 2, v9
	s_waitcnt lgkmcnt(0)
	v_add_f32_e32 v3, v3, v5
	ds_bpermute_b32 v5, v9, v3
	v_xor_b32_e32 v9, 2, v7
	v_cmp_lt_i32_e64 s[10:11], v9, v8
	s_waitcnt lgkmcnt(0)
	v_add_f32_e32 v3, v3, v5
	v_cndmask_b32_e64 v8, v7, v9, s[10:11]
	v_lshlrev_b32_e32 v5, 2, v8
	ds_bpermute_b32 v5, v5, v3
	s_waitcnt lgkmcnt(0)
	v_add_f32_e32 v3, v3, v5
	ds_bpermute_b32 v5, v10, v3
	s_waitcnt lgkmcnt(0)
	v_add_f32_e32 v3, v3, v5
	s_and_saveexec_b64 s[10:11], vcc
; %bb.21:
	ds_write_b32 v2, v3 offset:200
; %bb.22:
	s_or_b64 exec, exec, s[10:11]
	s_waitcnt lgkmcnt(0)
	s_barrier
	s_and_saveexec_b64 s[10:11], s[0:1]
; %bb.23:
	ds_read_b32 v3, v4 offset:200
; %bb.24:
	s_or_b64 exec, exec, s[10:11]
	s_waitcnt lgkmcnt(0)
	ds_bpermute_b32 v2, v10, v3
	v_lshlrev_b32_e32 v4, 2, v7
	s_waitcnt lgkmcnt(0)
	v_add_f32_e32 v2, v3, v2
	v_and_b32_e32 v3, 0xffffff00, v4
	ds_bpermute_b32 v2, v3, v2
	s_and_saveexec_b64 s[0:1], s[6:7]
	s_cbranch_execz .LBB120_37
; %bb.25:
	s_waitcnt lgkmcnt(0)
	v_add_f32_e32 v2, 0x358637bd, v2
	v_div_scale_f32 v3, s[6:7], v2, v2, 1.0
	v_rcp_f32_e32 v4, v3
	v_div_scale_f32 v5, vcc, 1.0, v2, 1.0
	s_movk_i32 s6, 0x7f
	v_fma_f32 v7, -v3, v4, 1.0
	v_fmac_f32_e32 v4, v7, v4
	v_mul_f32_e32 v7, v5, v4
	v_fma_f32 v8, -v3, v7, v5
	v_fmac_f32_e32 v7, v8, v4
	v_fma_f32 v3, -v3, v7, v5
	v_div_fmas_f32 v3, v3, v4, v7
	v_xad_u32 v4, v0, -1, s12
	v_div_fixup_f32 v2, v3, v2, 1.0
	v_cmp_lt_u32_e32 vcc, s6, v4
	s_mov_b64 s[10:11], -1
	v_mov_b32_e32 v3, v0
	s_and_saveexec_b64 s[6:7], vcc
	s_cbranch_execz .LBB120_34
; %bb.26:
	v_lshrrev_b32_e32 v4, 7, v4
	v_add_u32_e32 v7, -1, v4
	v_lshrrev_b32_e32 v5, 1, v7
	v_mov_b32_e32 v3, v2
	v_add_u32_e32 v5, 1, v5
	v_cmp_lt_u32_e32 vcc, 13, v7
	v_mov_b32_e32 v9, 0
	s_and_saveexec_b64 s[10:11], vcc
	s_cbranch_execz .LBB120_30
; %bb.27:
	v_mov_b32_e32 v8, 0xd0
	v_and_b32_e32 v7, -8, v5
	v_lshl_add_u32 v8, v0, 2, v8
	s_mov_b32 s15, 0
	s_mov_b64 s[28:29], 0
.LBB120_28:                             ; =>This Inner Loop Header: Depth=1
	ds_read2st64_b32 v[10:11], v8 offset1:2
	ds_read2st64_b32 v[12:13], v8 offset0:4 offset1:6
	ds_read2st64_b32 v[16:17], v8 offset0:8 offset1:10
	;; [unrolled: 1-line block ×3, first 2 shown]
	v_add_u32_e32 v7, -8, v7
	s_waitcnt lgkmcnt(3)
	v_pk_mul_f32 v[10:11], v[2:3], v[10:11]
	s_waitcnt lgkmcnt(2)
	v_pk_mul_f32 v[12:13], v[2:3], v[12:13]
	ds_write2st64_b32 v8, v10, v11 offset1:2
	ds_write2st64_b32 v8, v12, v13 offset0:4 offset1:6
	ds_read2st64_b32 v[12:13], v8 offset0:16 offset1:18
	s_waitcnt lgkmcnt(4)
	v_pk_mul_f32 v[10:11], v[2:3], v[16:17]
	ds_write2st64_b32 v8, v10, v11 offset0:8 offset1:10
	s_waitcnt lgkmcnt(4)
	v_pk_mul_f32 v[10:11], v[2:3], v[18:19]
	ds_write2st64_b32 v8, v10, v11 offset0:12 offset1:14
	ds_read2st64_b32 v[10:11], v8 offset0:20 offset1:22
	s_waitcnt lgkmcnt(3)
	v_pk_mul_f32 v[12:13], v[2:3], v[12:13]
	ds_read2st64_b32 v[16:17], v8 offset0:24 offset1:26
	ds_write2st64_b32 v8, v12, v13 offset0:16 offset1:18
	ds_read2st64_b32 v[12:13], v8 offset0:28 offset1:30
	s_waitcnt lgkmcnt(3)
	v_pk_mul_f32 v[10:11], v[2:3], v[10:11]
	ds_write2st64_b32 v8, v10, v11 offset0:20 offset1:22
	s_waitcnt lgkmcnt(3)
	v_pk_mul_f32 v[10:11], v[2:3], v[16:17]
	ds_write2st64_b32 v8, v10, v11 offset0:24 offset1:26
	s_waitcnt lgkmcnt(2)
	v_pk_mul_f32 v[10:11], v[2:3], v[12:13]
	s_add_i32 s15, s15, 16
	v_cmp_eq_u32_e32 vcc, 0, v7
	ds_write2st64_b32 v8, v10, v11 offset0:28 offset1:30
	v_add_u32_e32 v8, 0x2000, v8
	s_or_b64 s[28:29], vcc, s[28:29]
	v_mov_b32_e32 v9, s15
	s_andn2_b64 exec, exec, s[28:29]
	s_cbranch_execnz .LBB120_28
; %bb.29:
	s_or_b64 exec, exec, s[28:29]
.LBB120_30:
	s_or_b64 exec, exec, s[10:11]
	v_and_b32_e32 v5, 7, v5
	v_cmp_ne_u32_e32 vcc, 0, v5
	s_and_saveexec_b64 s[10:11], vcc
	s_cbranch_execz .LBB120_33
; %bb.31:
	v_lshlrev_b32_e32 v7, 9, v9
	v_lshlrev_b32_e32 v8, 2, v0
	s_movk_i32 s15, 0xd0
	v_add3_u32 v7, v7, v8, s15
	s_mov_b64 s[28:29], 0
.LBB120_32:                             ; =>This Inner Loop Header: Depth=1
	ds_read2st64_b32 v[8:9], v7 offset1:2
	v_add_u32_e32 v5, -1, v5
	v_cmp_eq_u32_e32 vcc, 0, v5
	s_or_b64 s[28:29], vcc, s[28:29]
	s_waitcnt lgkmcnt(0)
	v_pk_mul_f32 v[8:9], v[2:3], v[8:9]
	ds_write2st64_b32 v7, v8, v9 offset1:2
	v_add_u32_e32 v7, 0x400, v7
	s_andn2_b64 exec, exec, s[28:29]
	s_cbranch_execnz .LBB120_32
.LBB120_33:
	s_or_b64 exec, exec, s[10:11]
	v_add_u32_e32 v4, 1, v4
	v_and_b32_e32 v5, 0x3fffffe, v4
	v_cmp_ne_u32_e32 vcc, v4, v5
	v_lshl_add_u32 v3, v5, 7, v0
	s_orn2_b64 s[10:11], vcc, exec
.LBB120_34:
	s_or_b64 exec, exec, s[6:7]
	s_and_b64 exec, exec, s[10:11]
	s_cbranch_execz .LBB120_37
; %bb.35:
	v_mov_b32_e32 v4, 0xd0
	v_lshl_add_u32 v4, v3, 2, v4
	s_mov_b64 s[6:7], 0
.LBB120_36:                             ; =>This Inner Loop Header: Depth=1
	ds_read_b32 v5, v4
	v_add_u32_e32 v3, 0x80, v3
	v_cmp_le_i32_e32 vcc, s12, v3
	s_or_b64 s[6:7], vcc, s[6:7]
	s_waitcnt lgkmcnt(0)
	v_mul_f32_e32 v5, v2, v5
	ds_write_b32 v4, v5
	v_add_u32_e32 v4, 0x200, v4
	s_andn2_b64 exec, exec, s[6:7]
	s_cbranch_execnz .LBB120_36
.LBB120_37:
	s_or_b64 exec, exec, s[0:1]
	v_mov_b32_e32 v17, 0
	v_mov_b32_e32 v24, v17
	s_waitcnt lgkmcnt(0)
	s_barrier
	s_and_saveexec_b64 s[10:11], s[2:3]
	s_cbranch_execz .LBB120_47
; %bb.38:
	s_ashr_i32 s15, s14, 31
	s_lshl_b64 s[0:1], s[14:15], 1
	s_add_u32 s12, s26, s0
	v_or_b32_e32 v3, 64, v15
	s_movk_i32 s0, 0x60
	s_mov_b32 s28, s13
	s_addc_u32 s13, s27, s1
	s_add_i32 s26, s33, -1
	v_cmp_gt_u32_e64 s[2:3], s0, v3
	s_lshl_b64 s[0:1], s[24:25], 2
	s_add_u32 s0, s22, s0
	v_lshlrev_b32_e32 v2, 3, v15
	v_mov_b32_e32 v19, 0
	v_lshlrev_b32_e32 v4, 3, v3
	v_mov_b32_e32 v3, 0xd0
	v_and_b32_e32 v18, 60, v6
	s_addc_u32 s1, s23, s1
	s_mov_b32 s27, s17
	v_lshlrev_b32_e32 v28, 3, v1
	v_lshl_add_u32 v29, v1, 5, v3
	v_lshl_add_u64 v[20:21], s[0:1], 0, v[18:19]
	s_mov_b64 s[14:15], 0
	v_lshlrev_b32_e32 v22, 1, v2
	v_mov_b32_e32 v23, v19
	s_mov_b32 s24, 0x5040100
	v_lshlrev_b32_e32 v18, 1, v4
	v_mov_b32_e32 v16, v19
	v_mov_b32_e32 v17, v19
	s_branch .LBB120_41
.LBB120_39:                             ;   in Loop: Header=BB120_41 Depth=1
	s_or_b64 exec, exec, s[22:23]
	v_cvt_pk_bf16_f32 v6, v6, v7
	v_cvt_pk_bf16_f32 v2, v2, v3
	;; [unrolled: 1-line block ×3, first 2 shown]
	s_waitcnt vmcnt(0)
	v_lshlrev_b32_e32 v4, 16, v10
	v_lshlrev_b32_e32 v5, 16, v6
	v_cvt_pk_bf16_f32 v7, v8, v9
	v_mul_f32_e32 v4, v5, v4
	v_and_b32_e32 v5, 0xffff0000, v10
	v_and_b32_e32 v6, 0xffff0000, v6
	v_mul_f32_e32 v5, v6, v5
	v_lshlrev_b32_e32 v6, 16, v11
	v_lshlrev_b32_e32 v8, 16, v7
	v_mul_f32_e32 v6, v8, v6
	v_and_b32_e32 v8, 0xffff0000, v11
	v_and_b32_e32 v7, 0xffff0000, v7
	v_mul_f32_e32 v7, v7, v8
	v_lshlrev_b32_e32 v8, 16, v12
	v_lshlrev_b32_e32 v9, 16, v2
	v_mul_f32_e32 v8, v9, v8
	v_and_b32_e32 v9, 0xffff0000, v12
	v_and_b32_e32 v2, 0xffff0000, v2
	v_mul_f32_e32 v2, v2, v9
	v_cvt_pk_bf16_f32 v9, v2, s0
	v_lshlrev_b32_e32 v2, 16, v13
	v_lshlrev_b32_e32 v10, 16, v3
	v_mul_f32_e32 v2, v10, v2
	v_cvt_pk_bf16_f32 v10, v2, s0
	v_and_b32_e32 v2, 0xffff0000, v13
	v_and_b32_e32 v3, 0xffff0000, v3
	v_cvt_pk_bf16_f32 v4, v4, s0
	v_cvt_pk_bf16_f32 v5, v5, s0
	;; [unrolled: 1-line block ×4, first 2 shown]
	v_mul_f32_e32 v2, v3, v2
	v_cvt_pk_bf16_f32 v8, v8, s0
	v_cvt_pk_bf16_f32 v11, v2, s0
	v_lshlrev_b32_e32 v3, 16, v5
	v_lshlrev_b32_e32 v5, 16, v4
	;; [unrolled: 1-line block ×4, first 2 shown]
	v_pk_add_f32 v[2:3], v[4:5], v[2:3]
	v_lshlrev_b32_e32 v5, 16, v9
	v_lshlrev_b32_e32 v7, 16, v8
	v_lshlrev_b32_e32 v4, 16, v11
	v_lshlrev_b32_e32 v6, 16, v10
	v_pk_add_f32 v[4:5], v[6:7], v[4:5]
	v_add_f32_e32 v2, v2, v3
	v_add_f32_e32 v2, v5, v2
	;; [unrolled: 1-line block ×3, first 2 shown]
	v_pk_add_f32 v[16:17], v[16:17], v[2:3] op_sel_hi:[1,0]
.LBB120_40:                             ;   in Loop: Header=BB120_41 Depth=1
	s_or_b64 exec, exec, s[6:7]
	v_add_u32_e32 v1, 2, v1
	v_cmp_le_i32_e32 vcc, s33, v1
	v_add_u32_e32 v28, 16, v28
	v_add_u32_e32 v29, 64, v29
	v_lshl_add_u64 v[20:21], v[20:21], 0, 8
	s_or_b64 s[14:15], vcc, s[14:15]
	v_mov_b32_e32 v16, v24
	s_andn2_b64 exec, exec, s[14:15]
	s_cbranch_execz .LBB120_46
.LBB120_41:                             ; =>This Inner Loop Header: Depth=1
	global_load_dword v2, v[20:21], off
	s_waitcnt vmcnt(0)
	v_mad_i64_i32 v[2:3], s[0:1], v2, s28, 0
	v_lshl_add_u64 v[26:27], v[2:3], 1, s[12:13]
	v_lshl_add_u64 v[2:3], v[26:27], 0, v[22:23]
	global_load_dwordx4 v[10:13], v[2:3], off
	ds_read2_b64 v[6:9], v29 offset1:1
	ds_read2_b64 v[2:5], v29 offset0:2 offset1:3
	v_cmp_eq_u32_e64 s[0:1], s26, v1
	s_and_saveexec_b64 s[22:23], s[0:1]
	s_cbranch_execz .LBB120_43
; %bb.42:                               ;   in Loop: Header=BB120_41 Depth=1
	v_add_u32_e32 v24, 1, v28
	v_cmp_gt_i32_e32 vcc, s27, v24
	v_or_b32_e32 v25, 2, v28
	v_cmp_gt_i32_e64 s[6:7], s17, v25
	s_waitcnt vmcnt(0)
	v_cndmask_b32_sdwa v24, v19, v10, vcc dst_sel:DWORD dst_unused:UNUSED_PAD src0_sel:DWORD src1_sel:WORD_1
	v_cmp_gt_i32_e32 vcc, s17, v28
	v_or_b32_e32 v25, 4, v28
	s_nop 0
	v_cndmask_b32_e32 v10, 0, v10, vcc
	v_perm_b32 v10, v24, v10, s24
	v_or_b32_e32 v24, 3, v28
	v_cmp_gt_i32_e32 vcc, s27, v24
	v_cndmask_b32_e64 v24, 0, v11, s[6:7]
	v_cmp_gt_i32_e64 s[6:7], s17, v25
	v_cndmask_b32_sdwa v11, v19, v11, vcc dst_sel:DWORD dst_unused:UNUSED_PAD src0_sel:DWORD src1_sel:WORD_1
	v_perm_b32 v11, v11, v24, s24
	v_or_b32_e32 v24, 5, v28
	v_cmp_gt_i32_e32 vcc, s27, v24
	v_cndmask_b32_e64 v24, 0, v12, s[6:7]
	v_or_b32_e32 v25, 6, v28
	v_cndmask_b32_sdwa v12, v19, v12, vcc dst_sel:DWORD dst_unused:UNUSED_PAD src0_sel:DWORD src1_sel:WORD_1
	v_perm_b32 v12, v12, v24, s24
	v_or_b32_e32 v24, 7, v28
	v_cmp_gt_i32_e32 vcc, s27, v24
	v_cmp_gt_i32_e64 s[6:7], s17, v25
	s_nop 1
	v_cndmask_b32_e64 v24, 0, v13, s[6:7]
	v_cndmask_b32_sdwa v13, v19, v13, vcc dst_sel:DWORD dst_unused:UNUSED_PAD src0_sel:DWORD src1_sel:WORD_1
	v_perm_b32 v13, v13, v24, s24
.LBB120_43:                             ;   in Loop: Header=BB120_41 Depth=1
	s_or_b64 exec, exec, s[22:23]
	s_waitcnt lgkmcnt(1)
	v_cvt_pk_bf16_f32 v25, v7, s0
	v_cvt_pk_bf16_f32 v30, v8, s0
	s_waitcnt vmcnt(0)
	v_lshlrev_b32_e32 v36, 16, v10
	v_and_b32_e32 v10, 0xffff0000, v10
	v_lshlrev_b32_e32 v25, 16, v25
	v_cvt_pk_bf16_f32 v31, v9, s0
	v_mul_f32_e32 v10, v25, v10
	v_lshlrev_b32_e32 v25, 16, v11
	v_lshlrev_b32_e32 v30, 16, v30
	v_mul_f32_e32 v25, v30, v25
	v_and_b32_e32 v11, 0xffff0000, v11
	v_lshlrev_b32_e32 v30, 16, v31
	s_waitcnt lgkmcnt(0)
	v_cvt_pk_bf16_f32 v32, v2, s0
	v_mul_f32_e32 v11, v30, v11
	v_cvt_pk_bf16_f32 v30, v11, s0
	v_lshlrev_b32_e32 v11, 16, v12
	v_lshlrev_b32_e32 v31, 16, v32
	v_cvt_pk_bf16_f32 v33, v3, s0
	v_mul_f32_e32 v11, v31, v11
	v_cvt_pk_bf16_f32 v31, v11, s0
	v_and_b32_e32 v11, 0xffff0000, v12
	v_lshlrev_b32_e32 v12, 16, v33
	v_cvt_pk_bf16_f32 v34, v4, s0
	v_mul_f32_e32 v11, v12, v11
	v_cvt_pk_bf16_f32 v24, v6, s0
	v_cvt_pk_bf16_f32 v32, v11, s0
	v_lshlrev_b32_e32 v11, 16, v13
	v_lshlrev_b32_e32 v12, 16, v34
	v_cvt_pk_bf16_f32 v35, v5, s0
	v_lshlrev_b32_e32 v24, 16, v24
	v_mul_f32_e32 v11, v12, v11
	v_mul_f32_e32 v24, v24, v36
	v_cvt_pk_bf16_f32 v33, v11, s0
	v_and_b32_e32 v11, 0xffff0000, v13
	v_lshlrev_b32_e32 v12, 16, v35
	v_cvt_pk_bf16_f32 v24, v24, s0
	v_cvt_pk_bf16_f32 v10, v10, s0
	;; [unrolled: 1-line block ×3, first 2 shown]
	v_mul_f32_e32 v11, v12, v11
	v_cvt_pk_bf16_f32 v34, v11, s0
	v_lshlrev_b32_e32 v11, 16, v10
	v_lshlrev_b32_e32 v13, 16, v24
	;; [unrolled: 1-line block ×4, first 2 shown]
	v_pk_add_f32 v[10:11], v[12:13], v[10:11]
	v_lshlrev_b32_e32 v13, 16, v32
	v_lshlrev_b32_e32 v25, 16, v31
	;; [unrolled: 1-line block ×4, first 2 shown]
	v_pk_add_f32 v[10:11], v[10:11], v[10:11] op_sel:[0,1] op_sel_hi:[1,0]
	v_pk_add_f32 v[12:13], v[24:25], v[12:13]
	s_nop 0
	v_pk_add_f32 v[10:11], v[12:13], v[10:11] op_sel:[1,0] op_sel_hi:[0,1]
	v_pk_add_f32 v[10:11], v[12:13], v[10:11]
	s_nop 0
	v_pk_add_f32 v[24:25], v[16:17], v[10:11]
	s_and_saveexec_b64 s[6:7], s[2:3]
	s_cbranch_execz .LBB120_40
; %bb.44:                               ;   in Loop: Header=BB120_41 Depth=1
	v_lshl_add_u64 v[10:11], v[26:27], 0, v[18:19]
	global_load_dwordx4 v[10:13], v[10:11], off
	s_and_saveexec_b64 s[22:23], s[0:1]
	s_cbranch_execz .LBB120_39
; %bb.45:                               ;   in Loop: Header=BB120_41 Depth=1
	v_add_u32_e32 v25, 1, v28
	v_cmp_gt_i32_e32 vcc, s27, v25
	v_or_b32_e32 v26, 2, v28
	v_cmp_gt_i32_e64 s[0:1], s17, v26
	s_waitcnt vmcnt(0)
	v_cndmask_b32_sdwa v25, v19, v10, vcc dst_sel:DWORD dst_unused:UNUSED_PAD src0_sel:DWORD src1_sel:WORD_1
	v_cmp_gt_i32_e32 vcc, s17, v28
	v_or_b32_e32 v26, 4, v28
	s_nop 0
	v_cndmask_b32_e32 v10, 0, v10, vcc
	v_perm_b32 v10, v25, v10, s24
	v_or_b32_e32 v25, 3, v28
	v_cmp_gt_i32_e32 vcc, s27, v25
	v_cndmask_b32_e64 v25, 0, v11, s[0:1]
	v_cmp_gt_i32_e64 s[0:1], s17, v26
	v_cndmask_b32_sdwa v11, v19, v11, vcc dst_sel:DWORD dst_unused:UNUSED_PAD src0_sel:DWORD src1_sel:WORD_1
	v_perm_b32 v11, v11, v25, s24
	v_or_b32_e32 v25, 5, v28
	v_cmp_gt_i32_e32 vcc, s27, v25
	v_cndmask_b32_e64 v25, 0, v12, s[0:1]
	v_or_b32_e32 v26, 6, v28
	v_cndmask_b32_sdwa v12, v19, v12, vcc dst_sel:DWORD dst_unused:UNUSED_PAD src0_sel:DWORD src1_sel:WORD_1
	v_perm_b32 v12, v12, v25, s24
	v_or_b32_e32 v25, 7, v28
	v_cmp_gt_i32_e32 vcc, s27, v25
	v_cmp_gt_i32_e64 s[0:1], s17, v26
	s_nop 1
	v_cndmask_b32_e64 v25, 0, v13, s[0:1]
	v_cndmask_b32_sdwa v13, v19, v13, vcc dst_sel:DWORD dst_unused:UNUSED_PAD src0_sel:DWORD src1_sel:WORD_1
	v_perm_b32 v13, v13, v25, s24
	s_branch .LBB120_39
.LBB120_46:
	s_or_b64 exec, exec, s[14:15]
.LBB120_47:
	s_or_b64 exec, exec, s[10:11]
	v_and_b32_e32 v1, 0x3c0, v0
	v_cmp_eq_u32_e32 vcc, 64, v1
	s_barrier
	s_and_saveexec_b64 s[0:1], vcc
	s_cbranch_execz .LBB120_50
; %bb.48:
	v_mov_b32_e32 v1, 0xd0
	v_lshl_add_u32 v2, v15, 2, v1
	ds_write_b32 v2, v24
	s_and_b64 exec, exec, s[8:9]
; %bb.49:
	v_lshl_add_u32 v1, v0, 2, v1
	ds_write_b32 v1, v17
.LBB120_50:
	s_or_b64 exec, exec, s[0:1]
	v_cmp_gt_u32_e32 vcc, 64, v0
	v_or_b32_e32 v1, 64, v0
	s_waitcnt lgkmcnt(0)
	s_barrier
	s_and_saveexec_b64 s[2:3], vcc
	s_cbranch_execz .LBB120_54
; %bb.51:
	v_mov_b32_e32 v2, 0xd0
	v_lshl_add_u32 v2, v0, 2, v2
	ds_read_b32 v0, v2
	s_movk_i32 s0, 0x60
	v_cmp_gt_u32_e64 s[0:1], s0, v1
	s_and_saveexec_b64 s[6:7], s[0:1]
	s_cbranch_execz .LBB120_53
; %bb.52:
	ds_read_b32 v2, v2 offset:256
	s_waitcnt lgkmcnt(0)
	v_add_f32_e32 v17, v17, v2
.LBB120_53:
	s_or_b64 exec, exec, s[6:7]
	s_waitcnt lgkmcnt(0)
	v_add_f32_e32 v24, v24, v0
.LBB120_54:
	s_or_b64 exec, exec, s[2:3]
	s_barrier
	s_and_saveexec_b64 s[0:1], vcc
	s_cbranch_execz .LBB120_57
; %bb.55:
	s_mul_i32 s0, s16, s19
	s_mul_i32 s0, s0, s5
	s_mulk_i32 s0, 0x60
	s_ashr_i32 s1, s0, 31
	s_lshl_b64 s[0:1], s[0:1], 1
	s_add_u32 s3, s20, s0
	s_mul_i32 s0, s19, s18
	s_addc_u32 s5, s21, s1
	s_ashr_i32 s1, s0, 31
	s_lshl_b64 s[0:1], s[0:1], 1
	s_add_u32 s3, s3, s0
	s_mul_i32 s0, s4, 0x60
	s_addc_u32 s5, s5, s1
	s_ashr_i32 s1, s0, 31
	s_lshl_b64 s[0:1], s[0:1], 1
	s_movk_i32 s2, 0x60
	s_add_u32 s0, s3, s0
	s_addc_u32 s1, s5, s1
	v_cvt_pk_bf16_f32 v0, v24, s0
	v_cmp_gt_u32_e32 vcc, s2, v1
	global_store_short v14, v0, s[0:1]
	s_and_b64 exec, exec, vcc
	s_cbranch_execz .LBB120_57
; %bb.56:
	v_mov_b32_e32 v15, 0
	v_lshl_add_u64 v[0:1], s[0:1], 0, v[14:15]
	v_cvt_pk_bf16_f32 v2, v17, s0
	global_store_short v[0:1], v2, off offset:128
.LBB120_57:
	s_endpgm
	.section	.rodata,"a",@progbits
	.p2align	6, 0x0
	.amdhsa_kernel _ZN4vllm25paged_attention_v1_kernelI14__hip_bfloat16S1_Li96ELi8ELi128ELNS_18Fp8KVCacheDataTypeE0ELb0EEEvPT_PKS3_PKT0_S9_ifPKiSB_iPKfiiiSD_SD_iiiii
		.amdhsa_group_segment_fixed_size 208
		.amdhsa_private_segment_fixed_size 0
		.amdhsa_kernarg_size 384
		.amdhsa_user_sgpr_count 2
		.amdhsa_user_sgpr_dispatch_ptr 0
		.amdhsa_user_sgpr_queue_ptr 0
		.amdhsa_user_sgpr_kernarg_segment_ptr 1
		.amdhsa_user_sgpr_dispatch_id 0
		.amdhsa_user_sgpr_kernarg_preload_length 0
		.amdhsa_user_sgpr_kernarg_preload_offset 0
		.amdhsa_user_sgpr_private_segment_size 0
		.amdhsa_uses_dynamic_stack 0
		.amdhsa_enable_private_segment 0
		.amdhsa_system_sgpr_workgroup_id_x 1
		.amdhsa_system_sgpr_workgroup_id_y 1
		.amdhsa_system_sgpr_workgroup_id_z 1
		.amdhsa_system_sgpr_workgroup_info 0
		.amdhsa_system_vgpr_workitem_id 0
		.amdhsa_next_free_vgpr 44
		.amdhsa_next_free_sgpr 36
		.amdhsa_accum_offset 44
		.amdhsa_reserve_vcc 1
		.amdhsa_float_round_mode_32 0
		.amdhsa_float_round_mode_16_64 0
		.amdhsa_float_denorm_mode_32 3
		.amdhsa_float_denorm_mode_16_64 3
		.amdhsa_dx10_clamp 1
		.amdhsa_ieee_mode 1
		.amdhsa_fp16_overflow 0
		.amdhsa_tg_split 0
		.amdhsa_exception_fp_ieee_invalid_op 0
		.amdhsa_exception_fp_denorm_src 0
		.amdhsa_exception_fp_ieee_div_zero 0
		.amdhsa_exception_fp_ieee_overflow 0
		.amdhsa_exception_fp_ieee_underflow 0
		.amdhsa_exception_fp_ieee_inexact 0
		.amdhsa_exception_int_div_zero 0
	.end_amdhsa_kernel
	.section	.text._ZN4vllm25paged_attention_v1_kernelI14__hip_bfloat16S1_Li96ELi8ELi128ELNS_18Fp8KVCacheDataTypeE0ELb0EEEvPT_PKS3_PKT0_S9_ifPKiSB_iPKfiiiSD_SD_iiiii,"axG",@progbits,_ZN4vllm25paged_attention_v1_kernelI14__hip_bfloat16S1_Li96ELi8ELi128ELNS_18Fp8KVCacheDataTypeE0ELb0EEEvPT_PKS3_PKT0_S9_ifPKiSB_iPKfiiiSD_SD_iiiii,comdat
.Lfunc_end120:
	.size	_ZN4vllm25paged_attention_v1_kernelI14__hip_bfloat16S1_Li96ELi8ELi128ELNS_18Fp8KVCacheDataTypeE0ELb0EEEvPT_PKS3_PKT0_S9_ifPKiSB_iPKfiiiSD_SD_iiiii, .Lfunc_end120-_ZN4vllm25paged_attention_v1_kernelI14__hip_bfloat16S1_Li96ELi8ELi128ELNS_18Fp8KVCacheDataTypeE0ELb0EEEvPT_PKS3_PKT0_S9_ifPKiSB_iPKfiiiSD_SD_iiiii
                                        ; -- End function
	.set _ZN4vllm25paged_attention_v1_kernelI14__hip_bfloat16S1_Li96ELi8ELi128ELNS_18Fp8KVCacheDataTypeE0ELb0EEEvPT_PKS3_PKT0_S9_ifPKiSB_iPKfiiiSD_SD_iiiii.num_vgpr, 44
	.set _ZN4vllm25paged_attention_v1_kernelI14__hip_bfloat16S1_Li96ELi8ELi128ELNS_18Fp8KVCacheDataTypeE0ELb0EEEvPT_PKS3_PKT0_S9_ifPKiSB_iPKfiiiSD_SD_iiiii.num_agpr, 0
	.set _ZN4vllm25paged_attention_v1_kernelI14__hip_bfloat16S1_Li96ELi8ELi128ELNS_18Fp8KVCacheDataTypeE0ELb0EEEvPT_PKS3_PKT0_S9_ifPKiSB_iPKfiiiSD_SD_iiiii.numbered_sgpr, 36
	.set _ZN4vllm25paged_attention_v1_kernelI14__hip_bfloat16S1_Li96ELi8ELi128ELNS_18Fp8KVCacheDataTypeE0ELb0EEEvPT_PKS3_PKT0_S9_ifPKiSB_iPKfiiiSD_SD_iiiii.num_named_barrier, 0
	.set _ZN4vllm25paged_attention_v1_kernelI14__hip_bfloat16S1_Li96ELi8ELi128ELNS_18Fp8KVCacheDataTypeE0ELb0EEEvPT_PKS3_PKT0_S9_ifPKiSB_iPKfiiiSD_SD_iiiii.private_seg_size, 0
	.set _ZN4vllm25paged_attention_v1_kernelI14__hip_bfloat16S1_Li96ELi8ELi128ELNS_18Fp8KVCacheDataTypeE0ELb0EEEvPT_PKS3_PKT0_S9_ifPKiSB_iPKfiiiSD_SD_iiiii.uses_vcc, 1
	.set _ZN4vllm25paged_attention_v1_kernelI14__hip_bfloat16S1_Li96ELi8ELi128ELNS_18Fp8KVCacheDataTypeE0ELb0EEEvPT_PKS3_PKT0_S9_ifPKiSB_iPKfiiiSD_SD_iiiii.uses_flat_scratch, 0
	.set _ZN4vllm25paged_attention_v1_kernelI14__hip_bfloat16S1_Li96ELi8ELi128ELNS_18Fp8KVCacheDataTypeE0ELb0EEEvPT_PKS3_PKT0_S9_ifPKiSB_iPKfiiiSD_SD_iiiii.has_dyn_sized_stack, 0
	.set _ZN4vllm25paged_attention_v1_kernelI14__hip_bfloat16S1_Li96ELi8ELi128ELNS_18Fp8KVCacheDataTypeE0ELb0EEEvPT_PKS3_PKT0_S9_ifPKiSB_iPKfiiiSD_SD_iiiii.has_recursion, 0
	.set _ZN4vllm25paged_attention_v1_kernelI14__hip_bfloat16S1_Li96ELi8ELi128ELNS_18Fp8KVCacheDataTypeE0ELb0EEEvPT_PKS3_PKT0_S9_ifPKiSB_iPKfiiiSD_SD_iiiii.has_indirect_call, 0
	.section	.AMDGPU.csdata,"",@progbits
; Kernel info:
; codeLenInByte = 4320
; TotalNumSgprs: 42
; NumVgprs: 44
; NumAgprs: 0
; TotalNumVgprs: 44
; ScratchSize: 0
; MemoryBound: 0
; FloatMode: 240
; IeeeMode: 1
; LDSByteSize: 208 bytes/workgroup (compile time only)
; SGPRBlocks: 5
; VGPRBlocks: 5
; NumSGPRsForWavesPerEU: 42
; NumVGPRsForWavesPerEU: 44
; AccumOffset: 44
; Occupancy: 8
; WaveLimiterHint : 1
; COMPUTE_PGM_RSRC2:SCRATCH_EN: 0
; COMPUTE_PGM_RSRC2:USER_SGPR: 2
; COMPUTE_PGM_RSRC2:TRAP_HANDLER: 0
; COMPUTE_PGM_RSRC2:TGID_X_EN: 1
; COMPUTE_PGM_RSRC2:TGID_Y_EN: 1
; COMPUTE_PGM_RSRC2:TGID_Z_EN: 1
; COMPUTE_PGM_RSRC2:TIDIG_COMP_CNT: 0
; COMPUTE_PGM_RSRC3_GFX90A:ACCUM_OFFSET: 10
; COMPUTE_PGM_RSRC3_GFX90A:TG_SPLIT: 0
	.section	.text._ZN4vllm25paged_attention_v1_kernelI14__hip_bfloat16S1_Li112ELi8ELi128ELNS_18Fp8KVCacheDataTypeE0ELb0EEEvPT_PKS3_PKT0_S9_ifPKiSB_iPKfiiiSD_SD_iiiii,"axG",@progbits,_ZN4vllm25paged_attention_v1_kernelI14__hip_bfloat16S1_Li112ELi8ELi128ELNS_18Fp8KVCacheDataTypeE0ELb0EEEvPT_PKS3_PKT0_S9_ifPKiSB_iPKfiiiSD_SD_iiiii,comdat
	.protected	_ZN4vllm25paged_attention_v1_kernelI14__hip_bfloat16S1_Li112ELi8ELi128ELNS_18Fp8KVCacheDataTypeE0ELb0EEEvPT_PKS3_PKT0_S9_ifPKiSB_iPKfiiiSD_SD_iiiii ; -- Begin function _ZN4vllm25paged_attention_v1_kernelI14__hip_bfloat16S1_Li112ELi8ELi128ELNS_18Fp8KVCacheDataTypeE0ELb0EEEvPT_PKS3_PKT0_S9_ifPKiSB_iPKfiiiSD_SD_iiiii
	.globl	_ZN4vllm25paged_attention_v1_kernelI14__hip_bfloat16S1_Li112ELi8ELi128ELNS_18Fp8KVCacheDataTypeE0ELb0EEEvPT_PKS3_PKT0_S9_ifPKiSB_iPKfiiiSD_SD_iiiii
	.p2align	8
	.type	_ZN4vllm25paged_attention_v1_kernelI14__hip_bfloat16S1_Li112ELi8ELi128ELNS_18Fp8KVCacheDataTypeE0ELb0EEEvPT_PKS3_PKT0_S9_ifPKiSB_iPKfiiiSD_SD_iiiii,@function
_ZN4vllm25paged_attention_v1_kernelI14__hip_bfloat16S1_Li112ELi8ELi128ELNS_18Fp8KVCacheDataTypeE0ELb0EEEvPT_PKS3_PKT0_S9_ifPKiSB_iPKfiiiSD_SD_iiiii: ; @_ZN4vllm25paged_attention_v1_kernelI14__hip_bfloat16S1_Li112ELi8ELi128ELNS_18Fp8KVCacheDataTypeE0ELb0EEEvPT_PKS3_PKT0_S9_ifPKiSB_iPKfiiiSD_SD_iiiii
; %bb.0:
	s_load_dword s5, s[0:1], 0x80
	s_load_dwordx2 s[6:7], s[0:1], 0x30
	s_load_dwordx2 s[10:11], s[0:1], 0x20
	s_mov_b32 s16, s3
	s_ashr_i32 s17, s3, 31
	s_lshl_b64 s[8:9], s[16:17], 2
	s_waitcnt lgkmcnt(0)
	s_add_u32 s6, s6, s8
	s_addc_u32 s7, s7, s9
	s_abs_i32 s3, s10
	v_cvt_f32_u32_e32 v1, s3
	s_xor_b32 s8, s5, s10
	s_sub_i32 s10, 0, s3
	s_abs_i32 s9, s5
	v_rcp_iflag_f32_e32 v1, v1
	s_ashr_i32 s8, s8, 31
	v_mul_f32_e32 v1, 0x4f7ffffe, v1
	v_cvt_u32_f32_e32 v1, v1
	s_nop 0
	v_readfirstlane_b32 s12, v1
	s_mul_i32 s10, s10, s12
	s_mul_hi_u32 s10, s12, s10
	s_add_i32 s12, s12, s10
	s_mul_hi_u32 s10, s9, s12
	s_mul_i32 s12, s10, s3
	s_sub_i32 s9, s9, s12
	s_add_i32 s12, s10, 1
	s_sub_i32 s13, s9, s3
	s_cmp_ge_u32 s9, s3
	s_cselect_b32 s10, s12, s10
	s_cselect_b32 s9, s13, s9
	s_add_i32 s12, s10, 1
	s_cmp_ge_u32 s9, s3
	s_cselect_b32 s3, s12, s10
	s_xor_b32 s3, s3, s8
	s_sub_i32 s12, s3, s8
	s_abs_i32 s20, s12
	v_cvt_f32_u32_e32 v1, s20
	s_load_dwordx2 s[8:9], s[0:1], 0x40
	s_sub_i32 s3, 0, s20
	s_abs_i32 s21, s2
	v_rcp_iflag_f32_e32 v1, v1
	s_mov_b32 s10, 0
	v_mul_f32_e32 v1, 0x4f7ffffe, v1
	v_cvt_u32_f32_e32 v1, v1
	s_nop 0
	v_readfirstlane_b32 s13, v1
	s_mul_i32 s3, s3, s13
	s_mul_hi_u32 s3, s13, s3
	s_add_i32 s13, s13, s3
	s_waitcnt lgkmcnt(0)
	s_cmp_eq_u64 s[8:9], 0
	s_mul_hi_u32 s24, s21, s13
	s_cbranch_scc1 .LBB121_2
; %bb.1:
	s_ashr_i32 s3, s2, 31
	s_lshl_b64 s[14:15], s[2:3], 2
	s_add_u32 s8, s8, s14
	s_addc_u32 s9, s9, s15
	s_load_dword s10, s[8:9], 0x0
.LBB121_2:
	s_load_dword s17, s[6:7], 0x0
	s_ashr_i32 s7, s12, 31
	s_load_dwordx4 s[12:15], s[0:1], 0x48
	s_movk_i32 s3, 0x70
	s_ashr_i32 s6, s2, 31
	v_and_b32_e32 v4, 7, v0
	s_mul_i32 s18, s2, 0x70
	v_cmp_gt_u32_e64 s[8:9], s3, v0
	v_lshlrev_b32_e32 v14, 1, v0
	s_and_saveexec_b64 s[2:3], s[8:9]
	s_cbranch_execz .LBB121_4
; %bb.3:
	s_load_dwordx2 s[22:23], s[0:1], 0x8
	s_waitcnt lgkmcnt(0)
	s_mul_i32 s26, s12, s16
	s_ashr_i32 s27, s26, 31
	s_lshl_b64 s[26:27], s[26:27], 1
	v_lshrrev_b32_e32 v2, 2, v0
	s_add_u32 s12, s22, s26
	s_addc_u32 s15, s23, s27
	s_ashr_i32 s19, s18, 31
	s_lshl_b64 s[22:23], s[18:19], 1
	s_add_u32 s22, s12, s22
	s_addc_u32 s23, s15, s23
	global_load_ushort v1, v14, s[22:23]
	v_and_b32_e32 v2, 0xfe, v2
	v_mad_u32_u24 v2, v4, 28, v2
	s_waitcnt vmcnt(0)
	ds_write_b16 v2, v1
.LBB121_4:
	s_or_b64 exec, exec, s[2:3]
	s_waitcnt lgkmcnt(0)
	s_add_i32 s3, s17, 7
	s_ashr_i32 s12, s3, 31
	s_lshr_b32 s12, s12, 29
	s_add_i32 s3, s3, s12
	s_ashr_i32 s33, s3, 3
	s_xor_b32 s3, s6, s7
	s_mul_i32 s6, s24, s20
	s_sub_i32 s6, s21, s6
	s_add_i32 s7, s24, 1
	s_sub_i32 s12, s6, s20
	s_load_dwordx2 s[22:23], s[0:1], 0x28
	s_load_dword s2, s[0:1], 0x38
	s_cmp_ge_u32 s6, s20
	s_cselect_b32 s7, s7, s24
	s_cselect_b32 s6, s12, s6
	s_add_i32 s12, s7, 1
	s_cmp_ge_u32 s6, s20
	s_cselect_b32 s6, s12, s7
	v_lshrrev_b32_e32 v1, 6, v0
	s_xor_b32 s6, s6, s3
	s_waitcnt lgkmcnt(0)
	s_mul_i32 s24, s2, s16
	s_sub_i32 s12, s6, s3
	s_ashr_i32 s25, s24, 31
	v_cmp_gt_i32_e64 s[2:3], s33, v1
	v_cmp_le_i32_e32 vcc, s33, v1
	v_mbcnt_lo_u32_b32 v5, -1, 0
	s_barrier
                                        ; implicit-def: $vgpr7
                                        ; implicit-def: $vgpr9
                                        ; implicit-def: $vgpr8
	s_and_saveexec_b64 s[6:7], vcc
	s_xor_b64 s[6:7], exec, s[6:7]
; %bb.5:
	v_mbcnt_hi_u32_b32 v7, -1, v5
	v_and_b32_e32 v9, 64, v7
	v_add_u32_e32 v8, 64, v9
                                        ; implicit-def: $vgpr4
                                        ; implicit-def: $vgpr5
; %bb.6:
	s_or_saveexec_b64 s[28:29], s[6:7]
	s_load_dwordx2 s[20:21], s[0:1], 0x0
	s_load_dwordx2 s[26:27], s[0:1], 0x18
	s_load_dword s19, s[0:1], 0x88
	v_mov_b32_e32 v22, 0xff7fffff
	s_mul_i32 s14, s12, s14
	v_lshrrev_b32_e32 v6, 4, v0
	s_xor_b64 exec, exec, s[28:29]
	s_cbranch_execz .LBB121_12
; %bb.7:
	v_mul_u32_u24_e32 v7, 28, v4
	ds_read2_b32 v[8:9], v7 offset1:1
	ds_read2_b32 v[18:19], v7 offset0:2 offset1:3
	ds_read2_b32 v[22:23], v7 offset0:4 offset1:5
	ds_read_b32 v7, v7 offset:24
	s_load_dwordx2 s[0:1], s[0:1], 0x10
	s_ashr_i32 s15, s14, 31
	s_lshl_b64 s[6:7], s[14:15], 1
	s_waitcnt lgkmcnt(0)
	v_lshlrev_b32_e32 v12, 16, v9
	v_lshlrev_b32_e32 v24, 16, v7
	v_and_b32_e32 v25, 0xffff0000, v7
	v_mbcnt_hi_u32_b32 v7, -1, v5
	v_and_b32_e32 v13, 0xffff0000, v9
	v_and_b32_e32 v9, 64, v7
	v_lshlrev_b32_e32 v10, 16, v8
	v_and_b32_e32 v11, 0xffff0000, v8
	v_add_u32_e32 v8, 64, v9
	v_xor_b32_e32 v5, 4, v7
	v_cmp_lt_i32_e32 vcc, v5, v8
	v_bfe_u32 v30, v0, 3, 3
	s_add_u32 s0, s0, s6
	v_cndmask_b32_e32 v5, v7, v5, vcc
	v_lshlrev_b32_e32 v26, 2, v5
	v_xor_b32_e32 v5, 2, v7
	v_cmp_lt_i32_e32 vcc, v5, v8
	s_addc_u32 s1, s1, s7
	v_lshlrev_b32_e32 v32, 4, v30
	v_cndmask_b32_e32 v5, v7, v5, vcc
	v_lshlrev_b32_e32 v27, 2, v5
	v_xor_b32_e32 v5, 1, v7
	v_mov_b32_e32 v33, 0
	v_cmp_lt_i32_e32 vcc, v5, v8
	s_sub_i32 s15, 1, s17
	s_lshl_b64 s[6:7], s[24:25], 2
	v_lshl_add_u64 v[2:3], s[0:1], 0, v[32:33]
	v_lshlrev_b32_e32 v32, 1, v4
	v_cndmask_b32_e32 v5, v7, v5, vcc
	v_cmp_eq_u32_e32 vcc, 0, v4
	v_lshlrev_b32_e32 v4, 2, v30
	s_add_u32 s6, s22, s6
	v_lshl_add_u64 v[2:3], v[2:3], 0, v[32:33]
	v_lshl_or_b32 v4, v1, 5, v4
	v_and_b32_e32 v32, 60, v6
	s_addc_u32 s7, s23, s7
	s_mov_b32 s12, s13
	v_lshlrev_b32_e32 v15, 16, v18
	v_and_b32_e32 v16, 0xffff0000, v18
	v_lshlrev_b32_e32 v17, 16, v19
	v_and_b32_e32 v18, 0xffff0000, v19
	;; [unrolled: 2-line block ×4, first 2 shown]
	v_lshlrev_b32_e32 v28, 2, v5
	v_cmp_neq_f32_e64 s[0:1], s10, 0
	v_lshl_or_b32 v29, v1, 3, v30
	v_add_u32_e32 v30, 0xf0, v4
	v_lshl_add_u64 v[4:5], s[6:7], 0, v[32:33]
	v_mov_b32_e32 v22, 0xff7fffff
	s_mov_b64 s[30:31], 0
	v_mov_b32_e32 v31, v1
	s_branch .LBB121_9
.LBB121_8:                              ;   in Loop: Header=BB121_9 Depth=1
	s_or_b64 exec, exec, s[34:35]
	v_add_u32_e32 v31, 2, v31
	v_cmp_le_i32_e64 s[6:7], s33, v31
	v_add_u32_e32 v29, 16, v29
	v_add_u32_e32 v30, 64, v30
	s_or_b64 s[30:31], s[6:7], s[30:31]
	v_lshl_add_u64 v[4:5], v[4:5], 0, 8
	s_andn2_b64 exec, exec, s[30:31]
	s_cbranch_execz .LBB121_11
.LBB121_9:                              ; =>This Inner Loop Header: Depth=1
	global_load_dword v32, v[4:5], off
	s_waitcnt vmcnt(0) lgkmcnt(0)
	v_mad_i64_i32 v[32:33], s[6:7], v32, s12, 0
	v_lshl_add_u64 v[32:33], v[32:33], 1, v[2:3]
	global_load_ushort v34, v[32:33], off
	global_load_ushort v35, v[32:33], off offset:128
	global_load_ushort v36, v[32:33], off offset:256
	global_load_ushort v37, v[32:33], off offset:384
	global_load_ushort v38, v[32:33], off offset:512
	global_load_ushort v39, v[32:33], off offset:640
	global_load_ushort v40, v[32:33], off offset:768
	global_load_ushort v41, v[32:33], off offset:896
	global_load_ushort v42, v[32:33], off offset:1024
	global_load_ushort v43, v[32:33], off offset:1152
	global_load_ushort v44, v[32:33], off offset:1280
	global_load_ushort v45, v[32:33], off offset:1408
	global_load_ushort v46, v[32:33], off offset:1536
	global_load_ushort v47, v[32:33], off offset:1664
	s_waitcnt vmcnt(13)
	v_lshlrev_b32_e32 v32, 16, v34
	s_waitcnt vmcnt(12)
	v_lshlrev_b32_e32 v33, 16, v35
	v_mul_f32_e32 v33, v11, v33
	s_waitcnt vmcnt(11)
	v_lshlrev_b32_e32 v34, 16, v36
	v_fmac_f32_e32 v33, v10, v32
	s_waitcnt vmcnt(10)
	v_lshlrev_b32_e32 v35, 16, v37
	v_fmac_f32_e32 v33, v12, v34
	;; [unrolled: 3-line block ×11, first 2 shown]
	v_fmac_f32_e32 v33, v24, v44
	s_waitcnt vmcnt(0)
	v_lshlrev_b32_e32 v32, 16, v47
	v_fmac_f32_e32 v33, v25, v32
	ds_bpermute_b32 v32, v26, v33
	s_waitcnt lgkmcnt(0)
	v_add_f32_e32 v32, v33, v32
	ds_bpermute_b32 v33, v27, v32
	s_waitcnt lgkmcnt(0)
	v_add_f32_e32 v32, v32, v33
	ds_bpermute_b32 v33, v28, v32
	s_and_saveexec_b64 s[34:35], vcc
	s_cbranch_execz .LBB121_8
; %bb.10:                               ;   in Loop: Header=BB121_9 Depth=1
	v_add_u32_e32 v34, s15, v29
	v_cvt_f32_i32_e32 v34, v34
	s_waitcnt lgkmcnt(0)
	v_add_f32_e32 v32, v32, v33
	v_cmp_gt_i32_e64 s[6:7], s17, v29
	v_max_f32_e32 v33, v22, v22
	v_mul_f32_e32 v34, s10, v34
	v_cndmask_b32_e64 v34, 0, v34, s[0:1]
	v_fmac_f32_e32 v34, s11, v32
	v_cndmask_b32_e64 v32, 0, v34, s[6:7]
	ds_write_b32 v30, v32
	v_max_f32_e32 v32, v33, v34
	v_cndmask_b32_e64 v22, v22, v32, s[6:7]
	s_branch .LBB121_8
.LBB121_11:
	s_or_b64 exec, exec, s[30:31]
.LBB121_12:
	s_or_b64 exec, exec, s[28:29]
	v_xor_b32_e32 v2, 32, v7
	v_cmp_lt_i32_e32 vcc, v2, v8
	v_xor_b32_e32 v5, 16, v7
	v_max_f32_e32 v4, v22, v22
	v_cndmask_b32_e32 v2, v7, v2, vcc
	v_lshlrev_b32_e32 v3, 2, v2
	ds_bpermute_b32 v2, v3, v22
	v_cmp_lt_i32_e32 vcc, v5, v8
	v_xor_b32_e32 v10, 8, v7
	v_and_b32_e32 v15, 63, v0
	s_waitcnt lgkmcnt(0)
	v_max_f32_e32 v2, v2, v2
	v_max_f32_e32 v2, v4, v2
	v_cndmask_b32_e32 v4, v7, v5, vcc
	v_lshlrev_b32_e32 v5, 2, v4
	ds_bpermute_b32 v4, v5, v2
	v_cmp_lt_i32_e32 vcc, v10, v8
	s_waitcnt lgkmcnt(0)
	v_max_f32_e32 v4, v4, v4
	v_max_f32_e32 v4, v2, v4
	v_cndmask_b32_e32 v2, v7, v10, vcc
	v_lshlrev_b32_e32 v11, 2, v2
	ds_bpermute_b32 v10, v11, v4
	v_cmp_eq_u32_e32 vcc, 0, v15
	v_lshlrev_b32_e32 v2, 2, v1
	s_and_saveexec_b64 s[0:1], vcc
	s_cbranch_execz .LBB121_14
; %bb.13:
	s_waitcnt lgkmcnt(0)
	v_max_f32_e32 v10, v10, v10
	v_max_f32_e32 v4, v4, v4
	;; [unrolled: 1-line block ×3, first 2 shown]
	ds_write_b32 v2, v4 offset:224
.LBB121_14:
	s_or_b64 exec, exec, s[0:1]
	v_cmp_gt_u32_e64 s[0:1], 2, v15
	v_mov_b32_e32 v12, 0xff7fffff
	v_lshlrev_b32_e32 v4, 2, v15
	s_waitcnt lgkmcnt(0)
	s_barrier
	s_and_saveexec_b64 s[6:7], s[0:1]
; %bb.15:
	ds_read_b32 v12, v4 offset:224
; %bb.16:
	s_or_b64 exec, exec, s[6:7]
	v_xor_b32_e32 v10, 1, v7
	v_cmp_lt_i32_e64 s[6:7], v10, v8
	v_lshlrev_b32_e32 v9, 2, v9
	s_nop 0
	v_cndmask_b32_e64 v10, v7, v10, s[6:7]
	v_lshlrev_b32_e32 v10, 2, v10
	s_waitcnt lgkmcnt(0)
	ds_bpermute_b32 v13, v10, v12
	v_max_f32_e32 v12, v12, v12
	s_lshl_b32 s6, s33, 3
	s_min_i32 s12, s6, s17
	v_cmp_gt_i32_e64 s[6:7], s12, v0
	s_waitcnt lgkmcnt(0)
	v_max_f32_e32 v13, v13, v13
	v_max_f32_e32 v12, v12, v13
	ds_bpermute_b32 v12, v9, v12
	v_mov_b32_e32 v9, 0
	s_and_saveexec_b64 s[28:29], s[6:7]
	s_cbranch_execz .LBB121_20
; %bb.17:
	v_mov_b32_e32 v9, 0xf0
	v_lshl_add_u32 v13, v0, 2, v9
	v_mov_b32_e32 v9, 0
	s_mov_b64 s[30:31], 0
	v_mov_b32_e32 v16, v0
.LBB121_18:                             ; =>This Inner Loop Header: Depth=1
	ds_read_b32 v17, v13
	v_add_u32_e32 v16, 0x80, v16
	v_cmp_le_i32_e64 s[10:11], s12, v16
	s_or_b64 s[30:31], s[10:11], s[30:31]
	s_waitcnt lgkmcnt(0)
	v_sub_f32_e32 v17, v17, v12
	v_mul_f32_e32 v17, 0x3fb8aa3b, v17
	v_exp_f32_e32 v17, v17
	ds_write_b32 v13, v17
	v_add_f32_e32 v9, v9, v17
	v_add_u32_e32 v13, 0x200, v13
	s_andn2_b64 exec, exec, s[30:31]
	s_cbranch_execnz .LBB121_18
; %bb.19:
	s_or_b64 exec, exec, s[30:31]
.LBB121_20:
	s_or_b64 exec, exec, s[28:29]
	ds_bpermute_b32 v3, v3, v9
	s_waitcnt lgkmcnt(0)
	v_add_f32_e32 v3, v9, v3
	ds_bpermute_b32 v5, v5, v3
	v_xor_b32_e32 v9, 4, v7
	v_cmp_lt_i32_e64 s[10:11], v9, v8
	s_waitcnt lgkmcnt(0)
	v_add_f32_e32 v3, v3, v5
	ds_bpermute_b32 v5, v11, v3
	v_cndmask_b32_e64 v9, v7, v9, s[10:11]
	v_lshlrev_b32_e32 v9, 2, v9
	s_waitcnt lgkmcnt(0)
	v_add_f32_e32 v3, v3, v5
	ds_bpermute_b32 v5, v9, v3
	v_xor_b32_e32 v9, 2, v7
	v_cmp_lt_i32_e64 s[10:11], v9, v8
	s_waitcnt lgkmcnt(0)
	v_add_f32_e32 v3, v3, v5
	v_cndmask_b32_e64 v8, v7, v9, s[10:11]
	v_lshlrev_b32_e32 v5, 2, v8
	ds_bpermute_b32 v5, v5, v3
	s_waitcnt lgkmcnt(0)
	v_add_f32_e32 v3, v3, v5
	ds_bpermute_b32 v5, v10, v3
	s_waitcnt lgkmcnt(0)
	v_add_f32_e32 v3, v3, v5
	s_and_saveexec_b64 s[10:11], vcc
; %bb.21:
	ds_write_b32 v2, v3 offset:232
; %bb.22:
	s_or_b64 exec, exec, s[10:11]
	s_waitcnt lgkmcnt(0)
	s_barrier
	s_and_saveexec_b64 s[10:11], s[0:1]
; %bb.23:
	ds_read_b32 v3, v4 offset:232
; %bb.24:
	s_or_b64 exec, exec, s[10:11]
	s_waitcnt lgkmcnt(0)
	ds_bpermute_b32 v2, v10, v3
	v_lshlrev_b32_e32 v4, 2, v7
	s_waitcnt lgkmcnt(0)
	v_add_f32_e32 v2, v3, v2
	v_and_b32_e32 v3, 0xffffff00, v4
	ds_bpermute_b32 v2, v3, v2
	s_and_saveexec_b64 s[0:1], s[6:7]
	s_cbranch_execz .LBB121_37
; %bb.25:
	s_waitcnt lgkmcnt(0)
	v_add_f32_e32 v2, 0x358637bd, v2
	v_div_scale_f32 v3, s[6:7], v2, v2, 1.0
	v_rcp_f32_e32 v4, v3
	v_div_scale_f32 v5, vcc, 1.0, v2, 1.0
	s_movk_i32 s6, 0x7f
	v_fma_f32 v7, -v3, v4, 1.0
	v_fmac_f32_e32 v4, v7, v4
	v_mul_f32_e32 v7, v5, v4
	v_fma_f32 v8, -v3, v7, v5
	v_fmac_f32_e32 v7, v8, v4
	v_fma_f32 v3, -v3, v7, v5
	v_div_fmas_f32 v3, v3, v4, v7
	v_xad_u32 v4, v0, -1, s12
	v_div_fixup_f32 v2, v3, v2, 1.0
	v_cmp_lt_u32_e32 vcc, s6, v4
	s_mov_b64 s[10:11], -1
	v_mov_b32_e32 v3, v0
	s_and_saveexec_b64 s[6:7], vcc
	s_cbranch_execz .LBB121_34
; %bb.26:
	v_lshrrev_b32_e32 v4, 7, v4
	v_add_u32_e32 v7, -1, v4
	v_lshrrev_b32_e32 v5, 1, v7
	v_mov_b32_e32 v3, v2
	v_add_u32_e32 v5, 1, v5
	v_cmp_lt_u32_e32 vcc, 13, v7
	v_mov_b32_e32 v9, 0
	s_and_saveexec_b64 s[10:11], vcc
	s_cbranch_execz .LBB121_30
; %bb.27:
	v_mov_b32_e32 v8, 0xf0
	v_and_b32_e32 v7, -8, v5
	v_lshl_add_u32 v8, v0, 2, v8
	s_mov_b32 s15, 0
	s_mov_b64 s[28:29], 0
.LBB121_28:                             ; =>This Inner Loop Header: Depth=1
	ds_read2st64_b32 v[10:11], v8 offset1:2
	ds_read2st64_b32 v[12:13], v8 offset0:4 offset1:6
	ds_read2st64_b32 v[16:17], v8 offset0:8 offset1:10
	;; [unrolled: 1-line block ×3, first 2 shown]
	v_add_u32_e32 v7, -8, v7
	s_waitcnt lgkmcnt(3)
	v_pk_mul_f32 v[10:11], v[2:3], v[10:11]
	s_waitcnt lgkmcnt(2)
	v_pk_mul_f32 v[12:13], v[2:3], v[12:13]
	ds_write2st64_b32 v8, v10, v11 offset1:2
	ds_write2st64_b32 v8, v12, v13 offset0:4 offset1:6
	ds_read2st64_b32 v[12:13], v8 offset0:16 offset1:18
	s_waitcnt lgkmcnt(4)
	v_pk_mul_f32 v[10:11], v[2:3], v[16:17]
	ds_write2st64_b32 v8, v10, v11 offset0:8 offset1:10
	s_waitcnt lgkmcnt(4)
	v_pk_mul_f32 v[10:11], v[2:3], v[18:19]
	ds_write2st64_b32 v8, v10, v11 offset0:12 offset1:14
	ds_read2st64_b32 v[10:11], v8 offset0:20 offset1:22
	s_waitcnt lgkmcnt(3)
	v_pk_mul_f32 v[12:13], v[2:3], v[12:13]
	ds_read2st64_b32 v[16:17], v8 offset0:24 offset1:26
	ds_write2st64_b32 v8, v12, v13 offset0:16 offset1:18
	ds_read2st64_b32 v[12:13], v8 offset0:28 offset1:30
	s_waitcnt lgkmcnt(3)
	v_pk_mul_f32 v[10:11], v[2:3], v[10:11]
	ds_write2st64_b32 v8, v10, v11 offset0:20 offset1:22
	s_waitcnt lgkmcnt(3)
	v_pk_mul_f32 v[10:11], v[2:3], v[16:17]
	ds_write2st64_b32 v8, v10, v11 offset0:24 offset1:26
	s_waitcnt lgkmcnt(2)
	v_pk_mul_f32 v[10:11], v[2:3], v[12:13]
	s_add_i32 s15, s15, 16
	v_cmp_eq_u32_e32 vcc, 0, v7
	ds_write2st64_b32 v8, v10, v11 offset0:28 offset1:30
	v_add_u32_e32 v8, 0x2000, v8
	s_or_b64 s[28:29], vcc, s[28:29]
	v_mov_b32_e32 v9, s15
	s_andn2_b64 exec, exec, s[28:29]
	s_cbranch_execnz .LBB121_28
; %bb.29:
	s_or_b64 exec, exec, s[28:29]
.LBB121_30:
	s_or_b64 exec, exec, s[10:11]
	v_and_b32_e32 v5, 7, v5
	v_cmp_ne_u32_e32 vcc, 0, v5
	s_and_saveexec_b64 s[10:11], vcc
	s_cbranch_execz .LBB121_33
; %bb.31:
	v_lshlrev_b32_e32 v7, 9, v9
	v_lshlrev_b32_e32 v8, 2, v0
	s_movk_i32 s15, 0xf0
	v_add3_u32 v7, v7, v8, s15
	s_mov_b64 s[28:29], 0
.LBB121_32:                             ; =>This Inner Loop Header: Depth=1
	ds_read2st64_b32 v[8:9], v7 offset1:2
	v_add_u32_e32 v5, -1, v5
	v_cmp_eq_u32_e32 vcc, 0, v5
	s_or_b64 s[28:29], vcc, s[28:29]
	s_waitcnt lgkmcnt(0)
	v_pk_mul_f32 v[8:9], v[2:3], v[8:9]
	ds_write2st64_b32 v7, v8, v9 offset1:2
	v_add_u32_e32 v7, 0x400, v7
	s_andn2_b64 exec, exec, s[28:29]
	s_cbranch_execnz .LBB121_32
.LBB121_33:
	s_or_b64 exec, exec, s[10:11]
	v_add_u32_e32 v4, 1, v4
	v_and_b32_e32 v5, 0x3fffffe, v4
	v_cmp_ne_u32_e32 vcc, v4, v5
	v_lshl_add_u32 v3, v5, 7, v0
	s_orn2_b64 s[10:11], vcc, exec
.LBB121_34:
	s_or_b64 exec, exec, s[6:7]
	s_and_b64 exec, exec, s[10:11]
	s_cbranch_execz .LBB121_37
; %bb.35:
	v_mov_b32_e32 v4, 0xf0
	v_lshl_add_u32 v4, v3, 2, v4
	s_mov_b64 s[6:7], 0
.LBB121_36:                             ; =>This Inner Loop Header: Depth=1
	ds_read_b32 v5, v4
	v_add_u32_e32 v3, 0x80, v3
	v_cmp_le_i32_e32 vcc, s12, v3
	s_or_b64 s[6:7], vcc, s[6:7]
	s_waitcnt lgkmcnt(0)
	v_mul_f32_e32 v5, v2, v5
	ds_write_b32 v4, v5
	v_add_u32_e32 v4, 0x200, v4
	s_andn2_b64 exec, exec, s[6:7]
	s_cbranch_execnz .LBB121_36
.LBB121_37:
	s_or_b64 exec, exec, s[0:1]
	v_mov_b32_e32 v17, 0
	v_mov_b32_e32 v24, v17
	s_waitcnt lgkmcnt(0)
	s_barrier
	s_and_saveexec_b64 s[10:11], s[2:3]
	s_cbranch_execz .LBB121_47
; %bb.38:
	s_ashr_i32 s15, s14, 31
	s_lshl_b64 s[0:1], s[14:15], 1
	s_add_u32 s12, s26, s0
	v_or_b32_e32 v3, 64, v15
	s_movk_i32 s0, 0x70
	s_mov_b32 s28, s13
	s_addc_u32 s13, s27, s1
	s_add_i32 s26, s33, -1
	v_cmp_gt_u32_e64 s[2:3], s0, v3
	s_lshl_b64 s[0:1], s[24:25], 2
	s_add_u32 s0, s22, s0
	v_lshlrev_b32_e32 v2, 3, v15
	v_mov_b32_e32 v19, 0
	v_lshlrev_b32_e32 v4, 3, v3
	v_mov_b32_e32 v3, 0xf0
	v_and_b32_e32 v18, 60, v6
	s_addc_u32 s1, s23, s1
	s_mov_b32 s27, s17
	v_lshlrev_b32_e32 v28, 3, v1
	v_lshl_add_u32 v29, v1, 5, v3
	v_lshl_add_u64 v[20:21], s[0:1], 0, v[18:19]
	s_mov_b64 s[14:15], 0
	v_lshlrev_b32_e32 v22, 1, v2
	v_mov_b32_e32 v23, v19
	s_mov_b32 s24, 0x5040100
	v_lshlrev_b32_e32 v18, 1, v4
	v_mov_b32_e32 v16, v19
	v_mov_b32_e32 v17, v19
	s_branch .LBB121_41
.LBB121_39:                             ;   in Loop: Header=BB121_41 Depth=1
	s_or_b64 exec, exec, s[22:23]
	v_cvt_pk_bf16_f32 v6, v6, v7
	v_cvt_pk_bf16_f32 v2, v2, v3
	;; [unrolled: 1-line block ×3, first 2 shown]
	s_waitcnt vmcnt(0)
	v_lshlrev_b32_e32 v4, 16, v10
	v_lshlrev_b32_e32 v5, 16, v6
	v_cvt_pk_bf16_f32 v7, v8, v9
	v_mul_f32_e32 v4, v5, v4
	v_and_b32_e32 v5, 0xffff0000, v10
	v_and_b32_e32 v6, 0xffff0000, v6
	v_mul_f32_e32 v5, v6, v5
	v_lshlrev_b32_e32 v6, 16, v11
	v_lshlrev_b32_e32 v8, 16, v7
	v_mul_f32_e32 v6, v8, v6
	v_and_b32_e32 v8, 0xffff0000, v11
	v_and_b32_e32 v7, 0xffff0000, v7
	v_mul_f32_e32 v7, v7, v8
	v_lshlrev_b32_e32 v8, 16, v12
	v_lshlrev_b32_e32 v9, 16, v2
	v_mul_f32_e32 v8, v9, v8
	v_and_b32_e32 v9, 0xffff0000, v12
	v_and_b32_e32 v2, 0xffff0000, v2
	v_mul_f32_e32 v2, v2, v9
	v_cvt_pk_bf16_f32 v9, v2, s0
	v_lshlrev_b32_e32 v2, 16, v13
	v_lshlrev_b32_e32 v10, 16, v3
	v_mul_f32_e32 v2, v10, v2
	v_cvt_pk_bf16_f32 v10, v2, s0
	v_and_b32_e32 v2, 0xffff0000, v13
	v_and_b32_e32 v3, 0xffff0000, v3
	v_cvt_pk_bf16_f32 v4, v4, s0
	v_cvt_pk_bf16_f32 v5, v5, s0
	;; [unrolled: 1-line block ×4, first 2 shown]
	v_mul_f32_e32 v2, v3, v2
	v_cvt_pk_bf16_f32 v8, v8, s0
	v_cvt_pk_bf16_f32 v11, v2, s0
	v_lshlrev_b32_e32 v3, 16, v5
	v_lshlrev_b32_e32 v5, 16, v4
	;; [unrolled: 1-line block ×4, first 2 shown]
	v_pk_add_f32 v[2:3], v[4:5], v[2:3]
	v_lshlrev_b32_e32 v5, 16, v9
	v_lshlrev_b32_e32 v7, 16, v8
	;; [unrolled: 1-line block ×4, first 2 shown]
	v_pk_add_f32 v[4:5], v[6:7], v[4:5]
	v_add_f32_e32 v2, v2, v3
	v_add_f32_e32 v2, v5, v2
	;; [unrolled: 1-line block ×3, first 2 shown]
	v_pk_add_f32 v[16:17], v[16:17], v[2:3] op_sel_hi:[1,0]
.LBB121_40:                             ;   in Loop: Header=BB121_41 Depth=1
	s_or_b64 exec, exec, s[6:7]
	v_add_u32_e32 v1, 2, v1
	v_cmp_le_i32_e32 vcc, s33, v1
	v_add_u32_e32 v28, 16, v28
	v_add_u32_e32 v29, 64, v29
	v_lshl_add_u64 v[20:21], v[20:21], 0, 8
	s_or_b64 s[14:15], vcc, s[14:15]
	v_mov_b32_e32 v16, v24
	s_andn2_b64 exec, exec, s[14:15]
	s_cbranch_execz .LBB121_46
.LBB121_41:                             ; =>This Inner Loop Header: Depth=1
	global_load_dword v2, v[20:21], off
	s_waitcnt vmcnt(0)
	v_mad_i64_i32 v[2:3], s[0:1], v2, s28, 0
	v_lshl_add_u64 v[26:27], v[2:3], 1, s[12:13]
	v_lshl_add_u64 v[2:3], v[26:27], 0, v[22:23]
	global_load_dwordx4 v[10:13], v[2:3], off
	ds_read2_b64 v[6:9], v29 offset1:1
	ds_read2_b64 v[2:5], v29 offset0:2 offset1:3
	v_cmp_eq_u32_e64 s[0:1], s26, v1
	s_and_saveexec_b64 s[22:23], s[0:1]
	s_cbranch_execz .LBB121_43
; %bb.42:                               ;   in Loop: Header=BB121_41 Depth=1
	v_add_u32_e32 v24, 1, v28
	v_cmp_gt_i32_e32 vcc, s27, v24
	v_or_b32_e32 v25, 2, v28
	v_cmp_gt_i32_e64 s[6:7], s17, v25
	s_waitcnt vmcnt(0)
	v_cndmask_b32_sdwa v24, v19, v10, vcc dst_sel:DWORD dst_unused:UNUSED_PAD src0_sel:DWORD src1_sel:WORD_1
	v_cmp_gt_i32_e32 vcc, s17, v28
	v_or_b32_e32 v25, 4, v28
	s_nop 0
	v_cndmask_b32_e32 v10, 0, v10, vcc
	v_perm_b32 v10, v24, v10, s24
	v_or_b32_e32 v24, 3, v28
	v_cmp_gt_i32_e32 vcc, s27, v24
	v_cndmask_b32_e64 v24, 0, v11, s[6:7]
	v_cmp_gt_i32_e64 s[6:7], s17, v25
	v_cndmask_b32_sdwa v11, v19, v11, vcc dst_sel:DWORD dst_unused:UNUSED_PAD src0_sel:DWORD src1_sel:WORD_1
	v_perm_b32 v11, v11, v24, s24
	v_or_b32_e32 v24, 5, v28
	v_cmp_gt_i32_e32 vcc, s27, v24
	v_cndmask_b32_e64 v24, 0, v12, s[6:7]
	v_or_b32_e32 v25, 6, v28
	v_cndmask_b32_sdwa v12, v19, v12, vcc dst_sel:DWORD dst_unused:UNUSED_PAD src0_sel:DWORD src1_sel:WORD_1
	v_perm_b32 v12, v12, v24, s24
	v_or_b32_e32 v24, 7, v28
	v_cmp_gt_i32_e32 vcc, s27, v24
	v_cmp_gt_i32_e64 s[6:7], s17, v25
	s_nop 1
	v_cndmask_b32_e64 v24, 0, v13, s[6:7]
	v_cndmask_b32_sdwa v13, v19, v13, vcc dst_sel:DWORD dst_unused:UNUSED_PAD src0_sel:DWORD src1_sel:WORD_1
	v_perm_b32 v13, v13, v24, s24
.LBB121_43:                             ;   in Loop: Header=BB121_41 Depth=1
	s_or_b64 exec, exec, s[22:23]
	s_waitcnt lgkmcnt(1)
	v_cvt_pk_bf16_f32 v25, v7, s0
	v_cvt_pk_bf16_f32 v30, v8, s0
	s_waitcnt vmcnt(0)
	v_lshlrev_b32_e32 v36, 16, v10
	v_and_b32_e32 v10, 0xffff0000, v10
	v_lshlrev_b32_e32 v25, 16, v25
	v_cvt_pk_bf16_f32 v31, v9, s0
	v_mul_f32_e32 v10, v25, v10
	v_lshlrev_b32_e32 v25, 16, v11
	v_lshlrev_b32_e32 v30, 16, v30
	v_mul_f32_e32 v25, v30, v25
	v_and_b32_e32 v11, 0xffff0000, v11
	v_lshlrev_b32_e32 v30, 16, v31
	s_waitcnt lgkmcnt(0)
	v_cvt_pk_bf16_f32 v32, v2, s0
	v_mul_f32_e32 v11, v30, v11
	v_cvt_pk_bf16_f32 v30, v11, s0
	v_lshlrev_b32_e32 v11, 16, v12
	v_lshlrev_b32_e32 v31, 16, v32
	v_cvt_pk_bf16_f32 v33, v3, s0
	v_mul_f32_e32 v11, v31, v11
	v_cvt_pk_bf16_f32 v31, v11, s0
	v_and_b32_e32 v11, 0xffff0000, v12
	v_lshlrev_b32_e32 v12, 16, v33
	v_cvt_pk_bf16_f32 v34, v4, s0
	v_mul_f32_e32 v11, v12, v11
	v_cvt_pk_bf16_f32 v24, v6, s0
	v_cvt_pk_bf16_f32 v32, v11, s0
	v_lshlrev_b32_e32 v11, 16, v13
	v_lshlrev_b32_e32 v12, 16, v34
	v_cvt_pk_bf16_f32 v35, v5, s0
	v_lshlrev_b32_e32 v24, 16, v24
	v_mul_f32_e32 v11, v12, v11
	v_mul_f32_e32 v24, v24, v36
	v_cvt_pk_bf16_f32 v33, v11, s0
	v_and_b32_e32 v11, 0xffff0000, v13
	v_lshlrev_b32_e32 v12, 16, v35
	v_cvt_pk_bf16_f32 v24, v24, s0
	v_cvt_pk_bf16_f32 v10, v10, s0
	;; [unrolled: 1-line block ×3, first 2 shown]
	v_mul_f32_e32 v11, v12, v11
	v_cvt_pk_bf16_f32 v34, v11, s0
	v_lshlrev_b32_e32 v11, 16, v10
	v_lshlrev_b32_e32 v13, 16, v24
	;; [unrolled: 1-line block ×4, first 2 shown]
	v_pk_add_f32 v[10:11], v[12:13], v[10:11]
	v_lshlrev_b32_e32 v13, 16, v32
	v_lshlrev_b32_e32 v25, 16, v31
	;; [unrolled: 1-line block ×4, first 2 shown]
	v_pk_add_f32 v[10:11], v[10:11], v[10:11] op_sel:[0,1] op_sel_hi:[1,0]
	v_pk_add_f32 v[12:13], v[24:25], v[12:13]
	s_nop 0
	v_pk_add_f32 v[10:11], v[12:13], v[10:11] op_sel:[1,0] op_sel_hi:[0,1]
	v_pk_add_f32 v[10:11], v[12:13], v[10:11]
	s_nop 0
	v_pk_add_f32 v[24:25], v[16:17], v[10:11]
	s_and_saveexec_b64 s[6:7], s[2:3]
	s_cbranch_execz .LBB121_40
; %bb.44:                               ;   in Loop: Header=BB121_41 Depth=1
	v_lshl_add_u64 v[10:11], v[26:27], 0, v[18:19]
	global_load_dwordx4 v[10:13], v[10:11], off
	s_and_saveexec_b64 s[22:23], s[0:1]
	s_cbranch_execz .LBB121_39
; %bb.45:                               ;   in Loop: Header=BB121_41 Depth=1
	v_add_u32_e32 v25, 1, v28
	v_cmp_gt_i32_e32 vcc, s27, v25
	v_or_b32_e32 v26, 2, v28
	v_cmp_gt_i32_e64 s[0:1], s17, v26
	s_waitcnt vmcnt(0)
	v_cndmask_b32_sdwa v25, v19, v10, vcc dst_sel:DWORD dst_unused:UNUSED_PAD src0_sel:DWORD src1_sel:WORD_1
	v_cmp_gt_i32_e32 vcc, s17, v28
	v_or_b32_e32 v26, 4, v28
	s_nop 0
	v_cndmask_b32_e32 v10, 0, v10, vcc
	v_perm_b32 v10, v25, v10, s24
	v_or_b32_e32 v25, 3, v28
	v_cmp_gt_i32_e32 vcc, s27, v25
	v_cndmask_b32_e64 v25, 0, v11, s[0:1]
	v_cmp_gt_i32_e64 s[0:1], s17, v26
	v_cndmask_b32_sdwa v11, v19, v11, vcc dst_sel:DWORD dst_unused:UNUSED_PAD src0_sel:DWORD src1_sel:WORD_1
	v_perm_b32 v11, v11, v25, s24
	v_or_b32_e32 v25, 5, v28
	v_cmp_gt_i32_e32 vcc, s27, v25
	v_cndmask_b32_e64 v25, 0, v12, s[0:1]
	v_or_b32_e32 v26, 6, v28
	v_cndmask_b32_sdwa v12, v19, v12, vcc dst_sel:DWORD dst_unused:UNUSED_PAD src0_sel:DWORD src1_sel:WORD_1
	v_perm_b32 v12, v12, v25, s24
	v_or_b32_e32 v25, 7, v28
	v_cmp_gt_i32_e32 vcc, s27, v25
	v_cmp_gt_i32_e64 s[0:1], s17, v26
	s_nop 1
	v_cndmask_b32_e64 v25, 0, v13, s[0:1]
	v_cndmask_b32_sdwa v13, v19, v13, vcc dst_sel:DWORD dst_unused:UNUSED_PAD src0_sel:DWORD src1_sel:WORD_1
	v_perm_b32 v13, v13, v25, s24
	s_branch .LBB121_39
.LBB121_46:
	s_or_b64 exec, exec, s[14:15]
.LBB121_47:
	s_or_b64 exec, exec, s[10:11]
	v_and_b32_e32 v1, 0x3c0, v0
	v_cmp_eq_u32_e32 vcc, 64, v1
	s_barrier
	s_and_saveexec_b64 s[0:1], vcc
	s_cbranch_execz .LBB121_50
; %bb.48:
	v_mov_b32_e32 v1, 0xf0
	v_lshl_add_u32 v2, v15, 2, v1
	ds_write_b32 v2, v24
	s_and_b64 exec, exec, s[8:9]
; %bb.49:
	v_lshl_add_u32 v1, v0, 2, v1
	ds_write_b32 v1, v17
.LBB121_50:
	s_or_b64 exec, exec, s[0:1]
	v_cmp_gt_u32_e32 vcc, 64, v0
	v_or_b32_e32 v1, 64, v0
	s_waitcnt lgkmcnt(0)
	s_barrier
	s_and_saveexec_b64 s[2:3], vcc
	s_cbranch_execz .LBB121_54
; %bb.51:
	v_mov_b32_e32 v2, 0xf0
	v_lshl_add_u32 v2, v0, 2, v2
	ds_read_b32 v0, v2
	s_movk_i32 s0, 0x70
	v_cmp_gt_u32_e64 s[0:1], s0, v1
	s_and_saveexec_b64 s[6:7], s[0:1]
	s_cbranch_execz .LBB121_53
; %bb.52:
	ds_read_b32 v2, v2 offset:256
	s_waitcnt lgkmcnt(0)
	v_add_f32_e32 v17, v17, v2
.LBB121_53:
	s_or_b64 exec, exec, s[6:7]
	s_waitcnt lgkmcnt(0)
	v_add_f32_e32 v24, v24, v0
.LBB121_54:
	s_or_b64 exec, exec, s[2:3]
	s_barrier
	s_and_saveexec_b64 s[0:1], vcc
	s_cbranch_execz .LBB121_57
; %bb.55:
	s_mul_i32 s0, s16, s19
	s_mul_i32 s0, s0, s5
	s_mulk_i32 s0, 0x70
	s_ashr_i32 s1, s0, 31
	s_lshl_b64 s[0:1], s[0:1], 1
	s_add_u32 s3, s20, s0
	s_mul_i32 s0, s19, s18
	s_addc_u32 s5, s21, s1
	s_ashr_i32 s1, s0, 31
	s_lshl_b64 s[0:1], s[0:1], 1
	s_add_u32 s3, s3, s0
	s_mul_i32 s0, s4, 0x70
	s_addc_u32 s5, s5, s1
	s_ashr_i32 s1, s0, 31
	s_lshl_b64 s[0:1], s[0:1], 1
	s_movk_i32 s2, 0x70
	s_add_u32 s0, s3, s0
	s_addc_u32 s1, s5, s1
	v_cvt_pk_bf16_f32 v0, v24, s0
	v_cmp_gt_u32_e32 vcc, s2, v1
	global_store_short v14, v0, s[0:1]
	s_and_b64 exec, exec, vcc
	s_cbranch_execz .LBB121_57
; %bb.56:
	v_mov_b32_e32 v15, 0
	v_lshl_add_u64 v[0:1], s[0:1], 0, v[14:15]
	v_cvt_pk_bf16_f32 v2, v17, s0
	global_store_short v[0:1], v2, off offset:128
.LBB121_57:
	s_endpgm
	.section	.rodata,"a",@progbits
	.p2align	6, 0x0
	.amdhsa_kernel _ZN4vllm25paged_attention_v1_kernelI14__hip_bfloat16S1_Li112ELi8ELi128ELNS_18Fp8KVCacheDataTypeE0ELb0EEEvPT_PKS3_PKT0_S9_ifPKiSB_iPKfiiiSD_SD_iiiii
		.amdhsa_group_segment_fixed_size 240
		.amdhsa_private_segment_fixed_size 0
		.amdhsa_kernarg_size 384
		.amdhsa_user_sgpr_count 2
		.amdhsa_user_sgpr_dispatch_ptr 0
		.amdhsa_user_sgpr_queue_ptr 0
		.amdhsa_user_sgpr_kernarg_segment_ptr 1
		.amdhsa_user_sgpr_dispatch_id 0
		.amdhsa_user_sgpr_kernarg_preload_length 0
		.amdhsa_user_sgpr_kernarg_preload_offset 0
		.amdhsa_user_sgpr_private_segment_size 0
		.amdhsa_uses_dynamic_stack 0
		.amdhsa_enable_private_segment 0
		.amdhsa_system_sgpr_workgroup_id_x 1
		.amdhsa_system_sgpr_workgroup_id_y 1
		.amdhsa_system_sgpr_workgroup_id_z 1
		.amdhsa_system_sgpr_workgroup_info 0
		.amdhsa_system_vgpr_workitem_id 0
		.amdhsa_next_free_vgpr 48
		.amdhsa_next_free_sgpr 36
		.amdhsa_accum_offset 48
		.amdhsa_reserve_vcc 1
		.amdhsa_float_round_mode_32 0
		.amdhsa_float_round_mode_16_64 0
		.amdhsa_float_denorm_mode_32 3
		.amdhsa_float_denorm_mode_16_64 3
		.amdhsa_dx10_clamp 1
		.amdhsa_ieee_mode 1
		.amdhsa_fp16_overflow 0
		.amdhsa_tg_split 0
		.amdhsa_exception_fp_ieee_invalid_op 0
		.amdhsa_exception_fp_denorm_src 0
		.amdhsa_exception_fp_ieee_div_zero 0
		.amdhsa_exception_fp_ieee_overflow 0
		.amdhsa_exception_fp_ieee_underflow 0
		.amdhsa_exception_fp_ieee_inexact 0
		.amdhsa_exception_int_div_zero 0
	.end_amdhsa_kernel
	.section	.text._ZN4vllm25paged_attention_v1_kernelI14__hip_bfloat16S1_Li112ELi8ELi128ELNS_18Fp8KVCacheDataTypeE0ELb0EEEvPT_PKS3_PKT0_S9_ifPKiSB_iPKfiiiSD_SD_iiiii,"axG",@progbits,_ZN4vllm25paged_attention_v1_kernelI14__hip_bfloat16S1_Li112ELi8ELi128ELNS_18Fp8KVCacheDataTypeE0ELb0EEEvPT_PKS3_PKT0_S9_ifPKiSB_iPKfiiiSD_SD_iiiii,comdat
.Lfunc_end121:
	.size	_ZN4vllm25paged_attention_v1_kernelI14__hip_bfloat16S1_Li112ELi8ELi128ELNS_18Fp8KVCacheDataTypeE0ELb0EEEvPT_PKS3_PKT0_S9_ifPKiSB_iPKfiiiSD_SD_iiiii, .Lfunc_end121-_ZN4vllm25paged_attention_v1_kernelI14__hip_bfloat16S1_Li112ELi8ELi128ELNS_18Fp8KVCacheDataTypeE0ELb0EEEvPT_PKS3_PKT0_S9_ifPKiSB_iPKfiiiSD_SD_iiiii
                                        ; -- End function
	.set _ZN4vllm25paged_attention_v1_kernelI14__hip_bfloat16S1_Li112ELi8ELi128ELNS_18Fp8KVCacheDataTypeE0ELb0EEEvPT_PKS3_PKT0_S9_ifPKiSB_iPKfiiiSD_SD_iiiii.num_vgpr, 48
	.set _ZN4vllm25paged_attention_v1_kernelI14__hip_bfloat16S1_Li112ELi8ELi128ELNS_18Fp8KVCacheDataTypeE0ELb0EEEvPT_PKS3_PKT0_S9_ifPKiSB_iPKfiiiSD_SD_iiiii.num_agpr, 0
	.set _ZN4vllm25paged_attention_v1_kernelI14__hip_bfloat16S1_Li112ELi8ELi128ELNS_18Fp8KVCacheDataTypeE0ELb0EEEvPT_PKS3_PKT0_S9_ifPKiSB_iPKfiiiSD_SD_iiiii.numbered_sgpr, 36
	.set _ZN4vllm25paged_attention_v1_kernelI14__hip_bfloat16S1_Li112ELi8ELi128ELNS_18Fp8KVCacheDataTypeE0ELb0EEEvPT_PKS3_PKT0_S9_ifPKiSB_iPKfiiiSD_SD_iiiii.num_named_barrier, 0
	.set _ZN4vllm25paged_attention_v1_kernelI14__hip_bfloat16S1_Li112ELi8ELi128ELNS_18Fp8KVCacheDataTypeE0ELb0EEEvPT_PKS3_PKT0_S9_ifPKiSB_iPKfiiiSD_SD_iiiii.private_seg_size, 0
	.set _ZN4vllm25paged_attention_v1_kernelI14__hip_bfloat16S1_Li112ELi8ELi128ELNS_18Fp8KVCacheDataTypeE0ELb0EEEvPT_PKS3_PKT0_S9_ifPKiSB_iPKfiiiSD_SD_iiiii.uses_vcc, 1
	.set _ZN4vllm25paged_attention_v1_kernelI14__hip_bfloat16S1_Li112ELi8ELi128ELNS_18Fp8KVCacheDataTypeE0ELb0EEEvPT_PKS3_PKT0_S9_ifPKiSB_iPKfiiiSD_SD_iiiii.uses_flat_scratch, 0
	.set _ZN4vllm25paged_attention_v1_kernelI14__hip_bfloat16S1_Li112ELi8ELi128ELNS_18Fp8KVCacheDataTypeE0ELb0EEEvPT_PKS3_PKT0_S9_ifPKiSB_iPKfiiiSD_SD_iiiii.has_dyn_sized_stack, 0
	.set _ZN4vllm25paged_attention_v1_kernelI14__hip_bfloat16S1_Li112ELi8ELi128ELNS_18Fp8KVCacheDataTypeE0ELb0EEEvPT_PKS3_PKT0_S9_ifPKiSB_iPKfiiiSD_SD_iiiii.has_recursion, 0
	.set _ZN4vllm25paged_attention_v1_kernelI14__hip_bfloat16S1_Li112ELi8ELi128ELNS_18Fp8KVCacheDataTypeE0ELb0EEEvPT_PKS3_PKT0_S9_ifPKiSB_iPKfiiiSD_SD_iiiii.has_indirect_call, 0
	.section	.AMDGPU.csdata,"",@progbits
; Kernel info:
; codeLenInByte = 4388
; TotalNumSgprs: 42
; NumVgprs: 48
; NumAgprs: 0
; TotalNumVgprs: 48
; ScratchSize: 0
; MemoryBound: 0
; FloatMode: 240
; IeeeMode: 1
; LDSByteSize: 240 bytes/workgroup (compile time only)
; SGPRBlocks: 5
; VGPRBlocks: 5
; NumSGPRsForWavesPerEU: 42
; NumVGPRsForWavesPerEU: 48
; AccumOffset: 48
; Occupancy: 8
; WaveLimiterHint : 1
; COMPUTE_PGM_RSRC2:SCRATCH_EN: 0
; COMPUTE_PGM_RSRC2:USER_SGPR: 2
; COMPUTE_PGM_RSRC2:TRAP_HANDLER: 0
; COMPUTE_PGM_RSRC2:TGID_X_EN: 1
; COMPUTE_PGM_RSRC2:TGID_Y_EN: 1
; COMPUTE_PGM_RSRC2:TGID_Z_EN: 1
; COMPUTE_PGM_RSRC2:TIDIG_COMP_CNT: 0
; COMPUTE_PGM_RSRC3_GFX90A:ACCUM_OFFSET: 11
; COMPUTE_PGM_RSRC3_GFX90A:TG_SPLIT: 0
	.section	.text._ZN4vllm25paged_attention_v1_kernelI14__hip_bfloat16S1_Li120ELi8ELi128ELNS_18Fp8KVCacheDataTypeE0ELb0EEEvPT_PKS3_PKT0_S9_ifPKiSB_iPKfiiiSD_SD_iiiii,"axG",@progbits,_ZN4vllm25paged_attention_v1_kernelI14__hip_bfloat16S1_Li120ELi8ELi128ELNS_18Fp8KVCacheDataTypeE0ELb0EEEvPT_PKS3_PKT0_S9_ifPKiSB_iPKfiiiSD_SD_iiiii,comdat
	.protected	_ZN4vllm25paged_attention_v1_kernelI14__hip_bfloat16S1_Li120ELi8ELi128ELNS_18Fp8KVCacheDataTypeE0ELb0EEEvPT_PKS3_PKT0_S9_ifPKiSB_iPKfiiiSD_SD_iiiii ; -- Begin function _ZN4vllm25paged_attention_v1_kernelI14__hip_bfloat16S1_Li120ELi8ELi128ELNS_18Fp8KVCacheDataTypeE0ELb0EEEvPT_PKS3_PKT0_S9_ifPKiSB_iPKfiiiSD_SD_iiiii
	.globl	_ZN4vllm25paged_attention_v1_kernelI14__hip_bfloat16S1_Li120ELi8ELi128ELNS_18Fp8KVCacheDataTypeE0ELb0EEEvPT_PKS3_PKT0_S9_ifPKiSB_iPKfiiiSD_SD_iiiii
	.p2align	8
	.type	_ZN4vllm25paged_attention_v1_kernelI14__hip_bfloat16S1_Li120ELi8ELi128ELNS_18Fp8KVCacheDataTypeE0ELb0EEEvPT_PKS3_PKT0_S9_ifPKiSB_iPKfiiiSD_SD_iiiii,@function
_ZN4vllm25paged_attention_v1_kernelI14__hip_bfloat16S1_Li120ELi8ELi128ELNS_18Fp8KVCacheDataTypeE0ELb0EEEvPT_PKS3_PKT0_S9_ifPKiSB_iPKfiiiSD_SD_iiiii: ; @_ZN4vllm25paged_attention_v1_kernelI14__hip_bfloat16S1_Li120ELi8ELi128ELNS_18Fp8KVCacheDataTypeE0ELb0EEEvPT_PKS3_PKT0_S9_ifPKiSB_iPKfiiiSD_SD_iiiii
; %bb.0:
	s_load_dword s5, s[0:1], 0x80
	s_load_dwordx2 s[6:7], s[0:1], 0x30
	s_load_dwordx2 s[10:11], s[0:1], 0x20
	s_mov_b32 s16, s3
	s_ashr_i32 s17, s3, 31
	s_lshl_b64 s[8:9], s[16:17], 2
	s_waitcnt lgkmcnt(0)
	s_add_u32 s6, s6, s8
	s_addc_u32 s7, s7, s9
	s_abs_i32 s3, s10
	v_cvt_f32_u32_e32 v1, s3
	s_xor_b32 s8, s5, s10
	s_sub_i32 s10, 0, s3
	s_abs_i32 s9, s5
	v_rcp_iflag_f32_e32 v1, v1
	s_ashr_i32 s8, s8, 31
	v_mul_f32_e32 v1, 0x4f7ffffe, v1
	v_cvt_u32_f32_e32 v1, v1
	s_nop 0
	v_readfirstlane_b32 s12, v1
	s_mul_i32 s10, s10, s12
	s_mul_hi_u32 s10, s12, s10
	s_add_i32 s12, s12, s10
	s_mul_hi_u32 s10, s9, s12
	s_mul_i32 s12, s10, s3
	s_sub_i32 s9, s9, s12
	s_add_i32 s12, s10, 1
	s_sub_i32 s13, s9, s3
	s_cmp_ge_u32 s9, s3
	s_cselect_b32 s10, s12, s10
	s_cselect_b32 s9, s13, s9
	s_add_i32 s12, s10, 1
	s_cmp_ge_u32 s9, s3
	s_cselect_b32 s3, s12, s10
	s_xor_b32 s3, s3, s8
	s_sub_i32 s12, s3, s8
	s_abs_i32 s20, s12
	v_cvt_f32_u32_e32 v1, s20
	s_load_dwordx2 s[8:9], s[0:1], 0x40
	s_sub_i32 s3, 0, s20
	s_abs_i32 s21, s2
	v_rcp_iflag_f32_e32 v1, v1
	s_mov_b32 s10, 0
	v_mul_f32_e32 v1, 0x4f7ffffe, v1
	v_cvt_u32_f32_e32 v1, v1
	s_nop 0
	v_readfirstlane_b32 s13, v1
	s_mul_i32 s3, s3, s13
	s_mul_hi_u32 s3, s13, s3
	s_add_i32 s13, s13, s3
	s_waitcnt lgkmcnt(0)
	s_cmp_eq_u64 s[8:9], 0
	s_mul_hi_u32 s24, s21, s13
	s_cbranch_scc1 .LBB122_2
; %bb.1:
	s_ashr_i32 s3, s2, 31
	s_lshl_b64 s[14:15], s[2:3], 2
	s_add_u32 s8, s8, s14
	s_addc_u32 s9, s9, s15
	s_load_dword s10, s[8:9], 0x0
.LBB122_2:
	s_load_dword s17, s[6:7], 0x0
	s_ashr_i32 s7, s12, 31
	s_load_dwordx4 s[12:15], s[0:1], 0x48
	s_movk_i32 s3, 0x78
	s_ashr_i32 s6, s2, 31
	v_and_b32_e32 v4, 7, v0
	s_mul_i32 s18, s2, 0x78
	v_cmp_gt_u32_e64 s[8:9], s3, v0
	v_lshlrev_b32_e32 v14, 1, v0
	s_and_saveexec_b64 s[2:3], s[8:9]
	s_cbranch_execz .LBB122_4
; %bb.3:
	s_load_dwordx2 s[22:23], s[0:1], 0x8
	s_waitcnt lgkmcnt(0)
	s_mul_i32 s26, s12, s16
	s_ashr_i32 s27, s26, 31
	s_lshl_b64 s[26:27], s[26:27], 1
	v_lshrrev_b32_e32 v2, 2, v0
	s_add_u32 s12, s22, s26
	s_addc_u32 s15, s23, s27
	s_ashr_i32 s19, s18, 31
	s_lshl_b64 s[22:23], s[18:19], 1
	s_add_u32 s22, s12, s22
	s_addc_u32 s23, s15, s23
	global_load_ushort v1, v14, s[22:23]
	v_and_b32_e32 v2, 0xfe, v2
	v_mad_u32_u24 v2, v4, 30, v2
	s_waitcnt vmcnt(0)
	ds_write_b16 v2, v1
.LBB122_4:
	s_or_b64 exec, exec, s[2:3]
	s_waitcnt lgkmcnt(0)
	s_add_i32 s3, s17, 7
	s_ashr_i32 s12, s3, 31
	s_lshr_b32 s12, s12, 29
	s_add_i32 s3, s3, s12
	s_ashr_i32 s33, s3, 3
	s_xor_b32 s3, s6, s7
	s_mul_i32 s6, s24, s20
	s_sub_i32 s6, s21, s6
	s_add_i32 s7, s24, 1
	s_sub_i32 s12, s6, s20
	s_load_dwordx2 s[22:23], s[0:1], 0x28
	s_load_dword s2, s[0:1], 0x38
	s_cmp_ge_u32 s6, s20
	s_cselect_b32 s7, s7, s24
	s_cselect_b32 s6, s12, s6
	s_add_i32 s12, s7, 1
	s_cmp_ge_u32 s6, s20
	s_cselect_b32 s6, s12, s7
	v_lshrrev_b32_e32 v1, 6, v0
	s_xor_b32 s6, s6, s3
	s_waitcnt lgkmcnt(0)
	s_mul_i32 s24, s2, s16
	s_sub_i32 s12, s6, s3
	s_ashr_i32 s25, s24, 31
	v_cmp_gt_i32_e64 s[2:3], s33, v1
	v_cmp_le_i32_e32 vcc, s33, v1
	v_mbcnt_lo_u32_b32 v5, -1, 0
	s_barrier
                                        ; implicit-def: $vgpr7
                                        ; implicit-def: $vgpr9
                                        ; implicit-def: $vgpr8
	s_and_saveexec_b64 s[6:7], vcc
	s_xor_b64 s[6:7], exec, s[6:7]
; %bb.5:
	v_mbcnt_hi_u32_b32 v7, -1, v5
	v_and_b32_e32 v9, 64, v7
	v_add_u32_e32 v8, 64, v9
                                        ; implicit-def: $vgpr4
                                        ; implicit-def: $vgpr5
; %bb.6:
	s_or_saveexec_b64 s[28:29], s[6:7]
	s_load_dwordx2 s[20:21], s[0:1], 0x0
	s_load_dwordx2 s[26:27], s[0:1], 0x18
	s_load_dword s19, s[0:1], 0x88
	v_mov_b32_e32 v23, 0xff7fffff
	s_mul_i32 s14, s12, s14
	v_lshrrev_b32_e32 v6, 4, v0
	s_xor_b64 exec, exec, s[28:29]
	s_cbranch_execz .LBB122_12
; %bb.7:
	v_mul_u32_u24_e32 v7, 30, v4
	ds_read_b128 v[16:19], v7
	ds_read_b96 v[24:26], v7 offset:16
	ds_read_u16 v7, v7 offset:28
	s_load_dwordx2 s[0:1], s[0:1], 0x10
	s_ashr_i32 s15, s14, 31
	s_lshl_b64 s[6:7], s[14:15], 1
	s_waitcnt lgkmcnt(0)
	v_lshlrev_b32_e32 v10, 16, v16
	v_and_b32_e32 v11, 0xffff0000, v16
	v_lshlrev_b32_e32 v12, 16, v17
	v_and_b32_e32 v13, 0xffff0000, v17
	;; [unrolled: 2-line block ×7, first 2 shown]
	v_lshlrev_b32_e32 v26, 16, v7
	v_mbcnt_hi_u32_b32 v7, -1, v5
	v_and_b32_e32 v9, 64, v7
	v_add_u32_e32 v8, 64, v9
	v_xor_b32_e32 v5, 4, v7
	v_cmp_lt_i32_e32 vcc, v5, v8
	v_bfe_u32 v23, v0, 3, 3
	s_add_u32 s0, s0, s6
	v_cndmask_b32_e32 v5, v7, v5, vcc
	v_lshlrev_b32_e32 v27, 2, v5
	v_xor_b32_e32 v5, 2, v7
	v_cmp_lt_i32_e32 vcc, v5, v8
	s_addc_u32 s1, s1, s7
	v_lshlrev_b32_e32 v32, 4, v23
	v_cndmask_b32_e32 v5, v7, v5, vcc
	v_lshlrev_b32_e32 v28, 2, v5
	v_xor_b32_e32 v5, 1, v7
	v_mov_b32_e32 v33, 0
	v_cmp_lt_i32_e32 vcc, v5, v8
	s_sub_i32 s15, 1, s17
	s_lshl_b64 s[6:7], s[24:25], 2
	v_lshl_add_u64 v[2:3], s[0:1], 0, v[32:33]
	v_lshlrev_b32_e32 v32, 1, v4
	v_cndmask_b32_e32 v5, v7, v5, vcc
	v_cmp_eq_u32_e32 vcc, 0, v4
	v_lshlrev_b32_e32 v4, 2, v23
	s_add_u32 s6, s22, s6
	v_lshl_add_u64 v[2:3], v[2:3], 0, v[32:33]
	v_lshl_or_b32 v4, v1, 5, v4
	v_and_b32_e32 v32, 60, v6
	s_addc_u32 s7, s23, s7
	s_mov_b32 s12, s13
	v_lshlrev_b32_e32 v29, 2, v5
	v_cmp_neq_f32_e64 s[0:1], s10, 0
	v_lshl_or_b32 v30, v1, 3, v23
	v_add_u32_e32 v31, 0x100, v4
	v_lshl_add_u64 v[4:5], s[6:7], 0, v[32:33]
	v_mov_b32_e32 v23, 0xff7fffff
	s_mov_b64 s[30:31], 0
	v_mov_b32_e32 v32, v1
	s_branch .LBB122_9
.LBB122_8:                              ;   in Loop: Header=BB122_9 Depth=1
	s_or_b64 exec, exec, s[34:35]
	v_add_u32_e32 v32, 2, v32
	v_cmp_le_i32_e64 s[6:7], s33, v32
	v_add_u32_e32 v30, 16, v30
	v_add_u32_e32 v31, 64, v31
	s_or_b64 s[30:31], s[6:7], s[30:31]
	v_lshl_add_u64 v[4:5], v[4:5], 0, 8
	s_andn2_b64 exec, exec, s[30:31]
	s_cbranch_execz .LBB122_11
.LBB122_9:                              ; =>This Inner Loop Header: Depth=1
	global_load_dword v33, v[4:5], off
	s_waitcnt vmcnt(0) lgkmcnt(0)
	v_mad_i64_i32 v[34:35], s[6:7], v33, s12, 0
	v_lshl_add_u64 v[34:35], v[34:35], 1, v[2:3]
	global_load_ushort v33, v[34:35], off
	global_load_ushort v36, v[34:35], off offset:128
	global_load_ushort v37, v[34:35], off offset:256
	;; [unrolled: 1-line block ×14, first 2 shown]
	s_waitcnt vmcnt(14)
	v_lshlrev_b32_e32 v33, 16, v33
	s_waitcnt vmcnt(13)
	v_lshlrev_b32_e32 v34, 16, v36
	v_mul_f32_e32 v34, v11, v34
	s_waitcnt vmcnt(12)
	v_lshlrev_b32_e32 v35, 16, v37
	v_fmac_f32_e32 v34, v10, v33
	s_waitcnt vmcnt(11)
	v_lshlrev_b32_e32 v36, 16, v38
	v_fmac_f32_e32 v34, v12, v35
	;; [unrolled: 3-line block ×12, first 2 shown]
	v_fmac_f32_e32 v34, v25, v46
	s_waitcnt vmcnt(0)
	v_lshlrev_b32_e32 v33, 16, v49
	v_fmac_f32_e32 v34, v26, v33
	ds_bpermute_b32 v33, v27, v34
	s_waitcnt lgkmcnt(0)
	v_add_f32_e32 v33, v34, v33
	ds_bpermute_b32 v34, v28, v33
	s_waitcnt lgkmcnt(0)
	v_add_f32_e32 v33, v33, v34
	ds_bpermute_b32 v34, v29, v33
	s_and_saveexec_b64 s[34:35], vcc
	s_cbranch_execz .LBB122_8
; %bb.10:                               ;   in Loop: Header=BB122_9 Depth=1
	v_add_u32_e32 v35, s15, v30
	v_cvt_f32_i32_e32 v35, v35
	s_waitcnt lgkmcnt(0)
	v_add_f32_e32 v33, v33, v34
	v_cmp_gt_i32_e64 s[6:7], s17, v30
	v_max_f32_e32 v34, v23, v23
	v_mul_f32_e32 v35, s10, v35
	v_cndmask_b32_e64 v35, 0, v35, s[0:1]
	v_fmac_f32_e32 v35, s11, v33
	v_cndmask_b32_e64 v33, 0, v35, s[6:7]
	ds_write_b32 v31, v33
	v_max_f32_e32 v33, v34, v35
	v_cndmask_b32_e64 v23, v23, v33, s[6:7]
	s_branch .LBB122_8
.LBB122_11:
	s_or_b64 exec, exec, s[30:31]
.LBB122_12:
	s_or_b64 exec, exec, s[28:29]
	v_xor_b32_e32 v2, 32, v7
	v_cmp_lt_i32_e32 vcc, v2, v8
	v_xor_b32_e32 v5, 16, v7
	v_max_f32_e32 v4, v23, v23
	v_cndmask_b32_e32 v2, v7, v2, vcc
	v_lshlrev_b32_e32 v3, 2, v2
	ds_bpermute_b32 v2, v3, v23
	v_cmp_lt_i32_e32 vcc, v5, v8
	v_xor_b32_e32 v10, 8, v7
	v_and_b32_e32 v15, 63, v0
	s_waitcnt lgkmcnt(0)
	v_max_f32_e32 v2, v2, v2
	v_max_f32_e32 v2, v4, v2
	v_cndmask_b32_e32 v4, v7, v5, vcc
	v_lshlrev_b32_e32 v5, 2, v4
	ds_bpermute_b32 v4, v5, v2
	v_cmp_lt_i32_e32 vcc, v10, v8
	s_waitcnt lgkmcnt(0)
	v_max_f32_e32 v4, v4, v4
	v_max_f32_e32 v4, v2, v4
	v_cndmask_b32_e32 v2, v7, v10, vcc
	v_lshlrev_b32_e32 v11, 2, v2
	ds_bpermute_b32 v10, v11, v4
	v_cmp_eq_u32_e32 vcc, 0, v15
	v_lshlrev_b32_e32 v2, 2, v1
	s_and_saveexec_b64 s[0:1], vcc
	s_cbranch_execz .LBB122_14
; %bb.13:
	s_waitcnt lgkmcnt(0)
	v_max_f32_e32 v10, v10, v10
	v_max_f32_e32 v4, v4, v4
	;; [unrolled: 1-line block ×3, first 2 shown]
	ds_write_b32 v2, v4 offset:240
.LBB122_14:
	s_or_b64 exec, exec, s[0:1]
	v_cmp_gt_u32_e64 s[0:1], 2, v15
	v_mov_b32_e32 v12, 0xff7fffff
	v_lshlrev_b32_e32 v4, 2, v15
	s_waitcnt lgkmcnt(0)
	s_barrier
	s_and_saveexec_b64 s[6:7], s[0:1]
; %bb.15:
	ds_read_b32 v12, v4 offset:240
; %bb.16:
	s_or_b64 exec, exec, s[6:7]
	v_xor_b32_e32 v10, 1, v7
	v_cmp_lt_i32_e64 s[6:7], v10, v8
	v_lshlrev_b32_e32 v9, 2, v9
	s_nop 0
	v_cndmask_b32_e64 v10, v7, v10, s[6:7]
	v_lshlrev_b32_e32 v10, 2, v10
	s_waitcnt lgkmcnt(0)
	ds_bpermute_b32 v13, v10, v12
	v_max_f32_e32 v12, v12, v12
	s_lshl_b32 s6, s33, 3
	s_min_i32 s12, s6, s17
	v_cmp_gt_i32_e64 s[6:7], s12, v0
	s_waitcnt lgkmcnt(0)
	v_max_f32_e32 v13, v13, v13
	v_max_f32_e32 v12, v12, v13
	ds_bpermute_b32 v12, v9, v12
	v_mov_b32_e32 v9, 0
	s_and_saveexec_b64 s[28:29], s[6:7]
	s_cbranch_execz .LBB122_20
; %bb.17:
	v_mov_b32_e32 v9, 0x100
	v_lshl_add_u32 v13, v0, 2, v9
	v_mov_b32_e32 v9, 0
	s_mov_b64 s[30:31], 0
	v_mov_b32_e32 v16, v0
.LBB122_18:                             ; =>This Inner Loop Header: Depth=1
	ds_read_b32 v17, v13
	v_add_u32_e32 v16, 0x80, v16
	v_cmp_le_i32_e64 s[10:11], s12, v16
	s_or_b64 s[30:31], s[10:11], s[30:31]
	s_waitcnt lgkmcnt(0)
	v_sub_f32_e32 v17, v17, v12
	v_mul_f32_e32 v17, 0x3fb8aa3b, v17
	v_exp_f32_e32 v17, v17
	ds_write_b32 v13, v17
	v_add_f32_e32 v9, v9, v17
	v_add_u32_e32 v13, 0x200, v13
	s_andn2_b64 exec, exec, s[30:31]
	s_cbranch_execnz .LBB122_18
; %bb.19:
	s_or_b64 exec, exec, s[30:31]
.LBB122_20:
	s_or_b64 exec, exec, s[28:29]
	ds_bpermute_b32 v3, v3, v9
	s_waitcnt lgkmcnt(0)
	v_add_f32_e32 v3, v9, v3
	ds_bpermute_b32 v5, v5, v3
	v_xor_b32_e32 v9, 4, v7
	v_cmp_lt_i32_e64 s[10:11], v9, v8
	s_waitcnt lgkmcnt(0)
	v_add_f32_e32 v3, v3, v5
	ds_bpermute_b32 v5, v11, v3
	v_cndmask_b32_e64 v9, v7, v9, s[10:11]
	v_lshlrev_b32_e32 v9, 2, v9
	s_waitcnt lgkmcnt(0)
	v_add_f32_e32 v3, v3, v5
	ds_bpermute_b32 v5, v9, v3
	v_xor_b32_e32 v9, 2, v7
	v_cmp_lt_i32_e64 s[10:11], v9, v8
	s_waitcnt lgkmcnt(0)
	v_add_f32_e32 v3, v3, v5
	v_cndmask_b32_e64 v8, v7, v9, s[10:11]
	v_lshlrev_b32_e32 v5, 2, v8
	ds_bpermute_b32 v5, v5, v3
	s_waitcnt lgkmcnt(0)
	v_add_f32_e32 v3, v3, v5
	ds_bpermute_b32 v5, v10, v3
	s_waitcnt lgkmcnt(0)
	v_add_f32_e32 v3, v3, v5
	s_and_saveexec_b64 s[10:11], vcc
; %bb.21:
	ds_write_b32 v2, v3 offset:248
; %bb.22:
	s_or_b64 exec, exec, s[10:11]
	s_waitcnt lgkmcnt(0)
	s_barrier
	s_and_saveexec_b64 s[10:11], s[0:1]
; %bb.23:
	ds_read_b32 v3, v4 offset:248
; %bb.24:
	s_or_b64 exec, exec, s[10:11]
	s_waitcnt lgkmcnt(0)
	ds_bpermute_b32 v2, v10, v3
	v_lshlrev_b32_e32 v4, 2, v7
	s_waitcnt lgkmcnt(0)
	v_add_f32_e32 v2, v3, v2
	v_and_b32_e32 v3, 0xffffff00, v4
	ds_bpermute_b32 v2, v3, v2
	s_and_saveexec_b64 s[0:1], s[6:7]
	s_cbranch_execz .LBB122_37
; %bb.25:
	s_waitcnt lgkmcnt(0)
	v_add_f32_e32 v2, 0x358637bd, v2
	v_div_scale_f32 v3, s[6:7], v2, v2, 1.0
	v_rcp_f32_e32 v4, v3
	v_div_scale_f32 v5, vcc, 1.0, v2, 1.0
	s_movk_i32 s6, 0x7f
	v_fma_f32 v7, -v3, v4, 1.0
	v_fmac_f32_e32 v4, v7, v4
	v_mul_f32_e32 v7, v5, v4
	v_fma_f32 v8, -v3, v7, v5
	v_fmac_f32_e32 v7, v8, v4
	v_fma_f32 v3, -v3, v7, v5
	v_div_fmas_f32 v3, v3, v4, v7
	v_xad_u32 v4, v0, -1, s12
	v_div_fixup_f32 v2, v3, v2, 1.0
	v_cmp_lt_u32_e32 vcc, s6, v4
	s_mov_b64 s[10:11], -1
	v_mov_b32_e32 v3, v0
	s_and_saveexec_b64 s[6:7], vcc
	s_cbranch_execz .LBB122_34
; %bb.26:
	v_lshrrev_b32_e32 v4, 7, v4
	v_add_u32_e32 v7, -1, v4
	v_lshrrev_b32_e32 v5, 1, v7
	v_mov_b32_e32 v3, v2
	v_add_u32_e32 v5, 1, v5
	v_cmp_lt_u32_e32 vcc, 13, v7
	v_mov_b32_e32 v9, 0
	s_and_saveexec_b64 s[10:11], vcc
	s_cbranch_execz .LBB122_30
; %bb.27:
	v_mov_b32_e32 v8, 0x100
	v_and_b32_e32 v7, -8, v5
	v_lshl_add_u32 v8, v0, 2, v8
	s_mov_b32 s15, 0
	s_mov_b64 s[28:29], 0
.LBB122_28:                             ; =>This Inner Loop Header: Depth=1
	ds_read2st64_b32 v[10:11], v8 offset1:2
	ds_read2st64_b32 v[12:13], v8 offset0:4 offset1:6
	ds_read2st64_b32 v[16:17], v8 offset0:8 offset1:10
	;; [unrolled: 1-line block ×3, first 2 shown]
	v_add_u32_e32 v7, -8, v7
	s_waitcnt lgkmcnt(3)
	v_pk_mul_f32 v[10:11], v[2:3], v[10:11]
	s_waitcnt lgkmcnt(2)
	v_pk_mul_f32 v[12:13], v[2:3], v[12:13]
	ds_write2st64_b32 v8, v10, v11 offset1:2
	ds_write2st64_b32 v8, v12, v13 offset0:4 offset1:6
	ds_read2st64_b32 v[12:13], v8 offset0:16 offset1:18
	s_waitcnt lgkmcnt(4)
	v_pk_mul_f32 v[10:11], v[2:3], v[16:17]
	ds_write2st64_b32 v8, v10, v11 offset0:8 offset1:10
	s_waitcnt lgkmcnt(4)
	v_pk_mul_f32 v[10:11], v[2:3], v[18:19]
	ds_write2st64_b32 v8, v10, v11 offset0:12 offset1:14
	ds_read2st64_b32 v[10:11], v8 offset0:20 offset1:22
	s_waitcnt lgkmcnt(3)
	v_pk_mul_f32 v[12:13], v[2:3], v[12:13]
	ds_read2st64_b32 v[16:17], v8 offset0:24 offset1:26
	ds_write2st64_b32 v8, v12, v13 offset0:16 offset1:18
	ds_read2st64_b32 v[12:13], v8 offset0:28 offset1:30
	s_waitcnt lgkmcnt(3)
	v_pk_mul_f32 v[10:11], v[2:3], v[10:11]
	ds_write2st64_b32 v8, v10, v11 offset0:20 offset1:22
	s_waitcnt lgkmcnt(3)
	v_pk_mul_f32 v[10:11], v[2:3], v[16:17]
	ds_write2st64_b32 v8, v10, v11 offset0:24 offset1:26
	s_waitcnt lgkmcnt(2)
	v_pk_mul_f32 v[10:11], v[2:3], v[12:13]
	s_add_i32 s15, s15, 16
	v_cmp_eq_u32_e32 vcc, 0, v7
	ds_write2st64_b32 v8, v10, v11 offset0:28 offset1:30
	v_add_u32_e32 v8, 0x2000, v8
	s_or_b64 s[28:29], vcc, s[28:29]
	v_mov_b32_e32 v9, s15
	s_andn2_b64 exec, exec, s[28:29]
	s_cbranch_execnz .LBB122_28
; %bb.29:
	s_or_b64 exec, exec, s[28:29]
.LBB122_30:
	s_or_b64 exec, exec, s[10:11]
	v_and_b32_e32 v5, 7, v5
	v_cmp_ne_u32_e32 vcc, 0, v5
	s_and_saveexec_b64 s[10:11], vcc
	s_cbranch_execz .LBB122_33
; %bb.31:
	v_lshlrev_b32_e32 v7, 9, v9
	v_lshlrev_b32_e32 v8, 2, v0
	s_movk_i32 s15, 0x100
	v_add3_u32 v7, v7, v8, s15
	s_mov_b64 s[28:29], 0
.LBB122_32:                             ; =>This Inner Loop Header: Depth=1
	ds_read2st64_b32 v[8:9], v7 offset1:2
	v_add_u32_e32 v5, -1, v5
	v_cmp_eq_u32_e32 vcc, 0, v5
	s_or_b64 s[28:29], vcc, s[28:29]
	s_waitcnt lgkmcnt(0)
	v_pk_mul_f32 v[8:9], v[2:3], v[8:9]
	ds_write2st64_b32 v7, v8, v9 offset1:2
	v_add_u32_e32 v7, 0x400, v7
	s_andn2_b64 exec, exec, s[28:29]
	s_cbranch_execnz .LBB122_32
.LBB122_33:
	s_or_b64 exec, exec, s[10:11]
	v_add_u32_e32 v4, 1, v4
	v_and_b32_e32 v5, 0x3fffffe, v4
	v_cmp_ne_u32_e32 vcc, v4, v5
	v_lshl_add_u32 v3, v5, 7, v0
	s_orn2_b64 s[10:11], vcc, exec
.LBB122_34:
	s_or_b64 exec, exec, s[6:7]
	s_and_b64 exec, exec, s[10:11]
	s_cbranch_execz .LBB122_37
; %bb.35:
	v_mov_b32_e32 v4, 0x100
	v_lshl_add_u32 v4, v3, 2, v4
	s_mov_b64 s[6:7], 0
.LBB122_36:                             ; =>This Inner Loop Header: Depth=1
	ds_read_b32 v5, v4
	v_add_u32_e32 v3, 0x80, v3
	v_cmp_le_i32_e32 vcc, s12, v3
	s_or_b64 s[6:7], vcc, s[6:7]
	s_waitcnt lgkmcnt(0)
	v_mul_f32_e32 v5, v2, v5
	ds_write_b32 v4, v5
	v_add_u32_e32 v4, 0x200, v4
	s_andn2_b64 exec, exec, s[6:7]
	s_cbranch_execnz .LBB122_36
.LBB122_37:
	s_or_b64 exec, exec, s[0:1]
	v_mov_b32_e32 v17, 0
	v_mov_b32_e32 v24, v17
	s_waitcnt lgkmcnt(0)
	s_barrier
	s_and_saveexec_b64 s[10:11], s[2:3]
	s_cbranch_execz .LBB122_47
; %bb.38:
	s_ashr_i32 s15, s14, 31
	s_lshl_b64 s[0:1], s[14:15], 1
	s_add_u32 s12, s26, s0
	v_or_b32_e32 v3, 64, v15
	s_movk_i32 s0, 0x78
	s_mov_b32 s28, s13
	s_addc_u32 s13, s27, s1
	s_add_i32 s26, s33, -1
	v_cmp_gt_u32_e64 s[2:3], s0, v3
	s_lshl_b64 s[0:1], s[24:25], 2
	s_add_u32 s0, s22, s0
	v_lshlrev_b32_e32 v2, 3, v15
	v_mov_b32_e32 v19, 0
	v_lshlrev_b32_e32 v4, 3, v3
	v_mov_b32_e32 v3, 0x100
	v_and_b32_e32 v18, 60, v6
	s_addc_u32 s1, s23, s1
	s_mov_b32 s27, s17
	v_lshlrev_b32_e32 v28, 3, v1
	v_lshl_add_u32 v29, v1, 5, v3
	v_lshl_add_u64 v[20:21], s[0:1], 0, v[18:19]
	s_mov_b64 s[14:15], 0
	v_lshlrev_b32_e32 v22, 1, v2
	v_mov_b32_e32 v23, v19
	s_mov_b32 s24, 0x5040100
	v_lshlrev_b32_e32 v18, 1, v4
	v_mov_b32_e32 v16, v19
	v_mov_b32_e32 v17, v19
	s_branch .LBB122_41
.LBB122_39:                             ;   in Loop: Header=BB122_41 Depth=1
	s_or_b64 exec, exec, s[22:23]
	v_cvt_pk_bf16_f32 v6, v6, v7
	v_cvt_pk_bf16_f32 v2, v2, v3
	;; [unrolled: 1-line block ×3, first 2 shown]
	s_waitcnt vmcnt(0)
	v_lshlrev_b32_e32 v4, 16, v10
	v_lshlrev_b32_e32 v5, 16, v6
	v_cvt_pk_bf16_f32 v7, v8, v9
	v_mul_f32_e32 v4, v5, v4
	v_and_b32_e32 v5, 0xffff0000, v10
	v_and_b32_e32 v6, 0xffff0000, v6
	v_mul_f32_e32 v5, v6, v5
	v_lshlrev_b32_e32 v6, 16, v11
	v_lshlrev_b32_e32 v8, 16, v7
	v_mul_f32_e32 v6, v8, v6
	v_and_b32_e32 v8, 0xffff0000, v11
	v_and_b32_e32 v7, 0xffff0000, v7
	v_mul_f32_e32 v7, v7, v8
	v_lshlrev_b32_e32 v8, 16, v12
	v_lshlrev_b32_e32 v9, 16, v2
	v_mul_f32_e32 v8, v9, v8
	v_and_b32_e32 v9, 0xffff0000, v12
	v_and_b32_e32 v2, 0xffff0000, v2
	v_mul_f32_e32 v2, v2, v9
	v_cvt_pk_bf16_f32 v9, v2, s0
	v_lshlrev_b32_e32 v2, 16, v13
	v_lshlrev_b32_e32 v10, 16, v3
	v_mul_f32_e32 v2, v10, v2
	v_cvt_pk_bf16_f32 v10, v2, s0
	v_and_b32_e32 v2, 0xffff0000, v13
	v_and_b32_e32 v3, 0xffff0000, v3
	v_cvt_pk_bf16_f32 v4, v4, s0
	v_cvt_pk_bf16_f32 v5, v5, s0
	;; [unrolled: 1-line block ×4, first 2 shown]
	v_mul_f32_e32 v2, v3, v2
	v_cvt_pk_bf16_f32 v8, v8, s0
	v_cvt_pk_bf16_f32 v11, v2, s0
	v_lshlrev_b32_e32 v3, 16, v5
	v_lshlrev_b32_e32 v5, 16, v4
	;; [unrolled: 1-line block ×4, first 2 shown]
	v_pk_add_f32 v[2:3], v[4:5], v[2:3]
	v_lshlrev_b32_e32 v5, 16, v9
	v_lshlrev_b32_e32 v7, 16, v8
	;; [unrolled: 1-line block ×4, first 2 shown]
	v_pk_add_f32 v[4:5], v[6:7], v[4:5]
	v_add_f32_e32 v2, v2, v3
	v_add_f32_e32 v2, v5, v2
	;; [unrolled: 1-line block ×3, first 2 shown]
	v_pk_add_f32 v[16:17], v[16:17], v[2:3] op_sel_hi:[1,0]
.LBB122_40:                             ;   in Loop: Header=BB122_41 Depth=1
	s_or_b64 exec, exec, s[6:7]
	v_add_u32_e32 v1, 2, v1
	v_cmp_le_i32_e32 vcc, s33, v1
	v_add_u32_e32 v28, 16, v28
	v_add_u32_e32 v29, 64, v29
	v_lshl_add_u64 v[20:21], v[20:21], 0, 8
	s_or_b64 s[14:15], vcc, s[14:15]
	v_mov_b32_e32 v16, v24
	s_andn2_b64 exec, exec, s[14:15]
	s_cbranch_execz .LBB122_46
.LBB122_41:                             ; =>This Inner Loop Header: Depth=1
	global_load_dword v2, v[20:21], off
	s_waitcnt vmcnt(0)
	v_mad_i64_i32 v[2:3], s[0:1], v2, s28, 0
	v_lshl_add_u64 v[26:27], v[2:3], 1, s[12:13]
	v_lshl_add_u64 v[2:3], v[26:27], 0, v[22:23]
	global_load_dwordx4 v[10:13], v[2:3], off
	ds_read2_b64 v[6:9], v29 offset1:1
	ds_read2_b64 v[2:5], v29 offset0:2 offset1:3
	v_cmp_eq_u32_e64 s[0:1], s26, v1
	s_and_saveexec_b64 s[22:23], s[0:1]
	s_cbranch_execz .LBB122_43
; %bb.42:                               ;   in Loop: Header=BB122_41 Depth=1
	v_add_u32_e32 v24, 1, v28
	v_cmp_gt_i32_e32 vcc, s27, v24
	v_or_b32_e32 v25, 2, v28
	v_cmp_gt_i32_e64 s[6:7], s17, v25
	s_waitcnt vmcnt(0)
	v_cndmask_b32_sdwa v24, v19, v10, vcc dst_sel:DWORD dst_unused:UNUSED_PAD src0_sel:DWORD src1_sel:WORD_1
	v_cmp_gt_i32_e32 vcc, s17, v28
	v_or_b32_e32 v25, 4, v28
	s_nop 0
	v_cndmask_b32_e32 v10, 0, v10, vcc
	v_perm_b32 v10, v24, v10, s24
	v_or_b32_e32 v24, 3, v28
	v_cmp_gt_i32_e32 vcc, s27, v24
	v_cndmask_b32_e64 v24, 0, v11, s[6:7]
	v_cmp_gt_i32_e64 s[6:7], s17, v25
	v_cndmask_b32_sdwa v11, v19, v11, vcc dst_sel:DWORD dst_unused:UNUSED_PAD src0_sel:DWORD src1_sel:WORD_1
	v_perm_b32 v11, v11, v24, s24
	v_or_b32_e32 v24, 5, v28
	v_cmp_gt_i32_e32 vcc, s27, v24
	v_cndmask_b32_e64 v24, 0, v12, s[6:7]
	v_or_b32_e32 v25, 6, v28
	v_cndmask_b32_sdwa v12, v19, v12, vcc dst_sel:DWORD dst_unused:UNUSED_PAD src0_sel:DWORD src1_sel:WORD_1
	v_perm_b32 v12, v12, v24, s24
	v_or_b32_e32 v24, 7, v28
	v_cmp_gt_i32_e32 vcc, s27, v24
	v_cmp_gt_i32_e64 s[6:7], s17, v25
	s_nop 1
	v_cndmask_b32_e64 v24, 0, v13, s[6:7]
	v_cndmask_b32_sdwa v13, v19, v13, vcc dst_sel:DWORD dst_unused:UNUSED_PAD src0_sel:DWORD src1_sel:WORD_1
	v_perm_b32 v13, v13, v24, s24
.LBB122_43:                             ;   in Loop: Header=BB122_41 Depth=1
	s_or_b64 exec, exec, s[22:23]
	s_waitcnt lgkmcnt(1)
	v_cvt_pk_bf16_f32 v25, v7, s0
	v_cvt_pk_bf16_f32 v30, v8, s0
	s_waitcnt vmcnt(0)
	v_lshlrev_b32_e32 v36, 16, v10
	v_and_b32_e32 v10, 0xffff0000, v10
	v_lshlrev_b32_e32 v25, 16, v25
	v_cvt_pk_bf16_f32 v31, v9, s0
	v_mul_f32_e32 v10, v25, v10
	v_lshlrev_b32_e32 v25, 16, v11
	v_lshlrev_b32_e32 v30, 16, v30
	v_mul_f32_e32 v25, v30, v25
	v_and_b32_e32 v11, 0xffff0000, v11
	v_lshlrev_b32_e32 v30, 16, v31
	s_waitcnt lgkmcnt(0)
	v_cvt_pk_bf16_f32 v32, v2, s0
	v_mul_f32_e32 v11, v30, v11
	v_cvt_pk_bf16_f32 v30, v11, s0
	v_lshlrev_b32_e32 v11, 16, v12
	v_lshlrev_b32_e32 v31, 16, v32
	v_cvt_pk_bf16_f32 v33, v3, s0
	v_mul_f32_e32 v11, v31, v11
	v_cvt_pk_bf16_f32 v31, v11, s0
	v_and_b32_e32 v11, 0xffff0000, v12
	v_lshlrev_b32_e32 v12, 16, v33
	v_cvt_pk_bf16_f32 v34, v4, s0
	v_mul_f32_e32 v11, v12, v11
	v_cvt_pk_bf16_f32 v24, v6, s0
	v_cvt_pk_bf16_f32 v32, v11, s0
	v_lshlrev_b32_e32 v11, 16, v13
	v_lshlrev_b32_e32 v12, 16, v34
	v_cvt_pk_bf16_f32 v35, v5, s0
	v_lshlrev_b32_e32 v24, 16, v24
	v_mul_f32_e32 v11, v12, v11
	v_mul_f32_e32 v24, v24, v36
	v_cvt_pk_bf16_f32 v33, v11, s0
	v_and_b32_e32 v11, 0xffff0000, v13
	v_lshlrev_b32_e32 v12, 16, v35
	v_cvt_pk_bf16_f32 v24, v24, s0
	v_cvt_pk_bf16_f32 v10, v10, s0
	;; [unrolled: 1-line block ×3, first 2 shown]
	v_mul_f32_e32 v11, v12, v11
	v_cvt_pk_bf16_f32 v34, v11, s0
	v_lshlrev_b32_e32 v11, 16, v10
	v_lshlrev_b32_e32 v13, 16, v24
	;; [unrolled: 1-line block ×4, first 2 shown]
	v_pk_add_f32 v[10:11], v[12:13], v[10:11]
	v_lshlrev_b32_e32 v13, 16, v32
	v_lshlrev_b32_e32 v25, 16, v31
	;; [unrolled: 1-line block ×4, first 2 shown]
	v_pk_add_f32 v[10:11], v[10:11], v[10:11] op_sel:[0,1] op_sel_hi:[1,0]
	v_pk_add_f32 v[12:13], v[24:25], v[12:13]
	s_nop 0
	v_pk_add_f32 v[10:11], v[12:13], v[10:11] op_sel:[1,0] op_sel_hi:[0,1]
	v_pk_add_f32 v[10:11], v[12:13], v[10:11]
	s_nop 0
	v_pk_add_f32 v[24:25], v[16:17], v[10:11]
	s_and_saveexec_b64 s[6:7], s[2:3]
	s_cbranch_execz .LBB122_40
; %bb.44:                               ;   in Loop: Header=BB122_41 Depth=1
	v_lshl_add_u64 v[10:11], v[26:27], 0, v[18:19]
	global_load_dwordx4 v[10:13], v[10:11], off
	s_and_saveexec_b64 s[22:23], s[0:1]
	s_cbranch_execz .LBB122_39
; %bb.45:                               ;   in Loop: Header=BB122_41 Depth=1
	v_add_u32_e32 v25, 1, v28
	v_cmp_gt_i32_e32 vcc, s27, v25
	v_or_b32_e32 v26, 2, v28
	v_cmp_gt_i32_e64 s[0:1], s17, v26
	s_waitcnt vmcnt(0)
	v_cndmask_b32_sdwa v25, v19, v10, vcc dst_sel:DWORD dst_unused:UNUSED_PAD src0_sel:DWORD src1_sel:WORD_1
	v_cmp_gt_i32_e32 vcc, s17, v28
	v_or_b32_e32 v26, 4, v28
	s_nop 0
	v_cndmask_b32_e32 v10, 0, v10, vcc
	v_perm_b32 v10, v25, v10, s24
	v_or_b32_e32 v25, 3, v28
	v_cmp_gt_i32_e32 vcc, s27, v25
	v_cndmask_b32_e64 v25, 0, v11, s[0:1]
	v_cmp_gt_i32_e64 s[0:1], s17, v26
	v_cndmask_b32_sdwa v11, v19, v11, vcc dst_sel:DWORD dst_unused:UNUSED_PAD src0_sel:DWORD src1_sel:WORD_1
	v_perm_b32 v11, v11, v25, s24
	v_or_b32_e32 v25, 5, v28
	v_cmp_gt_i32_e32 vcc, s27, v25
	v_cndmask_b32_e64 v25, 0, v12, s[0:1]
	v_or_b32_e32 v26, 6, v28
	v_cndmask_b32_sdwa v12, v19, v12, vcc dst_sel:DWORD dst_unused:UNUSED_PAD src0_sel:DWORD src1_sel:WORD_1
	v_perm_b32 v12, v12, v25, s24
	v_or_b32_e32 v25, 7, v28
	v_cmp_gt_i32_e32 vcc, s27, v25
	v_cmp_gt_i32_e64 s[0:1], s17, v26
	s_nop 1
	v_cndmask_b32_e64 v25, 0, v13, s[0:1]
	v_cndmask_b32_sdwa v13, v19, v13, vcc dst_sel:DWORD dst_unused:UNUSED_PAD src0_sel:DWORD src1_sel:WORD_1
	v_perm_b32 v13, v13, v25, s24
	s_branch .LBB122_39
.LBB122_46:
	s_or_b64 exec, exec, s[14:15]
.LBB122_47:
	s_or_b64 exec, exec, s[10:11]
	v_and_b32_e32 v1, 0x3c0, v0
	v_cmp_eq_u32_e32 vcc, 64, v1
	s_barrier
	s_and_saveexec_b64 s[0:1], vcc
	s_cbranch_execz .LBB122_50
; %bb.48:
	v_mov_b32_e32 v1, 0x100
	v_lshl_add_u32 v2, v15, 2, v1
	ds_write_b32 v2, v24
	s_and_b64 exec, exec, s[8:9]
; %bb.49:
	v_lshl_add_u32 v1, v0, 2, v1
	ds_write_b32 v1, v17
.LBB122_50:
	s_or_b64 exec, exec, s[0:1]
	v_cmp_gt_u32_e32 vcc, 64, v0
	v_or_b32_e32 v1, 64, v0
	s_waitcnt lgkmcnt(0)
	s_barrier
	s_and_saveexec_b64 s[2:3], vcc
	s_cbranch_execz .LBB122_54
; %bb.51:
	v_mov_b32_e32 v2, 0x100
	v_lshl_add_u32 v2, v0, 2, v2
	ds_read_b32 v0, v2
	s_movk_i32 s0, 0x78
	v_cmp_gt_u32_e64 s[0:1], s0, v1
	s_and_saveexec_b64 s[6:7], s[0:1]
	s_cbranch_execz .LBB122_53
; %bb.52:
	ds_read_b32 v2, v2 offset:256
	s_waitcnt lgkmcnt(0)
	v_add_f32_e32 v17, v17, v2
.LBB122_53:
	s_or_b64 exec, exec, s[6:7]
	s_waitcnt lgkmcnt(0)
	v_add_f32_e32 v24, v24, v0
.LBB122_54:
	s_or_b64 exec, exec, s[2:3]
	s_barrier
	s_and_saveexec_b64 s[0:1], vcc
	s_cbranch_execz .LBB122_57
; %bb.55:
	s_mul_i32 s0, s16, s19
	s_mul_i32 s0, s0, s5
	s_mulk_i32 s0, 0x78
	s_ashr_i32 s1, s0, 31
	s_lshl_b64 s[0:1], s[0:1], 1
	s_add_u32 s3, s20, s0
	s_mul_i32 s0, s19, s18
	s_addc_u32 s5, s21, s1
	s_ashr_i32 s1, s0, 31
	s_lshl_b64 s[0:1], s[0:1], 1
	s_add_u32 s3, s3, s0
	s_mul_i32 s0, s4, 0x78
	s_addc_u32 s5, s5, s1
	s_ashr_i32 s1, s0, 31
	s_lshl_b64 s[0:1], s[0:1], 1
	s_movk_i32 s2, 0x78
	s_add_u32 s0, s3, s0
	s_addc_u32 s1, s5, s1
	v_cvt_pk_bf16_f32 v0, v24, s0
	v_cmp_gt_u32_e32 vcc, s2, v1
	global_store_short v14, v0, s[0:1]
	s_and_b64 exec, exec, vcc
	s_cbranch_execz .LBB122_57
; %bb.56:
	v_mov_b32_e32 v15, 0
	v_lshl_add_u64 v[0:1], s[0:1], 0, v[14:15]
	v_cvt_pk_bf16_f32 v2, v17, s0
	global_store_short v[0:1], v2, off offset:128
.LBB122_57:
	s_endpgm
	.section	.rodata,"a",@progbits
	.p2align	6, 0x0
	.amdhsa_kernel _ZN4vllm25paged_attention_v1_kernelI14__hip_bfloat16S1_Li120ELi8ELi128ELNS_18Fp8KVCacheDataTypeE0ELb0EEEvPT_PKS3_PKT0_S9_ifPKiSB_iPKfiiiSD_SD_iiiii
		.amdhsa_group_segment_fixed_size 256
		.amdhsa_private_segment_fixed_size 0
		.amdhsa_kernarg_size 384
		.amdhsa_user_sgpr_count 2
		.amdhsa_user_sgpr_dispatch_ptr 0
		.amdhsa_user_sgpr_queue_ptr 0
		.amdhsa_user_sgpr_kernarg_segment_ptr 1
		.amdhsa_user_sgpr_dispatch_id 0
		.amdhsa_user_sgpr_kernarg_preload_length 0
		.amdhsa_user_sgpr_kernarg_preload_offset 0
		.amdhsa_user_sgpr_private_segment_size 0
		.amdhsa_uses_dynamic_stack 0
		.amdhsa_enable_private_segment 0
		.amdhsa_system_sgpr_workgroup_id_x 1
		.amdhsa_system_sgpr_workgroup_id_y 1
		.amdhsa_system_sgpr_workgroup_id_z 1
		.amdhsa_system_sgpr_workgroup_info 0
		.amdhsa_system_vgpr_workitem_id 0
		.amdhsa_next_free_vgpr 50
		.amdhsa_next_free_sgpr 36
		.amdhsa_accum_offset 52
		.amdhsa_reserve_vcc 1
		.amdhsa_float_round_mode_32 0
		.amdhsa_float_round_mode_16_64 0
		.amdhsa_float_denorm_mode_32 3
		.amdhsa_float_denorm_mode_16_64 3
		.amdhsa_dx10_clamp 1
		.amdhsa_ieee_mode 1
		.amdhsa_fp16_overflow 0
		.amdhsa_tg_split 0
		.amdhsa_exception_fp_ieee_invalid_op 0
		.amdhsa_exception_fp_denorm_src 0
		.amdhsa_exception_fp_ieee_div_zero 0
		.amdhsa_exception_fp_ieee_overflow 0
		.amdhsa_exception_fp_ieee_underflow 0
		.amdhsa_exception_fp_ieee_inexact 0
		.amdhsa_exception_int_div_zero 0
	.end_amdhsa_kernel
	.section	.text._ZN4vllm25paged_attention_v1_kernelI14__hip_bfloat16S1_Li120ELi8ELi128ELNS_18Fp8KVCacheDataTypeE0ELb0EEEvPT_PKS3_PKT0_S9_ifPKiSB_iPKfiiiSD_SD_iiiii,"axG",@progbits,_ZN4vllm25paged_attention_v1_kernelI14__hip_bfloat16S1_Li120ELi8ELi128ELNS_18Fp8KVCacheDataTypeE0ELb0EEEvPT_PKS3_PKT0_S9_ifPKiSB_iPKfiiiSD_SD_iiiii,comdat
.Lfunc_end122:
	.size	_ZN4vllm25paged_attention_v1_kernelI14__hip_bfloat16S1_Li120ELi8ELi128ELNS_18Fp8KVCacheDataTypeE0ELb0EEEvPT_PKS3_PKT0_S9_ifPKiSB_iPKfiiiSD_SD_iiiii, .Lfunc_end122-_ZN4vllm25paged_attention_v1_kernelI14__hip_bfloat16S1_Li120ELi8ELi128ELNS_18Fp8KVCacheDataTypeE0ELb0EEEvPT_PKS3_PKT0_S9_ifPKiSB_iPKfiiiSD_SD_iiiii
                                        ; -- End function
	.set _ZN4vllm25paged_attention_v1_kernelI14__hip_bfloat16S1_Li120ELi8ELi128ELNS_18Fp8KVCacheDataTypeE0ELb0EEEvPT_PKS3_PKT0_S9_ifPKiSB_iPKfiiiSD_SD_iiiii.num_vgpr, 50
	.set _ZN4vllm25paged_attention_v1_kernelI14__hip_bfloat16S1_Li120ELi8ELi128ELNS_18Fp8KVCacheDataTypeE0ELb0EEEvPT_PKS3_PKT0_S9_ifPKiSB_iPKfiiiSD_SD_iiiii.num_agpr, 0
	.set _ZN4vllm25paged_attention_v1_kernelI14__hip_bfloat16S1_Li120ELi8ELi128ELNS_18Fp8KVCacheDataTypeE0ELb0EEEvPT_PKS3_PKT0_S9_ifPKiSB_iPKfiiiSD_SD_iiiii.numbered_sgpr, 36
	.set _ZN4vllm25paged_attention_v1_kernelI14__hip_bfloat16S1_Li120ELi8ELi128ELNS_18Fp8KVCacheDataTypeE0ELb0EEEvPT_PKS3_PKT0_S9_ifPKiSB_iPKfiiiSD_SD_iiiii.num_named_barrier, 0
	.set _ZN4vllm25paged_attention_v1_kernelI14__hip_bfloat16S1_Li120ELi8ELi128ELNS_18Fp8KVCacheDataTypeE0ELb0EEEvPT_PKS3_PKT0_S9_ifPKiSB_iPKfiiiSD_SD_iiiii.private_seg_size, 0
	.set _ZN4vllm25paged_attention_v1_kernelI14__hip_bfloat16S1_Li120ELi8ELi128ELNS_18Fp8KVCacheDataTypeE0ELb0EEEvPT_PKS3_PKT0_S9_ifPKiSB_iPKfiiiSD_SD_iiiii.uses_vcc, 1
	.set _ZN4vllm25paged_attention_v1_kernelI14__hip_bfloat16S1_Li120ELi8ELi128ELNS_18Fp8KVCacheDataTypeE0ELb0EEEvPT_PKS3_PKT0_S9_ifPKiSB_iPKfiiiSD_SD_iiiii.uses_flat_scratch, 0
	.set _ZN4vllm25paged_attention_v1_kernelI14__hip_bfloat16S1_Li120ELi8ELi128ELNS_18Fp8KVCacheDataTypeE0ELb0EEEvPT_PKS3_PKT0_S9_ifPKiSB_iPKfiiiSD_SD_iiiii.has_dyn_sized_stack, 0
	.set _ZN4vllm25paged_attention_v1_kernelI14__hip_bfloat16S1_Li120ELi8ELi128ELNS_18Fp8KVCacheDataTypeE0ELb0EEEvPT_PKS3_PKT0_S9_ifPKiSB_iPKfiiiSD_SD_iiiii.has_recursion, 0
	.set _ZN4vllm25paged_attention_v1_kernelI14__hip_bfloat16S1_Li120ELi8ELi128ELNS_18Fp8KVCacheDataTypeE0ELb0EEEvPT_PKS3_PKT0_S9_ifPKiSB_iPKfiiiSD_SD_iiiii.has_indirect_call, 0
	.section	.AMDGPU.csdata,"",@progbits
; Kernel info:
; codeLenInByte = 4404
; TotalNumSgprs: 42
; NumVgprs: 50
; NumAgprs: 0
; TotalNumVgprs: 50
; ScratchSize: 0
; MemoryBound: 0
; FloatMode: 240
; IeeeMode: 1
; LDSByteSize: 256 bytes/workgroup (compile time only)
; SGPRBlocks: 5
; VGPRBlocks: 6
; NumSGPRsForWavesPerEU: 42
; NumVGPRsForWavesPerEU: 50
; AccumOffset: 52
; Occupancy: 8
; WaveLimiterHint : 1
; COMPUTE_PGM_RSRC2:SCRATCH_EN: 0
; COMPUTE_PGM_RSRC2:USER_SGPR: 2
; COMPUTE_PGM_RSRC2:TRAP_HANDLER: 0
; COMPUTE_PGM_RSRC2:TGID_X_EN: 1
; COMPUTE_PGM_RSRC2:TGID_Y_EN: 1
; COMPUTE_PGM_RSRC2:TGID_Z_EN: 1
; COMPUTE_PGM_RSRC2:TIDIG_COMP_CNT: 0
; COMPUTE_PGM_RSRC3_GFX90A:ACCUM_OFFSET: 12
; COMPUTE_PGM_RSRC3_GFX90A:TG_SPLIT: 0
	.section	.text._ZN4vllm25paged_attention_v1_kernelI14__hip_bfloat16S1_Li128ELi8ELi128ELNS_18Fp8KVCacheDataTypeE0ELb0EEEvPT_PKS3_PKT0_S9_ifPKiSB_iPKfiiiSD_SD_iiiii,"axG",@progbits,_ZN4vllm25paged_attention_v1_kernelI14__hip_bfloat16S1_Li128ELi8ELi128ELNS_18Fp8KVCacheDataTypeE0ELb0EEEvPT_PKS3_PKT0_S9_ifPKiSB_iPKfiiiSD_SD_iiiii,comdat
	.protected	_ZN4vllm25paged_attention_v1_kernelI14__hip_bfloat16S1_Li128ELi8ELi128ELNS_18Fp8KVCacheDataTypeE0ELb0EEEvPT_PKS3_PKT0_S9_ifPKiSB_iPKfiiiSD_SD_iiiii ; -- Begin function _ZN4vllm25paged_attention_v1_kernelI14__hip_bfloat16S1_Li128ELi8ELi128ELNS_18Fp8KVCacheDataTypeE0ELb0EEEvPT_PKS3_PKT0_S9_ifPKiSB_iPKfiiiSD_SD_iiiii
	.globl	_ZN4vllm25paged_attention_v1_kernelI14__hip_bfloat16S1_Li128ELi8ELi128ELNS_18Fp8KVCacheDataTypeE0ELb0EEEvPT_PKS3_PKT0_S9_ifPKiSB_iPKfiiiSD_SD_iiiii
	.p2align	8
	.type	_ZN4vllm25paged_attention_v1_kernelI14__hip_bfloat16S1_Li128ELi8ELi128ELNS_18Fp8KVCacheDataTypeE0ELb0EEEvPT_PKS3_PKT0_S9_ifPKiSB_iPKfiiiSD_SD_iiiii,@function
_ZN4vllm25paged_attention_v1_kernelI14__hip_bfloat16S1_Li128ELi8ELi128ELNS_18Fp8KVCacheDataTypeE0ELb0EEEvPT_PKS3_PKT0_S9_ifPKiSB_iPKfiiiSD_SD_iiiii: ; @_ZN4vllm25paged_attention_v1_kernelI14__hip_bfloat16S1_Li128ELi8ELi128ELNS_18Fp8KVCacheDataTypeE0ELb0EEEvPT_PKS3_PKT0_S9_ifPKiSB_iPKfiiiSD_SD_iiiii
; %bb.0:
	s_load_dword s5, s[0:1], 0x80
	s_load_dwordx2 s[6:7], s[0:1], 0x30
	s_load_dwordx2 s[8:9], s[0:1], 0x20
	s_mov_b32 s10, s3
	s_ashr_i32 s11, s3, 31
	s_lshl_b64 s[12:13], s[10:11], 2
	s_waitcnt lgkmcnt(0)
	s_add_u32 s6, s6, s12
	s_addc_u32 s7, s7, s13
	s_abs_i32 s3, s8
	v_cvt_f32_u32_e32 v1, s3
	s_sub_i32 s12, 0, s3
	s_abs_i32 s11, s5
	s_xor_b32 s8, s5, s8
	v_rcp_iflag_f32_e32 v1, v1
	s_ashr_i32 s8, s8, 31
	v_mul_f32_e32 v1, 0x4f7ffffe, v1
	v_cvt_u32_f32_e32 v1, v1
	s_nop 0
	v_readfirstlane_b32 s13, v1
	s_mul_i32 s12, s12, s13
	s_mul_hi_u32 s12, s13, s12
	s_add_i32 s13, s13, s12
	s_mul_hi_u32 s12, s11, s13
	s_mul_i32 s13, s12, s3
	s_sub_i32 s11, s11, s13
	s_add_i32 s13, s12, 1
	s_sub_i32 s14, s11, s3
	s_cmp_ge_u32 s11, s3
	s_cselect_b32 s12, s13, s12
	s_cselect_b32 s11, s14, s11
	s_add_i32 s13, s12, 1
	s_cmp_ge_u32 s11, s3
	s_cselect_b32 s3, s13, s12
	s_xor_b32 s3, s3, s8
	s_sub_i32 s14, s3, s8
	s_abs_i32 s18, s14
	v_cvt_f32_u32_e32 v1, s18
	s_load_dwordx2 s[12:13], s[0:1], 0x40
	s_sub_i32 s3, 0, s18
	s_abs_i32 s19, s2
	v_rcp_iflag_f32_e32 v1, v1
	s_mov_b32 s8, 0
	v_mul_f32_e32 v1, 0x4f7ffffe, v1
	v_cvt_u32_f32_e32 v1, v1
	s_nop 0
	v_readfirstlane_b32 s11, v1
	s_mul_i32 s3, s3, s11
	s_mul_hi_u32 s3, s11, s3
	s_add_i32 s11, s11, s3
	s_waitcnt lgkmcnt(0)
	s_cmp_eq_u64 s[12:13], 0
	s_mul_hi_u32 s22, s19, s11
	s_cbranch_scc1 .LBB123_2
; %bb.1:
	s_ashr_i32 s3, s2, 31
	s_lshl_b64 s[16:17], s[2:3], 2
	s_add_u32 s12, s12, s16
	s_addc_u32 s13, s13, s17
	s_load_dword s8, s[12:13], 0x0
.LBB123_2:
	s_load_dword s11, s[6:7], 0x0
	s_ashr_i32 s7, s14, 31
	s_load_dwordx4 s[12:15], s[0:1], 0x48
	s_ashr_i32 s6, s2, 31
	s_lshl_b32 s16, s2, 7
	s_movk_i32 s2, 0x80
	v_and_b32_e32 v4, 7, v0
	v_cmp_gt_u32_e32 vcc, s2, v0
	v_lshlrev_b32_e32 v1, 1, v0
	s_and_saveexec_b64 s[2:3], vcc
	s_cbranch_execz .LBB123_4
; %bb.3:
	s_load_dwordx2 s[20:21], s[0:1], 0x8
	s_waitcnt lgkmcnt(0)
	s_mul_i32 s24, s12, s10
	s_ashr_i32 s25, s24, 31
	s_lshl_b64 s[24:25], s[24:25], 1
	v_lshrrev_b32_e32 v3, 2, v0
	s_add_u32 s12, s20, s24
	s_addc_u32 s15, s21, s25
	s_ashr_i32 s17, s16, 31
	s_lshl_b64 s[20:21], s[16:17], 1
	s_add_u32 s20, s12, s20
	s_addc_u32 s21, s15, s21
	global_load_ushort v2, v1, s[20:21]
	v_and_b32_e32 v3, 0xfe, v3
	v_lshl_add_u32 v3, v4, 5, v3
	s_waitcnt vmcnt(0)
	ds_write_b16 v3, v2
.LBB123_4:
	s_or_b64 exec, exec, s[2:3]
	s_waitcnt lgkmcnt(0)
	s_add_i32 s3, s11, 7
	s_ashr_i32 s12, s3, 31
	s_lshr_b32 s12, s12, 29
	s_add_i32 s3, s3, s12
	s_ashr_i32 s33, s3, 3
	s_xor_b32 s3, s6, s7
	s_mul_i32 s6, s22, s18
	s_sub_i32 s6, s19, s6
	s_add_i32 s7, s22, 1
	s_sub_i32 s12, s6, s18
	s_load_dwordx2 s[20:21], s[0:1], 0x28
	s_load_dword s2, s[0:1], 0x38
	s_cmp_ge_u32 s6, s18
	s_cselect_b32 s7, s7, s22
	s_cselect_b32 s6, s12, s6
	s_add_i32 s12, s7, 1
	s_cmp_ge_u32 s6, s18
	s_cselect_b32 s6, s12, s7
	v_lshrrev_b32_e32 v26, 6, v0
	s_xor_b32 s6, s6, s3
	s_waitcnt lgkmcnt(0)
	s_mul_i32 s22, s2, s10
	s_sub_i32 s12, s6, s3
	s_ashr_i32 s23, s22, 31
	v_cmp_gt_i32_e64 s[2:3], s33, v26
	v_cmp_le_i32_e32 vcc, s33, v26
	v_mbcnt_lo_u32_b32 v5, -1, 0
	s_barrier
                                        ; implicit-def: $vgpr7
                                        ; implicit-def: $vgpr9
                                        ; implicit-def: $vgpr8
	s_and_saveexec_b64 s[6:7], vcc
	s_xor_b64 s[6:7], exec, s[6:7]
; %bb.5:
	v_mbcnt_hi_u32_b32 v7, -1, v5
	v_and_b32_e32 v9, 64, v7
	v_add_u32_e32 v8, 64, v9
                                        ; implicit-def: $vgpr4
                                        ; implicit-def: $vgpr5
; %bb.6:
	s_or_saveexec_b64 s[26:27], s[6:7]
	s_load_dwordx2 s[18:19], s[0:1], 0x0
	s_load_dwordx2 s[24:25], s[0:1], 0x18
	s_load_dword s17, s[0:1], 0x88
	v_mov_b32_e32 v23, 0xff7fffff
	s_mul_i32 s14, s12, s14
	v_lshrrev_b32_e32 v6, 4, v0
	s_xor_b64 exec, exec, s[26:27]
	s_cbranch_execz .LBB123_12
; %bb.7:
	v_lshlrev_b32_e32 v7, 5, v4
	ds_read_b128 v[14:17], v7
	ds_read_b128 v[28:31], v7 offset:16
	v_mbcnt_hi_u32_b32 v7, -1, v5
	v_and_b32_e32 v9, 64, v7
	v_add_u32_e32 v8, 64, v9
	v_xor_b32_e32 v5, 4, v7
	s_load_dwordx2 s[0:1], s[0:1], 0x10
	v_cmp_lt_i32_e32 vcc, v5, v8
	s_waitcnt lgkmcnt(0)
	v_lshlrev_b32_e32 v18, 16, v28
	v_and_b32_e32 v19, 0xffff0000, v28
	v_cndmask_b32_e32 v5, v7, v5, vcc
	v_lshlrev_b32_e32 v28, 2, v5
	v_xor_b32_e32 v5, 2, v7
	s_ashr_i32 s15, s14, 31
	v_cmp_lt_i32_e32 vcc, v5, v8
	s_lshl_b64 s[6:7], s[14:15], 1
	v_bfe_u32 v23, v0, 3, 3
	v_cndmask_b32_e32 v5, v7, v5, vcc
	s_add_u32 s0, s0, s6
	v_lshlrev_b32_e32 v20, 16, v29
	v_and_b32_e32 v21, 0xffff0000, v29
	v_lshlrev_b32_e32 v29, 2, v5
	v_xor_b32_e32 v5, 1, v7
	s_addc_u32 s1, s1, s7
	v_lshlrev_b32_e32 v34, 4, v23
	v_mov_b32_e32 v35, 0
	v_cmp_lt_i32_e32 vcc, v5, v8
	s_sub_i32 s15, 1, s11
	s_lshl_b64 s[6:7], s[22:23], 2
	v_lshl_add_u64 v[2:3], s[0:1], 0, v[34:35]
	v_lshlrev_b32_e32 v34, 1, v4
	v_cndmask_b32_e32 v5, v7, v5, vcc
	v_cmp_eq_u32_e32 vcc, 0, v4
	v_lshlrev_b32_e32 v4, 2, v23
	s_add_u32 s6, s20, s6
	v_lshl_add_u64 v[2:3], v[2:3], 0, v[34:35]
	v_lshl_or_b32 v4, v26, 5, v4
	v_and_b32_e32 v34, 60, v6
	s_addc_u32 s7, s21, s7
	s_mov_b32 s12, s13
	v_lshlrev_b32_e32 v10, 16, v14
	v_and_b32_e32 v11, 0xffff0000, v14
	v_lshlrev_b32_e32 v12, 16, v15
	v_and_b32_e32 v13, 0xffff0000, v15
	;; [unrolled: 2-line block ×6, first 2 shown]
	v_lshlrev_b32_e32 v30, 2, v5
	v_cmp_neq_f32_e64 s[0:1], s8, 0
	v_lshl_or_b32 v31, v26, 3, v23
	v_add_u32_e32 v32, 0x110, v4
	v_lshl_add_u64 v[4:5], s[6:7], 0, v[34:35]
	v_mov_b32_e32 v23, 0xff7fffff
	s_mov_b64 s[28:29], 0
	v_mov_b32_e32 v33, v26
	s_branch .LBB123_9
.LBB123_8:                              ;   in Loop: Header=BB123_9 Depth=1
	s_or_b64 exec, exec, s[30:31]
	v_add_u32_e32 v33, 2, v33
	v_cmp_le_i32_e64 s[6:7], s33, v33
	v_add_u32_e32 v31, 16, v31
	v_add_u32_e32 v32, 64, v32
	s_or_b64 s[28:29], s[6:7], s[28:29]
	v_lshl_add_u64 v[4:5], v[4:5], 0, 8
	s_andn2_b64 exec, exec, s[28:29]
	s_cbranch_execz .LBB123_11
.LBB123_9:                              ; =>This Inner Loop Header: Depth=1
	global_load_dword v34, v[4:5], off
	s_waitcnt vmcnt(0) lgkmcnt(0)
	v_mad_i64_i32 v[34:35], s[6:7], v34, s12, 0
	v_lshl_add_u64 v[34:35], v[34:35], 1, v[2:3]
	global_load_ushort v36, v[34:35], off
	global_load_ushort v37, v[34:35], off offset:128
	global_load_ushort v38, v[34:35], off offset:256
	;; [unrolled: 1-line block ×14, first 2 shown]
	s_nop 0
	global_load_ushort v34, v[34:35], off offset:1920
	s_waitcnt vmcnt(15)
	v_lshlrev_b32_e32 v35, 16, v36
	s_waitcnt vmcnt(14)
	v_lshlrev_b32_e32 v36, 16, v37
	v_mul_f32_e32 v36, v11, v36
	s_waitcnt vmcnt(13)
	v_lshlrev_b32_e32 v37, 16, v38
	v_fmac_f32_e32 v36, v10, v35
	s_waitcnt vmcnt(12)
	v_lshlrev_b32_e32 v38, 16, v39
	v_fmac_f32_e32 v36, v12, v37
	;; [unrolled: 3-line block ×13, first 2 shown]
	v_fmac_f32_e32 v36, v25, v49
	s_waitcnt vmcnt(0)
	v_lshlrev_b32_e32 v34, 16, v34
	v_fmac_f32_e32 v36, v27, v34
	ds_bpermute_b32 v34, v28, v36
	s_waitcnt lgkmcnt(0)
	v_add_f32_e32 v34, v36, v34
	ds_bpermute_b32 v35, v29, v34
	s_waitcnt lgkmcnt(0)
	v_add_f32_e32 v34, v34, v35
	ds_bpermute_b32 v35, v30, v34
	s_and_saveexec_b64 s[30:31], vcc
	s_cbranch_execz .LBB123_8
; %bb.10:                               ;   in Loop: Header=BB123_9 Depth=1
	v_add_u32_e32 v36, s15, v31
	v_cvt_f32_i32_e32 v36, v36
	s_waitcnt lgkmcnt(0)
	v_add_f32_e32 v34, v34, v35
	v_cmp_gt_i32_e64 s[6:7], s11, v31
	v_max_f32_e32 v35, v23, v23
	v_mul_f32_e32 v36, s8, v36
	v_cndmask_b32_e64 v36, 0, v36, s[0:1]
	v_fmac_f32_e32 v36, s9, v34
	v_cndmask_b32_e64 v34, 0, v36, s[6:7]
	ds_write_b32 v32, v34
	v_max_f32_e32 v34, v35, v36
	v_cndmask_b32_e64 v23, v23, v34, s[6:7]
	s_branch .LBB123_8
.LBB123_11:
	s_or_b64 exec, exec, s[28:29]
.LBB123_12:
	s_or_b64 exec, exec, s[26:27]
	v_xor_b32_e32 v2, 32, v7
	v_cmp_lt_i32_e32 vcc, v2, v8
	v_xor_b32_e32 v5, 16, v7
	v_max_f32_e32 v4, v23, v23
	v_cndmask_b32_e32 v2, v7, v2, vcc
	v_lshlrev_b32_e32 v3, 2, v2
	ds_bpermute_b32 v2, v3, v23
	v_cmp_lt_i32_e32 vcc, v5, v8
	v_xor_b32_e32 v10, 8, v7
	v_and_b32_e32 v27, 63, v0
	s_waitcnt lgkmcnt(0)
	v_max_f32_e32 v2, v2, v2
	v_max_f32_e32 v2, v4, v2
	v_cndmask_b32_e32 v4, v7, v5, vcc
	v_lshlrev_b32_e32 v5, 2, v4
	ds_bpermute_b32 v4, v5, v2
	v_cmp_lt_i32_e32 vcc, v10, v8
	s_waitcnt lgkmcnt(0)
	v_max_f32_e32 v4, v4, v4
	v_max_f32_e32 v4, v2, v4
	v_cndmask_b32_e32 v2, v7, v10, vcc
	v_lshlrev_b32_e32 v11, 2, v2
	ds_bpermute_b32 v10, v11, v4
	v_cmp_eq_u32_e32 vcc, 0, v27
	v_lshlrev_b32_e32 v2, 2, v26
	s_and_saveexec_b64 s[0:1], vcc
	s_cbranch_execz .LBB123_14
; %bb.13:
	s_waitcnt lgkmcnt(0)
	v_max_f32_e32 v10, v10, v10
	v_max_f32_e32 v4, v4, v4
	;; [unrolled: 1-line block ×3, first 2 shown]
	ds_write_b32 v2, v4 offset:256
.LBB123_14:
	s_or_b64 exec, exec, s[0:1]
	v_cmp_gt_u32_e64 s[0:1], 2, v27
	v_mov_b32_e32 v12, 0xff7fffff
	v_lshlrev_b32_e32 v4, 2, v27
	s_waitcnt lgkmcnt(0)
	s_barrier
	s_and_saveexec_b64 s[6:7], s[0:1]
; %bb.15:
	ds_read_b32 v12, v4 offset:256
; %bb.16:
	s_or_b64 exec, exec, s[6:7]
	v_xor_b32_e32 v10, 1, v7
	v_cmp_lt_i32_e64 s[6:7], v10, v8
	v_lshlrev_b32_e32 v9, 2, v9
	s_nop 0
	v_cndmask_b32_e64 v10, v7, v10, s[6:7]
	v_lshlrev_b32_e32 v10, 2, v10
	s_waitcnt lgkmcnt(0)
	ds_bpermute_b32 v13, v10, v12
	v_max_f32_e32 v12, v12, v12
	s_lshl_b32 s6, s33, 3
	s_min_i32 s12, s6, s11
	v_cmp_gt_i32_e64 s[6:7], s12, v0
	s_waitcnt lgkmcnt(0)
	v_max_f32_e32 v13, v13, v13
	v_max_f32_e32 v12, v12, v13
	ds_bpermute_b32 v12, v9, v12
	v_mov_b32_e32 v9, 0
	s_and_saveexec_b64 s[26:27], s[6:7]
	s_cbranch_execz .LBB123_20
; %bb.17:
	v_mov_b32_e32 v9, 0x110
	v_lshl_add_u32 v13, v0, 2, v9
	v_mov_b32_e32 v9, 0
	s_mov_b64 s[28:29], 0
	v_mov_b32_e32 v14, v0
.LBB123_18:                             ; =>This Inner Loop Header: Depth=1
	ds_read_b32 v15, v13
	v_add_u32_e32 v14, 0x80, v14
	v_cmp_le_i32_e64 s[8:9], s12, v14
	s_or_b64 s[28:29], s[8:9], s[28:29]
	s_waitcnt lgkmcnt(0)
	v_sub_f32_e32 v15, v15, v12
	v_mul_f32_e32 v15, 0x3fb8aa3b, v15
	v_exp_f32_e32 v15, v15
	ds_write_b32 v13, v15
	v_add_f32_e32 v9, v9, v15
	v_add_u32_e32 v13, 0x200, v13
	s_andn2_b64 exec, exec, s[28:29]
	s_cbranch_execnz .LBB123_18
; %bb.19:
	s_or_b64 exec, exec, s[28:29]
.LBB123_20:
	s_or_b64 exec, exec, s[26:27]
	ds_bpermute_b32 v3, v3, v9
	s_waitcnt lgkmcnt(0)
	v_add_f32_e32 v3, v9, v3
	ds_bpermute_b32 v5, v5, v3
	v_xor_b32_e32 v9, 4, v7
	v_cmp_lt_i32_e64 s[8:9], v9, v8
	s_waitcnt lgkmcnt(0)
	v_add_f32_e32 v3, v3, v5
	ds_bpermute_b32 v5, v11, v3
	v_cndmask_b32_e64 v9, v7, v9, s[8:9]
	v_lshlrev_b32_e32 v9, 2, v9
	s_waitcnt lgkmcnt(0)
	v_add_f32_e32 v3, v3, v5
	ds_bpermute_b32 v5, v9, v3
	v_xor_b32_e32 v9, 2, v7
	v_cmp_lt_i32_e64 s[8:9], v9, v8
	s_waitcnt lgkmcnt(0)
	v_add_f32_e32 v3, v3, v5
	v_cndmask_b32_e64 v8, v7, v9, s[8:9]
	v_lshlrev_b32_e32 v5, 2, v8
	ds_bpermute_b32 v5, v5, v3
	s_waitcnt lgkmcnt(0)
	v_add_f32_e32 v3, v3, v5
	ds_bpermute_b32 v5, v10, v3
	s_waitcnt lgkmcnt(0)
	v_add_f32_e32 v3, v3, v5
	s_and_saveexec_b64 s[8:9], vcc
; %bb.21:
	ds_write_b32 v2, v3 offset:264
; %bb.22:
	s_or_b64 exec, exec, s[8:9]
	s_waitcnt lgkmcnt(0)
	s_barrier
	s_and_saveexec_b64 s[8:9], s[0:1]
; %bb.23:
	ds_read_b32 v3, v4 offset:264
; %bb.24:
	s_or_b64 exec, exec, s[8:9]
	s_waitcnt lgkmcnt(0)
	ds_bpermute_b32 v2, v10, v3
	v_lshlrev_b32_e32 v4, 2, v7
	s_waitcnt lgkmcnt(0)
	v_add_f32_e32 v2, v3, v2
	v_and_b32_e32 v3, 0xffffff00, v4
	ds_bpermute_b32 v2, v3, v2
	s_and_saveexec_b64 s[0:1], s[6:7]
	s_cbranch_execz .LBB123_37
; %bb.25:
	s_waitcnt lgkmcnt(0)
	v_add_f32_e32 v2, 0x358637bd, v2
	v_div_scale_f32 v3, s[6:7], v2, v2, 1.0
	v_rcp_f32_e32 v4, v3
	v_div_scale_f32 v5, vcc, 1.0, v2, 1.0
	s_movk_i32 s6, 0x7f
	v_fma_f32 v7, -v3, v4, 1.0
	v_fmac_f32_e32 v4, v7, v4
	v_mul_f32_e32 v7, v5, v4
	v_fma_f32 v8, -v3, v7, v5
	v_fmac_f32_e32 v7, v8, v4
	v_fma_f32 v3, -v3, v7, v5
	v_div_fmas_f32 v3, v3, v4, v7
	v_xad_u32 v4, v0, -1, s12
	v_div_fixup_f32 v2, v3, v2, 1.0
	v_cmp_lt_u32_e32 vcc, s6, v4
	s_mov_b64 s[8:9], -1
	v_mov_b32_e32 v3, v0
	s_and_saveexec_b64 s[6:7], vcc
	s_cbranch_execz .LBB123_34
; %bb.26:
	v_lshrrev_b32_e32 v4, 7, v4
	v_add_u32_e32 v7, -1, v4
	v_lshrrev_b32_e32 v5, 1, v7
	v_mov_b32_e32 v3, v2
	v_add_u32_e32 v5, 1, v5
	v_cmp_lt_u32_e32 vcc, 13, v7
	v_mov_b32_e32 v9, 0
	s_and_saveexec_b64 s[8:9], vcc
	s_cbranch_execz .LBB123_30
; %bb.27:
	v_mov_b32_e32 v8, 0x110
	v_and_b32_e32 v7, -8, v5
	v_lshl_add_u32 v8, v0, 2, v8
	s_mov_b32 s15, 0
	s_mov_b64 s[26:27], 0
.LBB123_28:                             ; =>This Inner Loop Header: Depth=1
	ds_read2st64_b32 v[10:11], v8 offset1:2
	ds_read2st64_b32 v[12:13], v8 offset0:4 offset1:6
	ds_read2st64_b32 v[14:15], v8 offset0:8 offset1:10
	;; [unrolled: 1-line block ×3, first 2 shown]
	v_add_u32_e32 v7, -8, v7
	s_waitcnt lgkmcnt(3)
	v_pk_mul_f32 v[10:11], v[2:3], v[10:11]
	s_waitcnt lgkmcnt(2)
	v_pk_mul_f32 v[12:13], v[2:3], v[12:13]
	ds_write2st64_b32 v8, v10, v11 offset1:2
	ds_write2st64_b32 v8, v12, v13 offset0:4 offset1:6
	ds_read2st64_b32 v[12:13], v8 offset0:16 offset1:18
	s_waitcnt lgkmcnt(4)
	v_pk_mul_f32 v[10:11], v[2:3], v[14:15]
	ds_write2st64_b32 v8, v10, v11 offset0:8 offset1:10
	s_waitcnt lgkmcnt(4)
	v_pk_mul_f32 v[10:11], v[2:3], v[16:17]
	ds_write2st64_b32 v8, v10, v11 offset0:12 offset1:14
	ds_read2st64_b32 v[10:11], v8 offset0:20 offset1:22
	s_waitcnt lgkmcnt(3)
	v_pk_mul_f32 v[12:13], v[2:3], v[12:13]
	ds_read2st64_b32 v[14:15], v8 offset0:24 offset1:26
	ds_write2st64_b32 v8, v12, v13 offset0:16 offset1:18
	ds_read2st64_b32 v[12:13], v8 offset0:28 offset1:30
	s_waitcnt lgkmcnt(3)
	v_pk_mul_f32 v[10:11], v[2:3], v[10:11]
	ds_write2st64_b32 v8, v10, v11 offset0:20 offset1:22
	s_waitcnt lgkmcnt(3)
	v_pk_mul_f32 v[10:11], v[2:3], v[14:15]
	ds_write2st64_b32 v8, v10, v11 offset0:24 offset1:26
	s_waitcnt lgkmcnt(2)
	v_pk_mul_f32 v[10:11], v[2:3], v[12:13]
	s_add_i32 s15, s15, 16
	v_cmp_eq_u32_e32 vcc, 0, v7
	ds_write2st64_b32 v8, v10, v11 offset0:28 offset1:30
	v_add_u32_e32 v8, 0x2000, v8
	s_or_b64 s[26:27], vcc, s[26:27]
	v_mov_b32_e32 v9, s15
	s_andn2_b64 exec, exec, s[26:27]
	s_cbranch_execnz .LBB123_28
; %bb.29:
	s_or_b64 exec, exec, s[26:27]
.LBB123_30:
	s_or_b64 exec, exec, s[8:9]
	v_and_b32_e32 v5, 7, v5
	v_cmp_ne_u32_e32 vcc, 0, v5
	s_and_saveexec_b64 s[8:9], vcc
	s_cbranch_execz .LBB123_33
; %bb.31:
	v_lshlrev_b32_e32 v7, 9, v9
	v_lshlrev_b32_e32 v8, 2, v0
	s_movk_i32 s15, 0x110
	v_add3_u32 v7, v7, v8, s15
	s_mov_b64 s[26:27], 0
.LBB123_32:                             ; =>This Inner Loop Header: Depth=1
	ds_read2st64_b32 v[8:9], v7 offset1:2
	v_add_u32_e32 v5, -1, v5
	v_cmp_eq_u32_e32 vcc, 0, v5
	s_or_b64 s[26:27], vcc, s[26:27]
	s_waitcnt lgkmcnt(0)
	v_pk_mul_f32 v[8:9], v[2:3], v[8:9]
	ds_write2st64_b32 v7, v8, v9 offset1:2
	v_add_u32_e32 v7, 0x400, v7
	s_andn2_b64 exec, exec, s[26:27]
	s_cbranch_execnz .LBB123_32
.LBB123_33:
	s_or_b64 exec, exec, s[8:9]
	v_add_u32_e32 v4, 1, v4
	v_and_b32_e32 v5, 0x3fffffe, v4
	v_cmp_ne_u32_e32 vcc, v4, v5
	v_lshl_add_u32 v3, v5, 7, v0
	s_orn2_b64 s[8:9], vcc, exec
.LBB123_34:
	s_or_b64 exec, exec, s[6:7]
	s_and_b64 exec, exec, s[8:9]
	s_cbranch_execz .LBB123_37
; %bb.35:
	v_mov_b32_e32 v4, 0x110
	v_lshl_add_u32 v4, v3, 2, v4
	s_mov_b64 s[6:7], 0
.LBB123_36:                             ; =>This Inner Loop Header: Depth=1
	ds_read_b32 v5, v4
	v_add_u32_e32 v3, 0x80, v3
	v_cmp_le_i32_e32 vcc, s12, v3
	s_or_b64 s[6:7], vcc, s[6:7]
	s_waitcnt lgkmcnt(0)
	v_mul_f32_e32 v5, v2, v5
	ds_write_b32 v4, v5
	v_add_u32_e32 v4, 0x200, v4
	s_andn2_b64 exec, exec, s[6:7]
	s_cbranch_execnz .LBB123_36
.LBB123_37:
	s_or_b64 exec, exec, s[0:1]
	v_mov_b32_e32 v20, 0
	v_mov_b32_e32 v21, v20
	v_mov_b64_e32 v[18:19], v[20:21]
	s_waitcnt lgkmcnt(0)
	s_barrier
	s_and_saveexec_b64 s[6:7], s[2:3]
	s_cbranch_execz .LBB123_45
; %bb.38:
	s_ashr_i32 s15, s14, 31
	s_lshl_b64 s[0:1], s[14:15], 1
	s_add_u32 s0, s24, s0
	s_addc_u32 s1, s25, s1
	v_lshlrev_b32_e32 v2, 4, v27
	v_mov_b32_e32 v3, v20
	s_add_i32 s14, s33, -1
	v_lshl_add_u64 v[22:23], s[0:1], 0, v[2:3]
	s_lshl_b64 s[0:1], s[22:23], 2
	v_mov_b32_e32 v2, 0x110
	s_add_u32 s0, s20, s0
	v_lshl_add_u32 v28, v26, 5, v2
	v_and_b32_e32 v2, 60, v6
	s_addc_u32 s1, s21, s1
	s_mov_b32 s26, s13
	s_mov_b32 s15, s11
	v_lshlrev_b32_e32 v21, 3, v26
	v_lshl_add_u64 v[24:25], s[0:1], 0, v[2:3]
	s_mov_b64 s[8:9], 0
	s_mov_b32 s20, 0x5040100
	v_mov_b32_e32 v18, 0
	v_mov_b32_e32 v19, v20
	s_branch .LBB123_40
.LBB123_39:                             ;   in Loop: Header=BB123_40 Depth=1
	s_or_b64 exec, exec, s[2:3]
	s_waitcnt lgkmcnt(0)
	v_cvt_pk_bf16_f32 v10, v10, s0
	s_waitcnt vmcnt(1)
	v_and_b32_e32 v31, 0xffff0000, v4
	v_lshlrev_b32_e32 v4, 16, v4
	v_lshlrev_b32_e32 v32, 16, v10
	v_cvt_pk_bf16_f32 v13, v13, s0
	v_mul_f32_e32 v4, v32, v4
	v_cvt_pk_bf16_f32 v14, v14, s0
	v_cvt_pk_bf16_f32 v15, v15, s0
	;; [unrolled: 1-line block ×3, first 2 shown]
	v_and_b32_e32 v4, 0xffff0000, v5
	v_lshlrev_b32_e32 v13, 16, v13
	v_cvt_pk_bf16_f32 v16, v16, s0
	v_cvt_pk_bf16_f32 v17, v17, s0
	;; [unrolled: 1-line block ×3, first 2 shown]
	v_and_b32_e32 v29, 0xffff0000, v2
	v_lshlrev_b32_e32 v15, 16, v15
	v_lshlrev_b32_e32 v2, 16, v2
	v_lshlrev_b32_e32 v14, 16, v14
	v_mul_f32_e32 v4, v13, v4
	v_cvt_pk_bf16_f32 v11, v11, s0
	v_mul_f32_e32 v29, v15, v29
	v_mul_f32_e32 v2, v14, v2
	v_and_b32_e32 v30, 0xffff0000, v3
	v_lshlrev_b32_e32 v17, 16, v17
	v_lshlrev_b32_e32 v3, 16, v3
	;; [unrolled: 1-line block ×3, first 2 shown]
	v_cvt_pk_bf16_f32 v33, v4, s0
	v_lshlrev_b32_e32 v4, 16, v5
	v_lshlrev_b32_e32 v5, 16, v12
	v_cvt_pk_bf16_f32 v29, v29, s0
	v_cvt_pk_bf16_f32 v2, v2, s0
	v_mul_f32_e32 v30, v17, v30
	v_mul_f32_e32 v3, v16, v3
	v_lshlrev_b32_e32 v11, 16, v11
	v_mul_f32_e32 v4, v5, v4
	v_cvt_pk_bf16_f32 v30, v30, s0
	v_cvt_pk_bf16_f32 v3, v3, s0
	v_mul_f32_e32 v31, v11, v31
	v_cvt_pk_bf16_f32 v12, v4, s0
	v_lshlrev_b32_e32 v2, 16, v2
	v_lshlrev_b32_e32 v4, 16, v29
	v_cvt_pk_bf16_f32 v31, v31, s0
	v_add_f32_e32 v2, v4, v2
	v_lshlrev_b32_e32 v3, 16, v3
	v_lshlrev_b32_e32 v4, 16, v30
	v_add_f32_e32 v4, v4, v3
	v_lshlrev_b32_e32 v3, 16, v10
	v_lshlrev_b32_e32 v10, 16, v31
	;; [unrolled: 3-line block ×3, first 2 shown]
	v_add_f32_e32 v12, v12, v3
	s_waitcnt vmcnt(0)
	v_lshlrev_b32_e32 v3, 16, v6
	v_mul_f32_e32 v3, v14, v3
	v_lshlrev_b32_e32 v14, 16, v7
	v_and_b32_e32 v7, 0xffff0000, v7
	v_and_b32_e32 v6, 0xffff0000, v6
	v_mul_f32_e32 v7, v17, v7
	v_mul_f32_e32 v6, v15, v6
	v_cvt_pk_bf16_f32 v15, v7, s0
	v_lshlrev_b32_e32 v7, 16, v8
	v_mul_f32_e32 v7, v32, v7
	v_mul_f32_e32 v14, v16, v14
	v_cvt_pk_bf16_f32 v16, v7, s0
	v_and_b32_e32 v7, 0xffff0000, v8
	v_mul_f32_e32 v7, v11, v7
	v_cvt_pk_bf16_f32 v11, v7, s0
	v_lshlrev_b32_e32 v7, 16, v9
	v_mul_f32_e32 v5, v5, v7
	v_and_b32_e32 v7, 0xffff0000, v9
	v_cvt_pk_bf16_f32 v3, v3, s0
	v_cvt_pk_bf16_f32 v6, v6, s0
	;; [unrolled: 1-line block ×3, first 2 shown]
	v_mul_f32_e32 v7, v13, v7
	v_cvt_pk_bf16_f32 v5, v5, s0
	v_cvt_pk_bf16_f32 v13, v7, s0
	v_lshlrev_b32_e32 v7, 16, v6
	v_lshlrev_b32_e32 v9, 16, v3
	;; [unrolled: 1-line block ×4, first 2 shown]
	v_pk_add_f32 v[6:7], v[8:9], v[6:7]
	v_lshlrev_b32_e32 v9, 16, v11
	v_lshlrev_b32_e32 v15, 16, v16
	;; [unrolled: 1-line block ×4, first 2 shown]
	v_pk_add_f32 v[8:9], v[14:15], v[8:9]
	v_mov_b32_e32 v5, v6
	v_mov_b32_e32 v3, v7
	;; [unrolled: 1-line block ×3, first 2 shown]
	v_pk_add_f32 v[2:3], v[4:5], v[2:3]
	v_mov_b32_e32 v13, v8
	v_pk_add_f32 v[2:3], v[10:11], v[2:3]
	v_add_u32_e32 v26, 2, v26
	v_pk_add_f32 v[2:3], v[12:13], v[2:3]
	v_cmp_le_i32_e32 vcc, s33, v26
	v_pk_add_f32 v[18:19], v[18:19], v[2:3]
	v_add_u32_e32 v21, 16, v21
	v_add_u32_e32 v28, 64, v28
	s_or_b64 s[8:9], vcc, s[8:9]
	v_lshl_add_u64 v[24:25], v[24:25], 0, 8
	s_andn2_b64 exec, exec, s[8:9]
	s_cbranch_execz .LBB123_44
.LBB123_40:                             ; =>This Inner Loop Header: Depth=1
	global_load_dword v2, v[24:25], off
	v_add_u32_e32 v35, 1, v21
	v_or_b32_e32 v33, 3, v21
	v_or_b32_e32 v34, 2, v21
	;; [unrolled: 1-line block ×6, first 2 shown]
	s_waitcnt vmcnt(0)
	v_mad_i64_i32 v[2:3], s[0:1], v2, s26, 0
	v_lshl_add_u64 v[6:7], v[2:3], 1, v[22:23]
	global_load_dwordx4 v[2:5], v[6:7], off
	ds_read2_b64 v[14:17], v28 offset1:1
	ds_read2_b64 v[10:13], v28 offset0:2 offset1:3
	v_cmp_eq_u32_e64 s[0:1], s14, v26
	s_and_saveexec_b64 s[12:13], s[0:1]
	s_cbranch_execz .LBB123_42
; %bb.41:                               ;   in Loop: Header=BB123_40 Depth=1
	v_cmp_gt_i32_e32 vcc, s15, v35
	v_cmp_gt_i32_e64 s[2:3], s11, v34
	s_waitcnt vmcnt(0)
	v_cndmask_b32_sdwa v8, v20, v2, vcc dst_sel:DWORD dst_unused:UNUSED_PAD src0_sel:DWORD src1_sel:WORD_1
	v_cmp_gt_i32_e32 vcc, s11, v21
	s_nop 1
	v_cndmask_b32_e32 v2, 0, v2, vcc
	v_cmp_gt_i32_e32 vcc, s15, v33
	v_perm_b32 v2, v8, v2, s20
	v_cndmask_b32_e64 v8, 0, v3, s[2:3]
	v_cndmask_b32_sdwa v3, v20, v3, vcc dst_sel:DWORD dst_unused:UNUSED_PAD src0_sel:DWORD src1_sel:WORD_1
	v_cmp_gt_i32_e32 vcc, s15, v31
	v_cmp_gt_i32_e64 s[2:3], s11, v32
	v_perm_b32 v3, v3, v8, s20
	s_nop 0
	v_cndmask_b32_e64 v8, 0, v4, s[2:3]
	v_cndmask_b32_sdwa v4, v20, v4, vcc dst_sel:DWORD dst_unused:UNUSED_PAD src0_sel:DWORD src1_sel:WORD_1
	v_cmp_gt_i32_e32 vcc, s15, v29
	v_cmp_gt_i32_e64 s[2:3], s11, v30
	v_perm_b32 v4, v4, v8, s20
	s_nop 0
	v_cndmask_b32_e64 v8, 0, v5, s[2:3]
	v_cndmask_b32_sdwa v5, v20, v5, vcc dst_sel:DWORD dst_unused:UNUSED_PAD src0_sel:DWORD src1_sel:WORD_1
	v_perm_b32 v5, v5, v8, s20
.LBB123_42:                             ;   in Loop: Header=BB123_40 Depth=1
	s_or_b64 exec, exec, s[12:13]
	global_load_dwordx4 v[6:9], v[6:7], off offset:1024
	s_and_saveexec_b64 s[2:3], s[0:1]
	s_cbranch_execz .LBB123_39
; %bb.43:                               ;   in Loop: Header=BB123_40 Depth=1
	v_cmp_gt_i32_e32 vcc, s15, v35
	v_cmp_gt_i32_e64 s[0:1], s11, v34
	s_waitcnt vmcnt(0)
	v_cndmask_b32_sdwa v35, v20, v6, vcc dst_sel:DWORD dst_unused:UNUSED_PAD src0_sel:DWORD src1_sel:WORD_1
	v_cmp_gt_i32_e32 vcc, s11, v21
	s_nop 1
	v_cndmask_b32_e32 v6, 0, v6, vcc
	v_cmp_gt_i32_e32 vcc, s15, v33
	v_cndmask_b32_e64 v33, 0, v7, s[0:1]
	v_cmp_gt_i32_e64 s[0:1], s11, v32
	v_cndmask_b32_sdwa v7, v20, v7, vcc dst_sel:DWORD dst_unused:UNUSED_PAD src0_sel:DWORD src1_sel:WORD_1
	v_cmp_gt_i32_e32 vcc, s15, v31
	v_cndmask_b32_e64 v31, 0, v8, s[0:1]
	v_cmp_gt_i32_e64 s[0:1], s11, v30
	v_cndmask_b32_sdwa v8, v20, v8, vcc dst_sel:DWORD dst_unused:UNUSED_PAD src0_sel:DWORD src1_sel:WORD_1
	v_cmp_gt_i32_e32 vcc, s15, v29
	v_cndmask_b32_e64 v29, 0, v9, s[0:1]
	v_perm_b32 v6, v35, v6, s20
	v_cndmask_b32_sdwa v9, v20, v9, vcc dst_sel:DWORD dst_unused:UNUSED_PAD src0_sel:DWORD src1_sel:WORD_1
	v_perm_b32 v7, v7, v33, s20
	v_perm_b32 v8, v8, v31, s20
	;; [unrolled: 1-line block ×3, first 2 shown]
	s_branch .LBB123_39
.LBB123_44:
	s_or_b64 exec, exec, s[8:9]
.LBB123_45:
	s_or_b64 exec, exec, s[6:7]
	v_and_b32_e32 v2, 0x3c0, v0
	v_cmp_eq_u32_e32 vcc, 64, v2
	s_barrier
	s_and_saveexec_b64 s[0:1], vcc
; %bb.46:
	v_mov_b32_e32 v2, 0x110
	v_lshl_add_u32 v2, v27, 2, v2
	ds_write2st64_b32 v2, v18, v19 offset1:1
; %bb.47:
	s_or_b64 exec, exec, s[0:1]
	v_cmp_gt_u32_e32 vcc, 64, v0
	s_waitcnt lgkmcnt(0)
	s_barrier
	s_and_saveexec_b64 s[0:1], vcc
	s_cbranch_execz .LBB123_49
; %bb.48:
	v_mov_b32_e32 v2, 0x110
	v_lshl_add_u32 v0, v0, 2, v2
	ds_read2st64_b32 v[2:3], v0 offset1:1
	s_waitcnt lgkmcnt(0)
	v_pk_add_f32 v[18:19], v[18:19], v[2:3]
.LBB123_49:
	s_or_b64 exec, exec, s[0:1]
	s_barrier
	s_and_saveexec_b64 s[0:1], vcc
	s_cbranch_execz .LBB123_51
; %bb.50:
	s_mul_i32 s0, s10, s17
	s_mul_i32 s0, s0, s5
	s_lshl_b32 s0, s0, 7
	s_ashr_i32 s1, s0, 31
	s_lshl_b64 s[0:1], s[0:1], 1
	s_add_u32 s2, s18, s0
	s_mul_i32 s0, s17, s16
	s_addc_u32 s3, s19, s1
	s_ashr_i32 s1, s0, 31
	s_lshl_b64 s[0:1], s[0:1], 1
	s_add_u32 s2, s2, s0
	s_addc_u32 s3, s3, s1
	s_lshl_b32 s0, s4, 7
	s_ashr_i32 s1, s0, 31
	s_lshl_b64 s[0:1], s[0:1], 1
	s_add_u32 s0, s2, s0
	s_addc_u32 s1, s3, s1
	v_cvt_pk_bf16_f32 v0, v18, s0
	global_store_short v1, v0, s[0:1]
	v_cvt_pk_bf16_f32 v0, v19, s0
	global_store_short v1, v0, s[0:1] offset:128
.LBB123_51:
	s_endpgm
	.section	.rodata,"a",@progbits
	.p2align	6, 0x0
	.amdhsa_kernel _ZN4vllm25paged_attention_v1_kernelI14__hip_bfloat16S1_Li128ELi8ELi128ELNS_18Fp8KVCacheDataTypeE0ELb0EEEvPT_PKS3_PKT0_S9_ifPKiSB_iPKfiiiSD_SD_iiiii
		.amdhsa_group_segment_fixed_size 272
		.amdhsa_private_segment_fixed_size 0
		.amdhsa_kernarg_size 384
		.amdhsa_user_sgpr_count 2
		.amdhsa_user_sgpr_dispatch_ptr 0
		.amdhsa_user_sgpr_queue_ptr 0
		.amdhsa_user_sgpr_kernarg_segment_ptr 1
		.amdhsa_user_sgpr_dispatch_id 0
		.amdhsa_user_sgpr_kernarg_preload_length 0
		.amdhsa_user_sgpr_kernarg_preload_offset 0
		.amdhsa_user_sgpr_private_segment_size 0
		.amdhsa_uses_dynamic_stack 0
		.amdhsa_enable_private_segment 0
		.amdhsa_system_sgpr_workgroup_id_x 1
		.amdhsa_system_sgpr_workgroup_id_y 1
		.amdhsa_system_sgpr_workgroup_id_z 1
		.amdhsa_system_sgpr_workgroup_info 0
		.amdhsa_system_vgpr_workitem_id 0
		.amdhsa_next_free_vgpr 51
		.amdhsa_next_free_sgpr 34
		.amdhsa_accum_offset 52
		.amdhsa_reserve_vcc 1
		.amdhsa_float_round_mode_32 0
		.amdhsa_float_round_mode_16_64 0
		.amdhsa_float_denorm_mode_32 3
		.amdhsa_float_denorm_mode_16_64 3
		.amdhsa_dx10_clamp 1
		.amdhsa_ieee_mode 1
		.amdhsa_fp16_overflow 0
		.amdhsa_tg_split 0
		.amdhsa_exception_fp_ieee_invalid_op 0
		.amdhsa_exception_fp_denorm_src 0
		.amdhsa_exception_fp_ieee_div_zero 0
		.amdhsa_exception_fp_ieee_overflow 0
		.amdhsa_exception_fp_ieee_underflow 0
		.amdhsa_exception_fp_ieee_inexact 0
		.amdhsa_exception_int_div_zero 0
	.end_amdhsa_kernel
	.section	.text._ZN4vllm25paged_attention_v1_kernelI14__hip_bfloat16S1_Li128ELi8ELi128ELNS_18Fp8KVCacheDataTypeE0ELb0EEEvPT_PKS3_PKT0_S9_ifPKiSB_iPKfiiiSD_SD_iiiii,"axG",@progbits,_ZN4vllm25paged_attention_v1_kernelI14__hip_bfloat16S1_Li128ELi8ELi128ELNS_18Fp8KVCacheDataTypeE0ELb0EEEvPT_PKS3_PKT0_S9_ifPKiSB_iPKfiiiSD_SD_iiiii,comdat
.Lfunc_end123:
	.size	_ZN4vllm25paged_attention_v1_kernelI14__hip_bfloat16S1_Li128ELi8ELi128ELNS_18Fp8KVCacheDataTypeE0ELb0EEEvPT_PKS3_PKT0_S9_ifPKiSB_iPKfiiiSD_SD_iiiii, .Lfunc_end123-_ZN4vllm25paged_attention_v1_kernelI14__hip_bfloat16S1_Li128ELi8ELi128ELNS_18Fp8KVCacheDataTypeE0ELb0EEEvPT_PKS3_PKT0_S9_ifPKiSB_iPKfiiiSD_SD_iiiii
                                        ; -- End function
	.set _ZN4vllm25paged_attention_v1_kernelI14__hip_bfloat16S1_Li128ELi8ELi128ELNS_18Fp8KVCacheDataTypeE0ELb0EEEvPT_PKS3_PKT0_S9_ifPKiSB_iPKfiiiSD_SD_iiiii.num_vgpr, 51
	.set _ZN4vllm25paged_attention_v1_kernelI14__hip_bfloat16S1_Li128ELi8ELi128ELNS_18Fp8KVCacheDataTypeE0ELb0EEEvPT_PKS3_PKT0_S9_ifPKiSB_iPKfiiiSD_SD_iiiii.num_agpr, 0
	.set _ZN4vllm25paged_attention_v1_kernelI14__hip_bfloat16S1_Li128ELi8ELi128ELNS_18Fp8KVCacheDataTypeE0ELb0EEEvPT_PKS3_PKT0_S9_ifPKiSB_iPKfiiiSD_SD_iiiii.numbered_sgpr, 34
	.set _ZN4vllm25paged_attention_v1_kernelI14__hip_bfloat16S1_Li128ELi8ELi128ELNS_18Fp8KVCacheDataTypeE0ELb0EEEvPT_PKS3_PKT0_S9_ifPKiSB_iPKfiiiSD_SD_iiiii.num_named_barrier, 0
	.set _ZN4vllm25paged_attention_v1_kernelI14__hip_bfloat16S1_Li128ELi8ELi128ELNS_18Fp8KVCacheDataTypeE0ELb0EEEvPT_PKS3_PKT0_S9_ifPKiSB_iPKfiiiSD_SD_iiiii.private_seg_size, 0
	.set _ZN4vllm25paged_attention_v1_kernelI14__hip_bfloat16S1_Li128ELi8ELi128ELNS_18Fp8KVCacheDataTypeE0ELb0EEEvPT_PKS3_PKT0_S9_ifPKiSB_iPKfiiiSD_SD_iiiii.uses_vcc, 1
	.set _ZN4vllm25paged_attention_v1_kernelI14__hip_bfloat16S1_Li128ELi8ELi128ELNS_18Fp8KVCacheDataTypeE0ELb0EEEvPT_PKS3_PKT0_S9_ifPKiSB_iPKfiiiSD_SD_iiiii.uses_flat_scratch, 0
	.set _ZN4vllm25paged_attention_v1_kernelI14__hip_bfloat16S1_Li128ELi8ELi128ELNS_18Fp8KVCacheDataTypeE0ELb0EEEvPT_PKS3_PKT0_S9_ifPKiSB_iPKfiiiSD_SD_iiiii.has_dyn_sized_stack, 0
	.set _ZN4vllm25paged_attention_v1_kernelI14__hip_bfloat16S1_Li128ELi8ELi128ELNS_18Fp8KVCacheDataTypeE0ELb0EEEvPT_PKS3_PKT0_S9_ifPKiSB_iPKfiiiSD_SD_iiiii.has_recursion, 0
	.set _ZN4vllm25paged_attention_v1_kernelI14__hip_bfloat16S1_Li128ELi8ELi128ELNS_18Fp8KVCacheDataTypeE0ELb0EEEvPT_PKS3_PKT0_S9_ifPKiSB_iPKfiiiSD_SD_iiiii.has_indirect_call, 0
	.section	.AMDGPU.csdata,"",@progbits
; Kernel info:
; codeLenInByte = 4148
; TotalNumSgprs: 40
; NumVgprs: 51
; NumAgprs: 0
; TotalNumVgprs: 51
; ScratchSize: 0
; MemoryBound: 0
; FloatMode: 240
; IeeeMode: 1
; LDSByteSize: 272 bytes/workgroup (compile time only)
; SGPRBlocks: 4
; VGPRBlocks: 6
; NumSGPRsForWavesPerEU: 40
; NumVGPRsForWavesPerEU: 51
; AccumOffset: 52
; Occupancy: 8
; WaveLimiterHint : 1
; COMPUTE_PGM_RSRC2:SCRATCH_EN: 0
; COMPUTE_PGM_RSRC2:USER_SGPR: 2
; COMPUTE_PGM_RSRC2:TRAP_HANDLER: 0
; COMPUTE_PGM_RSRC2:TGID_X_EN: 1
; COMPUTE_PGM_RSRC2:TGID_Y_EN: 1
; COMPUTE_PGM_RSRC2:TGID_Z_EN: 1
; COMPUTE_PGM_RSRC2:TIDIG_COMP_CNT: 0
; COMPUTE_PGM_RSRC3_GFX90A:ACCUM_OFFSET: 12
; COMPUTE_PGM_RSRC3_GFX90A:TG_SPLIT: 0
	.section	.text._ZN4vllm25paged_attention_v1_kernelI14__hip_bfloat16S1_Li192ELi8ELi128ELNS_18Fp8KVCacheDataTypeE0ELb0EEEvPT_PKS3_PKT0_S9_ifPKiSB_iPKfiiiSD_SD_iiiii,"axG",@progbits,_ZN4vllm25paged_attention_v1_kernelI14__hip_bfloat16S1_Li192ELi8ELi128ELNS_18Fp8KVCacheDataTypeE0ELb0EEEvPT_PKS3_PKT0_S9_ifPKiSB_iPKfiiiSD_SD_iiiii,comdat
	.protected	_ZN4vllm25paged_attention_v1_kernelI14__hip_bfloat16S1_Li192ELi8ELi128ELNS_18Fp8KVCacheDataTypeE0ELb0EEEvPT_PKS3_PKT0_S9_ifPKiSB_iPKfiiiSD_SD_iiiii ; -- Begin function _ZN4vllm25paged_attention_v1_kernelI14__hip_bfloat16S1_Li192ELi8ELi128ELNS_18Fp8KVCacheDataTypeE0ELb0EEEvPT_PKS3_PKT0_S9_ifPKiSB_iPKfiiiSD_SD_iiiii
	.globl	_ZN4vllm25paged_attention_v1_kernelI14__hip_bfloat16S1_Li192ELi8ELi128ELNS_18Fp8KVCacheDataTypeE0ELb0EEEvPT_PKS3_PKT0_S9_ifPKiSB_iPKfiiiSD_SD_iiiii
	.p2align	8
	.type	_ZN4vllm25paged_attention_v1_kernelI14__hip_bfloat16S1_Li192ELi8ELi128ELNS_18Fp8KVCacheDataTypeE0ELb0EEEvPT_PKS3_PKT0_S9_ifPKiSB_iPKfiiiSD_SD_iiiii,@function
_ZN4vllm25paged_attention_v1_kernelI14__hip_bfloat16S1_Li192ELi8ELi128ELNS_18Fp8KVCacheDataTypeE0ELb0EEEvPT_PKS3_PKT0_S9_ifPKiSB_iPKfiiiSD_SD_iiiii: ; @_ZN4vllm25paged_attention_v1_kernelI14__hip_bfloat16S1_Li192ELi8ELi128ELNS_18Fp8KVCacheDataTypeE0ELb0EEEvPT_PKS3_PKT0_S9_ifPKiSB_iPKfiiiSD_SD_iiiii
; %bb.0:
	s_load_dword s5, s[0:1], 0x80
	s_load_dwordx2 s[6:7], s[0:1], 0x30
	s_load_dwordx2 s[8:9], s[0:1], 0x20
	s_mov_b32 s10, s3
	s_ashr_i32 s11, s3, 31
	s_lshl_b64 s[12:13], s[10:11], 2
	s_waitcnt lgkmcnt(0)
	s_add_u32 s6, s6, s12
	s_addc_u32 s7, s7, s13
	s_abs_i32 s3, s8
	v_cvt_f32_u32_e32 v1, s3
	s_sub_i32 s12, 0, s3
	s_abs_i32 s11, s5
	s_xor_b32 s8, s5, s8
	v_rcp_iflag_f32_e32 v1, v1
	s_ashr_i32 s8, s8, 31
	v_mul_f32_e32 v1, 0x4f7ffffe, v1
	v_cvt_u32_f32_e32 v1, v1
	s_nop 0
	v_readfirstlane_b32 s13, v1
	s_mul_i32 s12, s12, s13
	s_mul_hi_u32 s12, s13, s12
	s_add_i32 s13, s13, s12
	s_mul_hi_u32 s12, s11, s13
	s_mul_i32 s13, s12, s3
	s_sub_i32 s11, s11, s13
	s_add_i32 s13, s12, 1
	s_sub_i32 s14, s11, s3
	s_cmp_ge_u32 s11, s3
	s_cselect_b32 s12, s13, s12
	s_cselect_b32 s11, s14, s11
	s_add_i32 s13, s12, 1
	s_cmp_ge_u32 s11, s3
	s_cselect_b32 s3, s13, s12
	s_xor_b32 s3, s3, s8
	s_sub_i32 s11, s3, s8
	s_abs_i32 s18, s11
	v_cvt_f32_u32_e32 v1, s18
	s_load_dwordx2 s[12:13], s[0:1], 0x40
	s_sub_i32 s3, 0, s18
	s_abs_i32 s19, s2
	v_rcp_iflag_f32_e32 v1, v1
	s_mov_b32 s8, 0
	v_mul_f32_e32 v1, 0x4f7ffffe, v1
	v_cvt_u32_f32_e32 v1, v1
	s_nop 0
	v_readfirstlane_b32 s14, v1
	s_mul_i32 s3, s3, s14
	s_mul_hi_u32 s3, s14, s3
	s_add_i32 s14, s14, s3
	s_waitcnt lgkmcnt(0)
	s_cmp_eq_u64 s[12:13], 0
	s_mul_hi_u32 s22, s19, s14
	s_cbranch_scc1 .LBB124_2
; %bb.1:
	s_ashr_i32 s3, s2, 31
	s_lshl_b64 s[14:15], s[2:3], 2
	s_add_u32 s12, s12, s14
	s_addc_u32 s13, s13, s15
	s_load_dword s8, s[12:13], 0x0
.LBB124_2:
	s_load_dword s33, s[6:7], 0x0
	s_ashr_i32 s24, s11, 31
	s_load_dword s11, s[0:1], 0x88
	s_load_dwordx4 s[12:15], s[0:1], 0x48
	s_movk_i32 s3, 0xc0
	s_ashr_i32 s23, s2, 31
	v_and_b32_e32 v4, 7, v0
	s_mul_i32 s16, s2, 0xc0
	v_cmp_gt_u32_e32 vcc, s3, v0
	v_lshlrev_b32_e32 v1, 1, v0
	s_and_saveexec_b64 s[2:3], vcc
	s_cbranch_execz .LBB124_5
; %bb.3:
	s_load_dwordx2 s[6:7], s[0:1], 0x8
	s_waitcnt lgkmcnt(0)
	s_mul_i32 s20, s12, s10
	s_ashr_i32 s21, s20, 31
	s_lshl_b64 s[20:21], s[20:21], 1
	v_lshrrev_b32_e32 v3, 3, v0
	s_add_u32 s12, s6, s20
	s_addc_u32 s15, s7, s21
	s_ashr_i32 s17, s16, 31
	s_lshl_b64 s[6:7], s[16:17], 1
	s_add_u32 s6, s12, s6
	s_addc_u32 s7, s15, s7
	global_load_ushort v5, v1, s[6:7]
	v_lshlrev_b32_e32 v2, 1, v3
	v_mad_u32_u24 v2, v4, 48, v2
	v_cmp_gt_u32_e32 vcc, 64, v0
	s_waitcnt vmcnt(0)
	ds_write_b16 v2, v5
	s_and_b64 exec, exec, vcc
	s_cbranch_execz .LBB124_5
; %bb.4:
	v_lshlrev_b32_e32 v3, 4, v3
	v_lshlrev_b32_e32 v5, 1, v4
	s_movk_i32 s12, 0x100
	v_or3_b32 v3, v3, v5, s12
	global_load_ushort v3, v3, s[6:7]
	s_waitcnt vmcnt(0)
	ds_write_b16 v2, v3 offset:32
.LBB124_5:
	s_or_b64 exec, exec, s[2:3]
	s_waitcnt lgkmcnt(0)
	s_add_i32 s3, s33, 7
	s_ashr_i32 s6, s3, 31
	s_lshr_b32 s6, s6, 29
	s_add_i32 s3, s3, s6
	s_mul_i32 s6, s22, s18
	s_sub_i32 s6, s19, s6
	s_ashr_i32 s17, s3, 3
	s_xor_b32 s3, s23, s24
	s_add_i32 s7, s22, 1
	s_sub_i32 s12, s6, s18
	s_load_dwordx2 s[20:21], s[0:1], 0x28
	s_load_dword s2, s[0:1], 0x38
	s_cmp_ge_u32 s6, s18
	s_cselect_b32 s7, s7, s22
	s_cselect_b32 s6, s12, s6
	s_add_i32 s12, s7, 1
	s_cmp_ge_u32 s6, s18
	s_cselect_b32 s6, s12, s7
	v_lshrrev_b32_e32 v30, 6, v0
	s_xor_b32 s6, s6, s3
	s_waitcnt lgkmcnt(0)
	s_mul_i32 s22, s2, s10
	s_sub_i32 s12, s6, s3
	s_ashr_i32 s23, s22, 31
	v_cmp_gt_i32_e64 s[6:7], s17, v30
	v_cmp_le_i32_e32 vcc, s17, v30
	v_mbcnt_lo_u32_b32 v5, -1, 0
	s_barrier
                                        ; implicit-def: $vgpr7
                                        ; implicit-def: $vgpr9
                                        ; implicit-def: $vgpr8
	s_and_saveexec_b64 s[2:3], vcc
	s_xor_b64 s[2:3], exec, s[2:3]
; %bb.6:
	v_mbcnt_hi_u32_b32 v7, -1, v5
	v_and_b32_e32 v9, 64, v7
	v_add_u32_e32 v8, 64, v9
                                        ; implicit-def: $vgpr4
                                        ; implicit-def: $vgpr5
; %bb.7:
	s_or_saveexec_b64 s[26:27], s[2:3]
	s_load_dwordx2 s[18:19], s[0:1], 0x0
	s_load_dwordx2 s[24:25], s[0:1], 0x18
	v_mov_b32_e32 v32, 0xff7fffff
	s_mul_i32 s14, s12, s14
	v_lshrrev_b32_e32 v6, 4, v0
	s_xor_b64 exec, exec, s[26:27]
	s_cbranch_execz .LBB124_13
; %bb.8:
	v_mul_u32_u24_e32 v7, 48, v4
	ds_read_b128 v[14:17], v7
	ds_read_b128 v[22:25], v7 offset:16
	ds_read_b128 v[32:35], v7 offset:32
	v_mbcnt_hi_u32_b32 v7, -1, v5
	v_and_b32_e32 v9, 64, v7
	s_load_dwordx2 s[0:1], s[0:1], 0x10
	v_add_u32_e32 v8, 64, v9
	v_xor_b32_e32 v5, 4, v7
	v_cmp_lt_i32_e32 vcc, v5, v8
	s_ashr_i32 s15, s14, 31
	s_lshl_b64 s[2:3], s[14:15], 1
	v_cndmask_b32_e32 v5, v7, v5, vcc
	v_lshlrev_b32_e32 v36, 2, v5
	v_xor_b32_e32 v5, 2, v7
	v_cmp_lt_i32_e32 vcc, v5, v8
	v_bfe_u32 v40, v0, 3, 3
	s_waitcnt lgkmcnt(0)
	s_add_u32 s0, s0, s2
	v_cndmask_b32_e32 v5, v7, v5, vcc
	s_addc_u32 s1, s1, s3
	v_lshlrev_b32_e32 v42, 4, v40
	v_mov_b32_e32 v43, 0
	v_lshlrev_b32_e32 v37, 2, v5
	v_xor_b32_e32 v5, 1, v7
	v_lshl_add_u64 v[2:3], s[0:1], 0, v[42:43]
	v_cmp_lt_i32_e32 vcc, v5, v8
	s_sub_i32 s15, 1, s33
	s_lshl_b64 s[0:1], s[22:23], 2
	v_lshlrev_b32_e32 v42, 1, v4
	v_cndmask_b32_e32 v5, v7, v5, vcc
	v_cmp_eq_u32_e32 vcc, 0, v4
	v_lshlrev_b32_e32 v4, 2, v40
	s_add_u32 s0, s20, s0
	v_lshl_add_u64 v[2:3], v[2:3], 0, v[42:43]
	v_lshl_or_b32 v4, v30, 5, v4
	v_and_b32_e32 v42, 60, v6
	s_addc_u32 s1, s21, s1
	s_mov_b32 s12, s13
	v_lshlrev_b32_e32 v10, 16, v14
	v_and_b32_e32 v11, 0xffff0000, v14
	v_lshlrev_b32_e32 v12, 16, v15
	v_and_b32_e32 v13, 0xffff0000, v15
	;; [unrolled: 2-line block ×12, first 2 shown]
	v_lshlrev_b32_e32 v38, 2, v5
	v_cmp_neq_f32_e64 s[2:3], s8, 0
	v_lshl_or_b32 v39, v30, 3, v40
	v_add_u32_e32 v40, 0x190, v4
	v_lshl_add_u64 v[4:5], s[0:1], 0, v[42:43]
	v_mov_b32_e32 v32, 0xff7fffff
	s_mov_b64 s[28:29], 0
	v_mov_b32_e32 v41, v30
	s_branch .LBB124_10
.LBB124_9:                              ;   in Loop: Header=BB124_10 Depth=1
	s_or_b64 exec, exec, s[30:31]
	v_add_u32_e32 v41, 2, v41
	v_cmp_le_i32_e64 s[0:1], s17, v41
	v_add_u32_e32 v39, 16, v39
	v_add_u32_e32 v40, 64, v40
	s_or_b64 s[28:29], s[0:1], s[28:29]
	v_lshl_add_u64 v[4:5], v[4:5], 0, 8
	s_andn2_b64 exec, exec, s[28:29]
	s_cbranch_execz .LBB124_12
.LBB124_10:                             ; =>This Inner Loop Header: Depth=1
	global_load_dword v42, v[4:5], off
	s_waitcnt vmcnt(0) lgkmcnt(0)
	v_mad_i64_i32 v[42:43], s[0:1], v42, s12, 0
	v_lshl_add_u64 v[42:43], v[42:43], 1, v[2:3]
	global_load_ushort v44, v[42:43], off
	global_load_ushort v45, v[42:43], off offset:128
	global_load_ushort v46, v[42:43], off offset:256
	;; [unrolled: 1-line block ×22, first 2 shown]
	s_nop 0
	global_load_ushort v42, v[42:43], off offset:2944
	s_waitcnt vmcnt(23)
	v_lshlrev_b32_e32 v43, 16, v44
	s_waitcnt vmcnt(22)
	v_lshlrev_b32_e32 v44, 16, v45
	v_mul_f32_e32 v44, v11, v44
	s_waitcnt vmcnt(21)
	v_lshlrev_b32_e32 v45, 16, v46
	v_fmac_f32_e32 v44, v10, v43
	s_waitcnt vmcnt(20)
	v_lshlrev_b32_e32 v46, 16, v47
	v_fmac_f32_e32 v44, v12, v45
	;; [unrolled: 3-line block ×21, first 2 shown]
	v_fmac_f32_e32 v44, v34, v65
	s_waitcnt vmcnt(0)
	v_lshlrev_b32_e32 v42, 16, v42
	v_fmac_f32_e32 v44, v35, v42
	ds_bpermute_b32 v42, v36, v44
	s_waitcnt lgkmcnt(0)
	v_add_f32_e32 v42, v44, v42
	ds_bpermute_b32 v43, v37, v42
	s_waitcnt lgkmcnt(0)
	v_add_f32_e32 v42, v42, v43
	ds_bpermute_b32 v43, v38, v42
	s_and_saveexec_b64 s[30:31], vcc
	s_cbranch_execz .LBB124_9
; %bb.11:                               ;   in Loop: Header=BB124_10 Depth=1
	v_add_u32_e32 v44, s15, v39
	v_cvt_f32_i32_e32 v44, v44
	s_waitcnt lgkmcnt(0)
	v_add_f32_e32 v42, v42, v43
	v_cmp_gt_i32_e64 s[0:1], s33, v39
	v_max_f32_e32 v43, v32, v32
	v_mul_f32_e32 v44, s8, v44
	v_cndmask_b32_e64 v44, 0, v44, s[2:3]
	v_fmac_f32_e32 v44, s9, v42
	v_cndmask_b32_e64 v42, 0, v44, s[0:1]
	ds_write_b32 v40, v42
	v_max_f32_e32 v42, v43, v44
	v_cndmask_b32_e64 v32, v32, v42, s[0:1]
	s_branch .LBB124_9
.LBB124_12:
	s_or_b64 exec, exec, s[28:29]
.LBB124_13:
	s_or_b64 exec, exec, s[26:27]
	v_xor_b32_e32 v2, 32, v7
	v_cmp_lt_i32_e32 vcc, v2, v8
	v_xor_b32_e32 v5, 16, v7
	v_max_f32_e32 v4, v32, v32
	v_cndmask_b32_e32 v2, v7, v2, vcc
	v_lshlrev_b32_e32 v3, 2, v2
	ds_bpermute_b32 v2, v3, v32
	v_cmp_lt_i32_e32 vcc, v5, v8
	v_xor_b32_e32 v10, 8, v7
	v_and_b32_e32 v31, 63, v0
	s_waitcnt lgkmcnt(0)
	v_max_f32_e32 v2, v2, v2
	v_max_f32_e32 v2, v4, v2
	v_cndmask_b32_e32 v4, v7, v5, vcc
	v_lshlrev_b32_e32 v5, 2, v4
	ds_bpermute_b32 v4, v5, v2
	v_cmp_lt_i32_e32 vcc, v10, v8
	s_waitcnt lgkmcnt(0)
	v_max_f32_e32 v4, v4, v4
	v_max_f32_e32 v4, v2, v4
	v_cndmask_b32_e32 v2, v7, v10, vcc
	v_lshlrev_b32_e32 v11, 2, v2
	ds_bpermute_b32 v10, v11, v4
	v_cmp_eq_u32_e32 vcc, 0, v31
	v_lshlrev_b32_e32 v2, 2, v30
	s_and_saveexec_b64 s[0:1], vcc
	s_cbranch_execz .LBB124_15
; %bb.14:
	s_waitcnt lgkmcnt(0)
	v_max_f32_e32 v10, v10, v10
	v_max_f32_e32 v4, v4, v4
	v_max_f32_e32 v4, v4, v10
	ds_write_b32 v2, v4 offset:384
.LBB124_15:
	s_or_b64 exec, exec, s[0:1]
	v_cmp_gt_u32_e64 s[0:1], 2, v31
	v_mov_b32_e32 v12, 0xff7fffff
	v_lshlrev_b32_e32 v4, 2, v31
	s_waitcnt lgkmcnt(0)
	s_barrier
	s_and_saveexec_b64 s[2:3], s[0:1]
; %bb.16:
	ds_read_b32 v12, v4 offset:384
; %bb.17:
	s_or_b64 exec, exec, s[2:3]
	v_xor_b32_e32 v10, 1, v7
	v_cmp_lt_i32_e64 s[2:3], v10, v8
	v_lshlrev_b32_e32 v9, 2, v9
	s_nop 0
	v_cndmask_b32_e64 v10, v7, v10, s[2:3]
	v_lshlrev_b32_e32 v10, 2, v10
	s_waitcnt lgkmcnt(0)
	ds_bpermute_b32 v13, v10, v12
	v_max_f32_e32 v12, v12, v12
	s_lshl_b32 s2, s17, 3
	s_min_i32 s12, s2, s33
	v_cmp_gt_i32_e64 s[2:3], s12, v0
	s_waitcnt lgkmcnt(0)
	v_max_f32_e32 v13, v13, v13
	v_max_f32_e32 v12, v12, v13
	ds_bpermute_b32 v12, v9, v12
	v_mov_b32_e32 v9, 0
	s_and_saveexec_b64 s[26:27], s[2:3]
	s_cbranch_execz .LBB124_21
; %bb.18:
	v_mov_b32_e32 v9, 0x190
	v_lshl_add_u32 v13, v0, 2, v9
	v_mov_b32_e32 v9, 0
	s_mov_b64 s[28:29], 0
	v_mov_b32_e32 v14, v0
.LBB124_19:                             ; =>This Inner Loop Header: Depth=1
	ds_read_b32 v15, v13
	v_add_u32_e32 v14, 0x80, v14
	v_cmp_le_i32_e64 s[8:9], s12, v14
	s_or_b64 s[28:29], s[8:9], s[28:29]
	s_waitcnt lgkmcnt(0)
	v_sub_f32_e32 v15, v15, v12
	v_mul_f32_e32 v15, 0x3fb8aa3b, v15
	v_exp_f32_e32 v15, v15
	ds_write_b32 v13, v15
	v_add_f32_e32 v9, v9, v15
	v_add_u32_e32 v13, 0x200, v13
	s_andn2_b64 exec, exec, s[28:29]
	s_cbranch_execnz .LBB124_19
; %bb.20:
	s_or_b64 exec, exec, s[28:29]
.LBB124_21:
	s_or_b64 exec, exec, s[26:27]
	ds_bpermute_b32 v3, v3, v9
	s_waitcnt lgkmcnt(0)
	v_add_f32_e32 v3, v9, v3
	ds_bpermute_b32 v5, v5, v3
	v_xor_b32_e32 v9, 4, v7
	v_cmp_lt_i32_e64 s[8:9], v9, v8
	s_waitcnt lgkmcnt(0)
	v_add_f32_e32 v3, v3, v5
	ds_bpermute_b32 v5, v11, v3
	v_cndmask_b32_e64 v9, v7, v9, s[8:9]
	v_lshlrev_b32_e32 v9, 2, v9
	s_waitcnt lgkmcnt(0)
	v_add_f32_e32 v3, v3, v5
	ds_bpermute_b32 v5, v9, v3
	v_xor_b32_e32 v9, 2, v7
	v_cmp_lt_i32_e64 s[8:9], v9, v8
	s_waitcnt lgkmcnt(0)
	v_add_f32_e32 v3, v3, v5
	v_cndmask_b32_e64 v8, v7, v9, s[8:9]
	v_lshlrev_b32_e32 v5, 2, v8
	ds_bpermute_b32 v5, v5, v3
	s_waitcnt lgkmcnt(0)
	v_add_f32_e32 v3, v3, v5
	ds_bpermute_b32 v5, v10, v3
	s_waitcnt lgkmcnt(0)
	v_add_f32_e32 v3, v3, v5
	s_and_saveexec_b64 s[8:9], vcc
; %bb.22:
	ds_write_b32 v2, v3 offset:392
; %bb.23:
	s_or_b64 exec, exec, s[8:9]
	s_waitcnt lgkmcnt(0)
	s_barrier
	s_and_saveexec_b64 s[8:9], s[0:1]
; %bb.24:
	ds_read_b32 v3, v4 offset:392
; %bb.25:
	s_or_b64 exec, exec, s[8:9]
	s_waitcnt lgkmcnt(0)
	ds_bpermute_b32 v2, v10, v3
	v_lshlrev_b32_e32 v4, 2, v7
	s_waitcnt lgkmcnt(0)
	v_add_f32_e32 v2, v3, v2
	v_and_b32_e32 v3, 0xffffff00, v4
	ds_bpermute_b32 v2, v3, v2
	s_and_saveexec_b64 s[0:1], s[2:3]
	s_cbranch_execz .LBB124_38
; %bb.26:
	s_waitcnt lgkmcnt(0)
	v_add_f32_e32 v2, 0x358637bd, v2
	v_div_scale_f32 v3, s[2:3], v2, v2, 1.0
	v_rcp_f32_e32 v4, v3
	v_div_scale_f32 v5, vcc, 1.0, v2, 1.0
	s_movk_i32 s2, 0x7f
	v_fma_f32 v7, -v3, v4, 1.0
	v_fmac_f32_e32 v4, v7, v4
	v_mul_f32_e32 v7, v5, v4
	v_fma_f32 v8, -v3, v7, v5
	v_fmac_f32_e32 v7, v8, v4
	v_fma_f32 v3, -v3, v7, v5
	v_div_fmas_f32 v3, v3, v4, v7
	v_xad_u32 v4, v0, -1, s12
	v_div_fixup_f32 v2, v3, v2, 1.0
	v_cmp_lt_u32_e32 vcc, s2, v4
	s_mov_b64 s[8:9], -1
	v_mov_b32_e32 v3, v0
	s_and_saveexec_b64 s[2:3], vcc
	s_cbranch_execz .LBB124_35
; %bb.27:
	v_lshrrev_b32_e32 v4, 7, v4
	v_add_u32_e32 v7, -1, v4
	v_lshrrev_b32_e32 v5, 1, v7
	v_mov_b32_e32 v3, v2
	v_add_u32_e32 v5, 1, v5
	v_cmp_lt_u32_e32 vcc, 13, v7
	v_mov_b32_e32 v9, 0
	s_and_saveexec_b64 s[8:9], vcc
	s_cbranch_execz .LBB124_31
; %bb.28:
	v_mov_b32_e32 v8, 0x190
	v_and_b32_e32 v7, -8, v5
	v_lshl_add_u32 v8, v0, 2, v8
	s_mov_b32 s15, 0
	s_mov_b64 s[26:27], 0
.LBB124_29:                             ; =>This Inner Loop Header: Depth=1
	ds_read2st64_b32 v[10:11], v8 offset1:2
	ds_read2st64_b32 v[12:13], v8 offset0:4 offset1:6
	ds_read2st64_b32 v[14:15], v8 offset0:8 offset1:10
	;; [unrolled: 1-line block ×3, first 2 shown]
	v_add_u32_e32 v7, -8, v7
	s_waitcnt lgkmcnt(3)
	v_pk_mul_f32 v[10:11], v[2:3], v[10:11]
	s_waitcnt lgkmcnt(2)
	v_pk_mul_f32 v[12:13], v[2:3], v[12:13]
	ds_write2st64_b32 v8, v10, v11 offset1:2
	ds_write2st64_b32 v8, v12, v13 offset0:4 offset1:6
	ds_read2st64_b32 v[12:13], v8 offset0:16 offset1:18
	s_waitcnt lgkmcnt(4)
	v_pk_mul_f32 v[10:11], v[2:3], v[14:15]
	ds_write2st64_b32 v8, v10, v11 offset0:8 offset1:10
	s_waitcnt lgkmcnt(4)
	v_pk_mul_f32 v[10:11], v[2:3], v[16:17]
	ds_write2st64_b32 v8, v10, v11 offset0:12 offset1:14
	ds_read2st64_b32 v[10:11], v8 offset0:20 offset1:22
	s_waitcnt lgkmcnt(3)
	v_pk_mul_f32 v[12:13], v[2:3], v[12:13]
	ds_read2st64_b32 v[14:15], v8 offset0:24 offset1:26
	ds_write2st64_b32 v8, v12, v13 offset0:16 offset1:18
	ds_read2st64_b32 v[12:13], v8 offset0:28 offset1:30
	s_waitcnt lgkmcnt(3)
	v_pk_mul_f32 v[10:11], v[2:3], v[10:11]
	ds_write2st64_b32 v8, v10, v11 offset0:20 offset1:22
	s_waitcnt lgkmcnt(3)
	v_pk_mul_f32 v[10:11], v[2:3], v[14:15]
	ds_write2st64_b32 v8, v10, v11 offset0:24 offset1:26
	s_waitcnt lgkmcnt(2)
	v_pk_mul_f32 v[10:11], v[2:3], v[12:13]
	s_add_i32 s15, s15, 16
	v_cmp_eq_u32_e32 vcc, 0, v7
	ds_write2st64_b32 v8, v10, v11 offset0:28 offset1:30
	v_add_u32_e32 v8, 0x2000, v8
	s_or_b64 s[26:27], vcc, s[26:27]
	v_mov_b32_e32 v9, s15
	s_andn2_b64 exec, exec, s[26:27]
	s_cbranch_execnz .LBB124_29
; %bb.30:
	s_or_b64 exec, exec, s[26:27]
.LBB124_31:
	s_or_b64 exec, exec, s[8:9]
	v_and_b32_e32 v5, 7, v5
	v_cmp_ne_u32_e32 vcc, 0, v5
	s_and_saveexec_b64 s[8:9], vcc
	s_cbranch_execz .LBB124_34
; %bb.32:
	v_lshlrev_b32_e32 v7, 9, v9
	v_lshlrev_b32_e32 v8, 2, v0
	s_movk_i32 s15, 0x190
	v_add3_u32 v7, v7, v8, s15
	s_mov_b64 s[26:27], 0
.LBB124_33:                             ; =>This Inner Loop Header: Depth=1
	ds_read2st64_b32 v[8:9], v7 offset1:2
	v_add_u32_e32 v5, -1, v5
	v_cmp_eq_u32_e32 vcc, 0, v5
	s_or_b64 s[26:27], vcc, s[26:27]
	s_waitcnt lgkmcnt(0)
	v_pk_mul_f32 v[8:9], v[2:3], v[8:9]
	ds_write2st64_b32 v7, v8, v9 offset1:2
	v_add_u32_e32 v7, 0x400, v7
	s_andn2_b64 exec, exec, s[26:27]
	s_cbranch_execnz .LBB124_33
.LBB124_34:
	s_or_b64 exec, exec, s[8:9]
	v_add_u32_e32 v4, 1, v4
	v_and_b32_e32 v5, 0x3fffffe, v4
	v_cmp_ne_u32_e32 vcc, v4, v5
	v_lshl_add_u32 v3, v5, 7, v0
	s_orn2_b64 s[8:9], vcc, exec
.LBB124_35:
	s_or_b64 exec, exec, s[2:3]
	s_and_b64 exec, exec, s[8:9]
	s_cbranch_execz .LBB124_38
; %bb.36:
	v_mov_b32_e32 v4, 0x190
	v_lshl_add_u32 v4, v3, 2, v4
	s_mov_b64 s[2:3], 0
.LBB124_37:                             ; =>This Inner Loop Header: Depth=1
	ds_read_b32 v5, v4
	v_add_u32_e32 v3, 0x80, v3
	v_cmp_le_i32_e32 vcc, s12, v3
	s_or_b64 s[2:3], vcc, s[2:3]
	s_waitcnt lgkmcnt(0)
	v_mul_f32_e32 v5, v2, v5
	ds_write_b32 v4, v5
	v_add_u32_e32 v4, 0x200, v4
	s_andn2_b64 exec, exec, s[2:3]
	s_cbranch_execnz .LBB124_37
.LBB124_38:
	s_or_b64 exec, exec, s[0:1]
	v_mov_b32_e32 v22, 0
	v_mov_b32_e32 v23, v22
	;; [unrolled: 1-line block ×3, first 2 shown]
	s_waitcnt lgkmcnt(0)
	s_barrier
	s_and_saveexec_b64 s[8:9], s[6:7]
	s_cbranch_execz .LBB124_48
; %bb.39:
	s_ashr_i32 s15, s14, 31
	s_lshl_b64 s[0:1], s[14:15], 1
	s_add_u32 s0, s24, s0
	s_addc_u32 s1, s25, s1
	v_lshlrev_b32_e32 v24, 4, v31
	v_mov_b32_e32 v25, 0
	s_add_i32 s14, s17, -1
	v_lshl_add_u64 v[26:27], s[0:1], 0, v[24:25]
	s_lshl_b64 s[0:1], s[22:23], 2
	s_add_u32 s0, s20, s0
	v_mov_b32_e32 v2, 0x190
	v_and_b32_e32 v24, 60, v6
	s_addc_u32 s1, s21, s1
	s_mov_b32 s26, s13
	s_mov_b32 s15, s33
	v_lshlrev_b32_e32 v32, 3, v30
	v_lshl_add_u32 v33, v30, 5, v2
	v_lshl_add_u64 v[28:29], s[0:1], 0, v[24:25]
	s_mov_b64 s[6:7], 0
	s_mov_b32 s20, 0x5040100
	v_mov_b32_e32 v24, 0
	v_mov_b32_e32 v23, 0
	;; [unrolled: 1-line block ×3, first 2 shown]
	s_branch .LBB124_41
.LBB124_40:                             ;   in Loop: Header=BB124_41 Depth=1
	s_or_b64 exec, exec, s[2:3]
	s_waitcnt lgkmcnt(1)
	v_cvt_pk_bf16_f32 v14, v14, s0
	v_cvt_pk_bf16_f32 v15, v15, s0
	;; [unrolled: 1-line block ×4, first 2 shown]
	s_waitcnt vmcnt(1)
	v_and_b32_e32 v34, 0xffff0000, v18
	v_lshlrev_b32_e32 v15, 16, v15
	v_lshlrev_b32_e32 v18, 16, v18
	;; [unrolled: 1-line block ×3, first 2 shown]
	v_mul_f32_e32 v34, v15, v34
	v_mul_f32_e32 v18, v14, v18
	v_and_b32_e32 v35, 0xffff0000, v19
	v_lshlrev_b32_e32 v17, 16, v17
	v_lshlrev_b32_e32 v19, 16, v19
	v_lshlrev_b32_e32 v16, 16, v16
	s_waitcnt lgkmcnt(0)
	v_cvt_pk_bf16_f32 v10, v10, s0
	v_cvt_pk_bf16_f32 v11, v11, s0
	;; [unrolled: 1-line block ×4, first 2 shown]
	v_mul_f32_e32 v35, v17, v35
	v_mul_f32_e32 v19, v16, v19
	v_cvt_pk_bf16_f32 v35, v35, s0
	v_cvt_pk_bf16_f32 v19, v19, s0
	v_and_b32_e32 v36, 0xffff0000, v20
	v_lshlrev_b32_e32 v11, 16, v11
	v_lshlrev_b32_e32 v20, 16, v20
	;; [unrolled: 1-line block ×5, first 2 shown]
	v_cvt_pk_bf16_f32 v12, v12, s0
	v_cvt_pk_bf16_f32 v13, v13, s0
	v_mul_f32_e32 v36, v11, v36
	v_mul_f32_e32 v20, v10, v20
	v_add_f32_e32 v18, v18, v34
	v_lshlrev_b32_e32 v19, 16, v19
	v_lshlrev_b32_e32 v34, 16, v35
	v_cvt_pk_bf16_f32 v36, v36, s0
	v_cvt_pk_bf16_f32 v20, v20, s0
	v_and_b32_e32 v37, 0xffff0000, v21
	v_lshlrev_b32_e32 v13, 16, v13
	v_lshlrev_b32_e32 v21, 16, v21
	v_lshlrev_b32_e32 v12, 16, v12
	v_add_f32_e32 v19, v19, v34
	v_mul_f32_e32 v37, v13, v37
	v_mul_f32_e32 v21, v12, v21
	v_add_f32_e32 v18, v19, v18
	v_lshlrev_b32_e32 v19, 16, v20
	v_lshlrev_b32_e32 v20, 16, v36
	v_cvt_pk_bf16_f32 v37, v37, s0
	v_cvt_pk_bf16_f32 v21, v21, s0
	v_add_f32_e32 v19, v19, v20
	v_add_f32_e32 v18, v19, v18
	v_lshlrev_b32_e32 v19, 16, v21
	v_lshlrev_b32_e32 v20, 16, v37
	v_add_f32_e32 v19, v19, v20
	v_add_f32_e32 v18, v19, v18
	;; [unrolled: 1-line block ×3, first 2 shown]
	v_and_b32_e32 v18, 0xffff0000, v2
	v_lshlrev_b32_e32 v2, 16, v2
	v_mul_f32_e32 v18, v15, v18
	v_mul_f32_e32 v2, v14, v2
	v_and_b32_e32 v19, 0xffff0000, v3
	v_lshlrev_b32_e32 v3, 16, v3
	v_cvt_pk_bf16_f32 v18, v18, s0
	v_cvt_pk_bf16_f32 v2, v2, s0
	v_mul_f32_e32 v19, v17, v19
	v_mul_f32_e32 v3, v16, v3
	v_cvt_pk_bf16_f32 v19, v19, s0
	v_cvt_pk_bf16_f32 v3, v3, s0
	v_and_b32_e32 v20, 0xffff0000, v4
	v_lshlrev_b32_e32 v4, 16, v4
	v_lshlrev_b32_e32 v2, 16, v2
	;; [unrolled: 1-line block ×3, first 2 shown]
	v_mul_f32_e32 v20, v11, v20
	v_mul_f32_e32 v4, v10, v4
	v_add_f32_e32 v2, v2, v18
	v_lshlrev_b32_e32 v3, 16, v3
	v_lshlrev_b32_e32 v18, 16, v19
	v_cvt_pk_bf16_f32 v20, v20, s0
	v_cvt_pk_bf16_f32 v4, v4, s0
	v_and_b32_e32 v21, 0xffff0000, v5
	v_lshlrev_b32_e32 v5, 16, v5
	v_add_f32_e32 v3, v3, v18
	v_mul_f32_e32 v21, v13, v21
	v_mul_f32_e32 v5, v12, v5
	v_add_f32_e32 v2, v3, v2
	v_lshlrev_b32_e32 v3, 16, v4
	v_lshlrev_b32_e32 v4, 16, v20
	v_cvt_pk_bf16_f32 v21, v21, s0
	v_cvt_pk_bf16_f32 v5, v5, s0
	v_add_f32_e32 v3, v3, v4
	v_add_f32_e32 v2, v3, v2
	v_lshlrev_b32_e32 v3, 16, v5
	v_lshlrev_b32_e32 v4, 16, v21
	v_add_f32_e32 v3, v3, v4
	s_waitcnt vmcnt(0)
	v_and_b32_e32 v5, 0xffff0000, v7
	v_add_f32_e32 v2, v3, v2
	v_mul_f32_e32 v5, v17, v5
	v_add_f32_e32 v22, v22, v2
	v_lshlrev_b32_e32 v2, 16, v6
	v_and_b32_e32 v3, 0xffff0000, v6
	v_cvt_pk_bf16_f32 v6, v5, s0
	v_lshlrev_b32_e32 v5, 16, v8
	v_mul_f32_e32 v5, v10, v5
	v_lshlrev_b32_e32 v4, 16, v7
	v_cvt_pk_bf16_f32 v7, v5, s0
	v_and_b32_e32 v5, 0xffff0000, v8
	v_mul_f32_e32 v5, v11, v5
	v_cvt_pk_bf16_f32 v8, v5, s0
	v_lshlrev_b32_e32 v5, 16, v9
	v_mul_f32_e32 v5, v12, v5
	v_mul_f32_e32 v2, v14, v2
	;; [unrolled: 1-line block ×4, first 2 shown]
	v_cvt_pk_bf16_f32 v10, v5, s0
	v_and_b32_e32 v5, 0xffff0000, v9
	v_cvt_pk_bf16_f32 v2, v2, s0
	v_cvt_pk_bf16_f32 v3, v3, s0
	;; [unrolled: 1-line block ×3, first 2 shown]
	v_mul_f32_e32 v5, v13, v5
	v_cvt_pk_bf16_f32 v9, v5, s0
	v_lshlrev_b32_e32 v3, 16, v3
	v_lshlrev_b32_e32 v5, 16, v2
	;; [unrolled: 1-line block ×4, first 2 shown]
	v_pk_add_f32 v[2:3], v[4:5], v[2:3]
	v_lshlrev_b32_e32 v5, 16, v8
	v_lshlrev_b32_e32 v7, 16, v7
	;; [unrolled: 1-line block ×4, first 2 shown]
	v_pk_add_f32 v[4:5], v[6:7], v[4:5]
	v_add_f32_e32 v2, v2, v3
	v_add_f32_e32 v2, v5, v2
	v_add_u32_e32 v30, 2, v30
	v_add_f32_e32 v2, v4, v2
	v_cmp_le_i32_e32 vcc, s17, v30
	v_add_f32_e32 v24, v24, v2
	v_add_u32_e32 v32, 16, v32
	v_add_u32_e32 v33, 64, v33
	s_or_b64 s[6:7], vcc, s[6:7]
	v_lshl_add_u64 v[28:29], v[28:29], 0, 8
	s_andn2_b64 exec, exec, s[6:7]
	s_cbranch_execz .LBB124_47
.LBB124_41:                             ; =>This Inner Loop Header: Depth=1
	global_load_dword v2, v[28:29], off
	v_add_u32_e32 v40, 1, v32
	v_or_b32_e32 v38, 3, v32
	v_or_b32_e32 v39, 2, v32
	;; [unrolled: 1-line block ×6, first 2 shown]
	s_waitcnt vmcnt(0)
	v_mad_i64_i32 v[2:3], s[0:1], v2, s26, 0
	v_lshl_add_u64 v[6:7], v[2:3], 1, v[26:27]
	global_load_dwordx4 v[2:5], v[6:7], off
	ds_read2_b64 v[14:17], v33 offset1:1
	ds_read2_b64 v[10:13], v33 offset0:2 offset1:3
	v_cmp_eq_u32_e64 s[0:1], s14, v30
	s_and_saveexec_b64 s[12:13], s[0:1]
	s_cbranch_execnz .LBB124_44
; %bb.42:                               ;   in Loop: Header=BB124_41 Depth=1
	s_or_b64 exec, exec, s[12:13]
	global_load_dwordx4 v[18:21], v[6:7], off offset:1024
	s_and_saveexec_b64 s[12:13], s[0:1]
	s_cbranch_execnz .LBB124_45
.LBB124_43:                             ;   in Loop: Header=BB124_41 Depth=1
	s_or_b64 exec, exec, s[12:13]
	global_load_dwordx4 v[6:9], v[6:7], off offset:2048
	s_and_saveexec_b64 s[2:3], s[0:1]
	s_cbranch_execz .LBB124_40
	s_branch .LBB124_46
.LBB124_44:                             ;   in Loop: Header=BB124_41 Depth=1
	v_cmp_gt_i32_e32 vcc, s15, v40
	v_cmp_gt_i32_e64 s[2:3], s33, v39
	s_waitcnt vmcnt(0)
	v_cndmask_b32_sdwa v8, v25, v2, vcc dst_sel:DWORD dst_unused:UNUSED_PAD src0_sel:DWORD src1_sel:WORD_1
	v_cmp_gt_i32_e32 vcc, s33, v32
	s_nop 1
	v_cndmask_b32_e32 v2, 0, v2, vcc
	v_cmp_gt_i32_e32 vcc, s15, v38
	v_perm_b32 v2, v8, v2, s20
	v_cndmask_b32_e64 v8, 0, v3, s[2:3]
	v_cndmask_b32_sdwa v3, v25, v3, vcc dst_sel:DWORD dst_unused:UNUSED_PAD src0_sel:DWORD src1_sel:WORD_1
	v_cmp_gt_i32_e32 vcc, s15, v36
	v_cmp_gt_i32_e64 s[2:3], s33, v37
	v_perm_b32 v3, v3, v8, s20
	s_nop 0
	v_cndmask_b32_e64 v8, 0, v4, s[2:3]
	v_cndmask_b32_sdwa v4, v25, v4, vcc dst_sel:DWORD dst_unused:UNUSED_PAD src0_sel:DWORD src1_sel:WORD_1
	v_cmp_gt_i32_e32 vcc, s15, v34
	v_cmp_gt_i32_e64 s[2:3], s33, v35
	v_perm_b32 v4, v4, v8, s20
	s_nop 0
	v_cndmask_b32_e64 v8, 0, v5, s[2:3]
	v_cndmask_b32_sdwa v5, v25, v5, vcc dst_sel:DWORD dst_unused:UNUSED_PAD src0_sel:DWORD src1_sel:WORD_1
	v_perm_b32 v5, v5, v8, s20
	s_or_b64 exec, exec, s[12:13]
	global_load_dwordx4 v[18:21], v[6:7], off offset:1024
	s_and_saveexec_b64 s[12:13], s[0:1]
	s_cbranch_execz .LBB124_43
.LBB124_45:                             ;   in Loop: Header=BB124_41 Depth=1
	v_cmp_gt_i32_e32 vcc, s15, v40
	v_cmp_gt_i32_e64 s[2:3], s33, v39
	s_waitcnt vmcnt(0)
	v_cndmask_b32_sdwa v8, v25, v18, vcc dst_sel:DWORD dst_unused:UNUSED_PAD src0_sel:DWORD src1_sel:WORD_1
	v_cmp_gt_i32_e32 vcc, s33, v32
	s_nop 1
	v_cndmask_b32_e32 v9, 0, v18, vcc
	v_cmp_gt_i32_e32 vcc, s15, v38
	v_perm_b32 v18, v8, v9, s20
	v_cndmask_b32_e64 v8, 0, v19, s[2:3]
	v_cndmask_b32_sdwa v9, v25, v19, vcc dst_sel:DWORD dst_unused:UNUSED_PAD src0_sel:DWORD src1_sel:WORD_1
	v_cmp_gt_i32_e32 vcc, s15, v36
	v_cmp_gt_i32_e64 s[2:3], s33, v37
	v_perm_b32 v19, v9, v8, s20
	v_cndmask_b32_sdwa v9, v25, v20, vcc dst_sel:DWORD dst_unused:UNUSED_PAD src0_sel:DWORD src1_sel:WORD_1
	v_cndmask_b32_e64 v8, 0, v20, s[2:3]
	v_cmp_gt_i32_e32 vcc, s15, v34
	v_cmp_gt_i32_e64 s[2:3], s33, v35
	v_perm_b32 v20, v9, v8, s20
	v_cndmask_b32_sdwa v9, v25, v21, vcc dst_sel:DWORD dst_unused:UNUSED_PAD src0_sel:DWORD src1_sel:WORD_1
	v_cndmask_b32_e64 v8, 0, v21, s[2:3]
	v_perm_b32 v21, v9, v8, s20
	s_or_b64 exec, exec, s[12:13]
	global_load_dwordx4 v[6:9], v[6:7], off offset:2048
	s_and_saveexec_b64 s[2:3], s[0:1]
	s_cbranch_execz .LBB124_40
.LBB124_46:                             ;   in Loop: Header=BB124_41 Depth=1
	v_cmp_gt_i32_e32 vcc, s15, v40
	v_cmp_gt_i32_e64 s[0:1], s33, v39
	s_waitcnt vmcnt(0)
	v_cndmask_b32_sdwa v40, v25, v6, vcc dst_sel:DWORD dst_unused:UNUSED_PAD src0_sel:DWORD src1_sel:WORD_1
	v_cmp_gt_i32_e32 vcc, s33, v32
	s_nop 1
	v_cndmask_b32_e32 v6, 0, v6, vcc
	v_cmp_gt_i32_e32 vcc, s15, v38
	v_cndmask_b32_e64 v38, 0, v7, s[0:1]
	v_cmp_gt_i32_e64 s[0:1], s33, v37
	v_cndmask_b32_sdwa v7, v25, v7, vcc dst_sel:DWORD dst_unused:UNUSED_PAD src0_sel:DWORD src1_sel:WORD_1
	v_cmp_gt_i32_e32 vcc, s15, v36
	v_cndmask_b32_e64 v36, 0, v8, s[0:1]
	v_cmp_gt_i32_e64 s[0:1], s33, v35
	v_cndmask_b32_sdwa v8, v25, v8, vcc dst_sel:DWORD dst_unused:UNUSED_PAD src0_sel:DWORD src1_sel:WORD_1
	v_cmp_gt_i32_e32 vcc, s15, v34
	v_cndmask_b32_e64 v34, 0, v9, s[0:1]
	v_perm_b32 v6, v40, v6, s20
	v_cndmask_b32_sdwa v9, v25, v9, vcc dst_sel:DWORD dst_unused:UNUSED_PAD src0_sel:DWORD src1_sel:WORD_1
	v_perm_b32 v7, v7, v38, s20
	v_perm_b32 v8, v8, v36, s20
	;; [unrolled: 1-line block ×3, first 2 shown]
	s_branch .LBB124_40
.LBB124_47:
	s_or_b64 exec, exec, s[6:7]
.LBB124_48:
	s_or_b64 exec, exec, s[8:9]
	v_and_b32_e32 v2, 0x3c0, v0
	v_cmp_eq_u32_e32 vcc, 64, v2
	s_barrier
	s_and_saveexec_b64 s[0:1], vcc
	s_cbranch_execz .LBB124_50
; %bb.49:
	v_mov_b32_e32 v2, 0x190
	v_lshl_add_u32 v2, v31, 2, v2
	ds_write2st64_b32 v2, v22, v23 offset1:1
	ds_write_b32 v2, v24 offset:512
.LBB124_50:
	s_or_b64 exec, exec, s[0:1]
	v_cmp_gt_u32_e32 vcc, 64, v0
	s_waitcnt lgkmcnt(0)
	s_barrier
	s_and_saveexec_b64 s[0:1], vcc
	s_cbranch_execz .LBB124_52
; %bb.51:
	v_mov_b32_e32 v2, 0x190
	v_lshl_add_u32 v0, v0, 2, v2
	ds_read2st64_b32 v[2:3], v0 offset1:1
	ds_read_b32 v0, v0 offset:512
	s_waitcnt lgkmcnt(1)
	v_pk_add_f32 v[22:23], v[22:23], v[2:3]
	s_waitcnt lgkmcnt(0)
	v_add_f32_e32 v24, v24, v0
.LBB124_52:
	s_or_b64 exec, exec, s[0:1]
	s_barrier
	s_and_saveexec_b64 s[0:1], vcc
	s_cbranch_execz .LBB124_54
; %bb.53:
	s_mul_i32 s0, s10, s11
	s_mul_i32 s0, s0, s5
	s_mulk_i32 s0, 0xc0
	s_ashr_i32 s1, s0, 31
	s_lshl_b64 s[0:1], s[0:1], 1
	s_add_u32 s2, s18, s0
	s_mul_i32 s0, s11, s16
	s_addc_u32 s3, s19, s1
	s_ashr_i32 s1, s0, 31
	s_lshl_b64 s[0:1], s[0:1], 1
	s_add_u32 s2, s2, s0
	s_mul_i32 s0, s4, 0xc0
	s_addc_u32 s3, s3, s1
	s_ashr_i32 s1, s0, 31
	s_lshl_b64 s[0:1], s[0:1], 1
	s_add_u32 s0, s2, s0
	s_addc_u32 s1, s3, s1
	v_cvt_pk_bf16_f32 v0, v22, s0
	global_store_short v1, v0, s[0:1]
	v_cvt_pk_bf16_f32 v0, v23, s0
	global_store_short v1, v0, s[0:1] offset:128
	v_cvt_pk_bf16_f32 v0, v24, s0
	global_store_short v1, v0, s[0:1] offset:256
.LBB124_54:
	s_endpgm
	.section	.rodata,"a",@progbits
	.p2align	6, 0x0
	.amdhsa_kernel _ZN4vllm25paged_attention_v1_kernelI14__hip_bfloat16S1_Li192ELi8ELi128ELNS_18Fp8KVCacheDataTypeE0ELb0EEEvPT_PKS3_PKT0_S9_ifPKiSB_iPKfiiiSD_SD_iiiii
		.amdhsa_group_segment_fixed_size 400
		.amdhsa_private_segment_fixed_size 0
		.amdhsa_kernarg_size 384
		.amdhsa_user_sgpr_count 2
		.amdhsa_user_sgpr_dispatch_ptr 0
		.amdhsa_user_sgpr_queue_ptr 0
		.amdhsa_user_sgpr_kernarg_segment_ptr 1
		.amdhsa_user_sgpr_dispatch_id 0
		.amdhsa_user_sgpr_kernarg_preload_length 0
		.amdhsa_user_sgpr_kernarg_preload_offset 0
		.amdhsa_user_sgpr_private_segment_size 0
		.amdhsa_uses_dynamic_stack 0
		.amdhsa_enable_private_segment 0
		.amdhsa_system_sgpr_workgroup_id_x 1
		.amdhsa_system_sgpr_workgroup_id_y 1
		.amdhsa_system_sgpr_workgroup_id_z 1
		.amdhsa_system_sgpr_workgroup_info 0
		.amdhsa_system_vgpr_workitem_id 0
		.amdhsa_next_free_vgpr 67
		.amdhsa_next_free_sgpr 34
		.amdhsa_accum_offset 68
		.amdhsa_reserve_vcc 1
		.amdhsa_float_round_mode_32 0
		.amdhsa_float_round_mode_16_64 0
		.amdhsa_float_denorm_mode_32 3
		.amdhsa_float_denorm_mode_16_64 3
		.amdhsa_dx10_clamp 1
		.amdhsa_ieee_mode 1
		.amdhsa_fp16_overflow 0
		.amdhsa_tg_split 0
		.amdhsa_exception_fp_ieee_invalid_op 0
		.amdhsa_exception_fp_denorm_src 0
		.amdhsa_exception_fp_ieee_div_zero 0
		.amdhsa_exception_fp_ieee_overflow 0
		.amdhsa_exception_fp_ieee_underflow 0
		.amdhsa_exception_fp_ieee_inexact 0
		.amdhsa_exception_int_div_zero 0
	.end_amdhsa_kernel
	.section	.text._ZN4vllm25paged_attention_v1_kernelI14__hip_bfloat16S1_Li192ELi8ELi128ELNS_18Fp8KVCacheDataTypeE0ELb0EEEvPT_PKS3_PKT0_S9_ifPKiSB_iPKfiiiSD_SD_iiiii,"axG",@progbits,_ZN4vllm25paged_attention_v1_kernelI14__hip_bfloat16S1_Li192ELi8ELi128ELNS_18Fp8KVCacheDataTypeE0ELb0EEEvPT_PKS3_PKT0_S9_ifPKiSB_iPKfiiiSD_SD_iiiii,comdat
.Lfunc_end124:
	.size	_ZN4vllm25paged_attention_v1_kernelI14__hip_bfloat16S1_Li192ELi8ELi128ELNS_18Fp8KVCacheDataTypeE0ELb0EEEvPT_PKS3_PKT0_S9_ifPKiSB_iPKfiiiSD_SD_iiiii, .Lfunc_end124-_ZN4vllm25paged_attention_v1_kernelI14__hip_bfloat16S1_Li192ELi8ELi128ELNS_18Fp8KVCacheDataTypeE0ELb0EEEvPT_PKS3_PKT0_S9_ifPKiSB_iPKfiiiSD_SD_iiiii
                                        ; -- End function
	.set _ZN4vllm25paged_attention_v1_kernelI14__hip_bfloat16S1_Li192ELi8ELi128ELNS_18Fp8KVCacheDataTypeE0ELb0EEEvPT_PKS3_PKT0_S9_ifPKiSB_iPKfiiiSD_SD_iiiii.num_vgpr, 67
	.set _ZN4vllm25paged_attention_v1_kernelI14__hip_bfloat16S1_Li192ELi8ELi128ELNS_18Fp8KVCacheDataTypeE0ELb0EEEvPT_PKS3_PKT0_S9_ifPKiSB_iPKfiiiSD_SD_iiiii.num_agpr, 0
	.set _ZN4vllm25paged_attention_v1_kernelI14__hip_bfloat16S1_Li192ELi8ELi128ELNS_18Fp8KVCacheDataTypeE0ELb0EEEvPT_PKS3_PKT0_S9_ifPKiSB_iPKfiiiSD_SD_iiiii.numbered_sgpr, 34
	.set _ZN4vllm25paged_attention_v1_kernelI14__hip_bfloat16S1_Li192ELi8ELi128ELNS_18Fp8KVCacheDataTypeE0ELb0EEEvPT_PKS3_PKT0_S9_ifPKiSB_iPKfiiiSD_SD_iiiii.num_named_barrier, 0
	.set _ZN4vllm25paged_attention_v1_kernelI14__hip_bfloat16S1_Li192ELi8ELi128ELNS_18Fp8KVCacheDataTypeE0ELb0EEEvPT_PKS3_PKT0_S9_ifPKiSB_iPKfiiiSD_SD_iiiii.private_seg_size, 0
	.set _ZN4vllm25paged_attention_v1_kernelI14__hip_bfloat16S1_Li192ELi8ELi128ELNS_18Fp8KVCacheDataTypeE0ELb0EEEvPT_PKS3_PKT0_S9_ifPKiSB_iPKfiiiSD_SD_iiiii.uses_vcc, 1
	.set _ZN4vllm25paged_attention_v1_kernelI14__hip_bfloat16S1_Li192ELi8ELi128ELNS_18Fp8KVCacheDataTypeE0ELb0EEEvPT_PKS3_PKT0_S9_ifPKiSB_iPKfiiiSD_SD_iiiii.uses_flat_scratch, 0
	.set _ZN4vllm25paged_attention_v1_kernelI14__hip_bfloat16S1_Li192ELi8ELi128ELNS_18Fp8KVCacheDataTypeE0ELb0EEEvPT_PKS3_PKT0_S9_ifPKiSB_iPKfiiiSD_SD_iiiii.has_dyn_sized_stack, 0
	.set _ZN4vllm25paged_attention_v1_kernelI14__hip_bfloat16S1_Li192ELi8ELi128ELNS_18Fp8KVCacheDataTypeE0ELb0EEEvPT_PKS3_PKT0_S9_ifPKiSB_iPKfiiiSD_SD_iiiii.has_recursion, 0
	.set _ZN4vllm25paged_attention_v1_kernelI14__hip_bfloat16S1_Li192ELi8ELi128ELNS_18Fp8KVCacheDataTypeE0ELb0EEEvPT_PKS3_PKT0_S9_ifPKiSB_iPKfiiiSD_SD_iiiii.has_indirect_call, 0
	.section	.AMDGPU.csdata,"",@progbits
; Kernel info:
; codeLenInByte = 4872
; TotalNumSgprs: 40
; NumVgprs: 67
; NumAgprs: 0
; TotalNumVgprs: 67
; ScratchSize: 0
; MemoryBound: 0
; FloatMode: 240
; IeeeMode: 1
; LDSByteSize: 400 bytes/workgroup (compile time only)
; SGPRBlocks: 4
; VGPRBlocks: 8
; NumSGPRsForWavesPerEU: 40
; NumVGPRsForWavesPerEU: 67
; AccumOffset: 68
; Occupancy: 7
; WaveLimiterHint : 1
; COMPUTE_PGM_RSRC2:SCRATCH_EN: 0
; COMPUTE_PGM_RSRC2:USER_SGPR: 2
; COMPUTE_PGM_RSRC2:TRAP_HANDLER: 0
; COMPUTE_PGM_RSRC2:TGID_X_EN: 1
; COMPUTE_PGM_RSRC2:TGID_Y_EN: 1
; COMPUTE_PGM_RSRC2:TGID_Z_EN: 1
; COMPUTE_PGM_RSRC2:TIDIG_COMP_CNT: 0
; COMPUTE_PGM_RSRC3_GFX90A:ACCUM_OFFSET: 16
; COMPUTE_PGM_RSRC3_GFX90A:TG_SPLIT: 0
	.section	.text._ZN4vllm25paged_attention_v1_kernelI14__hip_bfloat16S1_Li256ELi8ELi128ELNS_18Fp8KVCacheDataTypeE0ELb0EEEvPT_PKS3_PKT0_S9_ifPKiSB_iPKfiiiSD_SD_iiiii,"axG",@progbits,_ZN4vllm25paged_attention_v1_kernelI14__hip_bfloat16S1_Li256ELi8ELi128ELNS_18Fp8KVCacheDataTypeE0ELb0EEEvPT_PKS3_PKT0_S9_ifPKiSB_iPKfiiiSD_SD_iiiii,comdat
	.protected	_ZN4vllm25paged_attention_v1_kernelI14__hip_bfloat16S1_Li256ELi8ELi128ELNS_18Fp8KVCacheDataTypeE0ELb0EEEvPT_PKS3_PKT0_S9_ifPKiSB_iPKfiiiSD_SD_iiiii ; -- Begin function _ZN4vllm25paged_attention_v1_kernelI14__hip_bfloat16S1_Li256ELi8ELi128ELNS_18Fp8KVCacheDataTypeE0ELb0EEEvPT_PKS3_PKT0_S9_ifPKiSB_iPKfiiiSD_SD_iiiii
	.globl	_ZN4vllm25paged_attention_v1_kernelI14__hip_bfloat16S1_Li256ELi8ELi128ELNS_18Fp8KVCacheDataTypeE0ELb0EEEvPT_PKS3_PKT0_S9_ifPKiSB_iPKfiiiSD_SD_iiiii
	.p2align	8
	.type	_ZN4vllm25paged_attention_v1_kernelI14__hip_bfloat16S1_Li256ELi8ELi128ELNS_18Fp8KVCacheDataTypeE0ELb0EEEvPT_PKS3_PKT0_S9_ifPKiSB_iPKfiiiSD_SD_iiiii,@function
_ZN4vllm25paged_attention_v1_kernelI14__hip_bfloat16S1_Li256ELi8ELi128ELNS_18Fp8KVCacheDataTypeE0ELb0EEEvPT_PKS3_PKT0_S9_ifPKiSB_iPKfiiiSD_SD_iiiii: ; @_ZN4vllm25paged_attention_v1_kernelI14__hip_bfloat16S1_Li256ELi8ELi128ELNS_18Fp8KVCacheDataTypeE0ELb0EEEvPT_PKS3_PKT0_S9_ifPKiSB_iPKfiiiSD_SD_iiiii
; %bb.0:
	s_load_dword s5, s[0:1], 0x80
	s_load_dwordx2 s[6:7], s[0:1], 0x30
	s_load_dwordx2 s[8:9], s[0:1], 0x20
	s_mov_b32 s10, s3
	s_ashr_i32 s11, s3, 31
	s_lshl_b64 s[12:13], s[10:11], 2
	s_waitcnt lgkmcnt(0)
	s_add_u32 s6, s6, s12
	s_addc_u32 s7, s7, s13
	s_abs_i32 s3, s8
	v_cvt_f32_u32_e32 v1, s3
	s_sub_i32 s12, 0, s3
	s_abs_i32 s11, s5
	s_xor_b32 s8, s5, s8
	v_rcp_iflag_f32_e32 v1, v1
	s_ashr_i32 s8, s8, 31
	v_mul_f32_e32 v1, 0x4f7ffffe, v1
	v_cvt_u32_f32_e32 v1, v1
	s_nop 0
	v_readfirstlane_b32 s13, v1
	s_mul_i32 s12, s12, s13
	s_mul_hi_u32 s12, s13, s12
	s_add_i32 s13, s13, s12
	s_mul_hi_u32 s12, s11, s13
	s_mul_i32 s13, s12, s3
	s_sub_i32 s11, s11, s13
	s_add_i32 s13, s12, 1
	s_sub_i32 s14, s11, s3
	s_cmp_ge_u32 s11, s3
	s_cselect_b32 s12, s13, s12
	s_cselect_b32 s11, s14, s11
	s_add_i32 s13, s12, 1
	s_cmp_ge_u32 s11, s3
	s_cselect_b32 s3, s13, s12
	s_xor_b32 s3, s3, s8
	s_sub_i32 s11, s3, s8
	s_abs_i32 s18, s11
	v_cvt_f32_u32_e32 v1, s18
	s_load_dwordx2 s[12:13], s[0:1], 0x40
	s_sub_i32 s3, 0, s18
	s_abs_i32 s19, s2
	v_rcp_iflag_f32_e32 v1, v1
	s_mov_b32 s8, 0
	v_mul_f32_e32 v1, 0x4f7ffffe, v1
	v_cvt_u32_f32_e32 v1, v1
	s_nop 0
	v_readfirstlane_b32 s14, v1
	s_mul_i32 s3, s3, s14
	s_mul_hi_u32 s3, s14, s3
	s_add_i32 s14, s14, s3
	s_waitcnt lgkmcnt(0)
	s_cmp_eq_u64 s[12:13], 0
	s_mul_hi_u32 s22, s19, s14
	s_cbranch_scc1 .LBB125_2
; %bb.1:
	s_ashr_i32 s3, s2, 31
	s_lshl_b64 s[14:15], s[2:3], 2
	s_add_u32 s12, s12, s14
	s_addc_u32 s13, s13, s15
	s_load_dword s8, s[12:13], 0x0
.LBB125_2:
	s_load_dword s33, s[6:7], 0x0
	s_ashr_i32 s24, s11, 31
	s_load_dword s11, s[0:1], 0x88
	s_load_dwordx4 s[12:15], s[0:1], 0x48
	s_ashr_i32 s23, s2, 31
	s_lshl_b32 s16, s2, 8
	s_movk_i32 s2, 0x100
	v_and_b32_e32 v4, 7, v0
	v_cmp_gt_u32_e32 vcc, s2, v0
	v_lshlrev_b32_e32 v1, 1, v0
	s_and_saveexec_b64 s[2:3], vcc
	s_cbranch_execz .LBB125_5
; %bb.3:
	s_load_dwordx2 s[6:7], s[0:1], 0x8
	s_waitcnt lgkmcnt(0)
	s_mul_i32 s20, s12, s10
	s_ashr_i32 s21, s20, 31
	s_lshl_b64 s[20:21], s[20:21], 1
	v_lshrrev_b32_e32 v3, 3, v0
	s_add_u32 s12, s6, s20
	s_addc_u32 s15, s7, s21
	s_ashr_i32 s17, s16, 31
	s_lshl_b64 s[6:7], s[16:17], 1
	s_add_u32 s6, s12, s6
	s_addc_u32 s7, s15, s7
	global_load_ushort v5, v1, s[6:7]
	s_movk_i32 s12, 0x80
	v_lshlrev_b32_e32 v2, 1, v3
	v_lshl_add_u32 v2, v4, 6, v2
	v_cmp_gt_u32_e32 vcc, s12, v0
	s_waitcnt vmcnt(0)
	ds_write_b16 v2, v5
	s_and_b64 exec, exec, vcc
	s_cbranch_execz .LBB125_5
; %bb.4:
	v_lshlrev_b32_e32 v3, 4, v3
	v_lshlrev_b32_e32 v5, 1, v4
	s_movk_i32 s12, 0x100
	v_or3_b32 v3, v3, v5, s12
	global_load_ushort v3, v3, s[6:7]
	s_waitcnt vmcnt(0)
	ds_write_b16 v2, v3 offset:32
.LBB125_5:
	s_or_b64 exec, exec, s[2:3]
	s_waitcnt lgkmcnt(0)
	s_add_i32 s3, s33, 7
	s_ashr_i32 s6, s3, 31
	s_lshr_b32 s6, s6, 29
	s_add_i32 s3, s3, s6
	s_mul_i32 s6, s22, s18
	s_sub_i32 s6, s19, s6
	s_ashr_i32 s17, s3, 3
	s_xor_b32 s3, s23, s24
	s_add_i32 s7, s22, 1
	s_sub_i32 s12, s6, s18
	s_load_dwordx2 s[20:21], s[0:1], 0x28
	s_load_dword s2, s[0:1], 0x38
	s_cmp_ge_u32 s6, s18
	s_cselect_b32 s7, s7, s22
	s_cselect_b32 s6, s12, s6
	s_add_i32 s12, s7, 1
	s_cmp_ge_u32 s6, s18
	s_cselect_b32 s6, s12, s7
	v_lshrrev_b32_e32 v36, 6, v0
	s_xor_b32 s6, s6, s3
	s_waitcnt lgkmcnt(0)
	s_mul_i32 s22, s2, s10
	s_sub_i32 s12, s6, s3
	s_ashr_i32 s23, s22, 31
	v_cmp_gt_i32_e64 s[6:7], s17, v36
	v_cmp_le_i32_e32 vcc, s17, v36
	v_mbcnt_lo_u32_b32 v5, -1, 0
	s_barrier
                                        ; implicit-def: $vgpr7
                                        ; implicit-def: $vgpr9
                                        ; implicit-def: $vgpr8
	s_and_saveexec_b64 s[2:3], vcc
	s_xor_b64 s[2:3], exec, s[2:3]
; %bb.6:
	v_mbcnt_hi_u32_b32 v7, -1, v5
	v_and_b32_e32 v9, 64, v7
	v_add_u32_e32 v8, 64, v9
                                        ; implicit-def: $vgpr4
                                        ; implicit-def: $vgpr5
; %bb.7:
	s_or_saveexec_b64 s[26:27], s[2:3]
	s_load_dwordx2 s[18:19], s[0:1], 0x0
	s_load_dwordx2 s[24:25], s[0:1], 0x18
	v_mov_b32_e32 v40, 0xff7fffff
	s_mul_i32 s14, s12, s14
	v_lshrrev_b32_e32 v6, 4, v0
	s_xor_b64 exec, exec, s[26:27]
	s_cbranch_execz .LBB125_13
; %bb.8:
	v_lshlrev_b32_e32 v7, 6, v4
	ds_read_b128 v[14:17], v7
	ds_read_b128 v[22:25], v7 offset:16
	ds_read_b128 v[30:33], v7 offset:32
	;; [unrolled: 1-line block ×3, first 2 shown]
	v_mbcnt_hi_u32_b32 v7, -1, v5
	v_and_b32_e32 v9, 64, v7
	s_load_dwordx2 s[0:1], s[0:1], 0x10
	v_add_u32_e32 v8, 64, v9
	v_xor_b32_e32 v5, 4, v7
	v_cmp_lt_i32_e32 vcc, v5, v8
	s_ashr_i32 s15, s14, 31
	s_lshl_b64 s[2:3], s[14:15], 1
	v_cndmask_b32_e32 v5, v7, v5, vcc
	v_lshlrev_b32_e32 v44, 2, v5
	v_xor_b32_e32 v5, 2, v7
	v_cmp_lt_i32_e32 vcc, v5, v8
	v_bfe_u32 v48, v0, 3, 3
	s_waitcnt lgkmcnt(0)
	s_add_u32 s0, s0, s2
	v_cndmask_b32_e32 v5, v7, v5, vcc
	s_addc_u32 s1, s1, s3
	v_lshlrev_b32_e32 v50, 4, v48
	v_mov_b32_e32 v51, 0
	v_lshlrev_b32_e32 v45, 2, v5
	v_xor_b32_e32 v5, 1, v7
	v_lshl_add_u64 v[2:3], s[0:1], 0, v[50:51]
	v_cmp_lt_i32_e32 vcc, v5, v8
	s_sub_i32 s15, 1, s33
	s_lshl_b64 s[0:1], s[22:23], 2
	v_lshlrev_b32_e32 v50, 1, v4
	v_cndmask_b32_e32 v5, v7, v5, vcc
	v_cmp_eq_u32_e32 vcc, 0, v4
	v_lshlrev_b32_e32 v4, 2, v48
	s_add_u32 s0, s20, s0
	v_lshl_add_u64 v[2:3], v[2:3], 0, v[50:51]
	v_lshl_or_b32 v4, v36, 5, v4
	v_and_b32_e32 v50, 60, v6
	s_addc_u32 s1, s21, s1
	s_mov_b32 s12, s13
	v_lshlrev_b32_e32 v10, 16, v14
	v_and_b32_e32 v11, 0xffff0000, v14
	v_lshlrev_b32_e32 v12, 16, v15
	v_and_b32_e32 v13, 0xffff0000, v15
	;; [unrolled: 2-line block ×16, first 2 shown]
	v_lshlrev_b32_e32 v46, 2, v5
	v_cmp_neq_f32_e64 s[2:3], s8, 0
	v_lshl_or_b32 v47, v36, 3, v48
	v_add_u32_e32 v48, 0x210, v4
	v_lshl_add_u64 v[4:5], s[0:1], 0, v[50:51]
	v_mov_b32_e32 v40, 0xff7fffff
	s_mov_b64 s[28:29], 0
	v_mov_b32_e32 v49, v36
	s_branch .LBB125_10
.LBB125_9:                              ;   in Loop: Header=BB125_10 Depth=1
	s_or_b64 exec, exec, s[30:31]
	v_add_u32_e32 v49, 2, v49
	v_cmp_le_i32_e64 s[0:1], s17, v49
	v_add_u32_e32 v47, 16, v47
	v_add_u32_e32 v48, 64, v48
	s_or_b64 s[28:29], s[0:1], s[28:29]
	v_lshl_add_u64 v[4:5], v[4:5], 0, 8
	s_andn2_b64 exec, exec, s[28:29]
	s_cbranch_execz .LBB125_12
.LBB125_10:                             ; =>This Inner Loop Header: Depth=1
	global_load_dword v50, v[4:5], off
	s_waitcnt vmcnt(0) lgkmcnt(0)
	v_mad_i64_i32 v[50:51], s[0:1], v50, s12, 0
	v_lshl_add_u64 v[50:51], v[50:51], 1, v[2:3]
	global_load_ushort v52, v[50:51], off
	global_load_ushort v53, v[50:51], off offset:128
	global_load_ushort v54, v[50:51], off offset:256
	;; [unrolled: 1-line block ×30, first 2 shown]
	s_nop 0
	global_load_ushort v50, v[50:51], off offset:3968
	s_waitcnt vmcnt(31)
	v_lshlrev_b32_e32 v51, 16, v52
	s_waitcnt vmcnt(30)
	v_lshlrev_b32_e32 v52, 16, v53
	v_mul_f32_e32 v52, v11, v52
	s_waitcnt vmcnt(29)
	v_lshlrev_b32_e32 v53, 16, v54
	v_fmac_f32_e32 v52, v10, v51
	s_waitcnt vmcnt(28)
	v_lshlrev_b32_e32 v54, 16, v55
	v_fmac_f32_e32 v52, v12, v53
	;; [unrolled: 3-line block ×29, first 2 shown]
	v_fmac_f32_e32 v52, v42, v81
	s_waitcnt vmcnt(0)
	v_lshlrev_b32_e32 v50, 16, v50
	v_fmac_f32_e32 v52, v43, v50
	ds_bpermute_b32 v50, v44, v52
	s_waitcnt lgkmcnt(0)
	v_add_f32_e32 v50, v52, v50
	ds_bpermute_b32 v51, v45, v50
	s_waitcnt lgkmcnt(0)
	v_add_f32_e32 v50, v50, v51
	ds_bpermute_b32 v51, v46, v50
	s_and_saveexec_b64 s[30:31], vcc
	s_cbranch_execz .LBB125_9
; %bb.11:                               ;   in Loop: Header=BB125_10 Depth=1
	v_add_u32_e32 v52, s15, v47
	v_cvt_f32_i32_e32 v52, v52
	s_waitcnt lgkmcnt(0)
	v_add_f32_e32 v50, v50, v51
	v_cmp_gt_i32_e64 s[0:1], s33, v47
	v_max_f32_e32 v51, v40, v40
	v_mul_f32_e32 v52, s8, v52
	v_cndmask_b32_e64 v52, 0, v52, s[2:3]
	v_fmac_f32_e32 v52, s9, v50
	v_cndmask_b32_e64 v50, 0, v52, s[0:1]
	ds_write_b32 v48, v50
	v_max_f32_e32 v50, v51, v52
	v_cndmask_b32_e64 v40, v40, v50, s[0:1]
	s_branch .LBB125_9
.LBB125_12:
	s_or_b64 exec, exec, s[28:29]
.LBB125_13:
	s_or_b64 exec, exec, s[26:27]
	v_xor_b32_e32 v2, 32, v7
	v_cmp_lt_i32_e32 vcc, v2, v8
	v_xor_b32_e32 v5, 16, v7
	v_max_f32_e32 v4, v40, v40
	v_cndmask_b32_e32 v2, v7, v2, vcc
	v_lshlrev_b32_e32 v3, 2, v2
	ds_bpermute_b32 v2, v3, v40
	v_cmp_lt_i32_e32 vcc, v5, v8
	v_xor_b32_e32 v10, 8, v7
	v_and_b32_e32 v37, 63, v0
	s_waitcnt lgkmcnt(0)
	v_max_f32_e32 v2, v2, v2
	v_max_f32_e32 v2, v4, v2
	v_cndmask_b32_e32 v4, v7, v5, vcc
	v_lshlrev_b32_e32 v5, 2, v4
	ds_bpermute_b32 v4, v5, v2
	v_cmp_lt_i32_e32 vcc, v10, v8
	s_waitcnt lgkmcnt(0)
	v_max_f32_e32 v4, v4, v4
	v_max_f32_e32 v4, v2, v4
	v_cndmask_b32_e32 v2, v7, v10, vcc
	v_lshlrev_b32_e32 v11, 2, v2
	ds_bpermute_b32 v10, v11, v4
	v_cmp_eq_u32_e32 vcc, 0, v37
	v_lshlrev_b32_e32 v2, 2, v36
	s_and_saveexec_b64 s[0:1], vcc
	s_cbranch_execz .LBB125_15
; %bb.14:
	s_waitcnt lgkmcnt(0)
	v_max_f32_e32 v10, v10, v10
	v_max_f32_e32 v4, v4, v4
	;; [unrolled: 1-line block ×3, first 2 shown]
	ds_write_b32 v2, v4 offset:512
.LBB125_15:
	s_or_b64 exec, exec, s[0:1]
	v_cmp_gt_u32_e64 s[0:1], 2, v37
	v_mov_b32_e32 v12, 0xff7fffff
	v_lshlrev_b32_e32 v4, 2, v37
	s_waitcnt lgkmcnt(0)
	s_barrier
	s_and_saveexec_b64 s[2:3], s[0:1]
; %bb.16:
	ds_read_b32 v12, v4 offset:512
; %bb.17:
	s_or_b64 exec, exec, s[2:3]
	v_xor_b32_e32 v10, 1, v7
	v_cmp_lt_i32_e64 s[2:3], v10, v8
	v_lshlrev_b32_e32 v9, 2, v9
	s_nop 0
	v_cndmask_b32_e64 v10, v7, v10, s[2:3]
	v_lshlrev_b32_e32 v10, 2, v10
	s_waitcnt lgkmcnt(0)
	ds_bpermute_b32 v13, v10, v12
	v_max_f32_e32 v12, v12, v12
	s_lshl_b32 s2, s17, 3
	s_min_i32 s12, s2, s33
	v_cmp_gt_i32_e64 s[2:3], s12, v0
	s_waitcnt lgkmcnt(0)
	v_max_f32_e32 v13, v13, v13
	v_max_f32_e32 v12, v12, v13
	ds_bpermute_b32 v12, v9, v12
	v_mov_b32_e32 v9, 0
	s_and_saveexec_b64 s[26:27], s[2:3]
	s_cbranch_execz .LBB125_21
; %bb.18:
	v_mov_b32_e32 v9, 0x210
	v_lshl_add_u32 v13, v0, 2, v9
	v_mov_b32_e32 v9, 0
	s_mov_b64 s[28:29], 0
	v_mov_b32_e32 v14, v0
.LBB125_19:                             ; =>This Inner Loop Header: Depth=1
	ds_read_b32 v15, v13
	v_add_u32_e32 v14, 0x80, v14
	v_cmp_le_i32_e64 s[8:9], s12, v14
	s_or_b64 s[28:29], s[8:9], s[28:29]
	s_waitcnt lgkmcnt(0)
	v_sub_f32_e32 v15, v15, v12
	v_mul_f32_e32 v15, 0x3fb8aa3b, v15
	v_exp_f32_e32 v15, v15
	ds_write_b32 v13, v15
	v_add_f32_e32 v9, v9, v15
	v_add_u32_e32 v13, 0x200, v13
	s_andn2_b64 exec, exec, s[28:29]
	s_cbranch_execnz .LBB125_19
; %bb.20:
	s_or_b64 exec, exec, s[28:29]
.LBB125_21:
	s_or_b64 exec, exec, s[26:27]
	ds_bpermute_b32 v3, v3, v9
	s_waitcnt lgkmcnt(0)
	v_add_f32_e32 v3, v9, v3
	ds_bpermute_b32 v5, v5, v3
	v_xor_b32_e32 v9, 4, v7
	v_cmp_lt_i32_e64 s[8:9], v9, v8
	s_waitcnt lgkmcnt(0)
	v_add_f32_e32 v3, v3, v5
	ds_bpermute_b32 v5, v11, v3
	v_cndmask_b32_e64 v9, v7, v9, s[8:9]
	v_lshlrev_b32_e32 v9, 2, v9
	s_waitcnt lgkmcnt(0)
	v_add_f32_e32 v3, v3, v5
	ds_bpermute_b32 v5, v9, v3
	v_xor_b32_e32 v9, 2, v7
	v_cmp_lt_i32_e64 s[8:9], v9, v8
	s_waitcnt lgkmcnt(0)
	v_add_f32_e32 v3, v3, v5
	v_cndmask_b32_e64 v8, v7, v9, s[8:9]
	v_lshlrev_b32_e32 v5, 2, v8
	ds_bpermute_b32 v5, v5, v3
	s_waitcnt lgkmcnt(0)
	v_add_f32_e32 v3, v3, v5
	ds_bpermute_b32 v5, v10, v3
	s_waitcnt lgkmcnt(0)
	v_add_f32_e32 v3, v3, v5
	s_and_saveexec_b64 s[8:9], vcc
; %bb.22:
	ds_write_b32 v2, v3 offset:520
; %bb.23:
	s_or_b64 exec, exec, s[8:9]
	s_waitcnt lgkmcnt(0)
	s_barrier
	s_and_saveexec_b64 s[8:9], s[0:1]
; %bb.24:
	ds_read_b32 v3, v4 offset:520
; %bb.25:
	s_or_b64 exec, exec, s[8:9]
	s_waitcnt lgkmcnt(0)
	ds_bpermute_b32 v2, v10, v3
	v_lshlrev_b32_e32 v4, 2, v7
	s_waitcnt lgkmcnt(0)
	v_add_f32_e32 v2, v3, v2
	v_and_b32_e32 v3, 0xffffff00, v4
	ds_bpermute_b32 v2, v3, v2
	s_and_saveexec_b64 s[0:1], s[2:3]
	s_cbranch_execz .LBB125_38
; %bb.26:
	s_waitcnt lgkmcnt(0)
	v_add_f32_e32 v2, 0x358637bd, v2
	v_div_scale_f32 v3, s[2:3], v2, v2, 1.0
	v_rcp_f32_e32 v4, v3
	v_div_scale_f32 v5, vcc, 1.0, v2, 1.0
	s_movk_i32 s2, 0x7f
	v_fma_f32 v7, -v3, v4, 1.0
	v_fmac_f32_e32 v4, v7, v4
	v_mul_f32_e32 v7, v5, v4
	v_fma_f32 v8, -v3, v7, v5
	v_fmac_f32_e32 v7, v8, v4
	v_fma_f32 v3, -v3, v7, v5
	v_div_fmas_f32 v3, v3, v4, v7
	v_xad_u32 v4, v0, -1, s12
	v_div_fixup_f32 v2, v3, v2, 1.0
	v_cmp_lt_u32_e32 vcc, s2, v4
	s_mov_b64 s[8:9], -1
	v_mov_b32_e32 v3, v0
	s_and_saveexec_b64 s[2:3], vcc
	s_cbranch_execz .LBB125_35
; %bb.27:
	v_lshrrev_b32_e32 v4, 7, v4
	v_add_u32_e32 v7, -1, v4
	v_lshrrev_b32_e32 v5, 1, v7
	v_mov_b32_e32 v3, v2
	v_add_u32_e32 v5, 1, v5
	v_cmp_lt_u32_e32 vcc, 13, v7
	v_mov_b32_e32 v9, 0
	s_and_saveexec_b64 s[8:9], vcc
	s_cbranch_execz .LBB125_31
; %bb.28:
	v_mov_b32_e32 v8, 0x210
	v_and_b32_e32 v7, -8, v5
	v_lshl_add_u32 v8, v0, 2, v8
	s_mov_b32 s15, 0
	s_mov_b64 s[26:27], 0
.LBB125_29:                             ; =>This Inner Loop Header: Depth=1
	ds_read2st64_b32 v[10:11], v8 offset1:2
	ds_read2st64_b32 v[12:13], v8 offset0:4 offset1:6
	ds_read2st64_b32 v[14:15], v8 offset0:8 offset1:10
	;; [unrolled: 1-line block ×3, first 2 shown]
	v_add_u32_e32 v7, -8, v7
	s_waitcnt lgkmcnt(3)
	v_pk_mul_f32 v[10:11], v[2:3], v[10:11]
	s_waitcnt lgkmcnt(2)
	v_pk_mul_f32 v[12:13], v[2:3], v[12:13]
	ds_write2st64_b32 v8, v10, v11 offset1:2
	ds_write2st64_b32 v8, v12, v13 offset0:4 offset1:6
	ds_read2st64_b32 v[12:13], v8 offset0:16 offset1:18
	s_waitcnt lgkmcnt(4)
	v_pk_mul_f32 v[10:11], v[2:3], v[14:15]
	ds_write2st64_b32 v8, v10, v11 offset0:8 offset1:10
	s_waitcnt lgkmcnt(4)
	v_pk_mul_f32 v[10:11], v[2:3], v[16:17]
	ds_write2st64_b32 v8, v10, v11 offset0:12 offset1:14
	ds_read2st64_b32 v[10:11], v8 offset0:20 offset1:22
	s_waitcnt lgkmcnt(3)
	v_pk_mul_f32 v[12:13], v[2:3], v[12:13]
	ds_read2st64_b32 v[14:15], v8 offset0:24 offset1:26
	ds_write2st64_b32 v8, v12, v13 offset0:16 offset1:18
	ds_read2st64_b32 v[12:13], v8 offset0:28 offset1:30
	s_waitcnt lgkmcnt(3)
	v_pk_mul_f32 v[10:11], v[2:3], v[10:11]
	ds_write2st64_b32 v8, v10, v11 offset0:20 offset1:22
	s_waitcnt lgkmcnt(3)
	v_pk_mul_f32 v[10:11], v[2:3], v[14:15]
	ds_write2st64_b32 v8, v10, v11 offset0:24 offset1:26
	s_waitcnt lgkmcnt(2)
	v_pk_mul_f32 v[10:11], v[2:3], v[12:13]
	s_add_i32 s15, s15, 16
	v_cmp_eq_u32_e32 vcc, 0, v7
	ds_write2st64_b32 v8, v10, v11 offset0:28 offset1:30
	v_add_u32_e32 v8, 0x2000, v8
	s_or_b64 s[26:27], vcc, s[26:27]
	v_mov_b32_e32 v9, s15
	s_andn2_b64 exec, exec, s[26:27]
	s_cbranch_execnz .LBB125_29
; %bb.30:
	s_or_b64 exec, exec, s[26:27]
.LBB125_31:
	s_or_b64 exec, exec, s[8:9]
	v_and_b32_e32 v5, 7, v5
	v_cmp_ne_u32_e32 vcc, 0, v5
	s_and_saveexec_b64 s[8:9], vcc
	s_cbranch_execz .LBB125_34
; %bb.32:
	v_lshlrev_b32_e32 v7, 9, v9
	v_lshlrev_b32_e32 v8, 2, v0
	s_movk_i32 s15, 0x210
	v_add3_u32 v7, v7, v8, s15
	s_mov_b64 s[26:27], 0
.LBB125_33:                             ; =>This Inner Loop Header: Depth=1
	ds_read2st64_b32 v[8:9], v7 offset1:2
	v_add_u32_e32 v5, -1, v5
	v_cmp_eq_u32_e32 vcc, 0, v5
	s_or_b64 s[26:27], vcc, s[26:27]
	s_waitcnt lgkmcnt(0)
	v_pk_mul_f32 v[8:9], v[2:3], v[8:9]
	ds_write2st64_b32 v7, v8, v9 offset1:2
	v_add_u32_e32 v7, 0x400, v7
	s_andn2_b64 exec, exec, s[26:27]
	s_cbranch_execnz .LBB125_33
.LBB125_34:
	s_or_b64 exec, exec, s[8:9]
	v_add_u32_e32 v4, 1, v4
	v_and_b32_e32 v5, 0x3fffffe, v4
	v_cmp_ne_u32_e32 vcc, v4, v5
	v_lshl_add_u32 v3, v5, 7, v0
	s_orn2_b64 s[8:9], vcc, exec
.LBB125_35:
	s_or_b64 exec, exec, s[2:3]
	s_and_b64 exec, exec, s[8:9]
	s_cbranch_execz .LBB125_38
; %bb.36:
	v_mov_b32_e32 v4, 0x210
	v_lshl_add_u32 v4, v3, 2, v4
	s_mov_b64 s[2:3], 0
.LBB125_37:                             ; =>This Inner Loop Header: Depth=1
	ds_read_b32 v5, v4
	v_add_u32_e32 v3, 0x80, v3
	v_cmp_le_i32_e32 vcc, s12, v3
	s_or_b64 s[2:3], vcc, s[2:3]
	s_waitcnt lgkmcnt(0)
	v_mul_f32_e32 v5, v2, v5
	ds_write_b32 v4, v5
	v_add_u32_e32 v4, 0x200, v4
	s_andn2_b64 exec, exec, s[2:3]
	s_cbranch_execnz .LBB125_37
.LBB125_38:
	s_or_b64 exec, exec, s[0:1]
	v_mov_b32_e32 v26, 0
	v_mov_b32_e32 v27, v26
	v_mov_b64_e32 v[28:29], v[26:27]
	s_waitcnt lgkmcnt(0)
	s_barrier
	s_and_saveexec_b64 s[8:9], s[6:7]
	s_cbranch_execz .LBB125_50
; %bb.39:
	s_ashr_i32 s15, s14, 31
	s_lshl_b64 s[0:1], s[14:15], 1
	s_add_u32 s0, s24, s0
	s_addc_u32 s1, s25, s1
	v_lshlrev_b32_e32 v2, 4, v37
	v_mov_b32_e32 v3, v26
	s_add_i32 s14, s17, -1
	v_lshl_add_u64 v[30:31], s[0:1], 0, v[2:3]
	s_lshl_b64 s[0:1], s[22:23], 2
	v_mov_b32_e32 v2, 0x210
	s_add_u32 s0, s20, s0
	v_lshl_add_u32 v38, v36, 5, v2
	v_and_b32_e32 v2, 60, v6
	s_addc_u32 s1, s21, s1
	s_mov_b32 s26, s13
	s_mov_b32 s15, s33
	v_lshlrev_b32_e32 v27, 3, v36
	v_lshl_add_u64 v[34:35], s[0:1], 0, v[2:3]
	s_mov_b64 s[6:7], 0
	s_mov_b32 s20, 0x5040100
	v_mov_b32_e32 v33, 0
	v_mov_b32_e32 v32, 0
	;; [unrolled: 1-line block ×4, first 2 shown]
	s_branch .LBB125_41
.LBB125_40:                             ;   in Loop: Header=BB125_41 Depth=1
	s_or_b64 exec, exec, s[2:3]
	s_waitcnt lgkmcnt(1)
	v_cvt_pk_bf16_f32 v14, v14, s0
	v_cvt_pk_bf16_f32 v15, v15, s0
	;; [unrolled: 1-line block ×4, first 2 shown]
	s_waitcnt vmcnt(1)
	v_and_b32_e32 v39, 0xffff0000, v22
	v_lshlrev_b32_e32 v15, 16, v15
	v_lshlrev_b32_e32 v22, 16, v22
	;; [unrolled: 1-line block ×3, first 2 shown]
	v_mul_f32_e32 v39, v15, v39
	v_mul_f32_e32 v22, v14, v22
	v_and_b32_e32 v40, 0xffff0000, v23
	v_lshlrev_b32_e32 v17, 16, v17
	v_lshlrev_b32_e32 v23, 16, v23
	v_lshlrev_b32_e32 v16, 16, v16
	s_waitcnt lgkmcnt(0)
	v_cvt_pk_bf16_f32 v10, v10, s0
	v_cvt_pk_bf16_f32 v11, v11, s0
	v_cvt_pk_bf16_f32 v39, v39, s0
	v_cvt_pk_bf16_f32 v22, v22, s0
	v_mul_f32_e32 v40, v17, v40
	v_mul_f32_e32 v23, v16, v23
	v_cvt_pk_bf16_f32 v40, v40, s0
	v_cvt_pk_bf16_f32 v23, v23, s0
	v_and_b32_e32 v41, 0xffff0000, v24
	v_lshlrev_b32_e32 v11, 16, v11
	v_lshlrev_b32_e32 v24, 16, v24
	;; [unrolled: 1-line block ×5, first 2 shown]
	v_cvt_pk_bf16_f32 v12, v12, s0
	v_cvt_pk_bf16_f32 v13, v13, s0
	v_mul_f32_e32 v41, v11, v41
	v_mul_f32_e32 v24, v10, v24
	v_add_f32_e32 v22, v22, v39
	v_lshlrev_b32_e32 v23, 16, v23
	v_lshlrev_b32_e32 v39, 16, v40
	v_cvt_pk_bf16_f32 v41, v41, s0
	v_cvt_pk_bf16_f32 v24, v24, s0
	v_and_b32_e32 v42, 0xffff0000, v25
	v_lshlrev_b32_e32 v13, 16, v13
	v_lshlrev_b32_e32 v25, 16, v25
	;; [unrolled: 1-line block ×3, first 2 shown]
	v_add_f32_e32 v23, v23, v39
	v_mul_f32_e32 v42, v13, v42
	v_mul_f32_e32 v25, v12, v25
	v_add_f32_e32 v22, v23, v22
	v_lshlrev_b32_e32 v23, 16, v24
	v_lshlrev_b32_e32 v24, 16, v41
	v_cvt_pk_bf16_f32 v42, v42, s0
	v_cvt_pk_bf16_f32 v25, v25, s0
	v_add_f32_e32 v23, v23, v24
	v_add_f32_e32 v22, v23, v22
	v_lshlrev_b32_e32 v23, 16, v25
	v_lshlrev_b32_e32 v24, 16, v42
	v_add_f32_e32 v23, v23, v24
	v_add_f32_e32 v22, v23, v22
	;; [unrolled: 1-line block ×3, first 2 shown]
	v_and_b32_e32 v22, 0xffff0000, v6
	v_lshlrev_b32_e32 v6, 16, v6
	v_mul_f32_e32 v22, v15, v22
	v_mul_f32_e32 v6, v14, v6
	v_and_b32_e32 v23, 0xffff0000, v7
	v_lshlrev_b32_e32 v7, 16, v7
	v_cvt_pk_bf16_f32 v22, v22, s0
	v_cvt_pk_bf16_f32 v6, v6, s0
	v_mul_f32_e32 v23, v17, v23
	v_mul_f32_e32 v7, v16, v7
	v_cvt_pk_bf16_f32 v23, v23, s0
	v_cvt_pk_bf16_f32 v7, v7, s0
	v_and_b32_e32 v24, 0xffff0000, v8
	v_lshlrev_b32_e32 v8, 16, v8
	v_lshlrev_b32_e32 v6, 16, v6
	;; [unrolled: 1-line block ×3, first 2 shown]
	v_mul_f32_e32 v24, v11, v24
	v_mul_f32_e32 v8, v10, v8
	v_add_f32_e32 v6, v6, v22
	v_lshlrev_b32_e32 v7, 16, v7
	v_lshlrev_b32_e32 v22, 16, v23
	v_cvt_pk_bf16_f32 v24, v24, s0
	v_cvt_pk_bf16_f32 v8, v8, s0
	v_and_b32_e32 v25, 0xffff0000, v9
	v_lshlrev_b32_e32 v9, 16, v9
	v_add_f32_e32 v7, v7, v22
	v_mul_f32_e32 v25, v13, v25
	v_mul_f32_e32 v9, v12, v9
	v_add_f32_e32 v6, v7, v6
	v_lshlrev_b32_e32 v7, 16, v8
	v_lshlrev_b32_e32 v8, 16, v24
	v_cvt_pk_bf16_f32 v25, v25, s0
	v_cvt_pk_bf16_f32 v9, v9, s0
	v_add_f32_e32 v7, v7, v8
	v_add_f32_e32 v6, v7, v6
	v_lshlrev_b32_e32 v7, 16, v9
	v_lshlrev_b32_e32 v8, 16, v25
	v_add_f32_e32 v7, v7, v8
	v_add_f32_e32 v6, v7, v6
	;; [unrolled: 1-line block ×3, first 2 shown]
	v_and_b32_e32 v6, 0xffff0000, v2
	v_lshlrev_b32_e32 v2, 16, v2
	v_mul_f32_e32 v6, v15, v6
	v_mul_f32_e32 v2, v14, v2
	v_and_b32_e32 v7, 0xffff0000, v3
	v_lshlrev_b32_e32 v3, 16, v3
	v_cvt_pk_bf16_f32 v6, v6, s0
	v_cvt_pk_bf16_f32 v2, v2, s0
	v_mul_f32_e32 v7, v17, v7
	v_mul_f32_e32 v3, v16, v3
	v_cvt_pk_bf16_f32 v7, v7, s0
	v_cvt_pk_bf16_f32 v3, v3, s0
	v_and_b32_e32 v8, 0xffff0000, v4
	v_lshlrev_b32_e32 v4, 16, v4
	v_lshlrev_b32_e32 v2, 16, v2
	;; [unrolled: 1-line block ×3, first 2 shown]
	v_mul_f32_e32 v8, v11, v8
	v_mul_f32_e32 v4, v10, v4
	v_add_f32_e32 v2, v2, v6
	v_lshlrev_b32_e32 v3, 16, v3
	v_lshlrev_b32_e32 v6, 16, v7
	v_cvt_pk_bf16_f32 v8, v8, s0
	v_cvt_pk_bf16_f32 v4, v4, s0
	v_and_b32_e32 v9, 0xffff0000, v5
	v_lshlrev_b32_e32 v5, 16, v5
	v_add_f32_e32 v3, v3, v6
	v_mul_f32_e32 v5, v12, v5
	v_add_f32_e32 v2, v3, v2
	v_lshlrev_b32_e32 v3, 16, v4
	v_lshlrev_b32_e32 v4, 16, v8
	v_cvt_pk_bf16_f32 v5, v5, s0
	v_add_f32_e32 v3, v3, v4
	v_add_f32_e32 v2, v3, v2
	v_lshlrev_b32_e32 v3, 16, v5
	s_waitcnt vmcnt(0)
	v_and_b32_e32 v5, 0xffff0000, v19
	v_mul_f32_e32 v5, v17, v5
	v_mul_f32_e32 v9, v13, v9
	v_cvt_pk_bf16_f32 v6, v5, s0
	v_lshlrev_b32_e32 v5, 16, v20
	v_cvt_pk_bf16_f32 v9, v9, s0
	v_mul_f32_e32 v5, v10, v5
	v_lshlrev_b32_e32 v4, 16, v9
	v_cvt_pk_bf16_f32 v7, v5, s0
	v_and_b32_e32 v5, 0xffff0000, v20
	v_add_f32_e32 v3, v3, v4
	v_mul_f32_e32 v5, v11, v5
	v_add_f32_e32 v2, v3, v2
	v_cvt_pk_bf16_f32 v8, v5, s0
	v_lshlrev_b32_e32 v5, 16, v21
	v_add_f32_e32 v28, v28, v2
	v_lshlrev_b32_e32 v2, 16, v18
	v_and_b32_e32 v3, 0xffff0000, v18
	v_lshlrev_b32_e32 v4, 16, v19
	v_mul_f32_e32 v5, v12, v5
	v_mul_f32_e32 v2, v14, v2
	;; [unrolled: 1-line block ×4, first 2 shown]
	v_cvt_pk_bf16_f32 v9, v5, s0
	v_and_b32_e32 v5, 0xffff0000, v21
	v_cvt_pk_bf16_f32 v2, v2, s0
	v_cvt_pk_bf16_f32 v3, v3, s0
	;; [unrolled: 1-line block ×3, first 2 shown]
	v_mul_f32_e32 v5, v13, v5
	v_cvt_pk_bf16_f32 v10, v5, s0
	v_lshlrev_b32_e32 v3, 16, v3
	v_lshlrev_b32_e32 v5, 16, v2
	;; [unrolled: 1-line block ×4, first 2 shown]
	v_pk_add_f32 v[2:3], v[4:5], v[2:3]
	v_lshlrev_b32_e32 v5, 16, v8
	v_lshlrev_b32_e32 v7, 16, v7
	;; [unrolled: 1-line block ×4, first 2 shown]
	v_pk_add_f32 v[4:5], v[6:7], v[4:5]
	v_add_f32_e32 v2, v2, v3
	v_add_f32_e32 v2, v5, v2
	v_add_u32_e32 v36, 2, v36
	v_add_f32_e32 v2, v4, v2
	v_cmp_le_i32_e32 vcc, s17, v36
	v_add_f32_e32 v33, v33, v2
	v_add_u32_e32 v27, 16, v27
	v_add_u32_e32 v38, 64, v38
	s_or_b64 s[6:7], vcc, s[6:7]
	v_lshl_add_u64 v[34:35], v[34:35], 0, 8
	s_andn2_b64 exec, exec, s[6:7]
	s_cbranch_execz .LBB125_49
.LBB125_41:                             ; =>This Inner Loop Header: Depth=1
	global_load_dword v2, v[34:35], off
	v_add_u32_e32 v45, 1, v27
	v_or_b32_e32 v43, 3, v27
	v_or_b32_e32 v44, 2, v27
	;; [unrolled: 1-line block ×6, first 2 shown]
	s_waitcnt vmcnt(0)
	v_mad_i64_i32 v[2:3], s[0:1], v2, s26, 0
	v_lshl_add_u64 v[18:19], v[2:3], 1, v[30:31]
	global_load_dwordx4 v[2:5], v[18:19], off
	ds_read2_b64 v[14:17], v38 offset1:1
	ds_read2_b64 v[10:13], v38 offset0:2 offset1:3
	v_cmp_eq_u32_e64 s[0:1], s14, v36
	s_and_saveexec_b64 s[12:13], s[0:1]
	s_cbranch_execnz .LBB125_45
; %bb.42:                               ;   in Loop: Header=BB125_41 Depth=1
	s_or_b64 exec, exec, s[12:13]
	global_load_dwordx4 v[6:9], v[18:19], off offset:1024
	s_and_saveexec_b64 s[12:13], s[0:1]
	s_cbranch_execnz .LBB125_46
.LBB125_43:                             ;   in Loop: Header=BB125_41 Depth=1
	s_or_b64 exec, exec, s[12:13]
	global_load_dwordx4 v[22:25], v[18:19], off offset:2048
	s_and_saveexec_b64 s[12:13], s[0:1]
	s_cbranch_execnz .LBB125_47
.LBB125_44:                             ;   in Loop: Header=BB125_41 Depth=1
	s_or_b64 exec, exec, s[12:13]
	global_load_dwordx4 v[18:21], v[18:19], off offset:3072
	s_and_saveexec_b64 s[2:3], s[0:1]
	s_cbranch_execz .LBB125_40
	s_branch .LBB125_48
.LBB125_45:                             ;   in Loop: Header=BB125_41 Depth=1
	v_cmp_gt_i32_e32 vcc, s15, v45
	v_cmp_gt_i32_e64 s[2:3], s33, v44
	s_waitcnt vmcnt(0)
	v_cndmask_b32_sdwa v6, v26, v2, vcc dst_sel:DWORD dst_unused:UNUSED_PAD src0_sel:DWORD src1_sel:WORD_1
	v_cmp_gt_i32_e32 vcc, s33, v27
	s_nop 1
	v_cndmask_b32_e32 v2, 0, v2, vcc
	v_cmp_gt_i32_e32 vcc, s15, v43
	v_perm_b32 v2, v6, v2, s20
	v_cndmask_b32_e64 v6, 0, v3, s[2:3]
	v_cndmask_b32_sdwa v3, v26, v3, vcc dst_sel:DWORD dst_unused:UNUSED_PAD src0_sel:DWORD src1_sel:WORD_1
	v_cmp_gt_i32_e32 vcc, s15, v41
	v_cmp_gt_i32_e64 s[2:3], s33, v42
	v_perm_b32 v3, v3, v6, s20
	s_nop 0
	v_cndmask_b32_e64 v6, 0, v4, s[2:3]
	v_cndmask_b32_sdwa v4, v26, v4, vcc dst_sel:DWORD dst_unused:UNUSED_PAD src0_sel:DWORD src1_sel:WORD_1
	v_cmp_gt_i32_e32 vcc, s15, v39
	v_cmp_gt_i32_e64 s[2:3], s33, v40
	v_perm_b32 v4, v4, v6, s20
	s_nop 0
	v_cndmask_b32_e64 v6, 0, v5, s[2:3]
	v_cndmask_b32_sdwa v5, v26, v5, vcc dst_sel:DWORD dst_unused:UNUSED_PAD src0_sel:DWORD src1_sel:WORD_1
	v_perm_b32 v5, v5, v6, s20
	s_or_b64 exec, exec, s[12:13]
	global_load_dwordx4 v[6:9], v[18:19], off offset:1024
	s_and_saveexec_b64 s[12:13], s[0:1]
	s_cbranch_execz .LBB125_43
.LBB125_46:                             ;   in Loop: Header=BB125_41 Depth=1
	v_cmp_gt_i32_e32 vcc, s15, v45
	v_cmp_gt_i32_e64 s[2:3], s33, v44
	s_waitcnt vmcnt(0)
	v_cndmask_b32_sdwa v20, v26, v6, vcc dst_sel:DWORD dst_unused:UNUSED_PAD src0_sel:DWORD src1_sel:WORD_1
	v_cmp_gt_i32_e32 vcc, s33, v27
	s_nop 1
	v_cndmask_b32_e32 v6, 0, v6, vcc
	v_cmp_gt_i32_e32 vcc, s15, v43
	v_perm_b32 v6, v20, v6, s20
	v_cndmask_b32_e64 v20, 0, v7, s[2:3]
	v_cndmask_b32_sdwa v7, v26, v7, vcc dst_sel:DWORD dst_unused:UNUSED_PAD src0_sel:DWORD src1_sel:WORD_1
	v_cmp_gt_i32_e32 vcc, s15, v41
	v_cmp_gt_i32_e64 s[2:3], s33, v42
	v_perm_b32 v7, v7, v20, s20
	s_nop 0
	v_cndmask_b32_e64 v20, 0, v8, s[2:3]
	v_cndmask_b32_sdwa v8, v26, v8, vcc dst_sel:DWORD dst_unused:UNUSED_PAD src0_sel:DWORD src1_sel:WORD_1
	v_cmp_gt_i32_e32 vcc, s15, v39
	v_cmp_gt_i32_e64 s[2:3], s33, v40
	v_perm_b32 v8, v8, v20, s20
	s_nop 0
	v_cndmask_b32_e64 v20, 0, v9, s[2:3]
	v_cndmask_b32_sdwa v9, v26, v9, vcc dst_sel:DWORD dst_unused:UNUSED_PAD src0_sel:DWORD src1_sel:WORD_1
	v_perm_b32 v9, v9, v20, s20
	s_or_b64 exec, exec, s[12:13]
	global_load_dwordx4 v[22:25], v[18:19], off offset:2048
	s_and_saveexec_b64 s[12:13], s[0:1]
	s_cbranch_execz .LBB125_44
.LBB125_47:                             ;   in Loop: Header=BB125_41 Depth=1
	v_cmp_gt_i32_e32 vcc, s15, v45
	v_cmp_gt_i32_e64 s[2:3], s33, v44
	s_waitcnt vmcnt(0)
	v_cndmask_b32_sdwa v20, v26, v22, vcc dst_sel:DWORD dst_unused:UNUSED_PAD src0_sel:DWORD src1_sel:WORD_1
	v_cmp_gt_i32_e32 vcc, s33, v27
	s_nop 1
	v_cndmask_b32_e32 v21, 0, v22, vcc
	v_cmp_gt_i32_e32 vcc, s15, v43
	v_perm_b32 v22, v20, v21, s20
	v_cndmask_b32_e64 v20, 0, v23, s[2:3]
	v_cndmask_b32_sdwa v21, v26, v23, vcc dst_sel:DWORD dst_unused:UNUSED_PAD src0_sel:DWORD src1_sel:WORD_1
	v_cmp_gt_i32_e32 vcc, s15, v41
	v_cmp_gt_i32_e64 s[2:3], s33, v42
	v_perm_b32 v23, v21, v20, s20
	v_cndmask_b32_sdwa v21, v26, v24, vcc dst_sel:DWORD dst_unused:UNUSED_PAD src0_sel:DWORD src1_sel:WORD_1
	v_cndmask_b32_e64 v20, 0, v24, s[2:3]
	v_cmp_gt_i32_e32 vcc, s15, v39
	v_cmp_gt_i32_e64 s[2:3], s33, v40
	v_perm_b32 v24, v21, v20, s20
	v_cndmask_b32_sdwa v21, v26, v25, vcc dst_sel:DWORD dst_unused:UNUSED_PAD src0_sel:DWORD src1_sel:WORD_1
	v_cndmask_b32_e64 v20, 0, v25, s[2:3]
	v_perm_b32 v25, v21, v20, s20
	s_or_b64 exec, exec, s[12:13]
	global_load_dwordx4 v[18:21], v[18:19], off offset:3072
	s_and_saveexec_b64 s[2:3], s[0:1]
	s_cbranch_execz .LBB125_40
.LBB125_48:                             ;   in Loop: Header=BB125_41 Depth=1
	v_cmp_gt_i32_e32 vcc, s15, v45
	v_cmp_gt_i32_e64 s[0:1], s33, v44
	s_waitcnt vmcnt(0)
	v_cndmask_b32_sdwa v45, v26, v18, vcc dst_sel:DWORD dst_unused:UNUSED_PAD src0_sel:DWORD src1_sel:WORD_1
	v_cmp_gt_i32_e32 vcc, s33, v27
	s_nop 1
	v_cndmask_b32_e32 v18, 0, v18, vcc
	v_cmp_gt_i32_e32 vcc, s15, v43
	v_cndmask_b32_e64 v43, 0, v19, s[0:1]
	v_cmp_gt_i32_e64 s[0:1], s33, v42
	v_cndmask_b32_sdwa v19, v26, v19, vcc dst_sel:DWORD dst_unused:UNUSED_PAD src0_sel:DWORD src1_sel:WORD_1
	v_cmp_gt_i32_e32 vcc, s15, v41
	v_cndmask_b32_e64 v41, 0, v20, s[0:1]
	v_cmp_gt_i32_e64 s[0:1], s33, v40
	v_cndmask_b32_sdwa v20, v26, v20, vcc dst_sel:DWORD dst_unused:UNUSED_PAD src0_sel:DWORD src1_sel:WORD_1
	v_cmp_gt_i32_e32 vcc, s15, v39
	v_cndmask_b32_e64 v39, 0, v21, s[0:1]
	v_perm_b32 v18, v45, v18, s20
	v_cndmask_b32_sdwa v21, v26, v21, vcc dst_sel:DWORD dst_unused:UNUSED_PAD src0_sel:DWORD src1_sel:WORD_1
	v_perm_b32 v19, v19, v43, s20
	v_perm_b32 v20, v20, v41, s20
	v_perm_b32 v21, v21, v39, s20
	s_branch .LBB125_40
.LBB125_49:
	s_or_b64 exec, exec, s[6:7]
	v_mov_b64_e32 v[26:27], v[32:33]
.LBB125_50:
	s_or_b64 exec, exec, s[8:9]
	v_and_b32_e32 v2, 0x3c0, v0
	v_cmp_eq_u32_e32 vcc, 64, v2
	s_barrier
	s_and_saveexec_b64 s[0:1], vcc
	s_cbranch_execz .LBB125_52
; %bb.51:
	v_mov_b32_e32 v2, 0x210
	v_lshl_add_u32 v2, v37, 2, v2
	ds_write2st64_b32 v2, v28, v29 offset1:1
	ds_write2st64_b32 v2, v26, v27 offset0:2 offset1:3
.LBB125_52:
	s_or_b64 exec, exec, s[0:1]
	v_cmp_gt_u32_e32 vcc, 64, v0
	s_waitcnt lgkmcnt(0)
	s_barrier
	s_and_saveexec_b64 s[0:1], vcc
	s_cbranch_execz .LBB125_54
; %bb.53:
	v_mov_b32_e32 v2, 0x210
	v_lshl_add_u32 v0, v0, 2, v2
	ds_read2st64_b32 v[2:3], v0 offset1:1
	ds_read2st64_b32 v[4:5], v0 offset0:2 offset1:3
	s_waitcnt lgkmcnt(1)
	v_pk_add_f32 v[28:29], v[28:29], v[2:3]
	s_waitcnt lgkmcnt(0)
	v_pk_add_f32 v[26:27], v[26:27], v[4:5]
.LBB125_54:
	s_or_b64 exec, exec, s[0:1]
	s_barrier
	s_and_saveexec_b64 s[0:1], vcc
	s_cbranch_execz .LBB125_56
; %bb.55:
	s_mul_i32 s0, s10, s11
	s_mul_i32 s0, s0, s5
	s_lshl_b32 s0, s0, 8
	s_ashr_i32 s1, s0, 31
	s_lshl_b64 s[0:1], s[0:1], 1
	s_add_u32 s2, s18, s0
	s_mul_i32 s0, s11, s16
	s_addc_u32 s3, s19, s1
	s_ashr_i32 s1, s0, 31
	s_lshl_b64 s[0:1], s[0:1], 1
	s_add_u32 s2, s2, s0
	s_addc_u32 s3, s3, s1
	s_lshl_b32 s0, s4, 8
	s_ashr_i32 s1, s0, 31
	s_lshl_b64 s[0:1], s[0:1], 1
	s_add_u32 s0, s2, s0
	s_addc_u32 s1, s3, s1
	v_cvt_pk_bf16_f32 v0, v28, s0
	global_store_short v1, v0, s[0:1]
	v_cvt_pk_bf16_f32 v0, v29, s0
	global_store_short v1, v0, s[0:1] offset:128
	v_cvt_pk_bf16_f32 v0, v26, s0
	global_store_short v1, v0, s[0:1] offset:256
	;; [unrolled: 2-line block ×3, first 2 shown]
.LBB125_56:
	s_endpgm
	.section	.rodata,"a",@progbits
	.p2align	6, 0x0
	.amdhsa_kernel _ZN4vllm25paged_attention_v1_kernelI14__hip_bfloat16S1_Li256ELi8ELi128ELNS_18Fp8KVCacheDataTypeE0ELb0EEEvPT_PKS3_PKT0_S9_ifPKiSB_iPKfiiiSD_SD_iiiii
		.amdhsa_group_segment_fixed_size 528
		.amdhsa_private_segment_fixed_size 0
		.amdhsa_kernarg_size 384
		.amdhsa_user_sgpr_count 2
		.amdhsa_user_sgpr_dispatch_ptr 0
		.amdhsa_user_sgpr_queue_ptr 0
		.amdhsa_user_sgpr_kernarg_segment_ptr 1
		.amdhsa_user_sgpr_dispatch_id 0
		.amdhsa_user_sgpr_kernarg_preload_length 0
		.amdhsa_user_sgpr_kernarg_preload_offset 0
		.amdhsa_user_sgpr_private_segment_size 0
		.amdhsa_uses_dynamic_stack 0
		.amdhsa_enable_private_segment 0
		.amdhsa_system_sgpr_workgroup_id_x 1
		.amdhsa_system_sgpr_workgroup_id_y 1
		.amdhsa_system_sgpr_workgroup_id_z 1
		.amdhsa_system_sgpr_workgroup_info 0
		.amdhsa_system_vgpr_workitem_id 0
		.amdhsa_next_free_vgpr 83
		.amdhsa_next_free_sgpr 34
		.amdhsa_accum_offset 84
		.amdhsa_reserve_vcc 1
		.amdhsa_float_round_mode_32 0
		.amdhsa_float_round_mode_16_64 0
		.amdhsa_float_denorm_mode_32 3
		.amdhsa_float_denorm_mode_16_64 3
		.amdhsa_dx10_clamp 1
		.amdhsa_ieee_mode 1
		.amdhsa_fp16_overflow 0
		.amdhsa_tg_split 0
		.amdhsa_exception_fp_ieee_invalid_op 0
		.amdhsa_exception_fp_denorm_src 0
		.amdhsa_exception_fp_ieee_div_zero 0
		.amdhsa_exception_fp_ieee_overflow 0
		.amdhsa_exception_fp_ieee_underflow 0
		.amdhsa_exception_fp_ieee_inexact 0
		.amdhsa_exception_int_div_zero 0
	.end_amdhsa_kernel
	.section	.text._ZN4vllm25paged_attention_v1_kernelI14__hip_bfloat16S1_Li256ELi8ELi128ELNS_18Fp8KVCacheDataTypeE0ELb0EEEvPT_PKS3_PKT0_S9_ifPKiSB_iPKfiiiSD_SD_iiiii,"axG",@progbits,_ZN4vllm25paged_attention_v1_kernelI14__hip_bfloat16S1_Li256ELi8ELi128ELNS_18Fp8KVCacheDataTypeE0ELb0EEEvPT_PKS3_PKT0_S9_ifPKiSB_iPKfiiiSD_SD_iiiii,comdat
.Lfunc_end125:
	.size	_ZN4vllm25paged_attention_v1_kernelI14__hip_bfloat16S1_Li256ELi8ELi128ELNS_18Fp8KVCacheDataTypeE0ELb0EEEvPT_PKS3_PKT0_S9_ifPKiSB_iPKfiiiSD_SD_iiiii, .Lfunc_end125-_ZN4vllm25paged_attention_v1_kernelI14__hip_bfloat16S1_Li256ELi8ELi128ELNS_18Fp8KVCacheDataTypeE0ELb0EEEvPT_PKS3_PKT0_S9_ifPKiSB_iPKfiiiSD_SD_iiiii
                                        ; -- End function
	.set _ZN4vllm25paged_attention_v1_kernelI14__hip_bfloat16S1_Li256ELi8ELi128ELNS_18Fp8KVCacheDataTypeE0ELb0EEEvPT_PKS3_PKT0_S9_ifPKiSB_iPKfiiiSD_SD_iiiii.num_vgpr, 83
	.set _ZN4vllm25paged_attention_v1_kernelI14__hip_bfloat16S1_Li256ELi8ELi128ELNS_18Fp8KVCacheDataTypeE0ELb0EEEvPT_PKS3_PKT0_S9_ifPKiSB_iPKfiiiSD_SD_iiiii.num_agpr, 0
	.set _ZN4vllm25paged_attention_v1_kernelI14__hip_bfloat16S1_Li256ELi8ELi128ELNS_18Fp8KVCacheDataTypeE0ELb0EEEvPT_PKS3_PKT0_S9_ifPKiSB_iPKfiiiSD_SD_iiiii.numbered_sgpr, 34
	.set _ZN4vllm25paged_attention_v1_kernelI14__hip_bfloat16S1_Li256ELi8ELi128ELNS_18Fp8KVCacheDataTypeE0ELb0EEEvPT_PKS3_PKT0_S9_ifPKiSB_iPKfiiiSD_SD_iiiii.num_named_barrier, 0
	.set _ZN4vllm25paged_attention_v1_kernelI14__hip_bfloat16S1_Li256ELi8ELi128ELNS_18Fp8KVCacheDataTypeE0ELb0EEEvPT_PKS3_PKT0_S9_ifPKiSB_iPKfiiiSD_SD_iiiii.private_seg_size, 0
	.set _ZN4vllm25paged_attention_v1_kernelI14__hip_bfloat16S1_Li256ELi8ELi128ELNS_18Fp8KVCacheDataTypeE0ELb0EEEvPT_PKS3_PKT0_S9_ifPKiSB_iPKfiiiSD_SD_iiiii.uses_vcc, 1
	.set _ZN4vllm25paged_attention_v1_kernelI14__hip_bfloat16S1_Li256ELi8ELi128ELNS_18Fp8KVCacheDataTypeE0ELb0EEEvPT_PKS3_PKT0_S9_ifPKiSB_iPKfiiiSD_SD_iiiii.uses_flat_scratch, 0
	.set _ZN4vllm25paged_attention_v1_kernelI14__hip_bfloat16S1_Li256ELi8ELi128ELNS_18Fp8KVCacheDataTypeE0ELb0EEEvPT_PKS3_PKT0_S9_ifPKiSB_iPKfiiiSD_SD_iiiii.has_dyn_sized_stack, 0
	.set _ZN4vllm25paged_attention_v1_kernelI14__hip_bfloat16S1_Li256ELi8ELi128ELNS_18Fp8KVCacheDataTypeE0ELb0EEEvPT_PKS3_PKT0_S9_ifPKiSB_iPKfiiiSD_SD_iiiii.has_recursion, 0
	.set _ZN4vllm25paged_attention_v1_kernelI14__hip_bfloat16S1_Li256ELi8ELi128ELNS_18Fp8KVCacheDataTypeE0ELb0EEEvPT_PKS3_PKT0_S9_ifPKiSB_iPKfiiiSD_SD_iiiii.has_indirect_call, 0
	.section	.AMDGPU.csdata,"",@progbits
; Kernel info:
; codeLenInByte = 5512
; TotalNumSgprs: 40
; NumVgprs: 83
; NumAgprs: 0
; TotalNumVgprs: 83
; ScratchSize: 0
; MemoryBound: 0
; FloatMode: 240
; IeeeMode: 1
; LDSByteSize: 528 bytes/workgroup (compile time only)
; SGPRBlocks: 4
; VGPRBlocks: 10
; NumSGPRsForWavesPerEU: 40
; NumVGPRsForWavesPerEU: 83
; AccumOffset: 84
; Occupancy: 5
; WaveLimiterHint : 1
; COMPUTE_PGM_RSRC2:SCRATCH_EN: 0
; COMPUTE_PGM_RSRC2:USER_SGPR: 2
; COMPUTE_PGM_RSRC2:TRAP_HANDLER: 0
; COMPUTE_PGM_RSRC2:TGID_X_EN: 1
; COMPUTE_PGM_RSRC2:TGID_Y_EN: 1
; COMPUTE_PGM_RSRC2:TGID_Z_EN: 1
; COMPUTE_PGM_RSRC2:TIDIG_COMP_CNT: 0
; COMPUTE_PGM_RSRC3_GFX90A:ACCUM_OFFSET: 20
; COMPUTE_PGM_RSRC3_GFX90A:TG_SPLIT: 0
	.section	.text._ZN4vllm25paged_attention_v1_kernelI14__hip_bfloat16S1_Li32ELi16ELi128ELNS_18Fp8KVCacheDataTypeE0ELb1EEEvPT_PKS3_PKT0_S9_ifPKiSB_iPKfiiiSD_SD_iiiii,"axG",@progbits,_ZN4vllm25paged_attention_v1_kernelI14__hip_bfloat16S1_Li32ELi16ELi128ELNS_18Fp8KVCacheDataTypeE0ELb1EEEvPT_PKS3_PKT0_S9_ifPKiSB_iPKfiiiSD_SD_iiiii,comdat
	.protected	_ZN4vllm25paged_attention_v1_kernelI14__hip_bfloat16S1_Li32ELi16ELi128ELNS_18Fp8KVCacheDataTypeE0ELb1EEEvPT_PKS3_PKT0_S9_ifPKiSB_iPKfiiiSD_SD_iiiii ; -- Begin function _ZN4vllm25paged_attention_v1_kernelI14__hip_bfloat16S1_Li32ELi16ELi128ELNS_18Fp8KVCacheDataTypeE0ELb1EEEvPT_PKS3_PKT0_S9_ifPKiSB_iPKfiiiSD_SD_iiiii
	.globl	_ZN4vllm25paged_attention_v1_kernelI14__hip_bfloat16S1_Li32ELi16ELi128ELNS_18Fp8KVCacheDataTypeE0ELb1EEEvPT_PKS3_PKT0_S9_ifPKiSB_iPKfiiiSD_SD_iiiii
	.p2align	8
	.type	_ZN4vllm25paged_attention_v1_kernelI14__hip_bfloat16S1_Li32ELi16ELi128ELNS_18Fp8KVCacheDataTypeE0ELb1EEEvPT_PKS3_PKT0_S9_ifPKiSB_iPKfiiiSD_SD_iiiii,@function
_ZN4vllm25paged_attention_v1_kernelI14__hip_bfloat16S1_Li32ELi16ELi128ELNS_18Fp8KVCacheDataTypeE0ELb1EEEvPT_PKS3_PKT0_S9_ifPKiSB_iPKfiiiSD_SD_iiiii: ; @_ZN4vllm25paged_attention_v1_kernelI14__hip_bfloat16S1_Li32ELi16ELi128ELNS_18Fp8KVCacheDataTypeE0ELb1EEEvPT_PKS3_PKT0_S9_ifPKiSB_iPKfiiiSD_SD_iiiii
; %bb.0:
	s_load_dword s5, s[0:1], 0x80
	s_load_dwordx2 s[6:7], s[0:1], 0x30
	s_load_dwordx2 s[30:31], s[0:1], 0x20
	s_mov_b32 s10, s3
	s_ashr_i32 s11, s3, 31
	s_lshl_b64 s[8:9], s[10:11], 2
	s_waitcnt lgkmcnt(0)
	s_add_u32 s6, s6, s8
	s_addc_u32 s7, s7, s9
	s_abs_i32 s3, s30
	v_cvt_f32_u32_e32 v1, s3
	s_sub_i32 s11, 0, s3
	s_abs_i32 s9, s5
	s_xor_b32 s8, s5, s30
	v_rcp_iflag_f32_e32 v1, v1
	s_ashr_i32 s8, s8, 31
	s_mov_b32 s42, 0
	v_mul_f32_e32 v1, 0x4f7ffffe, v1
	v_cvt_u32_f32_e32 v1, v1
	s_nop 0
	v_readfirstlane_b32 s12, v1
	s_mul_i32 s11, s11, s12
	s_mul_hi_u32 s11, s12, s11
	s_add_i32 s12, s12, s11
	s_mul_hi_u32 s11, s9, s12
	s_mul_i32 s12, s11, s3
	s_sub_i32 s9, s9, s12
	s_add_i32 s12, s11, 1
	s_sub_i32 s13, s9, s3
	s_cmp_ge_u32 s9, s3
	s_cselect_b32 s11, s12, s11
	s_cselect_b32 s9, s13, s9
	s_add_i32 s12, s11, 1
	s_cmp_ge_u32 s9, s3
	s_cselect_b32 s3, s12, s11
	s_xor_b32 s3, s3, s8
	s_sub_i32 s16, s3, s8
	s_abs_i32 s22, s16
	v_cvt_f32_u32_e32 v1, s22
	s_load_dwordx2 s[8:9], s[0:1], 0x40
	s_sub_i32 s3, 0, s22
	s_abs_i32 s23, s2
	v_rcp_iflag_f32_e32 v1, v1
	s_nop 0
	v_mul_f32_e32 v1, 0x4f7ffffe, v1
	v_cvt_u32_f32_e32 v1, v1
	s_nop 0
	v_readfirstlane_b32 s11, v1
	s_mul_i32 s3, s3, s11
	s_mul_hi_u32 s3, s11, s3
	s_add_i32 s11, s11, s3
	s_waitcnt lgkmcnt(0)
	s_cmp_eq_u64 s[8:9], 0
	s_mul_hi_u32 s24, s23, s11
	s_cbranch_scc1 .LBB126_2
; %bb.1:
	s_ashr_i32 s3, s2, 31
	s_lshl_b64 s[12:13], s[2:3], 2
	s_add_u32 s8, s8, s12
	s_addc_u32 s9, s9, s13
	s_load_dword s42, s[8:9], 0x0
.LBB126_2:
	s_load_dword s11, s[6:7], 0x0
	s_load_dwordx4 s[12:15], s[0:1], 0x48
	s_ashr_i32 s8, s2, 31
	s_ashr_i32 s9, s16, 31
	v_and_b32_e32 v4, 3, v0
	s_lshl_b32 s20, s2, 5
	v_cmp_gt_u32_e32 vcc, 16, v0
	s_and_saveexec_b64 s[6:7], vcc
	s_cbranch_execz .LBB126_4
; %bb.3:
	s_load_dwordx2 s[16:17], s[0:1], 0x8
	s_waitcnt lgkmcnt(0)
	s_mul_i32 s18, s12, s10
	s_ashr_i32 s19, s18, 31
	s_lshl_b64 s[18:19], s[18:19], 1
	v_lshlrev_b32_e32 v1, 2, v0
	s_add_u32 s3, s16, s18
	s_addc_u32 s12, s17, s19
	s_ashr_i32 s21, s20, 31
	s_lshl_b64 s[16:17], s[20:21], 1
	s_add_u32 s16, s3, s16
	s_addc_u32 s17, s12, s17
	global_load_dword v1, v1, s[16:17]
	v_and_b32_e32 v2, 0x3fc, v0
	v_lshl_add_u32 v2, v4, 4, v2
	s_waitcnt vmcnt(0)
	ds_write_b32 v2, v1
.LBB126_4:
	s_or_b64 exec, exec, s[6:7]
	s_mul_i32 s7, s24, s22
	s_sub_i32 s7, s23, s7
	s_xor_b32 s6, s8, s9
	s_add_i32 s8, s24, 1
	s_sub_i32 s9, s7, s22
	s_load_dwordx4 s[16:19], s[0:1], 0x68
	s_load_dword s3, s[0:1], 0x78
	s_cmp_ge_u32 s7, s22
	s_cselect_b32 s8, s8, s24
	s_cselect_b32 s7, s9, s7
	s_add_i32 s9, s8, 1
	s_cmp_ge_u32 s7, s22
	s_cselect_b32 s7, s9, s8
	s_waitcnt lgkmcnt(0)
	s_abs_i32 s21, s19
	v_cvt_f32_u32_e32 v1, s21
	s_xor_b32 s7, s7, s6
	s_sub_i32 s8, s7, s6
	s_sub_i32 s6, 0, s21
	v_rcp_iflag_f32_e32 v1, v1
	s_add_i32 s15, s11, -1
	s_abs_i32 s9, s15
	v_mul_f32_e32 v1, 0x4f7ffffe, v1
	v_cvt_u32_f32_e32 v1, v1
	s_barrier
	v_readfirstlane_b32 s33, v1
	s_mul_i32 s6, s6, s33
	s_mul_hi_u32 s6, s33, s6
	s_add_i32 s33, s33, s6
	s_cmp_lt_i32 s3, 0
	s_mul_hi_u32 s12, s9, s33
	s_cbranch_scc0 .LBB126_6
; %bb.5:
	s_mul_i32 s6, s16, s30
	s_add_i32 s6, s8, s6
	s_mul_i32 s6, s6, s3
	s_sub_i32 s40, 1, s6
	s_mov_b64 s[6:7], 0
	s_branch .LBB126_7
.LBB126_6:
	s_mov_b64 s[6:7], -1
                                        ; implicit-def: $sgpr40
.LBB126_7:
	s_load_dwordx2 s[24:25], s[0:1], 0x28
	s_ashr_i32 s15, s15, 31
	s_andn2_b64 vcc, exec, s[6:7]
	s_ashr_i32 s19, s19, 31
	s_cbranch_vccnz .LBB126_9
; %bb.8:
	s_mul_i32 s6, s5, s16
	s_add_i32 s2, s6, s2
	s_mul_i32 s2, s2, s3
	s_add_i32 s40, s2, 1
.LBB126_9:
	s_load_dword s2, s[0:1], 0x38
	s_load_dwordx2 s[22:23], s[0:1], 0x0
	s_load_dwordx2 s[28:29], s[0:1], 0x18
	s_load_dword s16, s[0:1], 0x88
	s_xor_b32 s3, s15, s19
	s_waitcnt lgkmcnt(0)
	s_mul_i32 s26, s2, s10
	s_mul_i32 s2, s12, s21
	s_sub_i32 s2, s9, s2
	s_ashr_i32 s27, s26, 31
	s_add_i32 s6, s12, 1
	s_sub_i32 s7, s2, s21
	s_cmp_ge_u32 s2, s21
	s_cselect_b32 s6, s6, s12
	s_cselect_b32 s2, s7, s2
	s_add_i32 s7, s6, 1
	s_cmp_ge_u32 s2, s21
	s_cselect_b32 s2, s7, s6
	s_xor_b32 s2, s2, s3
	s_sub_i32 s12, s2, s3
	s_add_i32 s2, s11, 15
	s_ashr_i32 s3, s2, 31
	s_lshr_b32 s3, s3, 28
	s_add_i32 s2, s2, s3
	s_ashr_i32 s41, s2, 4
	v_lshrrev_b32_e32 v1, 6, v0
	v_cmp_gt_i32_e64 s[2:3], s41, v1
	v_mov_b32_e32 v10, 0xff7fffff
	s_mul_i32 s14, s8, s14
	v_lshrrev_b32_e32 v6, 4, v0
	v_lshlrev_b32_e32 v20, 4, v1
	v_mbcnt_lo_u32_b32 v7, -1, 0
	s_and_saveexec_b64 s[34:35], s[2:3]
	s_cbranch_execz .LBB126_21
; %bb.10:
	s_load_dwordx2 s[0:1], s[0:1], 0x10
	s_ashr_i32 s15, s14, 31
	s_sub_i32 s30, s12, s17
	s_lshl_b64 s[6:7], s[14:15], 1
	v_bfe_u32 v8, v0, 2, 4
	s_waitcnt lgkmcnt(0)
	s_add_u32 s0, s0, s6
	s_addc_u32 s1, s1, s7
	s_abs_i32 s15, s18
	v_cvt_f32_u32_e32 v5, s15
	v_lshlrev_b32_e32 v12, 4, v8
	v_mov_b32_e32 v13, 0
	v_lshlrev_b32_e32 v9, 2, v0
	v_rcp_iflag_f32_e32 v5, v5
	s_sub_i32 s6, 0, s15
	v_cmp_eq_u32_e32 vcc, 0, v4
	v_lshl_add_u64 v[2:3], s[0:1], 0, v[12:13]
	v_mul_f32_e32 v5, 0x4f7ffffe, v5
	v_cvt_u32_f32_e32 v5, v5
	v_and_b32_e32 v12, 12, v9
	v_lshlrev_b32_e32 v9, 4, v4
	v_lshl_add_u64 v[2:3], v[2:3], 0, v[12:13]
	v_mul_lo_u32 v4, s6, v5
	s_lshl_b64 s[6:7], s[26:27], 2
	s_add_u32 s6, s24, s6
	v_mul_hi_u32 v4, v5, v4
	v_and_b32_e32 v12, 60, v6
	s_addc_u32 s7, s25, s7
	v_subrev_u32_e32 v10, s11, v8
	v_add_u32_e32 v11, v5, v4
	v_lshl_add_u64 v[4:5], s[6:7], 0, v[12:13]
	v_add_u32_e32 v13, 1, v10
	v_lshlrev_b32_e32 v10, 2, v8
	v_lshl_or_b32 v10, v1, 6, v10
	v_mbcnt_hi_u32_b32 v16, -1, v7
	v_add_u32_e32 v14, 0x50, v10
	v_and_b32_e32 v10, 64, v16
	s_mov_b32 s43, s13
	v_cmp_neq_f32_e64 s[0:1], s42, 0
	v_lshlrev_b32_e32 v12, 4, v1
	v_mov_b32_e32 v15, 0xff7fffff
	s_mov_b64 s[36:37], 0
	v_add_u32_e32 v17, 64, v10
	v_xor_b32_e32 v18, 2, v16
	v_xor_b32_e32 v19, 1, v16
	v_mov_b32_e32 v10, 0xff7fffff
	v_mov_b32_e32 v21, v1
	s_branch .LBB126_13
.LBB126_11:                             ;   in Loop: Header=BB126_13 Depth=1
	s_or_b64 exec, exec, s[38:39]
.LBB126_12:                             ;   in Loop: Header=BB126_13 Depth=1
	s_or_b64 exec, exec, s[8:9]
	v_add_u32_e32 v21, 2, v21
	v_cmp_le_i32_e64 s[6:7], s41, v21
	v_lshl_add_u64 v[4:5], v[4:5], 0, 8
	v_add_u32_e32 v12, 32, v12
	s_or_b64 s[36:37], s[6:7], s[36:37]
	v_add_u32_e32 v14, 0x80, v14
	s_andn2_b64 exec, exec, s[36:37]
	s_cbranch_execz .LBB126_20
.LBB126_13:                             ; =>This Inner Loop Header: Depth=1
	v_mul_hi_u32 v22, v12, s33
	s_waitcnt lgkmcnt(0)
	v_mul_lo_u32 v23, v22, s21
	v_sub_u32_e32 v23, v12, v23
	v_add_u32_e32 v24, 1, v22
	v_cmp_le_u32_e64 s[6:7], s21, v23
	s_nop 1
	v_cndmask_b32_e64 v22, v22, v24, s[6:7]
	v_subrev_u32_e32 v24, s21, v23
	v_cndmask_b32_e64 v23, v23, v24, s[6:7]
	v_add_u32_e32 v24, 1, v22
	v_cmp_le_u32_e64 s[6:7], s21, v23
	s_nop 1
	v_cndmask_b32_e64 v22, v22, v24, s[6:7]
	v_xor_b32_e32 v22, s19, v22
	v_subrev_u32_e32 v22, s19, v22
	v_add_u32_e32 v23, s40, v22
	v_sub_u32_e32 v25, 0, v23
	v_ashrrev_i32_e32 v24, 31, v23
	v_max_i32_e32 v23, v23, v25
	v_mul_hi_u32 v25, v23, v11
	v_mul_lo_u32 v25, v25, s15
	v_sub_u32_e32 v23, v23, v25
	v_subrev_u32_e32 v25, s15, v23
	v_cmp_le_u32_e64 s[6:7], s15, v23
	v_cmp_ge_i32_e64 s[8:9], s30, v22
	s_nop 0
	v_cndmask_b32_e64 v23, v23, v25, s[6:7]
	v_subrev_u32_e32 v25, s15, v23
	v_cmp_le_u32_e64 s[6:7], s15, v23
	s_nop 1
	v_cndmask_b32_e64 v23, v23, v25, s[6:7]
	v_xor_b32_e32 v23, v23, v24
	v_sub_u32_e32 v23, v23, v24
	v_cmp_ne_u32_e64 s[6:7], 0, v23
	s_and_b64 s[6:7], s[6:7], s[8:9]
	s_and_saveexec_b64 s[8:9], s[6:7]
	s_xor_b64 s[6:7], exec, s[8:9]
	s_cbranch_execz .LBB126_17
; %bb.14:                               ;   in Loop: Header=BB126_13 Depth=1
	s_and_saveexec_b64 s[8:9], vcc
; %bb.15:                               ;   in Loop: Header=BB126_13 Depth=1
	ds_write_b32 v14, v15
; %bb.16:                               ;   in Loop: Header=BB126_13 Depth=1
	s_or_b64 exec, exec, s[8:9]
.LBB126_17:                             ;   in Loop: Header=BB126_13 Depth=1
	s_andn2_saveexec_b64 s[8:9], s[6:7]
	s_cbranch_execz .LBB126_12
; %bb.18:                               ;   in Loop: Header=BB126_13 Depth=1
	global_load_dword v22, v[4:5], off
	s_waitcnt vmcnt(0)
	v_mad_i64_i32 v[22:23], s[6:7], v22, s43, 0
	v_lshl_add_u64 v[22:23], v[22:23], 1, v[2:3]
	global_load_dword v26, v[22:23], off
	global_load_dword v27, v[22:23], off offset:256
	global_load_dword v28, v[22:23], off offset:512
	global_load_dword v29, v[22:23], off offset:768
	ds_read_b128 v[22:25], v9
	v_cmp_lt_i32_e64 s[6:7], v18, v17
	s_waitcnt lgkmcnt(0)
	v_lshlrev_b32_e32 v32, 16, v23
	v_and_b32_e32 v23, 0xffff0000, v23
	v_lshlrev_b32_e32 v31, 16, v22
	v_and_b32_e32 v22, 0xffff0000, v22
	;; [unrolled: 2-line block ×4, first 2 shown]
	v_cndmask_b32_e64 v30, v16, v18, s[6:7]
	v_lshlrev_b32_e32 v30, 2, v30
	v_cmp_lt_i32_e64 s[6:7], v19, v17
	s_waitcnt vmcnt(3)
	v_lshlrev_b32_e32 v35, 16, v26
	s_waitcnt vmcnt(2)
	v_lshlrev_b32_e32 v36, 16, v27
	v_and_b32_e32 v27, 0xffff0000, v27
	v_and_b32_e32 v26, 0xffff0000, v26
	v_mul_f32_e32 v32, v32, v36
	v_mul_f32_e32 v23, v23, v27
	s_waitcnt vmcnt(1)
	v_lshlrev_b32_e32 v37, 16, v28
	v_and_b32_e32 v28, 0xffff0000, v28
	v_fmac_f32_e32 v32, v31, v35
	v_fmac_f32_e32 v23, v22, v26
	s_waitcnt vmcnt(0)
	v_lshlrev_b32_e32 v38, 16, v29
	v_and_b32_e32 v29, 0xffff0000, v29
	v_fmac_f32_e32 v32, v33, v37
	v_fmac_f32_e32 v23, v24, v28
	;; [unrolled: 1-line block ×4, first 2 shown]
	v_add_f32_e32 v22, v32, v23
	ds_bpermute_b32 v23, v30, v22
	v_cndmask_b32_e64 v24, v16, v19, s[6:7]
	v_lshlrev_b32_e32 v24, 2, v24
	s_waitcnt lgkmcnt(0)
	v_add_f32_e32 v22, v22, v23
	ds_bpermute_b32 v23, v24, v22
	s_and_saveexec_b64 s[38:39], vcc
	s_cbranch_execz .LBB126_11
; %bb.19:                               ;   in Loop: Header=BB126_13 Depth=1
	v_add_u32_e32 v24, v13, v12
	v_cvt_f32_i32_e32 v24, v24
	s_waitcnt lgkmcnt(0)
	v_add_f32_e32 v22, v22, v23
	v_add_u32_e32 v25, v8, v12
	v_cmp_gt_i32_e64 s[6:7], s11, v25
	v_mul_f32_e32 v23, s42, v24
	v_cndmask_b32_e64 v23, 0, v23, s[0:1]
	v_fmac_f32_e32 v23, s31, v22
	v_cndmask_b32_e64 v22, 0, v23, s[6:7]
	ds_write_b32 v14, v22
	v_max_f32_e32 v22, v10, v10
	v_max_f32_e32 v22, v22, v23
	v_cndmask_b32_e64 v10, v10, v22, s[6:7]
	s_branch .LBB126_11
.LBB126_20:
	s_or_b64 exec, exec, s[36:37]
.LBB126_21:
	s_or_b64 exec, exec, s[34:35]
	v_mbcnt_hi_u32_b32 v2, -1, v7
	v_and_b32_e32 v11, 64, v2
	v_add_u32_e32 v3, 64, v11
	v_xor_b32_e32 v4, 32, v2
	v_cmp_lt_i32_e32 vcc, v4, v3
	v_xor_b32_e32 v8, 16, v2
	v_max_f32_e32 v7, v10, v10
	v_cndmask_b32_e32 v4, v2, v4, vcc
	v_lshlrev_b32_e32 v4, 2, v4
	ds_bpermute_b32 v5, v4, v10
	v_cmp_lt_i32_e32 vcc, v8, v3
	v_xor_b32_e32 v9, 8, v2
	v_xor_b32_e32 v10, 4, v2
	v_and_b32_e32 v21, 63, v0
	s_waitcnt lgkmcnt(0)
	v_max_f32_e32 v5, v5, v5
	v_max_f32_e32 v7, v7, v5
	v_cndmask_b32_e32 v5, v2, v8, vcc
	v_lshlrev_b32_e32 v5, 2, v5
	ds_bpermute_b32 v8, v5, v7
	v_cmp_lt_i32_e32 vcc, v9, v3
	s_waitcnt lgkmcnt(0)
	v_max_f32_e32 v8, v8, v8
	v_max_f32_e32 v7, v7, v8
	v_cndmask_b32_e32 v8, v2, v9, vcc
	v_lshlrev_b32_e32 v9, 2, v8
	ds_bpermute_b32 v8, v9, v7
	v_cmp_lt_i32_e32 vcc, v10, v3
	s_waitcnt lgkmcnt(0)
	v_max_f32_e32 v8, v8, v8
	v_max_f32_e32 v8, v7, v8
	v_cndmask_b32_e32 v7, v2, v10, vcc
	v_lshlrev_b32_e32 v10, 2, v7
	ds_bpermute_b32 v12, v10, v8
	v_cmp_eq_u32_e32 vcc, 0, v21
	v_lshlrev_b32_e32 v7, 2, v1
	s_and_saveexec_b64 s[0:1], vcc
	s_cbranch_execz .LBB126_23
; %bb.22:
	s_waitcnt lgkmcnt(0)
	v_max_f32_e32 v12, v12, v12
	v_max_f32_e32 v8, v8, v8
	;; [unrolled: 1-line block ×3, first 2 shown]
	ds_write_b32 v7, v8 offset:64
.LBB126_23:
	s_or_b64 exec, exec, s[0:1]
	v_cmp_gt_u32_e64 s[0:1], 2, v21
	s_waitcnt lgkmcnt(0)
	v_mov_b32_e32 v12, 0xff7fffff
	v_lshlrev_b32_e32 v8, 2, v21
	s_barrier
	s_and_saveexec_b64 s[6:7], s[0:1]
; %bb.24:
	ds_read_b32 v12, v8 offset:64
; %bb.25:
	s_or_b64 exec, exec, s[6:7]
	v_xor_b32_e32 v13, 1, v2
	v_cmp_lt_i32_e64 s[6:7], v13, v3
	v_lshlrev_b32_e32 v11, 2, v11
	s_nop 0
	v_cndmask_b32_e64 v13, v2, v13, s[6:7]
	v_lshlrev_b32_e32 v22, 2, v13
	s_waitcnt lgkmcnt(0)
	ds_bpermute_b32 v13, v22, v12
	v_max_f32_e32 v12, v12, v12
	s_lshl_b32 s6, s41, 4
	s_min_i32 s15, s6, s11
	v_cmp_gt_i32_e64 s[6:7], s15, v0
	s_waitcnt lgkmcnt(0)
	v_max_f32_e32 v13, v13, v13
	v_max_f32_e32 v12, v12, v13
	ds_bpermute_b32 v12, v11, v12
	v_mov_b32_e32 v11, 0
	s_and_saveexec_b64 s[30:31], s[6:7]
	s_cbranch_execz .LBB126_29
; %bb.26:
	v_mov_b32_e32 v11, 0x50
	v_lshl_add_u32 v13, v0, 2, v11
	v_mov_b32_e32 v11, 0
	s_mov_b64 s[34:35], 0
	v_mov_b32_e32 v14, v0
.LBB126_27:                             ; =>This Inner Loop Header: Depth=1
	ds_read_b32 v15, v13
	v_add_u32_e32 v14, 0x80, v14
	v_cmp_le_i32_e64 s[8:9], s15, v14
	s_or_b64 s[34:35], s[8:9], s[34:35]
	s_waitcnt lgkmcnt(0)
	v_sub_f32_e32 v15, v15, v12
	v_mul_f32_e32 v15, 0x3fb8aa3b, v15
	v_exp_f32_e32 v15, v15
	ds_write_b32 v13, v15
	v_add_f32_e32 v11, v11, v15
	v_add_u32_e32 v13, 0x200, v13
	s_andn2_b64 exec, exec, s[34:35]
	s_cbranch_execnz .LBB126_27
; %bb.28:
	s_or_b64 exec, exec, s[34:35]
.LBB126_29:
	s_or_b64 exec, exec, s[30:31]
	ds_bpermute_b32 v4, v4, v11
	s_waitcnt lgkmcnt(0)
	v_add_f32_e32 v4, v11, v4
	ds_bpermute_b32 v5, v5, v4
	s_waitcnt lgkmcnt(0)
	v_add_f32_e32 v4, v4, v5
	ds_bpermute_b32 v5, v9, v4
	v_xor_b32_e32 v9, 2, v2
	v_cmp_lt_i32_e64 s[8:9], v9, v3
	s_waitcnt lgkmcnt(0)
	v_add_f32_e32 v4, v4, v5
	ds_bpermute_b32 v5, v10, v4
	v_cndmask_b32_e64 v3, v2, v9, s[8:9]
	v_lshlrev_b32_e32 v3, 2, v3
	s_waitcnt lgkmcnt(0)
	v_add_f32_e32 v4, v4, v5
	ds_bpermute_b32 v3, v3, v4
	s_waitcnt lgkmcnt(0)
	v_add_f32_e32 v3, v4, v3
	ds_bpermute_b32 v4, v22, v3
	s_waitcnt lgkmcnt(0)
	v_add_f32_e32 v3, v3, v4
	s_and_saveexec_b64 s[8:9], vcc
; %bb.30:
	ds_write_b32 v7, v3 offset:72
; %bb.31:
	s_or_b64 exec, exec, s[8:9]
	s_waitcnt lgkmcnt(0)
	s_barrier
	s_and_saveexec_b64 s[8:9], s[0:1]
; %bb.32:
	ds_read_b32 v3, v8 offset:72
; %bb.33:
	s_or_b64 exec, exec, s[8:9]
	s_waitcnt lgkmcnt(0)
	ds_bpermute_b32 v4, v22, v3
	v_lshlrev_b32_e32 v2, 2, v2
	v_and_b32_e32 v2, 0x100, v2
	s_waitcnt lgkmcnt(0)
	v_add_f32_e32 v3, v3, v4
	ds_bpermute_b32 v2, v2, v3
	s_and_saveexec_b64 s[0:1], s[6:7]
	s_cbranch_execz .LBB126_46
; %bb.34:
	s_waitcnt lgkmcnt(0)
	v_add_f32_e32 v2, 0x358637bd, v2
	v_div_scale_f32 v3, s[6:7], v2, v2, 1.0
	v_rcp_f32_e32 v4, v3
	v_div_scale_f32 v5, vcc, 1.0, v2, 1.0
	s_movk_i32 s6, 0x7f
	v_fma_f32 v7, -v3, v4, 1.0
	v_fmac_f32_e32 v4, v7, v4
	v_mul_f32_e32 v7, v5, v4
	v_fma_f32 v8, -v3, v7, v5
	v_fmac_f32_e32 v7, v8, v4
	v_fma_f32 v3, -v3, v7, v5
	v_div_fmas_f32 v3, v3, v4, v7
	v_xad_u32 v4, v0, -1, s15
	v_div_fixup_f32 v2, v3, v2, 1.0
	v_cmp_lt_u32_e32 vcc, s6, v4
	s_mov_b64 s[8:9], -1
	v_mov_b32_e32 v3, v0
	s_and_saveexec_b64 s[6:7], vcc
	s_cbranch_execz .LBB126_43
; %bb.35:
	v_lshrrev_b32_e32 v4, 7, v4
	v_add_u32_e32 v7, -1, v4
	v_lshrrev_b32_e32 v5, 1, v7
	v_mov_b32_e32 v3, v2
	v_add_u32_e32 v5, 1, v5
	v_cmp_lt_u32_e32 vcc, 13, v7
	v_mov_b32_e32 v9, 0
	s_and_saveexec_b64 s[8:9], vcc
	s_cbranch_execz .LBB126_39
; %bb.36:
	v_mov_b32_e32 v8, 0x50
	v_and_b32_e32 v7, -8, v5
	v_lshl_add_u32 v8, v0, 2, v8
	s_mov_b32 s34, 0
	s_mov_b64 s[30:31], 0
.LBB126_37:                             ; =>This Inner Loop Header: Depth=1
	ds_read2st64_b32 v[10:11], v8 offset1:2
	ds_read2st64_b32 v[12:13], v8 offset0:4 offset1:6
	ds_read2st64_b32 v[14:15], v8 offset0:8 offset1:10
	;; [unrolled: 1-line block ×3, first 2 shown]
	v_add_u32_e32 v7, -8, v7
	s_waitcnt lgkmcnt(3)
	v_pk_mul_f32 v[10:11], v[2:3], v[10:11]
	s_waitcnt lgkmcnt(2)
	v_pk_mul_f32 v[12:13], v[2:3], v[12:13]
	ds_write2st64_b32 v8, v10, v11 offset1:2
	ds_write2st64_b32 v8, v12, v13 offset0:4 offset1:6
	ds_read2st64_b32 v[12:13], v8 offset0:16 offset1:18
	s_waitcnt lgkmcnt(4)
	v_pk_mul_f32 v[10:11], v[2:3], v[14:15]
	ds_write2st64_b32 v8, v10, v11 offset0:8 offset1:10
	s_waitcnt lgkmcnt(4)
	v_pk_mul_f32 v[10:11], v[2:3], v[16:17]
	ds_write2st64_b32 v8, v10, v11 offset0:12 offset1:14
	ds_read2st64_b32 v[10:11], v8 offset0:20 offset1:22
	s_waitcnt lgkmcnt(3)
	v_pk_mul_f32 v[12:13], v[2:3], v[12:13]
	ds_read2st64_b32 v[14:15], v8 offset0:24 offset1:26
	ds_write2st64_b32 v8, v12, v13 offset0:16 offset1:18
	ds_read2st64_b32 v[12:13], v8 offset0:28 offset1:30
	s_waitcnt lgkmcnt(3)
	v_pk_mul_f32 v[10:11], v[2:3], v[10:11]
	ds_write2st64_b32 v8, v10, v11 offset0:20 offset1:22
	s_waitcnt lgkmcnt(3)
	v_pk_mul_f32 v[10:11], v[2:3], v[14:15]
	ds_write2st64_b32 v8, v10, v11 offset0:24 offset1:26
	s_waitcnt lgkmcnt(2)
	v_pk_mul_f32 v[10:11], v[2:3], v[12:13]
	s_add_i32 s34, s34, 16
	v_cmp_eq_u32_e32 vcc, 0, v7
	ds_write2st64_b32 v8, v10, v11 offset0:28 offset1:30
	v_add_u32_e32 v8, 0x2000, v8
	s_or_b64 s[30:31], vcc, s[30:31]
	v_mov_b32_e32 v9, s34
	s_andn2_b64 exec, exec, s[30:31]
	s_cbranch_execnz .LBB126_37
; %bb.38:
	s_or_b64 exec, exec, s[30:31]
.LBB126_39:
	s_or_b64 exec, exec, s[8:9]
	v_and_b32_e32 v5, 7, v5
	v_cmp_ne_u32_e32 vcc, 0, v5
	s_and_saveexec_b64 s[8:9], vcc
	s_cbranch_execz .LBB126_42
; %bb.40:
	v_lshlrev_b32_e32 v7, 9, v9
	v_lshlrev_b32_e32 v8, 2, v0
	s_movk_i32 s30, 0x50
	v_add3_u32 v7, v7, v8, s30
	s_mov_b64 s[30:31], 0
.LBB126_41:                             ; =>This Inner Loop Header: Depth=1
	ds_read2st64_b32 v[8:9], v7 offset1:2
	v_add_u32_e32 v5, -1, v5
	v_cmp_eq_u32_e32 vcc, 0, v5
	s_or_b64 s[30:31], vcc, s[30:31]
	s_waitcnt lgkmcnt(0)
	v_pk_mul_f32 v[8:9], v[2:3], v[8:9]
	ds_write2st64_b32 v7, v8, v9 offset1:2
	v_add_u32_e32 v7, 0x400, v7
	s_andn2_b64 exec, exec, s[30:31]
	s_cbranch_execnz .LBB126_41
.LBB126_42:
	s_or_b64 exec, exec, s[8:9]
	v_add_u32_e32 v4, 1, v4
	v_and_b32_e32 v5, 0x3fffffe, v4
	v_cmp_ne_u32_e32 vcc, v4, v5
	v_lshl_add_u32 v3, v5, 7, v0
	s_orn2_b64 s[8:9], vcc, exec
.LBB126_43:
	s_or_b64 exec, exec, s[6:7]
	s_and_b64 exec, exec, s[8:9]
	s_cbranch_execz .LBB126_46
; %bb.44:
	v_mov_b32_e32 v4, 0x50
	v_lshl_add_u32 v4, v3, 2, v4
	s_mov_b64 s[6:7], 0
.LBB126_45:                             ; =>This Inner Loop Header: Depth=1
	ds_read_b32 v5, v4
	v_add_u32_e32 v3, 0x80, v3
	v_cmp_le_i32_e32 vcc, s15, v3
	s_or_b64 s[6:7], vcc, s[6:7]
	s_waitcnt lgkmcnt(0)
	v_mul_f32_e32 v5, v2, v5
	ds_write_b32 v4, v5
	v_add_u32_e32 v4, 0x200, v4
	s_andn2_b64 exec, exec, s[6:7]
	s_cbranch_execnz .LBB126_45
.LBB126_46:
	s_or_b64 exec, exec, s[0:1]
	v_mov_b32_e32 v14, 0
	s_waitcnt lgkmcnt(0)
	s_barrier
	s_and_saveexec_b64 s[6:7], s[2:3]
	s_cbranch_execz .LBB126_54
; %bb.47:
	s_ashr_i32 s15, s14, 31
	s_sub_i32 s17, s12, s17
	s_lshl_b64 s[0:1], s[14:15], 1
	s_add_u32 s0, s28, s0
	s_addc_u32 s1, s29, s1
	s_abs_i32 s14, s18
	v_cvt_f32_u32_e32 v3, s14
	v_lshlrev_b32_e32 v2, 3, v0
	v_and_b32_e32 v23, 8, v2
	v_lshlrev_b32_e32 v2, 4, v0
	v_rcp_iflag_f32_e32 v3, v3
	v_and_b32_e32 v14, 0x3f0, v2
	v_mov_b32_e32 v15, 0
	v_lshl_add_u64 v[16:17], s[0:1], 0, v[14:15]
	v_mul_f32_e32 v2, 0x4f7ffffe, v3
	v_cvt_u32_f32_e32 v2, v2
	s_sub_i32 s0, 0, s14
	s_add_i32 s18, s41, -1
	v_and_b32_e32 v14, 60, v6
	v_mul_lo_u32 v3, s0, v2
	v_mul_hi_u32 v3, v2, v3
	v_add_u32_e32 v24, v2, v3
	s_lshl_b64 s[0:1], s[26:27], 2
	v_and_b32_e32 v2, 1, v0
	s_add_u32 s0, s24, s0
	v_lshlrev_b32_e32 v2, 5, v2
	s_addc_u32 s1, s25, s1
	v_lshl_or_b32 v2, v1, 6, v2
	s_mov_b32 s15, s13
	s_mov_b32 s28, s11
	v_lshl_add_u64 v[18:19], s[0:1], 0, v[14:15]
	v_add_u32_e32 v25, 0x50, v2
	s_mov_b64 s[2:3], 0
	s_mov_b32 s24, 0x5040100
	v_mov_b32_e32 v14, 0
	s_branch .LBB126_50
.LBB126_48:                             ;   in Loop: Header=BB126_50 Depth=1
	s_or_b64 exec, exec, s[12:13]
	s_waitcnt lgkmcnt(1)
	v_cvt_pk_bf16_f32 v10, v10, s0
	v_cvt_pk_bf16_f32 v11, v11, s0
	;; [unrolled: 1-line block ×4, first 2 shown]
	s_waitcnt vmcnt(0)
	v_and_b32_e32 v26, 0xffff0000, v2
	v_lshlrev_b32_e32 v2, 16, v2
	v_lshlrev_b32_e32 v10, 16, v10
	s_waitcnt lgkmcnt(0)
	v_cvt_pk_bf16_f32 v6, v6, s0
	v_cvt_pk_bf16_f32 v7, v7, s0
	v_lshlrev_b32_e32 v11, 16, v11
	v_mul_f32_e32 v2, v10, v2
	v_and_b32_e32 v10, 0xffff0000, v3
	v_lshlrev_b32_e32 v13, 16, v13
	v_lshlrev_b32_e32 v3, 16, v3
	;; [unrolled: 1-line block ×3, first 2 shown]
	v_cvt_pk_bf16_f32 v8, v8, s0
	v_cvt_pk_bf16_f32 v9, v9, s0
	v_mul_f32_e32 v11, v11, v26
	v_mul_f32_e32 v10, v13, v10
	;; [unrolled: 1-line block ×3, first 2 shown]
	v_and_b32_e32 v12, 0xffff0000, v4
	v_lshlrev_b32_e32 v7, 16, v7
	v_lshlrev_b32_e32 v4, 16, v4
	;; [unrolled: 1-line block ×3, first 2 shown]
	v_cvt_pk_bf16_f32 v11, v11, s0
	v_cvt_pk_bf16_f32 v2, v2, s0
	;; [unrolled: 1-line block ×4, first 2 shown]
	v_mul_f32_e32 v7, v7, v12
	v_mul_f32_e32 v4, v6, v4
	v_and_b32_e32 v6, 0xffff0000, v5
	v_lshlrev_b32_e32 v9, 16, v9
	v_lshlrev_b32_e32 v5, 16, v5
	;; [unrolled: 1-line block ×3, first 2 shown]
	v_cvt_pk_bf16_f32 v7, v7, s0
	v_cvt_pk_bf16_f32 v4, v4, s0
	v_mul_f32_e32 v6, v9, v6
	v_mul_f32_e32 v5, v8, v5
	v_lshlrev_b32_e32 v2, 16, v2
	v_lshlrev_b32_e32 v8, 16, v11
	;; [unrolled: 1-line block ×4, first 2 shown]
	v_cvt_pk_bf16_f32 v6, v6, s0
	v_cvt_pk_bf16_f32 v5, v5, s0
	v_lshlrev_b32_e32 v4, 16, v4
	v_lshlrev_b32_e32 v7, 16, v7
	v_add_f32_e32 v2, v8, v2
	v_add_f32_e32 v3, v9, v3
	v_lshlrev_b32_e32 v5, 16, v5
	v_lshlrev_b32_e32 v6, 16, v6
	v_add_f32_e32 v2, v3, v2
	v_add_f32_e32 v3, v7, v4
	;; [unrolled: 1-line block ×6, first 2 shown]
.LBB126_49:                             ;   in Loop: Header=BB126_50 Depth=1
	s_or_b64 exec, exec, s[8:9]
	v_add_u32_e32 v1, 2, v1
	v_cmp_le_i32_e32 vcc, s41, v1
	v_lshl_add_u64 v[18:19], v[18:19], 0, 8
	v_add_u32_e32 v20, 32, v20
	s_or_b64 s[2:3], vcc, s[2:3]
	v_add_u32_e32 v25, 0x80, v25
	s_andn2_b64 exec, exec, s[2:3]
	s_cbranch_execz .LBB126_53
.LBB126_50:                             ; =>This Inner Loop Header: Depth=1
	v_mul_hi_u32 v2, v20, s33
	v_mul_lo_u32 v3, v2, s21
	v_sub_u32_e32 v3, v20, v3
	v_add_u32_e32 v4, 1, v2
	v_cmp_le_u32_e32 vcc, s21, v3
	s_nop 1
	v_cndmask_b32_e32 v2, v2, v4, vcc
	v_subrev_u32_e32 v4, s21, v3
	v_cndmask_b32_e32 v3, v3, v4, vcc
	v_add_u32_e32 v4, 1, v2
	v_cmp_le_u32_e32 vcc, s21, v3
	s_nop 1
	v_cndmask_b32_e32 v2, v2, v4, vcc
	v_xor_b32_e32 v2, s19, v2
	v_subrev_u32_e32 v2, s19, v2
	v_add_u32_e32 v3, s40, v2
	v_sub_u32_e32 v5, 0, v3
	v_ashrrev_i32_e32 v4, 31, v3
	v_max_i32_e32 v3, v3, v5
	v_mul_hi_u32 v5, v3, v24
	v_mul_lo_u32 v5, v5, s14
	v_sub_u32_e32 v3, v3, v5
	v_subrev_u32_e32 v5, s14, v3
	v_cmp_le_u32_e32 vcc, s14, v3
	v_cmp_lt_i32_e64 s[0:1], s17, v2
	s_nop 0
	v_cndmask_b32_e32 v3, v3, v5, vcc
	v_subrev_u32_e32 v5, s14, v3
	v_cmp_le_u32_e32 vcc, s14, v3
	s_nop 1
	v_cndmask_b32_e32 v3, v3, v5, vcc
	v_xor_b32_e32 v3, v3, v4
	v_sub_u32_e32 v3, v3, v4
	v_cmp_eq_u32_e32 vcc, 0, v3
	s_or_b64 s[0:1], vcc, s[0:1]
	s_and_saveexec_b64 s[8:9], s[0:1]
	s_cbranch_execz .LBB126_49
; %bb.51:                               ;   in Loop: Header=BB126_50 Depth=1
	global_load_dword v2, v[18:19], off
	v_cmp_eq_u32_e32 vcc, s18, v1
	s_waitcnt vmcnt(0)
	v_mad_i64_i32 v[2:3], s[0:1], v2, s15, 0
	v_lshl_add_u64 v[2:3], v[2:3], 1, v[16:17]
	global_load_dwordx4 v[2:5], v[2:3], off
	ds_read2_b64 v[10:13], v25 offset1:1
	ds_read2_b64 v[6:9], v25 offset0:2 offset1:3
	s_and_saveexec_b64 s[12:13], vcc
	s_cbranch_execz .LBB126_48
; %bb.52:                               ;   in Loop: Header=BB126_50 Depth=1
	v_add_u32_e32 v26, v23, v20
	v_add_u32_e32 v27, 1, v26
	v_cmp_gt_i32_e32 vcc, s28, v27
	v_or_b32_e32 v28, 2, v26
	v_cmp_gt_i32_e64 s[0:1], s11, v28
	s_waitcnt vmcnt(0)
	v_cndmask_b32_sdwa v27, v15, v2, vcc dst_sel:DWORD dst_unused:UNUSED_PAD src0_sel:DWORD src1_sel:WORD_1
	v_cmp_gt_i32_e32 vcc, s11, v26
	v_or_b32_e32 v28, 4, v26
	s_nop 0
	v_cndmask_b32_e32 v2, 0, v2, vcc
	v_perm_b32 v2, v27, v2, s24
	v_or_b32_e32 v27, 3, v26
	v_cmp_gt_i32_e32 vcc, s28, v27
	v_cndmask_b32_e64 v27, 0, v3, s[0:1]
	v_cmp_gt_i32_e64 s[0:1], s11, v28
	v_cndmask_b32_sdwa v3, v15, v3, vcc dst_sel:DWORD dst_unused:UNUSED_PAD src0_sel:DWORD src1_sel:WORD_1
	v_perm_b32 v3, v3, v27, s24
	v_or_b32_e32 v27, 5, v26
	v_cmp_gt_i32_e32 vcc, s28, v27
	v_cndmask_b32_e64 v27, 0, v4, s[0:1]
	s_nop 0
	v_cndmask_b32_sdwa v4, v15, v4, vcc dst_sel:DWORD dst_unused:UNUSED_PAD src0_sel:DWORD src1_sel:WORD_1
	v_perm_b32 v4, v4, v27, s24
	v_or_b32_e32 v27, 7, v26
	v_or_b32_e32 v26, 6, v26
	v_cmp_gt_i32_e32 vcc, s28, v27
	v_cmp_gt_i32_e64 s[0:1], s11, v26
	s_nop 1
	v_cndmask_b32_e64 v26, 0, v5, s[0:1]
	v_cndmask_b32_sdwa v5, v15, v5, vcc dst_sel:DWORD dst_unused:UNUSED_PAD src0_sel:DWORD src1_sel:WORD_1
	v_perm_b32 v5, v5, v26, s24
	s_branch .LBB126_48
.LBB126_53:
	s_or_b64 exec, exec, s[2:3]
.LBB126_54:
	s_or_b64 exec, exec, s[6:7]
	ds_bpermute_b32 v1, v22, v14
	v_and_b32_e32 v2, 0x3c1, v0
	v_cmp_eq_u32_e32 vcc, 64, v2
	s_waitcnt lgkmcnt(0)
	s_barrier
	v_add_f32_e32 v1, v14, v1
	s_and_saveexec_b64 s[0:1], vcc
; %bb.55:
	v_mov_b32_e32 v3, 0x50
	v_lshl_add_u32 v3, v21, 1, v3
	ds_write_b32 v3, v1
; %bb.56:
	s_or_b64 exec, exec, s[0:1]
	v_lshrrev_b32_e32 v0, 1, v0
	v_cmp_eq_u32_e32 vcc, 0, v2
	s_waitcnt lgkmcnt(0)
	s_barrier
	s_and_saveexec_b64 s[0:1], vcc
	s_cbranch_execz .LBB126_58
; %bb.57:
	v_mov_b32_e32 v2, 0x50
	v_lshl_add_u32 v2, v0, 2, v2
	ds_read_b32 v2, v2
	s_waitcnt lgkmcnt(0)
	v_add_f32_e32 v1, v1, v2
.LBB126_58:
	s_or_b64 exec, exec, s[0:1]
	s_barrier
	s_and_saveexec_b64 s[0:1], vcc
	s_cbranch_execz .LBB126_60
; %bb.59:
	s_mul_i32 s0, s10, s16
	s_mul_i32 s0, s0, s5
	s_lshl_b32 s0, s0, 5
	s_ashr_i32 s1, s0, 31
	s_lshl_b64 s[0:1], s[0:1], 1
	s_add_u32 s2, s22, s0
	s_mul_i32 s0, s16, s20
	s_addc_u32 s3, s23, s1
	s_ashr_i32 s1, s0, 31
	s_lshl_b64 s[0:1], s[0:1], 1
	s_add_u32 s2, s2, s0
	s_addc_u32 s3, s3, s1
	s_lshl_b32 s0, s4, 5
	s_ashr_i32 s1, s0, 31
	s_lshl_b64 s[0:1], s[0:1], 1
	s_add_u32 s0, s2, s0
	s_addc_u32 s1, s3, s1
	v_lshlrev_b32_e32 v0, 1, v0
	v_cvt_pk_bf16_f32 v1, v1, s0
	global_store_short v0, v1, s[0:1]
.LBB126_60:
	s_endpgm
	.section	.rodata,"a",@progbits
	.p2align	6, 0x0
	.amdhsa_kernel _ZN4vllm25paged_attention_v1_kernelI14__hip_bfloat16S1_Li32ELi16ELi128ELNS_18Fp8KVCacheDataTypeE0ELb1EEEvPT_PKS3_PKT0_S9_ifPKiSB_iPKfiiiSD_SD_iiiii
		.amdhsa_group_segment_fixed_size 80
		.amdhsa_private_segment_fixed_size 0
		.amdhsa_kernarg_size 384
		.amdhsa_user_sgpr_count 2
		.amdhsa_user_sgpr_dispatch_ptr 0
		.amdhsa_user_sgpr_queue_ptr 0
		.amdhsa_user_sgpr_kernarg_segment_ptr 1
		.amdhsa_user_sgpr_dispatch_id 0
		.amdhsa_user_sgpr_kernarg_preload_length 0
		.amdhsa_user_sgpr_kernarg_preload_offset 0
		.amdhsa_user_sgpr_private_segment_size 0
		.amdhsa_uses_dynamic_stack 0
		.amdhsa_enable_private_segment 0
		.amdhsa_system_sgpr_workgroup_id_x 1
		.amdhsa_system_sgpr_workgroup_id_y 1
		.amdhsa_system_sgpr_workgroup_id_z 1
		.amdhsa_system_sgpr_workgroup_info 0
		.amdhsa_system_vgpr_workitem_id 0
		.amdhsa_next_free_vgpr 39
		.amdhsa_next_free_sgpr 44
		.amdhsa_accum_offset 40
		.amdhsa_reserve_vcc 1
		.amdhsa_float_round_mode_32 0
		.amdhsa_float_round_mode_16_64 0
		.amdhsa_float_denorm_mode_32 3
		.amdhsa_float_denorm_mode_16_64 3
		.amdhsa_dx10_clamp 1
		.amdhsa_ieee_mode 1
		.amdhsa_fp16_overflow 0
		.amdhsa_tg_split 0
		.amdhsa_exception_fp_ieee_invalid_op 0
		.amdhsa_exception_fp_denorm_src 0
		.amdhsa_exception_fp_ieee_div_zero 0
		.amdhsa_exception_fp_ieee_overflow 0
		.amdhsa_exception_fp_ieee_underflow 0
		.amdhsa_exception_fp_ieee_inexact 0
		.amdhsa_exception_int_div_zero 0
	.end_amdhsa_kernel
	.section	.text._ZN4vllm25paged_attention_v1_kernelI14__hip_bfloat16S1_Li32ELi16ELi128ELNS_18Fp8KVCacheDataTypeE0ELb1EEEvPT_PKS3_PKT0_S9_ifPKiSB_iPKfiiiSD_SD_iiiii,"axG",@progbits,_ZN4vllm25paged_attention_v1_kernelI14__hip_bfloat16S1_Li32ELi16ELi128ELNS_18Fp8KVCacheDataTypeE0ELb1EEEvPT_PKS3_PKT0_S9_ifPKiSB_iPKfiiiSD_SD_iiiii,comdat
.Lfunc_end126:
	.size	_ZN4vllm25paged_attention_v1_kernelI14__hip_bfloat16S1_Li32ELi16ELi128ELNS_18Fp8KVCacheDataTypeE0ELb1EEEvPT_PKS3_PKT0_S9_ifPKiSB_iPKfiiiSD_SD_iiiii, .Lfunc_end126-_ZN4vllm25paged_attention_v1_kernelI14__hip_bfloat16S1_Li32ELi16ELi128ELNS_18Fp8KVCacheDataTypeE0ELb1EEEvPT_PKS3_PKT0_S9_ifPKiSB_iPKfiiiSD_SD_iiiii
                                        ; -- End function
	.set _ZN4vllm25paged_attention_v1_kernelI14__hip_bfloat16S1_Li32ELi16ELi128ELNS_18Fp8KVCacheDataTypeE0ELb1EEEvPT_PKS3_PKT0_S9_ifPKiSB_iPKfiiiSD_SD_iiiii.num_vgpr, 39
	.set _ZN4vllm25paged_attention_v1_kernelI14__hip_bfloat16S1_Li32ELi16ELi128ELNS_18Fp8KVCacheDataTypeE0ELb1EEEvPT_PKS3_PKT0_S9_ifPKiSB_iPKfiiiSD_SD_iiiii.num_agpr, 0
	.set _ZN4vllm25paged_attention_v1_kernelI14__hip_bfloat16S1_Li32ELi16ELi128ELNS_18Fp8KVCacheDataTypeE0ELb1EEEvPT_PKS3_PKT0_S9_ifPKiSB_iPKfiiiSD_SD_iiiii.numbered_sgpr, 44
	.set _ZN4vllm25paged_attention_v1_kernelI14__hip_bfloat16S1_Li32ELi16ELi128ELNS_18Fp8KVCacheDataTypeE0ELb1EEEvPT_PKS3_PKT0_S9_ifPKiSB_iPKfiiiSD_SD_iiiii.num_named_barrier, 0
	.set _ZN4vllm25paged_attention_v1_kernelI14__hip_bfloat16S1_Li32ELi16ELi128ELNS_18Fp8KVCacheDataTypeE0ELb1EEEvPT_PKS3_PKT0_S9_ifPKiSB_iPKfiiiSD_SD_iiiii.private_seg_size, 0
	.set _ZN4vllm25paged_attention_v1_kernelI14__hip_bfloat16S1_Li32ELi16ELi128ELNS_18Fp8KVCacheDataTypeE0ELb1EEEvPT_PKS3_PKT0_S9_ifPKiSB_iPKfiiiSD_SD_iiiii.uses_vcc, 1
	.set _ZN4vllm25paged_attention_v1_kernelI14__hip_bfloat16S1_Li32ELi16ELi128ELNS_18Fp8KVCacheDataTypeE0ELb1EEEvPT_PKS3_PKT0_S9_ifPKiSB_iPKfiiiSD_SD_iiiii.uses_flat_scratch, 0
	.set _ZN4vllm25paged_attention_v1_kernelI14__hip_bfloat16S1_Li32ELi16ELi128ELNS_18Fp8KVCacheDataTypeE0ELb1EEEvPT_PKS3_PKT0_S9_ifPKiSB_iPKfiiiSD_SD_iiiii.has_dyn_sized_stack, 0
	.set _ZN4vllm25paged_attention_v1_kernelI14__hip_bfloat16S1_Li32ELi16ELi128ELNS_18Fp8KVCacheDataTypeE0ELb1EEEvPT_PKS3_PKT0_S9_ifPKiSB_iPKfiiiSD_SD_iiiii.has_recursion, 0
	.set _ZN4vllm25paged_attention_v1_kernelI14__hip_bfloat16S1_Li32ELi16ELi128ELNS_18Fp8KVCacheDataTypeE0ELb1EEEvPT_PKS3_PKT0_S9_ifPKiSB_iPKfiiiSD_SD_iiiii.has_indirect_call, 0
	.section	.AMDGPU.csdata,"",@progbits
; Kernel info:
; codeLenInByte = 4244
; TotalNumSgprs: 50
; NumVgprs: 39
; NumAgprs: 0
; TotalNumVgprs: 39
; ScratchSize: 0
; MemoryBound: 0
; FloatMode: 240
; IeeeMode: 1
; LDSByteSize: 80 bytes/workgroup (compile time only)
; SGPRBlocks: 6
; VGPRBlocks: 4
; NumSGPRsForWavesPerEU: 50
; NumVGPRsForWavesPerEU: 39
; AccumOffset: 40
; Occupancy: 8
; WaveLimiterHint : 1
; COMPUTE_PGM_RSRC2:SCRATCH_EN: 0
; COMPUTE_PGM_RSRC2:USER_SGPR: 2
; COMPUTE_PGM_RSRC2:TRAP_HANDLER: 0
; COMPUTE_PGM_RSRC2:TGID_X_EN: 1
; COMPUTE_PGM_RSRC2:TGID_Y_EN: 1
; COMPUTE_PGM_RSRC2:TGID_Z_EN: 1
; COMPUTE_PGM_RSRC2:TIDIG_COMP_CNT: 0
; COMPUTE_PGM_RSRC3_GFX90A:ACCUM_OFFSET: 9
; COMPUTE_PGM_RSRC3_GFX90A:TG_SPLIT: 0
	.section	.text._ZN4vllm25paged_attention_v1_kernelI14__hip_bfloat16S1_Li64ELi16ELi128ELNS_18Fp8KVCacheDataTypeE0ELb1EEEvPT_PKS3_PKT0_S9_ifPKiSB_iPKfiiiSD_SD_iiiii,"axG",@progbits,_ZN4vllm25paged_attention_v1_kernelI14__hip_bfloat16S1_Li64ELi16ELi128ELNS_18Fp8KVCacheDataTypeE0ELb1EEEvPT_PKS3_PKT0_S9_ifPKiSB_iPKfiiiSD_SD_iiiii,comdat
	.protected	_ZN4vllm25paged_attention_v1_kernelI14__hip_bfloat16S1_Li64ELi16ELi128ELNS_18Fp8KVCacheDataTypeE0ELb1EEEvPT_PKS3_PKT0_S9_ifPKiSB_iPKfiiiSD_SD_iiiii ; -- Begin function _ZN4vllm25paged_attention_v1_kernelI14__hip_bfloat16S1_Li64ELi16ELi128ELNS_18Fp8KVCacheDataTypeE0ELb1EEEvPT_PKS3_PKT0_S9_ifPKiSB_iPKfiiiSD_SD_iiiii
	.globl	_ZN4vllm25paged_attention_v1_kernelI14__hip_bfloat16S1_Li64ELi16ELi128ELNS_18Fp8KVCacheDataTypeE0ELb1EEEvPT_PKS3_PKT0_S9_ifPKiSB_iPKfiiiSD_SD_iiiii
	.p2align	8
	.type	_ZN4vllm25paged_attention_v1_kernelI14__hip_bfloat16S1_Li64ELi16ELi128ELNS_18Fp8KVCacheDataTypeE0ELb1EEEvPT_PKS3_PKT0_S9_ifPKiSB_iPKfiiiSD_SD_iiiii,@function
_ZN4vllm25paged_attention_v1_kernelI14__hip_bfloat16S1_Li64ELi16ELi128ELNS_18Fp8KVCacheDataTypeE0ELb1EEEvPT_PKS3_PKT0_S9_ifPKiSB_iPKfiiiSD_SD_iiiii: ; @_ZN4vllm25paged_attention_v1_kernelI14__hip_bfloat16S1_Li64ELi16ELi128ELNS_18Fp8KVCacheDataTypeE0ELb1EEEvPT_PKS3_PKT0_S9_ifPKiSB_iPKfiiiSD_SD_iiiii
; %bb.0:
	s_load_dword s5, s[0:1], 0x80
	s_load_dwordx2 s[6:7], s[0:1], 0x30
	s_load_dwordx2 s[30:31], s[0:1], 0x20
	s_mov_b32 s10, s3
	s_ashr_i32 s11, s3, 31
	s_lshl_b64 s[8:9], s[10:11], 2
	s_waitcnt lgkmcnt(0)
	s_add_u32 s6, s6, s8
	s_addc_u32 s7, s7, s9
	s_abs_i32 s3, s30
	v_cvt_f32_u32_e32 v1, s3
	s_sub_i32 s11, 0, s3
	s_abs_i32 s9, s5
	s_xor_b32 s8, s5, s30
	v_rcp_iflag_f32_e32 v1, v1
	s_ashr_i32 s8, s8, 31
	s_mov_b32 s42, 0
	v_mul_f32_e32 v1, 0x4f7ffffe, v1
	v_cvt_u32_f32_e32 v1, v1
	s_nop 0
	v_readfirstlane_b32 s12, v1
	s_mul_i32 s11, s11, s12
	s_mul_hi_u32 s11, s12, s11
	s_add_i32 s12, s12, s11
	s_mul_hi_u32 s11, s9, s12
	s_mul_i32 s12, s11, s3
	s_sub_i32 s9, s9, s12
	s_add_i32 s12, s11, 1
	s_sub_i32 s13, s9, s3
	s_cmp_ge_u32 s9, s3
	s_cselect_b32 s11, s12, s11
	s_cselect_b32 s9, s13, s9
	s_add_i32 s12, s11, 1
	s_cmp_ge_u32 s9, s3
	s_cselect_b32 s3, s12, s11
	s_xor_b32 s3, s3, s8
	s_sub_i32 s16, s3, s8
	s_abs_i32 s22, s16
	v_cvt_f32_u32_e32 v1, s22
	s_load_dwordx2 s[8:9], s[0:1], 0x40
	s_sub_i32 s3, 0, s22
	s_abs_i32 s23, s2
	v_rcp_iflag_f32_e32 v1, v1
	s_nop 0
	v_mul_f32_e32 v1, 0x4f7ffffe, v1
	v_cvt_u32_f32_e32 v1, v1
	s_nop 0
	v_readfirstlane_b32 s11, v1
	s_mul_i32 s3, s3, s11
	s_mul_hi_u32 s3, s11, s3
	s_add_i32 s11, s11, s3
	s_waitcnt lgkmcnt(0)
	s_cmp_eq_u64 s[8:9], 0
	s_mul_hi_u32 s24, s23, s11
	s_cbranch_scc1 .LBB127_2
; %bb.1:
	s_ashr_i32 s3, s2, 31
	s_lshl_b64 s[12:13], s[2:3], 2
	s_add_u32 s8, s8, s12
	s_addc_u32 s9, s9, s13
	s_load_dword s42, s[8:9], 0x0
.LBB127_2:
	s_load_dword s11, s[6:7], 0x0
	s_load_dwordx4 s[12:15], s[0:1], 0x48
	s_ashr_i32 s3, s2, 31
	s_ashr_i32 s9, s16, 31
	v_and_b32_e32 v4, 3, v0
	s_lshl_b32 s20, s2, 6
	v_cmp_gt_u32_e32 vcc, 32, v0
	s_and_saveexec_b64 s[6:7], vcc
	s_cbranch_execz .LBB127_4
; %bb.3:
	s_load_dwordx2 s[16:17], s[0:1], 0x8
	s_waitcnt lgkmcnt(0)
	s_mul_i32 s18, s12, s10
	s_ashr_i32 s19, s18, 31
	s_lshl_b64 s[18:19], s[18:19], 1
	v_lshlrev_b32_e32 v1, 2, v0
	s_add_u32 s8, s16, s18
	s_addc_u32 s12, s17, s19
	s_ashr_i32 s21, s20, 31
	s_lshl_b64 s[16:17], s[20:21], 1
	s_add_u32 s16, s8, s16
	s_addc_u32 s17, s12, s17
	global_load_dword v1, v1, s[16:17]
	v_and_b32_e32 v2, 0x3fc, v0
	v_lshl_add_u32 v2, v4, 5, v2
	s_waitcnt vmcnt(0)
	ds_write_b32 v2, v1
.LBB127_4:
	s_or_b64 exec, exec, s[6:7]
	s_mul_i32 s6, s24, s22
	s_sub_i32 s6, s23, s6
	s_xor_b32 s3, s3, s9
	s_add_i32 s7, s24, 1
	s_sub_i32 s9, s6, s22
	s_load_dwordx4 s[16:19], s[0:1], 0x68
	s_load_dword s8, s[0:1], 0x78
	s_cmp_ge_u32 s6, s22
	s_cselect_b32 s7, s7, s24
	s_cselect_b32 s6, s9, s6
	s_add_i32 s9, s7, 1
	s_cmp_ge_u32 s6, s22
	s_cselect_b32 s6, s9, s7
	s_waitcnt lgkmcnt(0)
	s_abs_i32 s21, s19
	v_cvt_f32_u32_e32 v1, s21
	s_xor_b32 s6, s6, s3
	s_sub_i32 s3, s6, s3
	s_sub_i32 s6, 0, s21
	v_rcp_iflag_f32_e32 v1, v1
	s_add_i32 s15, s11, -1
	s_abs_i32 s9, s15
	v_mul_f32_e32 v1, 0x4f7ffffe, v1
	v_cvt_u32_f32_e32 v1, v1
	s_barrier
	v_readfirstlane_b32 s33, v1
	s_mul_i32 s6, s6, s33
	s_mul_hi_u32 s6, s33, s6
	s_add_i32 s33, s33, s6
	s_cmp_lt_i32 s8, 0
	s_mul_hi_u32 s12, s9, s33
	s_cbranch_scc0 .LBB127_6
; %bb.5:
	s_mul_i32 s6, s16, s30
	s_add_i32 s6, s3, s6
	s_mul_i32 s6, s6, s8
	s_sub_i32 s40, 1, s6
	s_mov_b64 s[6:7], 0
	s_branch .LBB127_7
.LBB127_6:
	s_mov_b64 s[6:7], -1
                                        ; implicit-def: $sgpr40
.LBB127_7:
	s_load_dwordx2 s[24:25], s[0:1], 0x28
	s_ashr_i32 s15, s15, 31
	s_andn2_b64 vcc, exec, s[6:7]
	s_ashr_i32 s19, s19, 31
	s_cbranch_vccnz .LBB127_9
; %bb.8:
	s_mul_i32 s6, s5, s16
	s_add_i32 s2, s6, s2
	s_mul_i32 s2, s2, s8
	s_add_i32 s40, s2, 1
.LBB127_9:
	s_load_dword s2, s[0:1], 0x38
	s_load_dwordx2 s[22:23], s[0:1], 0x0
	s_load_dwordx2 s[28:29], s[0:1], 0x18
	s_load_dword s16, s[0:1], 0x88
	s_xor_b32 s6, s15, s19
	s_waitcnt lgkmcnt(0)
	s_mul_i32 s26, s2, s10
	s_mul_i32 s2, s12, s21
	s_sub_i32 s2, s9, s2
	s_ashr_i32 s27, s26, 31
	s_add_i32 s7, s12, 1
	s_sub_i32 s8, s2, s21
	s_cmp_ge_u32 s2, s21
	s_cselect_b32 s7, s7, s12
	s_cselect_b32 s2, s8, s2
	s_add_i32 s8, s7, 1
	s_cmp_ge_u32 s2, s21
	s_cselect_b32 s2, s8, s7
	s_xor_b32 s2, s2, s6
	s_sub_i32 s12, s2, s6
	s_add_i32 s2, s11, 15
	s_ashr_i32 s6, s2, 31
	s_lshr_b32 s6, s6, 28
	s_add_i32 s2, s2, s6
	s_ashr_i32 s41, s2, 4
	v_lshrrev_b32_e32 v1, 6, v0
	v_cmp_gt_i32_e64 s[6:7], s41, v1
	v_mov_b32_e32 v10, 0xff7fffff
	s_mul_i32 s14, s3, s14
	v_lshrrev_b32_e32 v6, 4, v0
	v_lshlrev_b32_e32 v26, 4, v1
	v_mbcnt_lo_u32_b32 v7, -1, 0
	s_and_saveexec_b64 s[34:35], s[6:7]
	s_cbranch_execz .LBB127_21
; %bb.10:
	s_load_dwordx2 s[0:1], s[0:1], 0x10
	s_ashr_i32 s15, s14, 31
	s_sub_i32 s30, s12, s17
	s_lshl_b64 s[2:3], s[14:15], 1
	v_bfe_u32 v8, v0, 2, 4
	s_waitcnt lgkmcnt(0)
	s_add_u32 s0, s0, s2
	s_addc_u32 s1, s1, s3
	s_abs_i32 s15, s18
	v_cvt_f32_u32_e32 v5, s15
	v_lshlrev_b32_e32 v12, 4, v8
	v_mov_b32_e32 v13, 0
	v_lshl_add_u64 v[2:3], s[0:1], 0, v[12:13]
	v_rcp_iflag_f32_e32 v5, v5
	v_lshlrev_b32_e32 v9, 2, v0
	s_sub_i32 s0, 0, s15
	v_cmp_eq_u32_e32 vcc, 0, v4
	v_mul_f32_e32 v5, 0x4f7ffffe, v5
	v_cvt_u32_f32_e32 v5, v5
	v_and_b32_e32 v12, 12, v9
	v_lshlrev_b32_e32 v9, 5, v4
	v_lshl_add_u64 v[2:3], v[2:3], 0, v[12:13]
	v_mul_lo_u32 v4, s0, v5
	s_lshl_b64 s[0:1], s[26:27], 2
	s_add_u32 s0, s24, s0
	v_mul_hi_u32 v4, v5, v4
	v_and_b32_e32 v12, 60, v6
	s_addc_u32 s1, s25, s1
	v_subrev_u32_e32 v10, s11, v8
	v_add_u32_e32 v11, v5, v4
	v_lshl_add_u64 v[4:5], s[0:1], 0, v[12:13]
	v_add_u32_e32 v13, 1, v10
	v_lshlrev_b32_e32 v10, 2, v8
	v_lshl_or_b32 v10, v1, 6, v10
	v_mbcnt_hi_u32_b32 v16, -1, v7
	v_add_u32_e32 v14, 0x90, v10
	v_and_b32_e32 v10, 64, v16
	s_mov_b32 s43, s13
	v_cmp_neq_f32_e64 s[2:3], s42, 0
	v_lshlrev_b32_e32 v12, 4, v1
	v_mov_b32_e32 v15, 0xff7fffff
	s_mov_b64 s[36:37], 0
	v_add_u32_e32 v17, 64, v10
	v_xor_b32_e32 v18, 2, v16
	v_xor_b32_e32 v19, 1, v16
	v_mov_b32_e32 v10, 0xff7fffff
	v_mov_b32_e32 v20, v1
	s_branch .LBB127_13
.LBB127_11:                             ;   in Loop: Header=BB127_13 Depth=1
	s_or_b64 exec, exec, s[38:39]
.LBB127_12:                             ;   in Loop: Header=BB127_13 Depth=1
	s_or_b64 exec, exec, s[8:9]
	v_add_u32_e32 v20, 2, v20
	v_cmp_le_i32_e64 s[0:1], s41, v20
	v_lshl_add_u64 v[4:5], v[4:5], 0, 8
	v_add_u32_e32 v12, 32, v12
	s_or_b64 s[36:37], s[0:1], s[36:37]
	v_add_u32_e32 v14, 0x80, v14
	s_andn2_b64 exec, exec, s[36:37]
	s_cbranch_execz .LBB127_20
.LBB127_13:                             ; =>This Inner Loop Header: Depth=1
	v_mul_hi_u32 v21, v12, s33
	s_waitcnt lgkmcnt(0)
	v_mul_lo_u32 v22, v21, s21
	v_sub_u32_e32 v22, v12, v22
	v_add_u32_e32 v23, 1, v21
	v_cmp_le_u32_e64 s[0:1], s21, v22
	s_nop 1
	v_cndmask_b32_e64 v21, v21, v23, s[0:1]
	v_subrev_u32_e32 v23, s21, v22
	v_cndmask_b32_e64 v22, v22, v23, s[0:1]
	v_add_u32_e32 v23, 1, v21
	v_cmp_le_u32_e64 s[0:1], s21, v22
	s_nop 1
	v_cndmask_b32_e64 v21, v21, v23, s[0:1]
	v_xor_b32_e32 v21, s19, v21
	v_subrev_u32_e32 v21, s19, v21
	v_add_u32_e32 v22, s40, v21
	v_sub_u32_e32 v24, 0, v22
	v_ashrrev_i32_e32 v23, 31, v22
	v_max_i32_e32 v22, v22, v24
	v_mul_hi_u32 v24, v22, v11
	v_mul_lo_u32 v24, v24, s15
	v_sub_u32_e32 v22, v22, v24
	v_subrev_u32_e32 v24, s15, v22
	v_cmp_le_u32_e64 s[0:1], s15, v22
	v_cmp_ge_i32_e64 s[8:9], s30, v21
	s_nop 0
	v_cndmask_b32_e64 v22, v22, v24, s[0:1]
	v_subrev_u32_e32 v24, s15, v22
	v_cmp_le_u32_e64 s[0:1], s15, v22
	s_nop 1
	v_cndmask_b32_e64 v22, v22, v24, s[0:1]
	v_xor_b32_e32 v22, v22, v23
	v_sub_u32_e32 v22, v22, v23
	v_cmp_ne_u32_e64 s[0:1], 0, v22
	s_and_b64 s[0:1], s[0:1], s[8:9]
	s_and_saveexec_b64 s[8:9], s[0:1]
	s_xor_b64 s[0:1], exec, s[8:9]
	s_cbranch_execz .LBB127_17
; %bb.14:                               ;   in Loop: Header=BB127_13 Depth=1
	s_and_saveexec_b64 s[8:9], vcc
; %bb.15:                               ;   in Loop: Header=BB127_13 Depth=1
	ds_write_b32 v14, v15
; %bb.16:                               ;   in Loop: Header=BB127_13 Depth=1
	s_or_b64 exec, exec, s[8:9]
.LBB127_17:                             ;   in Loop: Header=BB127_13 Depth=1
	s_andn2_saveexec_b64 s[8:9], s[0:1]
	s_cbranch_execz .LBB127_12
; %bb.18:                               ;   in Loop: Header=BB127_13 Depth=1
	global_load_dword v21, v[4:5], off
	s_waitcnt vmcnt(0)
	v_mad_i64_i32 v[22:23], s[0:1], v21, s43, 0
	v_lshl_add_u64 v[22:23], v[22:23], 1, v[2:3]
	global_load_dword v21, v[22:23], off
	global_load_dword v27, v[22:23], off offset:256
	global_load_dword v32, v[22:23], off offset:512
	;; [unrolled: 1-line block ×7, first 2 shown]
	ds_read_b128 v[22:25], v9
	ds_read_b128 v[28:31], v9 offset:16
	v_cmp_lt_i32_e64 s[0:1], v18, v17
	s_waitcnt lgkmcnt(1)
	v_lshlrev_b32_e32 v40, 16, v23
	v_and_b32_e32 v23, 0xffff0000, v23
	v_lshlrev_b32_e32 v39, 16, v22
	v_and_b32_e32 v22, 0xffff0000, v22
	v_lshlrev_b32_e32 v41, 16, v24
	v_and_b32_e32 v24, 0xffff0000, v24
	v_lshlrev_b32_e32 v42, 16, v25
	v_and_b32_e32 v25, 0xffff0000, v25
	s_waitcnt lgkmcnt(0)
	v_lshlrev_b32_e32 v43, 16, v28
	v_and_b32_e32 v28, 0xffff0000, v28
	v_lshlrev_b32_e32 v44, 16, v29
	v_and_b32_e32 v29, 0xffff0000, v29
	;; [unrolled: 2-line block ×4, first 2 shown]
	v_cndmask_b32_e64 v38, v16, v18, s[0:1]
	v_lshlrev_b32_e32 v38, 2, v38
	v_cmp_lt_i32_e64 s[0:1], v19, v17
	s_waitcnt vmcnt(7)
	v_lshlrev_b32_e32 v47, 16, v21
	s_waitcnt vmcnt(6)
	v_lshlrev_b32_e32 v48, 16, v27
	v_and_b32_e32 v27, 0xffff0000, v27
	v_and_b32_e32 v21, 0xffff0000, v21
	v_mul_f32_e32 v40, v40, v48
	v_mul_f32_e32 v23, v23, v27
	s_waitcnt vmcnt(5)
	v_lshlrev_b32_e32 v49, 16, v32
	v_and_b32_e32 v32, 0xffff0000, v32
	v_fmac_f32_e32 v40, v39, v47
	v_fmac_f32_e32 v23, v22, v21
	s_waitcnt vmcnt(4)
	v_lshlrev_b32_e32 v50, 16, v33
	v_and_b32_e32 v33, 0xffff0000, v33
	v_fmac_f32_e32 v40, v41, v49
	v_fmac_f32_e32 v23, v24, v32
	;; [unrolled: 5-line block ×6, first 2 shown]
	v_fmac_f32_e32 v40, v46, v54
	v_fmac_f32_e32 v23, v31, v37
	v_add_f32_e32 v21, v40, v23
	ds_bpermute_b32 v22, v38, v21
	v_cndmask_b32_e64 v23, v16, v19, s[0:1]
	v_lshlrev_b32_e32 v23, 2, v23
	s_waitcnt lgkmcnt(0)
	v_add_f32_e32 v21, v21, v22
	ds_bpermute_b32 v22, v23, v21
	s_and_saveexec_b64 s[38:39], vcc
	s_cbranch_execz .LBB127_11
; %bb.19:                               ;   in Loop: Header=BB127_13 Depth=1
	v_add_u32_e32 v23, v13, v12
	v_cvt_f32_i32_e32 v23, v23
	s_waitcnt lgkmcnt(0)
	v_add_f32_e32 v21, v21, v22
	v_add_u32_e32 v24, v8, v12
	v_cmp_gt_i32_e64 s[0:1], s11, v24
	v_mul_f32_e32 v22, s42, v23
	v_cndmask_b32_e64 v22, 0, v22, s[2:3]
	v_fmac_f32_e32 v22, s31, v21
	v_cndmask_b32_e64 v21, 0, v22, s[0:1]
	ds_write_b32 v14, v21
	v_max_f32_e32 v21, v10, v10
	v_max_f32_e32 v21, v21, v22
	v_cndmask_b32_e64 v10, v10, v21, s[0:1]
	s_branch .LBB127_11
.LBB127_20:
	s_or_b64 exec, exec, s[36:37]
.LBB127_21:
	s_or_b64 exec, exec, s[34:35]
	v_mbcnt_hi_u32_b32 v2, -1, v7
	v_and_b32_e32 v11, 64, v2
	v_add_u32_e32 v3, 64, v11
	v_xor_b32_e32 v4, 32, v2
	v_cmp_lt_i32_e32 vcc, v4, v3
	v_xor_b32_e32 v8, 16, v2
	v_max_f32_e32 v7, v10, v10
	v_cndmask_b32_e32 v4, v2, v4, vcc
	v_lshlrev_b32_e32 v4, 2, v4
	ds_bpermute_b32 v5, v4, v10
	v_cmp_lt_i32_e32 vcc, v8, v3
	v_xor_b32_e32 v9, 8, v2
	v_xor_b32_e32 v10, 4, v2
	v_and_b32_e32 v27, 63, v0
	s_waitcnt lgkmcnt(0)
	v_max_f32_e32 v5, v5, v5
	v_max_f32_e32 v7, v7, v5
	v_cndmask_b32_e32 v5, v2, v8, vcc
	v_lshlrev_b32_e32 v5, 2, v5
	ds_bpermute_b32 v8, v5, v7
	v_cmp_lt_i32_e32 vcc, v9, v3
	s_waitcnt lgkmcnt(0)
	v_max_f32_e32 v8, v8, v8
	v_max_f32_e32 v7, v7, v8
	v_cndmask_b32_e32 v8, v2, v9, vcc
	v_lshlrev_b32_e32 v9, 2, v8
	ds_bpermute_b32 v8, v9, v7
	v_cmp_lt_i32_e32 vcc, v10, v3
	s_waitcnt lgkmcnt(0)
	v_max_f32_e32 v8, v8, v8
	v_max_f32_e32 v8, v7, v8
	v_cndmask_b32_e32 v7, v2, v10, vcc
	v_lshlrev_b32_e32 v10, 2, v7
	ds_bpermute_b32 v12, v10, v8
	v_cmp_eq_u32_e32 vcc, 0, v27
	v_lshlrev_b32_e32 v7, 2, v1
	s_and_saveexec_b64 s[0:1], vcc
	s_cbranch_execz .LBB127_23
; %bb.22:
	s_waitcnt lgkmcnt(0)
	v_max_f32_e32 v12, v12, v12
	v_max_f32_e32 v8, v8, v8
	v_max_f32_e32 v8, v8, v12
	ds_write_b32 v7, v8 offset:128
.LBB127_23:
	s_or_b64 exec, exec, s[0:1]
	v_cmp_gt_u32_e64 s[0:1], 2, v27
	s_waitcnt lgkmcnt(0)
	v_mov_b32_e32 v12, 0xff7fffff
	v_lshlrev_b32_e32 v8, 2, v27
	s_barrier
	s_and_saveexec_b64 s[2:3], s[0:1]
; %bb.24:
	ds_read_b32 v12, v8 offset:128
; %bb.25:
	s_or_b64 exec, exec, s[2:3]
	v_xor_b32_e32 v13, 1, v2
	v_cmp_lt_i32_e64 s[2:3], v13, v3
	v_lshlrev_b32_e32 v11, 2, v11
	s_nop 0
	v_cndmask_b32_e64 v13, v2, v13, s[2:3]
	v_lshlrev_b32_e32 v28, 2, v13
	s_waitcnt lgkmcnt(0)
	ds_bpermute_b32 v13, v28, v12
	v_max_f32_e32 v12, v12, v12
	s_lshl_b32 s2, s41, 4
	s_min_i32 s15, s2, s11
	v_cmp_gt_i32_e64 s[2:3], s15, v0
	s_waitcnt lgkmcnt(0)
	v_max_f32_e32 v13, v13, v13
	v_max_f32_e32 v12, v12, v13
	ds_bpermute_b32 v12, v11, v12
	v_mov_b32_e32 v11, 0
	s_and_saveexec_b64 s[30:31], s[2:3]
	s_cbranch_execz .LBB127_29
; %bb.26:
	v_mov_b32_e32 v11, 0x90
	v_lshl_add_u32 v13, v0, 2, v11
	v_mov_b32_e32 v11, 0
	s_mov_b64 s[34:35], 0
	v_mov_b32_e32 v14, v0
.LBB127_27:                             ; =>This Inner Loop Header: Depth=1
	ds_read_b32 v15, v13
	v_add_u32_e32 v14, 0x80, v14
	v_cmp_le_i32_e64 s[8:9], s15, v14
	s_or_b64 s[34:35], s[8:9], s[34:35]
	s_waitcnt lgkmcnt(0)
	v_sub_f32_e32 v15, v15, v12
	v_mul_f32_e32 v15, 0x3fb8aa3b, v15
	v_exp_f32_e32 v15, v15
	ds_write_b32 v13, v15
	v_add_f32_e32 v11, v11, v15
	v_add_u32_e32 v13, 0x200, v13
	s_andn2_b64 exec, exec, s[34:35]
	s_cbranch_execnz .LBB127_27
; %bb.28:
	s_or_b64 exec, exec, s[34:35]
.LBB127_29:
	s_or_b64 exec, exec, s[30:31]
	ds_bpermute_b32 v4, v4, v11
	s_waitcnt lgkmcnt(0)
	v_add_f32_e32 v4, v11, v4
	ds_bpermute_b32 v5, v5, v4
	s_waitcnt lgkmcnt(0)
	v_add_f32_e32 v4, v4, v5
	ds_bpermute_b32 v5, v9, v4
	v_xor_b32_e32 v9, 2, v2
	v_cmp_lt_i32_e64 s[8:9], v9, v3
	s_waitcnt lgkmcnt(0)
	v_add_f32_e32 v4, v4, v5
	ds_bpermute_b32 v5, v10, v4
	v_cndmask_b32_e64 v3, v2, v9, s[8:9]
	v_lshlrev_b32_e32 v3, 2, v3
	s_waitcnt lgkmcnt(0)
	v_add_f32_e32 v4, v4, v5
	ds_bpermute_b32 v3, v3, v4
	s_waitcnt lgkmcnt(0)
	v_add_f32_e32 v3, v4, v3
	ds_bpermute_b32 v4, v28, v3
	s_waitcnt lgkmcnt(0)
	v_add_f32_e32 v3, v3, v4
	s_and_saveexec_b64 s[8:9], vcc
; %bb.30:
	ds_write_b32 v7, v3 offset:136
; %bb.31:
	s_or_b64 exec, exec, s[8:9]
	s_waitcnt lgkmcnt(0)
	s_barrier
	s_and_saveexec_b64 s[8:9], s[0:1]
; %bb.32:
	ds_read_b32 v3, v8 offset:136
; %bb.33:
	s_or_b64 exec, exec, s[8:9]
	s_waitcnt lgkmcnt(0)
	ds_bpermute_b32 v4, v28, v3
	v_lshlrev_b32_e32 v2, 2, v2
	v_and_b32_e32 v2, 0x100, v2
	s_waitcnt lgkmcnt(0)
	v_add_f32_e32 v3, v3, v4
	ds_bpermute_b32 v2, v2, v3
	s_and_saveexec_b64 s[0:1], s[2:3]
	s_cbranch_execz .LBB127_46
; %bb.34:
	s_waitcnt lgkmcnt(0)
	v_add_f32_e32 v2, 0x358637bd, v2
	v_div_scale_f32 v3, s[2:3], v2, v2, 1.0
	v_rcp_f32_e32 v4, v3
	v_div_scale_f32 v5, vcc, 1.0, v2, 1.0
	s_movk_i32 s2, 0x7f
	v_fma_f32 v7, -v3, v4, 1.0
	v_fmac_f32_e32 v4, v7, v4
	v_mul_f32_e32 v7, v5, v4
	v_fma_f32 v8, -v3, v7, v5
	v_fmac_f32_e32 v7, v8, v4
	v_fma_f32 v3, -v3, v7, v5
	v_div_fmas_f32 v3, v3, v4, v7
	v_xad_u32 v4, v0, -1, s15
	v_div_fixup_f32 v2, v3, v2, 1.0
	v_cmp_lt_u32_e32 vcc, s2, v4
	s_mov_b64 s[8:9], -1
	v_mov_b32_e32 v3, v0
	s_and_saveexec_b64 s[2:3], vcc
	s_cbranch_execz .LBB127_43
; %bb.35:
	v_lshrrev_b32_e32 v4, 7, v4
	v_add_u32_e32 v7, -1, v4
	v_lshrrev_b32_e32 v5, 1, v7
	v_mov_b32_e32 v3, v2
	v_add_u32_e32 v5, 1, v5
	v_cmp_lt_u32_e32 vcc, 13, v7
	v_mov_b32_e32 v9, 0
	s_and_saveexec_b64 s[8:9], vcc
	s_cbranch_execz .LBB127_39
; %bb.36:
	v_mov_b32_e32 v8, 0x90
	v_and_b32_e32 v7, -8, v5
	v_lshl_add_u32 v8, v0, 2, v8
	s_mov_b32 s34, 0
	s_mov_b64 s[30:31], 0
.LBB127_37:                             ; =>This Inner Loop Header: Depth=1
	ds_read2st64_b32 v[10:11], v8 offset1:2
	ds_read2st64_b32 v[12:13], v8 offset0:4 offset1:6
	ds_read2st64_b32 v[14:15], v8 offset0:8 offset1:10
	;; [unrolled: 1-line block ×3, first 2 shown]
	v_add_u32_e32 v7, -8, v7
	s_waitcnt lgkmcnt(3)
	v_pk_mul_f32 v[10:11], v[2:3], v[10:11]
	s_waitcnt lgkmcnt(2)
	v_pk_mul_f32 v[12:13], v[2:3], v[12:13]
	ds_write2st64_b32 v8, v10, v11 offset1:2
	ds_write2st64_b32 v8, v12, v13 offset0:4 offset1:6
	ds_read2st64_b32 v[12:13], v8 offset0:16 offset1:18
	s_waitcnt lgkmcnt(4)
	v_pk_mul_f32 v[10:11], v[2:3], v[14:15]
	ds_write2st64_b32 v8, v10, v11 offset0:8 offset1:10
	s_waitcnt lgkmcnt(4)
	v_pk_mul_f32 v[10:11], v[2:3], v[16:17]
	ds_write2st64_b32 v8, v10, v11 offset0:12 offset1:14
	ds_read2st64_b32 v[10:11], v8 offset0:20 offset1:22
	s_waitcnt lgkmcnt(3)
	v_pk_mul_f32 v[12:13], v[2:3], v[12:13]
	ds_read2st64_b32 v[14:15], v8 offset0:24 offset1:26
	ds_write2st64_b32 v8, v12, v13 offset0:16 offset1:18
	ds_read2st64_b32 v[12:13], v8 offset0:28 offset1:30
	s_waitcnt lgkmcnt(3)
	v_pk_mul_f32 v[10:11], v[2:3], v[10:11]
	ds_write2st64_b32 v8, v10, v11 offset0:20 offset1:22
	s_waitcnt lgkmcnt(3)
	v_pk_mul_f32 v[10:11], v[2:3], v[14:15]
	ds_write2st64_b32 v8, v10, v11 offset0:24 offset1:26
	s_waitcnt lgkmcnt(2)
	v_pk_mul_f32 v[10:11], v[2:3], v[12:13]
	s_add_i32 s34, s34, 16
	v_cmp_eq_u32_e32 vcc, 0, v7
	ds_write2st64_b32 v8, v10, v11 offset0:28 offset1:30
	v_add_u32_e32 v8, 0x2000, v8
	s_or_b64 s[30:31], vcc, s[30:31]
	v_mov_b32_e32 v9, s34
	s_andn2_b64 exec, exec, s[30:31]
	s_cbranch_execnz .LBB127_37
; %bb.38:
	s_or_b64 exec, exec, s[30:31]
.LBB127_39:
	s_or_b64 exec, exec, s[8:9]
	v_and_b32_e32 v5, 7, v5
	v_cmp_ne_u32_e32 vcc, 0, v5
	s_and_saveexec_b64 s[8:9], vcc
	s_cbranch_execz .LBB127_42
; %bb.40:
	v_lshlrev_b32_e32 v7, 9, v9
	v_lshlrev_b32_e32 v8, 2, v0
	s_movk_i32 s30, 0x90
	v_add3_u32 v7, v7, v8, s30
	s_mov_b64 s[30:31], 0
.LBB127_41:                             ; =>This Inner Loop Header: Depth=1
	ds_read2st64_b32 v[8:9], v7 offset1:2
	v_add_u32_e32 v5, -1, v5
	v_cmp_eq_u32_e32 vcc, 0, v5
	s_or_b64 s[30:31], vcc, s[30:31]
	s_waitcnt lgkmcnt(0)
	v_pk_mul_f32 v[8:9], v[2:3], v[8:9]
	ds_write2st64_b32 v7, v8, v9 offset1:2
	v_add_u32_e32 v7, 0x400, v7
	s_andn2_b64 exec, exec, s[30:31]
	s_cbranch_execnz .LBB127_41
.LBB127_42:
	s_or_b64 exec, exec, s[8:9]
	v_add_u32_e32 v4, 1, v4
	v_and_b32_e32 v5, 0x3fffffe, v4
	v_cmp_ne_u32_e32 vcc, v4, v5
	v_lshl_add_u32 v3, v5, 7, v0
	s_orn2_b64 s[8:9], vcc, exec
.LBB127_43:
	s_or_b64 exec, exec, s[2:3]
	s_and_b64 exec, exec, s[8:9]
	s_cbranch_execz .LBB127_46
; %bb.44:
	v_mov_b32_e32 v4, 0x90
	v_lshl_add_u32 v4, v3, 2, v4
	s_mov_b64 s[2:3], 0
.LBB127_45:                             ; =>This Inner Loop Header: Depth=1
	ds_read_b32 v5, v4
	v_add_u32_e32 v3, 0x80, v3
	v_cmp_le_i32_e32 vcc, s15, v3
	s_or_b64 s[2:3], vcc, s[2:3]
	s_waitcnt lgkmcnt(0)
	v_mul_f32_e32 v5, v2, v5
	ds_write_b32 v4, v5
	v_add_u32_e32 v4, 0x200, v4
	s_andn2_b64 exec, exec, s[2:3]
	s_cbranch_execnz .LBB127_45
.LBB127_46:
	s_or_b64 exec, exec, s[0:1]
	v_mov_b32_e32 v19, 0
	v_and_b32_e32 v29, 1, v0
	v_mov_b32_e32 v18, v19
	s_waitcnt lgkmcnt(0)
	s_barrier
	s_and_saveexec_b64 s[8:9], s[6:7]
	s_cbranch_execz .LBB127_56
; %bb.47:
	s_ashr_i32 s15, s14, 31
	s_sub_i32 s17, s12, s17
	s_lshl_b64 s[0:1], s[14:15], 1
	s_add_u32 s0, s28, s0
	s_addc_u32 s1, s29, s1
	s_abs_i32 s18, s18
	v_cvt_f32_u32_e32 v3, s18
	v_lshlrev_b32_e32 v2, 3, v0
	v_and_b32_e32 v30, 8, v2
	v_mov_b32_e32 v21, 0
	v_rcp_iflag_f32_e32 v2, v3
	v_lshlrev_b32_e32 v3, 4, v0
	v_and_b32_e32 v20, 0x3f0, v3
	v_lshl_add_u64 v[22:23], s[0:1], 0, v[20:21]
	v_mul_f32_e32 v2, 0x4f7ffffe, v2
	v_cvt_u32_f32_e32 v2, v2
	s_sub_i32 s0, 0, s18
	s_add_i32 s29, s41, -1
	v_and_b32_e32 v20, 60, v6
	v_mul_lo_u32 v3, s0, v2
	v_mul_hi_u32 v3, v2, v3
	s_lshl_b64 s[0:1], s[26:27], 2
	v_add_u32_e32 v31, v2, v3
	s_add_u32 s0, s24, s0
	v_lshlrev_b32_e32 v2, 5, v29
	s_addc_u32 s1, s25, s1
	v_lshl_or_b32 v2, v1, 6, v2
	s_mov_b32 s28, s13
	s_mov_b32 s30, s11
	v_lshl_add_u64 v[24:25], s[0:1], 0, v[20:21]
	v_add_u32_e32 v20, 0x90, v2
	s_mov_b64 s[6:7], 0
	s_mov_b32 s24, 0x5040100
	v_mov_b32_e32 v18, 0
	v_mov_b32_e32 v19, v21
	s_branch .LBB127_50
.LBB127_48:                             ;   in Loop: Header=BB127_50 Depth=1
	s_or_b64 exec, exec, s[2:3]
	s_waitcnt lgkmcnt(0)
	v_cvt_pk_bf16_f32 v10, v10, s0
	s_waitcnt vmcnt(1)
	v_and_b32_e32 v34, 0xffff0000, v4
	v_lshlrev_b32_e32 v4, 16, v4
	v_lshlrev_b32_e32 v35, 16, v10
	v_cvt_pk_bf16_f32 v13, v13, s0
	v_mul_f32_e32 v4, v35, v4
	v_cvt_pk_bf16_f32 v14, v14, s0
	v_cvt_pk_bf16_f32 v15, v15, s0
	;; [unrolled: 1-line block ×3, first 2 shown]
	v_and_b32_e32 v4, 0xffff0000, v5
	v_lshlrev_b32_e32 v13, 16, v13
	v_cvt_pk_bf16_f32 v16, v16, s0
	v_cvt_pk_bf16_f32 v17, v17, s0
	;; [unrolled: 1-line block ×3, first 2 shown]
	v_and_b32_e32 v32, 0xffff0000, v2
	v_lshlrev_b32_e32 v15, 16, v15
	v_lshlrev_b32_e32 v2, 16, v2
	;; [unrolled: 1-line block ×3, first 2 shown]
	v_mul_f32_e32 v4, v13, v4
	v_cvt_pk_bf16_f32 v11, v11, s0
	v_mul_f32_e32 v32, v15, v32
	v_mul_f32_e32 v2, v14, v2
	v_and_b32_e32 v33, 0xffff0000, v3
	v_lshlrev_b32_e32 v17, 16, v17
	v_lshlrev_b32_e32 v3, 16, v3
	;; [unrolled: 1-line block ×3, first 2 shown]
	v_cvt_pk_bf16_f32 v36, v4, s0
	v_lshlrev_b32_e32 v4, 16, v5
	v_lshlrev_b32_e32 v5, 16, v12
	v_cvt_pk_bf16_f32 v32, v32, s0
	v_cvt_pk_bf16_f32 v2, v2, s0
	v_mul_f32_e32 v33, v17, v33
	v_mul_f32_e32 v3, v16, v3
	v_lshlrev_b32_e32 v11, 16, v11
	v_mul_f32_e32 v4, v5, v4
	v_cvt_pk_bf16_f32 v33, v33, s0
	v_cvt_pk_bf16_f32 v3, v3, s0
	v_mul_f32_e32 v34, v11, v34
	v_cvt_pk_bf16_f32 v12, v4, s0
	v_lshlrev_b32_e32 v2, 16, v2
	v_lshlrev_b32_e32 v4, 16, v32
	v_cvt_pk_bf16_f32 v34, v34, s0
	v_add_f32_e32 v2, v4, v2
	v_lshlrev_b32_e32 v3, 16, v3
	v_lshlrev_b32_e32 v4, 16, v33
	v_add_f32_e32 v4, v4, v3
	v_lshlrev_b32_e32 v3, 16, v10
	v_lshlrev_b32_e32 v10, 16, v34
	;; [unrolled: 3-line block ×3, first 2 shown]
	v_add_f32_e32 v12, v12, v3
	s_waitcnt vmcnt(0)
	v_lshlrev_b32_e32 v3, 16, v6
	v_mul_f32_e32 v3, v14, v3
	v_lshlrev_b32_e32 v14, 16, v7
	v_and_b32_e32 v7, 0xffff0000, v7
	v_and_b32_e32 v6, 0xffff0000, v6
	v_mul_f32_e32 v7, v17, v7
	v_mul_f32_e32 v6, v15, v6
	v_cvt_pk_bf16_f32 v15, v7, s0
	v_lshlrev_b32_e32 v7, 16, v8
	v_mul_f32_e32 v7, v35, v7
	v_mul_f32_e32 v14, v16, v14
	v_cvt_pk_bf16_f32 v16, v7, s0
	v_and_b32_e32 v7, 0xffff0000, v8
	v_mul_f32_e32 v7, v11, v7
	v_cvt_pk_bf16_f32 v11, v7, s0
	v_lshlrev_b32_e32 v7, 16, v9
	v_mul_f32_e32 v5, v5, v7
	v_and_b32_e32 v7, 0xffff0000, v9
	v_cvt_pk_bf16_f32 v3, v3, s0
	v_cvt_pk_bf16_f32 v6, v6, s0
	;; [unrolled: 1-line block ×3, first 2 shown]
	v_mul_f32_e32 v7, v13, v7
	v_cvt_pk_bf16_f32 v5, v5, s0
	v_cvt_pk_bf16_f32 v13, v7, s0
	v_lshlrev_b32_e32 v7, 16, v6
	v_lshlrev_b32_e32 v9, 16, v3
	v_lshlrev_b32_e32 v6, 16, v15
	v_lshlrev_b32_e32 v8, 16, v14
	v_pk_add_f32 v[6:7], v[8:9], v[6:7]
	v_lshlrev_b32_e32 v9, 16, v11
	v_lshlrev_b32_e32 v15, 16, v16
	;; [unrolled: 1-line block ×4, first 2 shown]
	v_pk_add_f32 v[8:9], v[14:15], v[8:9]
	v_mov_b32_e32 v5, v6
	v_mov_b32_e32 v3, v7
	;; [unrolled: 1-line block ×3, first 2 shown]
	v_pk_add_f32 v[2:3], v[4:5], v[2:3]
	v_mov_b32_e32 v13, v8
	v_pk_add_f32 v[2:3], v[10:11], v[2:3]
	s_nop 0
	v_pk_add_f32 v[2:3], v[12:13], v[2:3]
	s_nop 0
	v_pk_add_f32 v[18:19], v[18:19], v[2:3]
.LBB127_49:                             ;   in Loop: Header=BB127_50 Depth=1
	s_or_b64 exec, exec, s[12:13]
	v_add_u32_e32 v1, 2, v1
	v_cmp_le_i32_e32 vcc, s41, v1
	v_lshl_add_u64 v[24:25], v[24:25], 0, 8
	v_add_u32_e32 v26, 32, v26
	s_or_b64 s[6:7], vcc, s[6:7]
	v_add_u32_e32 v20, 0x80, v20
	s_andn2_b64 exec, exec, s[6:7]
	s_cbranch_execz .LBB127_55
.LBB127_50:                             ; =>This Inner Loop Header: Depth=1
	v_mul_hi_u32 v2, v26, s33
	v_mul_lo_u32 v3, v2, s21
	v_sub_u32_e32 v3, v26, v3
	v_add_u32_e32 v4, 1, v2
	v_cmp_le_u32_e32 vcc, s21, v3
	s_nop 1
	v_cndmask_b32_e32 v2, v2, v4, vcc
	v_subrev_u32_e32 v4, s21, v3
	v_cndmask_b32_e32 v3, v3, v4, vcc
	v_add_u32_e32 v4, 1, v2
	v_cmp_le_u32_e32 vcc, s21, v3
	s_nop 1
	v_cndmask_b32_e32 v2, v2, v4, vcc
	v_xor_b32_e32 v2, s19, v2
	v_subrev_u32_e32 v2, s19, v2
	v_add_u32_e32 v3, s40, v2
	v_sub_u32_e32 v5, 0, v3
	v_ashrrev_i32_e32 v4, 31, v3
	v_max_i32_e32 v3, v3, v5
	v_mul_hi_u32 v5, v3, v31
	v_mul_lo_u32 v5, v5, s18
	v_sub_u32_e32 v3, v3, v5
	v_subrev_u32_e32 v5, s18, v3
	v_cmp_le_u32_e32 vcc, s18, v3
	v_cmp_lt_i32_e64 s[0:1], s17, v2
	s_nop 0
	v_cndmask_b32_e32 v3, v3, v5, vcc
	v_subrev_u32_e32 v5, s18, v3
	v_cmp_le_u32_e32 vcc, s18, v3
	s_nop 1
	v_cndmask_b32_e32 v3, v3, v5, vcc
	v_xor_b32_e32 v3, v3, v4
	v_sub_u32_e32 v3, v3, v4
	v_cmp_eq_u32_e32 vcc, 0, v3
	s_or_b64 s[0:1], vcc, s[0:1]
	s_and_saveexec_b64 s[12:13], s[0:1]
	s_cbranch_execz .LBB127_49
; %bb.51:                               ;   in Loop: Header=BB127_50 Depth=1
	global_load_dword v2, v[24:25], off
	v_add_u32_e32 v34, v30, v26
	v_add_u32_e32 v39, 1, v34
	v_or_b32_e32 v37, 3, v34
	v_or_b32_e32 v38, 2, v34
	;; [unrolled: 1-line block ×6, first 2 shown]
	s_waitcnt vmcnt(0)
	v_mad_i64_i32 v[2:3], s[0:1], v2, s28, 0
	v_lshl_add_u64 v[6:7], v[2:3], 1, v[22:23]
	global_load_dwordx4 v[2:5], v[6:7], off
	ds_read2_b64 v[14:17], v20 offset1:1
	ds_read2_b64 v[10:13], v20 offset0:2 offset1:3
	v_cmp_eq_u32_e64 s[0:1], s29, v1
	s_and_saveexec_b64 s[14:15], s[0:1]
	s_cbranch_execz .LBB127_53
; %bb.52:                               ;   in Loop: Header=BB127_50 Depth=1
	v_cmp_gt_i32_e32 vcc, s30, v39
	v_cmp_gt_i32_e64 s[2:3], s11, v38
	s_waitcnt vmcnt(0)
	v_cndmask_b32_sdwa v8, v21, v2, vcc dst_sel:DWORD dst_unused:UNUSED_PAD src0_sel:DWORD src1_sel:WORD_1
	v_cmp_gt_i32_e32 vcc, s11, v34
	s_nop 1
	v_cndmask_b32_e32 v2, 0, v2, vcc
	v_cmp_gt_i32_e32 vcc, s30, v37
	v_perm_b32 v2, v8, v2, s24
	v_cndmask_b32_e64 v8, 0, v3, s[2:3]
	v_cndmask_b32_sdwa v3, v21, v3, vcc dst_sel:DWORD dst_unused:UNUSED_PAD src0_sel:DWORD src1_sel:WORD_1
	v_cmp_gt_i32_e32 vcc, s30, v35
	v_cmp_gt_i32_e64 s[2:3], s11, v36
	v_perm_b32 v3, v3, v8, s24
	s_nop 0
	v_cndmask_b32_e64 v8, 0, v4, s[2:3]
	v_cndmask_b32_sdwa v4, v21, v4, vcc dst_sel:DWORD dst_unused:UNUSED_PAD src0_sel:DWORD src1_sel:WORD_1
	v_cmp_gt_i32_e32 vcc, s30, v32
	v_cmp_gt_i32_e64 s[2:3], s11, v33
	v_perm_b32 v4, v4, v8, s24
	s_nop 0
	v_cndmask_b32_e64 v8, 0, v5, s[2:3]
	v_cndmask_b32_sdwa v5, v21, v5, vcc dst_sel:DWORD dst_unused:UNUSED_PAD src0_sel:DWORD src1_sel:WORD_1
	v_perm_b32 v5, v5, v8, s24
.LBB127_53:                             ;   in Loop: Header=BB127_50 Depth=1
	s_or_b64 exec, exec, s[14:15]
	global_load_dwordx4 v[6:9], v[6:7], off offset:1024
	s_and_saveexec_b64 s[2:3], s[0:1]
	s_cbranch_execz .LBB127_48
; %bb.54:                               ;   in Loop: Header=BB127_50 Depth=1
	v_cmp_gt_i32_e32 vcc, s30, v39
	v_cmp_gt_i32_e64 s[0:1], s11, v38
	s_waitcnt vmcnt(0)
	v_cndmask_b32_sdwa v39, v21, v6, vcc dst_sel:DWORD dst_unused:UNUSED_PAD src0_sel:DWORD src1_sel:WORD_1
	v_cmp_gt_i32_e32 vcc, s11, v34
	v_cndmask_b32_e64 v34, 0, v7, s[0:1]
	v_cmp_gt_i32_e64 s[0:1], s11, v36
	v_cndmask_b32_e32 v6, 0, v6, vcc
	v_cmp_gt_i32_e32 vcc, s30, v37
	v_perm_b32 v6, v39, v6, s24
	s_nop 0
	v_cndmask_b32_sdwa v7, v21, v7, vcc dst_sel:DWORD dst_unused:UNUSED_PAD src0_sel:DWORD src1_sel:WORD_1
	v_cmp_gt_i32_e32 vcc, s30, v35
	v_perm_b32 v7, v7, v34, s24
	v_cndmask_b32_e64 v34, 0, v8, s[0:1]
	v_cndmask_b32_sdwa v8, v21, v8, vcc dst_sel:DWORD dst_unused:UNUSED_PAD src0_sel:DWORD src1_sel:WORD_1
	v_cmp_gt_i32_e32 vcc, s30, v32
	v_cmp_gt_i32_e64 s[0:1], s11, v33
	v_perm_b32 v8, v8, v34, s24
	s_nop 0
	v_cndmask_b32_e64 v32, 0, v9, s[0:1]
	v_cndmask_b32_sdwa v9, v21, v9, vcc dst_sel:DWORD dst_unused:UNUSED_PAD src0_sel:DWORD src1_sel:WORD_1
	v_perm_b32 v9, v9, v32, s24
	s_branch .LBB127_48
.LBB127_55:
	s_or_b64 exec, exec, s[6:7]
.LBB127_56:
	s_or_b64 exec, exec, s[8:9]
	ds_bpermute_b32 v2, v28, v18
	ds_bpermute_b32 v3, v28, v19
	v_and_b32_e32 v1, 0x3c1, v0
	v_cmp_eq_u32_e32 vcc, 64, v1
	s_waitcnt lgkmcnt(0)
	s_barrier
	v_pk_add_f32 v[2:3], v[18:19], v[2:3]
	s_and_saveexec_b64 s[0:1], vcc
; %bb.57:
	v_mov_b32_e32 v4, 0x90
	v_lshl_add_u32 v4, v27, 1, v4
	ds_write2_b32 v4, v2, v3 offset1:32
; %bb.58:
	s_or_b64 exec, exec, s[0:1]
	v_cmp_gt_u32_e32 vcc, 64, v0
	v_lshrrev_b32_e32 v0, 1, v0
	s_waitcnt lgkmcnt(0)
	s_barrier
	s_and_saveexec_b64 s[0:1], vcc
	s_cbranch_execz .LBB127_64
; %bb.59:
	v_mov_b32_e32 v4, 0x90
	v_cmp_eq_u32_e32 vcc, 0, v29
	v_lshl_add_u32 v4, v0, 2, v4
	s_and_saveexec_b64 s[2:3], vcc
	s_cbranch_execz .LBB127_61
; %bb.60:
	ds_read_b32 v5, v4
	s_waitcnt lgkmcnt(0)
	v_add_f32_e32 v2, v2, v5
.LBB127_61:
	s_or_b64 exec, exec, s[2:3]
	s_and_saveexec_b64 s[2:3], vcc
	s_cbranch_execz .LBB127_63
; %bb.62:
	ds_read_b32 v4, v4 offset:128
	s_waitcnt lgkmcnt(0)
	v_add_f32_e32 v3, v3, v4
.LBB127_63:
	s_or_b64 exec, exec, s[2:3]
.LBB127_64:
	s_or_b64 exec, exec, s[0:1]
	v_cmp_eq_u32_e32 vcc, 0, v1
	s_barrier
	s_and_saveexec_b64 s[0:1], vcc
	s_cbranch_execz .LBB127_66
; %bb.65:
	s_mul_i32 s0, s10, s16
	s_mul_i32 s0, s0, s5
	s_lshl_b32 s0, s0, 6
	s_ashr_i32 s1, s0, 31
	s_lshl_b64 s[0:1], s[0:1], 1
	s_add_u32 s2, s22, s0
	s_mul_i32 s0, s16, s20
	s_addc_u32 s3, s23, s1
	s_ashr_i32 s1, s0, 31
	s_lshl_b64 s[0:1], s[0:1], 1
	s_add_u32 s2, s2, s0
	s_addc_u32 s3, s3, s1
	s_lshl_b32 s0, s4, 6
	s_ashr_i32 s1, s0, 31
	s_lshl_b64 s[0:1], s[0:1], 1
	s_add_u32 s0, s2, s0
	s_addc_u32 s1, s3, s1
	v_cvt_pk_bf16_f32 v1, v2, s0
	v_lshlrev_b32_e32 v0, 1, v0
	global_store_short v0, v1, s[0:1]
	v_cvt_pk_bf16_f32 v1, v3, s0
	global_store_short v0, v1, s[0:1] offset:64
.LBB127_66:
	s_endpgm
	.section	.rodata,"a",@progbits
	.p2align	6, 0x0
	.amdhsa_kernel _ZN4vllm25paged_attention_v1_kernelI14__hip_bfloat16S1_Li64ELi16ELi128ELNS_18Fp8KVCacheDataTypeE0ELb1EEEvPT_PKS3_PKT0_S9_ifPKiSB_iPKfiiiSD_SD_iiiii
		.amdhsa_group_segment_fixed_size 144
		.amdhsa_private_segment_fixed_size 0
		.amdhsa_kernarg_size 384
		.amdhsa_user_sgpr_count 2
		.amdhsa_user_sgpr_dispatch_ptr 0
		.amdhsa_user_sgpr_queue_ptr 0
		.amdhsa_user_sgpr_kernarg_segment_ptr 1
		.amdhsa_user_sgpr_dispatch_id 0
		.amdhsa_user_sgpr_kernarg_preload_length 0
		.amdhsa_user_sgpr_kernarg_preload_offset 0
		.amdhsa_user_sgpr_private_segment_size 0
		.amdhsa_uses_dynamic_stack 0
		.amdhsa_enable_private_segment 0
		.amdhsa_system_sgpr_workgroup_id_x 1
		.amdhsa_system_sgpr_workgroup_id_y 1
		.amdhsa_system_sgpr_workgroup_id_z 1
		.amdhsa_system_sgpr_workgroup_info 0
		.amdhsa_system_vgpr_workitem_id 0
		.amdhsa_next_free_vgpr 55
		.amdhsa_next_free_sgpr 44
		.amdhsa_accum_offset 56
		.amdhsa_reserve_vcc 1
		.amdhsa_float_round_mode_32 0
		.amdhsa_float_round_mode_16_64 0
		.amdhsa_float_denorm_mode_32 3
		.amdhsa_float_denorm_mode_16_64 3
		.amdhsa_dx10_clamp 1
		.amdhsa_ieee_mode 1
		.amdhsa_fp16_overflow 0
		.amdhsa_tg_split 0
		.amdhsa_exception_fp_ieee_invalid_op 0
		.amdhsa_exception_fp_denorm_src 0
		.amdhsa_exception_fp_ieee_div_zero 0
		.amdhsa_exception_fp_ieee_overflow 0
		.amdhsa_exception_fp_ieee_underflow 0
		.amdhsa_exception_fp_ieee_inexact 0
		.amdhsa_exception_int_div_zero 0
	.end_amdhsa_kernel
	.section	.text._ZN4vllm25paged_attention_v1_kernelI14__hip_bfloat16S1_Li64ELi16ELi128ELNS_18Fp8KVCacheDataTypeE0ELb1EEEvPT_PKS3_PKT0_S9_ifPKiSB_iPKfiiiSD_SD_iiiii,"axG",@progbits,_ZN4vllm25paged_attention_v1_kernelI14__hip_bfloat16S1_Li64ELi16ELi128ELNS_18Fp8KVCacheDataTypeE0ELb1EEEvPT_PKS3_PKT0_S9_ifPKiSB_iPKfiiiSD_SD_iiiii,comdat
.Lfunc_end127:
	.size	_ZN4vllm25paged_attention_v1_kernelI14__hip_bfloat16S1_Li64ELi16ELi128ELNS_18Fp8KVCacheDataTypeE0ELb1EEEvPT_PKS3_PKT0_S9_ifPKiSB_iPKfiiiSD_SD_iiiii, .Lfunc_end127-_ZN4vllm25paged_attention_v1_kernelI14__hip_bfloat16S1_Li64ELi16ELi128ELNS_18Fp8KVCacheDataTypeE0ELb1EEEvPT_PKS3_PKT0_S9_ifPKiSB_iPKfiiiSD_SD_iiiii
                                        ; -- End function
	.set _ZN4vllm25paged_attention_v1_kernelI14__hip_bfloat16S1_Li64ELi16ELi128ELNS_18Fp8KVCacheDataTypeE0ELb1EEEvPT_PKS3_PKT0_S9_ifPKiSB_iPKfiiiSD_SD_iiiii.num_vgpr, 55
	.set _ZN4vllm25paged_attention_v1_kernelI14__hip_bfloat16S1_Li64ELi16ELi128ELNS_18Fp8KVCacheDataTypeE0ELb1EEEvPT_PKS3_PKT0_S9_ifPKiSB_iPKfiiiSD_SD_iiiii.num_agpr, 0
	.set _ZN4vllm25paged_attention_v1_kernelI14__hip_bfloat16S1_Li64ELi16ELi128ELNS_18Fp8KVCacheDataTypeE0ELb1EEEvPT_PKS3_PKT0_S9_ifPKiSB_iPKfiiiSD_SD_iiiii.numbered_sgpr, 44
	.set _ZN4vllm25paged_attention_v1_kernelI14__hip_bfloat16S1_Li64ELi16ELi128ELNS_18Fp8KVCacheDataTypeE0ELb1EEEvPT_PKS3_PKT0_S9_ifPKiSB_iPKfiiiSD_SD_iiiii.num_named_barrier, 0
	.set _ZN4vllm25paged_attention_v1_kernelI14__hip_bfloat16S1_Li64ELi16ELi128ELNS_18Fp8KVCacheDataTypeE0ELb1EEEvPT_PKS3_PKT0_S9_ifPKiSB_iPKfiiiSD_SD_iiiii.private_seg_size, 0
	.set _ZN4vllm25paged_attention_v1_kernelI14__hip_bfloat16S1_Li64ELi16ELi128ELNS_18Fp8KVCacheDataTypeE0ELb1EEEvPT_PKS3_PKT0_S9_ifPKiSB_iPKfiiiSD_SD_iiiii.uses_vcc, 1
	.set _ZN4vllm25paged_attention_v1_kernelI14__hip_bfloat16S1_Li64ELi16ELi128ELNS_18Fp8KVCacheDataTypeE0ELb1EEEvPT_PKS3_PKT0_S9_ifPKiSB_iPKfiiiSD_SD_iiiii.uses_flat_scratch, 0
	.set _ZN4vllm25paged_attention_v1_kernelI14__hip_bfloat16S1_Li64ELi16ELi128ELNS_18Fp8KVCacheDataTypeE0ELb1EEEvPT_PKS3_PKT0_S9_ifPKiSB_iPKfiiiSD_SD_iiiii.has_dyn_sized_stack, 0
	.set _ZN4vllm25paged_attention_v1_kernelI14__hip_bfloat16S1_Li64ELi16ELi128ELNS_18Fp8KVCacheDataTypeE0ELb1EEEvPT_PKS3_PKT0_S9_ifPKiSB_iPKfiiiSD_SD_iiiii.has_recursion, 0
	.set _ZN4vllm25paged_attention_v1_kernelI14__hip_bfloat16S1_Li64ELi16ELi128ELNS_18Fp8KVCacheDataTypeE0ELb1EEEvPT_PKS3_PKT0_S9_ifPKiSB_iPKfiiiSD_SD_iiiii.has_indirect_call, 0
	.section	.AMDGPU.csdata,"",@progbits
; Kernel info:
; codeLenInByte = 4920
; TotalNumSgprs: 50
; NumVgprs: 55
; NumAgprs: 0
; TotalNumVgprs: 55
; ScratchSize: 0
; MemoryBound: 0
; FloatMode: 240
; IeeeMode: 1
; LDSByteSize: 144 bytes/workgroup (compile time only)
; SGPRBlocks: 6
; VGPRBlocks: 6
; NumSGPRsForWavesPerEU: 50
; NumVGPRsForWavesPerEU: 55
; AccumOffset: 56
; Occupancy: 8
; WaveLimiterHint : 1
; COMPUTE_PGM_RSRC2:SCRATCH_EN: 0
; COMPUTE_PGM_RSRC2:USER_SGPR: 2
; COMPUTE_PGM_RSRC2:TRAP_HANDLER: 0
; COMPUTE_PGM_RSRC2:TGID_X_EN: 1
; COMPUTE_PGM_RSRC2:TGID_Y_EN: 1
; COMPUTE_PGM_RSRC2:TGID_Z_EN: 1
; COMPUTE_PGM_RSRC2:TIDIG_COMP_CNT: 0
; COMPUTE_PGM_RSRC3_GFX90A:ACCUM_OFFSET: 13
; COMPUTE_PGM_RSRC3_GFX90A:TG_SPLIT: 0
	.section	.text._ZN4vllm25paged_attention_v1_kernelI14__hip_bfloat16S1_Li80ELi16ELi128ELNS_18Fp8KVCacheDataTypeE0ELb1EEEvPT_PKS3_PKT0_S9_ifPKiSB_iPKfiiiSD_SD_iiiii,"axG",@progbits,_ZN4vllm25paged_attention_v1_kernelI14__hip_bfloat16S1_Li80ELi16ELi128ELNS_18Fp8KVCacheDataTypeE0ELb1EEEvPT_PKS3_PKT0_S9_ifPKiSB_iPKfiiiSD_SD_iiiii,comdat
	.protected	_ZN4vllm25paged_attention_v1_kernelI14__hip_bfloat16S1_Li80ELi16ELi128ELNS_18Fp8KVCacheDataTypeE0ELb1EEEvPT_PKS3_PKT0_S9_ifPKiSB_iPKfiiiSD_SD_iiiii ; -- Begin function _ZN4vllm25paged_attention_v1_kernelI14__hip_bfloat16S1_Li80ELi16ELi128ELNS_18Fp8KVCacheDataTypeE0ELb1EEEvPT_PKS3_PKT0_S9_ifPKiSB_iPKfiiiSD_SD_iiiii
	.globl	_ZN4vllm25paged_attention_v1_kernelI14__hip_bfloat16S1_Li80ELi16ELi128ELNS_18Fp8KVCacheDataTypeE0ELb1EEEvPT_PKS3_PKT0_S9_ifPKiSB_iPKfiiiSD_SD_iiiii
	.p2align	8
	.type	_ZN4vllm25paged_attention_v1_kernelI14__hip_bfloat16S1_Li80ELi16ELi128ELNS_18Fp8KVCacheDataTypeE0ELb1EEEvPT_PKS3_PKT0_S9_ifPKiSB_iPKfiiiSD_SD_iiiii,@function
_ZN4vllm25paged_attention_v1_kernelI14__hip_bfloat16S1_Li80ELi16ELi128ELNS_18Fp8KVCacheDataTypeE0ELb1EEEvPT_PKS3_PKT0_S9_ifPKiSB_iPKfiiiSD_SD_iiiii: ; @_ZN4vllm25paged_attention_v1_kernelI14__hip_bfloat16S1_Li80ELi16ELi128ELNS_18Fp8KVCacheDataTypeE0ELb1EEEvPT_PKS3_PKT0_S9_ifPKiSB_iPKfiiiSD_SD_iiiii
; %bb.0:
	s_load_dword s5, s[0:1], 0x80
	s_load_dwordx2 s[6:7], s[0:1], 0x30
	s_load_dwordx2 s[30:31], s[0:1], 0x20
	s_mov_b32 s10, s3
	s_ashr_i32 s11, s3, 31
	s_lshl_b64 s[8:9], s[10:11], 2
	s_waitcnt lgkmcnt(0)
	s_add_u32 s6, s6, s8
	s_addc_u32 s7, s7, s9
	s_abs_i32 s3, s30
	v_cvt_f32_u32_e32 v1, s3
	s_sub_i32 s11, 0, s3
	s_abs_i32 s9, s5
	s_xor_b32 s8, s5, s30
	v_rcp_iflag_f32_e32 v1, v1
	s_ashr_i32 s8, s8, 31
	s_mov_b32 s44, 0
	v_mul_f32_e32 v1, 0x4f7ffffe, v1
	v_cvt_u32_f32_e32 v1, v1
	s_nop 0
	v_readfirstlane_b32 s12, v1
	s_mul_i32 s11, s11, s12
	s_mul_hi_u32 s11, s12, s11
	s_add_i32 s12, s12, s11
	s_mul_hi_u32 s11, s9, s12
	s_mul_i32 s12, s11, s3
	s_sub_i32 s9, s9, s12
	s_add_i32 s12, s11, 1
	s_sub_i32 s13, s9, s3
	s_cmp_ge_u32 s9, s3
	s_cselect_b32 s11, s12, s11
	s_cselect_b32 s9, s13, s9
	s_add_i32 s12, s11, 1
	s_cmp_ge_u32 s9, s3
	s_cselect_b32 s3, s12, s11
	s_xor_b32 s3, s3, s8
	s_sub_i32 s16, s3, s8
	s_abs_i32 s11, s16
	v_cvt_f32_u32_e32 v1, s11
	s_load_dwordx2 s[8:9], s[0:1], 0x40
	s_sub_i32 s3, 0, s11
	s_abs_i32 s22, s2
	v_rcp_iflag_f32_e32 v1, v1
	s_nop 0
	v_mul_f32_e32 v1, 0x4f7ffffe, v1
	v_cvt_u32_f32_e32 v1, v1
	s_nop 0
	v_readfirstlane_b32 s12, v1
	s_mul_i32 s3, s3, s12
	s_mul_hi_u32 s3, s12, s3
	s_add_i32 s12, s12, s3
	s_waitcnt lgkmcnt(0)
	s_cmp_eq_u64 s[8:9], 0
	s_mul_hi_u32 s23, s22, s12
	s_cbranch_scc1 .LBB128_2
; %bb.1:
	s_ashr_i32 s3, s2, 31
	s_lshl_b64 s[12:13], s[2:3], 2
	s_add_u32 s8, s8, s12
	s_addc_u32 s9, s9, s13
	s_load_dword s44, s[8:9], 0x0
.LBB128_2:
	s_load_dword s33, s[6:7], 0x0
	s_load_dwordx4 s[12:15], s[0:1], 0x48
	s_ashr_i32 s3, s2, 31
	s_ashr_i32 s9, s16, 31
	v_and_b32_e32 v4, 3, v0
	s_mul_i32 s20, s2, 0x50
	v_cmp_gt_u32_e32 vcc, 40, v0
	s_and_saveexec_b64 s[6:7], vcc
	s_cbranch_execz .LBB128_4
; %bb.3:
	s_load_dwordx2 s[16:17], s[0:1], 0x8
	s_waitcnt lgkmcnt(0)
	s_mul_i32 s18, s12, s10
	s_ashr_i32 s19, s18, 31
	s_lshl_b64 s[18:19], s[18:19], 1
	v_lshlrev_b32_e32 v1, 2, v0
	s_add_u32 s8, s16, s18
	s_addc_u32 s12, s17, s19
	s_ashr_i32 s21, s20, 31
	s_lshl_b64 s[16:17], s[20:21], 1
	s_add_u32 s16, s8, s16
	s_addc_u32 s17, s12, s17
	global_load_dword v1, v1, s[16:17]
	v_and_b32_e32 v2, 0x3fc, v0
	v_mad_u32_u24 v2, v4, 40, v2
	s_waitcnt vmcnt(0)
	ds_write_b32 v2, v1
.LBB128_4:
	s_or_b64 exec, exec, s[6:7]
	s_mul_i32 s6, s23, s11
	s_sub_i32 s6, s22, s6
	s_xor_b32 s3, s3, s9
	s_add_i32 s7, s23, 1
	s_sub_i32 s9, s6, s11
	s_load_dwordx4 s[16:19], s[0:1], 0x68
	s_load_dword s8, s[0:1], 0x78
	s_cmp_ge_u32 s6, s11
	s_cselect_b32 s7, s7, s23
	s_cselect_b32 s6, s9, s6
	s_add_i32 s9, s7, 1
	s_cmp_ge_u32 s6, s11
	s_cselect_b32 s6, s9, s7
	s_waitcnt lgkmcnt(0)
	s_abs_i32 s21, s19
	v_cvt_f32_u32_e32 v1, s21
	s_xor_b32 s6, s6, s3
	s_sub_i32 s3, s6, s3
	s_sub_i32 s6, 0, s21
	v_rcp_iflag_f32_e32 v1, v1
	s_add_i32 s11, s33, -1
	s_abs_i32 s9, s11
	v_mul_f32_e32 v1, 0x4f7ffffe, v1
	v_cvt_u32_f32_e32 v1, v1
	s_barrier
	v_readfirstlane_b32 s40, v1
	s_mul_i32 s6, s6, s40
	s_mul_hi_u32 s6, s40, s6
	s_add_i32 s40, s40, s6
	s_cmp_lt_i32 s8, 0
	s_mul_hi_u32 s12, s9, s40
	s_cbranch_scc0 .LBB128_6
; %bb.5:
	s_mul_i32 s6, s16, s30
	s_add_i32 s6, s3, s6
	s_mul_i32 s6, s6, s8
	s_sub_i32 s41, 1, s6
	s_mov_b64 s[6:7], 0
	s_branch .LBB128_7
.LBB128_6:
	s_mov_b64 s[6:7], -1
                                        ; implicit-def: $sgpr41
.LBB128_7:
	s_load_dwordx2 s[24:25], s[0:1], 0x28
	s_ashr_i32 s15, s11, 31
	s_andn2_b64 vcc, exec, s[6:7]
	s_ashr_i32 s42, s19, 31
	s_cbranch_vccnz .LBB128_9
; %bb.8:
	s_mul_i32 s6, s5, s16
	s_add_i32 s2, s6, s2
	s_mul_i32 s2, s2, s8
	s_add_i32 s41, s2, 1
.LBB128_9:
	s_load_dword s2, s[0:1], 0x38
	s_load_dwordx2 s[22:23], s[0:1], 0x0
	s_load_dwordx2 s[28:29], s[0:1], 0x18
	s_load_dword s11, s[0:1], 0x88
	s_xor_b32 s6, s15, s42
	s_waitcnt lgkmcnt(0)
	s_mul_i32 s26, s2, s10
	s_mul_i32 s2, s12, s21
	s_sub_i32 s2, s9, s2
	s_ashr_i32 s27, s26, 31
	s_add_i32 s7, s12, 1
	s_sub_i32 s8, s2, s21
	s_cmp_ge_u32 s2, s21
	s_cselect_b32 s7, s7, s12
	s_cselect_b32 s2, s8, s2
	s_add_i32 s8, s7, 1
	s_cmp_ge_u32 s2, s21
	s_cselect_b32 s2, s8, s7
	s_xor_b32 s2, s2, s6
	s_sub_i32 s12, s2, s6
	s_add_i32 s2, s33, 15
	s_ashr_i32 s6, s2, 31
	s_lshr_b32 s6, s6, 28
	s_add_i32 s2, s2, s6
	s_ashr_i32 s43, s2, 4
	v_lshrrev_b32_e32 v1, 6, v0
	v_cmp_le_i32_e64 s[6:7], s43, v1
	v_cmp_gt_i32_e32 vcc, s43, v1
	v_mov_b32_e32 v10, 0xff7fffff
	s_mul_i32 s14, s3, s14
	v_lshrrev_b32_e32 v6, 4, v0
	v_lshlrev_b32_e32 v28, 4, v1
	v_mbcnt_lo_u32_b32 v7, -1, 0
	s_and_saveexec_b64 s[34:35], vcc
	s_cbranch_execz .LBB128_21
; %bb.10:
	s_load_dwordx2 s[0:1], s[0:1], 0x10
	s_ashr_i32 s15, s14, 31
	s_sub_i32 s16, s12, s17
	s_lshl_b64 s[2:3], s[14:15], 1
	v_bfe_u32 v8, v0, 2, 4
	s_waitcnt lgkmcnt(0)
	s_add_u32 s0, s0, s2
	s_addc_u32 s1, s1, s3
	s_abs_i32 s15, s18
	v_cvt_f32_u32_e32 v5, s15
	v_lshlrev_b32_e32 v12, 4, v8
	v_mov_b32_e32 v13, 0
	v_lshl_add_u64 v[2:3], s[0:1], 0, v[12:13]
	v_rcp_iflag_f32_e32 v5, v5
	v_lshlrev_b32_e32 v9, 2, v0
	s_sub_i32 s0, 0, s15
	v_cmp_eq_u32_e32 vcc, 0, v4
	v_mul_f32_e32 v5, 0x4f7ffffe, v5
	v_cvt_u32_f32_e32 v5, v5
	v_and_b32_e32 v12, 12, v9
	v_mul_u32_u24_e32 v9, 40, v4
	v_lshl_add_u64 v[2:3], v[2:3], 0, v[12:13]
	v_mul_lo_u32 v4, s0, v5
	s_lshl_b64 s[0:1], s[26:27], 2
	s_add_u32 s0, s24, s0
	v_mul_hi_u32 v4, v5, v4
	v_and_b32_e32 v12, 60, v6
	s_addc_u32 s1, s25, s1
	v_subrev_u32_e32 v10, s33, v8
	v_add_u32_e32 v11, v5, v4
	v_lshl_add_u64 v[4:5], s[0:1], 0, v[12:13]
	v_add_u32_e32 v13, 1, v10
	v_lshlrev_b32_e32 v10, 2, v8
	v_lshl_or_b32 v10, v1, 6, v10
	v_mbcnt_hi_u32_b32 v16, -1, v7
	v_add_u32_e32 v14, 0xb0, v10
	v_and_b32_e32 v10, 64, v16
	s_mov_b32 s19, s13
	v_cmp_neq_f32_e64 s[2:3], s44, 0
	v_lshlrev_b32_e32 v12, 4, v1
	v_mov_b32_e32 v15, 0xff7fffff
	s_mov_b64 s[36:37], 0
	v_add_u32_e32 v17, 64, v10
	v_xor_b32_e32 v18, 2, v16
	v_xor_b32_e32 v19, 1, v16
	v_mov_b32_e32 v10, 0xff7fffff
	v_mov_b32_e32 v20, v1
	s_branch .LBB128_13
.LBB128_11:                             ;   in Loop: Header=BB128_13 Depth=1
	s_or_b64 exec, exec, s[38:39]
.LBB128_12:                             ;   in Loop: Header=BB128_13 Depth=1
	s_or_b64 exec, exec, s[8:9]
	v_add_u32_e32 v20, 2, v20
	v_cmp_le_i32_e64 s[0:1], s43, v20
	v_lshl_add_u64 v[4:5], v[4:5], 0, 8
	v_add_u32_e32 v12, 32, v12
	s_or_b64 s[36:37], s[0:1], s[36:37]
	v_add_u32_e32 v14, 0x80, v14
	s_andn2_b64 exec, exec, s[36:37]
	s_cbranch_execz .LBB128_20
.LBB128_13:                             ; =>This Inner Loop Header: Depth=1
	v_mul_hi_u32 v21, v12, s40
	s_waitcnt lgkmcnt(0)
	v_mul_lo_u32 v22, v21, s21
	v_sub_u32_e32 v22, v12, v22
	v_add_u32_e32 v23, 1, v21
	v_cmp_le_u32_e64 s[0:1], s21, v22
	s_nop 1
	v_cndmask_b32_e64 v21, v21, v23, s[0:1]
	v_subrev_u32_e32 v23, s21, v22
	v_cndmask_b32_e64 v22, v22, v23, s[0:1]
	v_add_u32_e32 v23, 1, v21
	v_cmp_le_u32_e64 s[0:1], s21, v22
	s_nop 1
	v_cndmask_b32_e64 v21, v21, v23, s[0:1]
	v_xor_b32_e32 v21, s42, v21
	v_subrev_u32_e32 v21, s42, v21
	v_add_u32_e32 v22, s41, v21
	v_sub_u32_e32 v24, 0, v22
	v_ashrrev_i32_e32 v23, 31, v22
	v_max_i32_e32 v22, v22, v24
	v_mul_hi_u32 v24, v22, v11
	v_mul_lo_u32 v24, v24, s15
	v_sub_u32_e32 v22, v22, v24
	v_subrev_u32_e32 v24, s15, v22
	v_cmp_le_u32_e64 s[0:1], s15, v22
	v_cmp_ge_i32_e64 s[8:9], s16, v21
	s_nop 0
	v_cndmask_b32_e64 v22, v22, v24, s[0:1]
	v_subrev_u32_e32 v24, s15, v22
	v_cmp_le_u32_e64 s[0:1], s15, v22
	s_nop 1
	v_cndmask_b32_e64 v22, v22, v24, s[0:1]
	v_xor_b32_e32 v22, v22, v23
	v_sub_u32_e32 v22, v22, v23
	v_cmp_ne_u32_e64 s[0:1], 0, v22
	s_and_b64 s[0:1], s[0:1], s[8:9]
	s_and_saveexec_b64 s[8:9], s[0:1]
	s_xor_b64 s[0:1], exec, s[8:9]
	s_cbranch_execz .LBB128_17
; %bb.14:                               ;   in Loop: Header=BB128_13 Depth=1
	s_and_saveexec_b64 s[8:9], vcc
; %bb.15:                               ;   in Loop: Header=BB128_13 Depth=1
	ds_write_b32 v14, v15
; %bb.16:                               ;   in Loop: Header=BB128_13 Depth=1
	s_or_b64 exec, exec, s[8:9]
.LBB128_17:                             ;   in Loop: Header=BB128_13 Depth=1
	s_andn2_saveexec_b64 s[8:9], s[0:1]
	s_cbranch_execz .LBB128_12
; %bb.18:                               ;   in Loop: Header=BB128_13 Depth=1
	global_load_dword v21, v[4:5], off
	s_waitcnt vmcnt(0)
	v_mad_i64_i32 v[22:23], s[0:1], v21, s19, 0
	v_lshl_add_u64 v[22:23], v[22:23], 1, v[2:3]
	global_load_dword v21, v[22:23], off
	global_load_dword v29, v[22:23], off offset:256
	global_load_dword v34, v[22:23], off offset:512
	;; [unrolled: 1-line block ×9, first 2 shown]
	ds_read2_b64 v[22:25], v9 offset1:1
	ds_read2_b64 v[30:33], v9 offset0:2 offset1:3
	ds_read_b64 v[26:27], v9 offset:32
	v_cmp_lt_i32_e64 s[0:1], v18, v17
	s_waitcnt lgkmcnt(2)
	v_lshlrev_b32_e32 v44, 16, v23
	v_and_b32_e32 v23, 0xffff0000, v23
	v_lshlrev_b32_e32 v43, 16, v22
	v_and_b32_e32 v22, 0xffff0000, v22
	;; [unrolled: 2-line block ×4, first 2 shown]
	s_waitcnt lgkmcnt(1)
	v_lshlrev_b32_e32 v47, 16, v30
	v_and_b32_e32 v30, 0xffff0000, v30
	v_lshlrev_b32_e32 v48, 16, v31
	v_and_b32_e32 v31, 0xffff0000, v31
	;; [unrolled: 2-line block ×4, first 2 shown]
	s_waitcnt lgkmcnt(0)
	v_lshlrev_b32_e32 v51, 16, v26
	v_and_b32_e32 v26, 0xffff0000, v26
	v_lshlrev_b32_e32 v52, 16, v27
	v_and_b32_e32 v27, 0xffff0000, v27
	v_cndmask_b32_e64 v42, v16, v18, s[0:1]
	v_lshlrev_b32_e32 v42, 2, v42
	v_cmp_lt_i32_e64 s[0:1], v19, v17
	s_waitcnt vmcnt(9)
	v_lshlrev_b32_e32 v53, 16, v21
	s_waitcnt vmcnt(8)
	v_lshlrev_b32_e32 v54, 16, v29
	v_and_b32_e32 v29, 0xffff0000, v29
	v_and_b32_e32 v21, 0xffff0000, v21
	v_mul_f32_e32 v44, v44, v54
	v_mul_f32_e32 v23, v23, v29
	s_waitcnt vmcnt(7)
	v_lshlrev_b32_e32 v55, 16, v34
	v_and_b32_e32 v34, 0xffff0000, v34
	v_fmac_f32_e32 v44, v43, v53
	v_fmac_f32_e32 v23, v22, v21
	s_waitcnt vmcnt(6)
	v_lshlrev_b32_e32 v56, 16, v35
	v_and_b32_e32 v35, 0xffff0000, v35
	v_fmac_f32_e32 v44, v45, v55
	v_fmac_f32_e32 v23, v24, v34
	;; [unrolled: 5-line block ×8, first 2 shown]
	v_fmac_f32_e32 v44, v52, v62
	v_fmac_f32_e32 v23, v27, v41
	v_add_f32_e32 v21, v44, v23
	ds_bpermute_b32 v22, v42, v21
	v_cndmask_b32_e64 v23, v16, v19, s[0:1]
	v_lshlrev_b32_e32 v23, 2, v23
	s_waitcnt lgkmcnt(0)
	v_add_f32_e32 v21, v21, v22
	ds_bpermute_b32 v22, v23, v21
	s_and_saveexec_b64 s[38:39], vcc
	s_cbranch_execz .LBB128_11
; %bb.19:                               ;   in Loop: Header=BB128_13 Depth=1
	v_add_u32_e32 v23, v13, v12
	v_cvt_f32_i32_e32 v23, v23
	s_waitcnt lgkmcnt(0)
	v_add_f32_e32 v21, v21, v22
	v_add_u32_e32 v24, v8, v12
	v_cmp_gt_i32_e64 s[0:1], s33, v24
	v_mul_f32_e32 v22, s44, v23
	v_cndmask_b32_e64 v22, 0, v22, s[2:3]
	v_fmac_f32_e32 v22, s31, v21
	v_cndmask_b32_e64 v21, 0, v22, s[0:1]
	ds_write_b32 v14, v21
	v_max_f32_e32 v21, v10, v10
	v_max_f32_e32 v21, v21, v22
	v_cndmask_b32_e64 v10, v10, v21, s[0:1]
	s_branch .LBB128_11
.LBB128_20:
	s_or_b64 exec, exec, s[36:37]
.LBB128_21:
	s_or_b64 exec, exec, s[34:35]
	v_mbcnt_hi_u32_b32 v2, -1, v7
	v_and_b32_e32 v12, 64, v2
	v_add_u32_e32 v3, 64, v12
	v_xor_b32_e32 v4, 32, v2
	v_cmp_lt_i32_e32 vcc, v4, v3
	v_xor_b32_e32 v8, 16, v2
	v_max_f32_e32 v7, v10, v10
	v_cndmask_b32_e32 v4, v2, v4, vcc
	v_lshlrev_b32_e32 v5, 2, v4
	ds_bpermute_b32 v4, v5, v10
	v_cmp_lt_i32_e32 vcc, v8, v3
	v_xor_b32_e32 v9, 8, v2
	v_xor_b32_e32 v11, 4, v2
	s_waitcnt lgkmcnt(0)
	v_max_f32_e32 v4, v4, v4
	v_max_f32_e32 v4, v7, v4
	v_cndmask_b32_e32 v7, v2, v8, vcc
	v_lshlrev_b32_e32 v7, 2, v7
	ds_bpermute_b32 v8, v7, v4
	v_cmp_lt_i32_e32 vcc, v9, v3
	s_waitcnt lgkmcnt(0)
	v_max_f32_e32 v8, v8, v8
	v_max_f32_e32 v4, v4, v8
	v_cndmask_b32_e32 v8, v2, v9, vcc
	v_lshlrev_b32_e32 v10, 2, v8
	ds_bpermute_b32 v8, v10, v4
	v_cmp_lt_i32_e32 vcc, v11, v3
	s_waitcnt lgkmcnt(0)
	v_max_f32_e32 v8, v8, v8
	v_max_f32_e32 v9, v4, v8
	v_cndmask_b32_e32 v4, v2, v11, vcc
	v_lshlrev_b32_e32 v11, 2, v4
	ds_bpermute_b32 v13, v11, v9
	v_and_b32_e32 v4, 63, v0
	v_cmp_eq_u32_e32 vcc, 0, v4
	v_lshlrev_b32_e32 v8, 2, v1
	s_and_saveexec_b64 s[0:1], vcc
	s_cbranch_execz .LBB128_23
; %bb.22:
	s_waitcnt lgkmcnt(0)
	v_max_f32_e32 v13, v13, v13
	v_max_f32_e32 v9, v9, v9
	;; [unrolled: 1-line block ×3, first 2 shown]
	ds_write_b32 v8, v9 offset:160
.LBB128_23:
	s_or_b64 exec, exec, s[0:1]
	v_cmp_gt_u32_e64 s[0:1], 2, v4
	s_waitcnt lgkmcnt(0)
	v_mov_b32_e32 v13, 0xff7fffff
	v_lshlrev_b32_e32 v9, 2, v4
	s_barrier
	s_and_saveexec_b64 s[2:3], s[0:1]
; %bb.24:
	ds_read_b32 v13, v9 offset:160
; %bb.25:
	s_or_b64 exec, exec, s[2:3]
	v_xor_b32_e32 v14, 1, v2
	v_cmp_lt_i32_e64 s[2:3], v14, v3
	v_lshlrev_b32_e32 v12, 2, v12
	s_nop 0
	v_cndmask_b32_e64 v14, v2, v14, s[2:3]
	v_lshlrev_b32_e32 v29, 2, v14
	s_waitcnt lgkmcnt(0)
	ds_bpermute_b32 v14, v29, v13
	v_max_f32_e32 v13, v13, v13
	s_lshl_b32 s2, s43, 4
	s_min_i32 s15, s2, s33
	v_cmp_gt_i32_e64 s[2:3], s15, v0
	s_waitcnt lgkmcnt(0)
	v_max_f32_e32 v14, v14, v14
	v_max_f32_e32 v13, v13, v14
	ds_bpermute_b32 v13, v12, v13
	v_mov_b32_e32 v12, 0
	s_and_saveexec_b64 s[30:31], s[2:3]
	s_cbranch_execz .LBB128_29
; %bb.26:
	v_mov_b32_e32 v12, 0xb0
	v_lshl_add_u32 v14, v0, 2, v12
	v_mov_b32_e32 v12, 0
	s_mov_b64 s[34:35], 0
	v_mov_b32_e32 v15, v0
.LBB128_27:                             ; =>This Inner Loop Header: Depth=1
	ds_read_b32 v16, v14
	v_add_u32_e32 v15, 0x80, v15
	v_cmp_le_i32_e64 s[8:9], s15, v15
	s_or_b64 s[34:35], s[8:9], s[34:35]
	s_waitcnt lgkmcnt(0)
	v_sub_f32_e32 v16, v16, v13
	v_mul_f32_e32 v16, 0x3fb8aa3b, v16
	v_exp_f32_e32 v16, v16
	ds_write_b32 v14, v16
	v_add_f32_e32 v12, v12, v16
	v_add_u32_e32 v14, 0x200, v14
	s_andn2_b64 exec, exec, s[34:35]
	s_cbranch_execnz .LBB128_27
; %bb.28:
	s_or_b64 exec, exec, s[34:35]
.LBB128_29:
	s_or_b64 exec, exec, s[30:31]
	ds_bpermute_b32 v5, v5, v12
	s_waitcnt lgkmcnt(0)
	v_add_f32_e32 v5, v12, v5
	ds_bpermute_b32 v7, v7, v5
	s_waitcnt lgkmcnt(0)
	v_add_f32_e32 v5, v5, v7
	ds_bpermute_b32 v7, v10, v5
	v_xor_b32_e32 v10, 2, v2
	v_cmp_lt_i32_e64 s[8:9], v10, v3
	s_waitcnt lgkmcnt(0)
	v_add_f32_e32 v5, v5, v7
	ds_bpermute_b32 v7, v11, v5
	v_cndmask_b32_e64 v3, v2, v10, s[8:9]
	v_lshlrev_b32_e32 v3, 2, v3
	s_waitcnt lgkmcnt(0)
	v_add_f32_e32 v5, v5, v7
	ds_bpermute_b32 v3, v3, v5
	s_waitcnt lgkmcnt(0)
	v_add_f32_e32 v3, v5, v3
	ds_bpermute_b32 v5, v29, v3
	s_waitcnt lgkmcnt(0)
	v_add_f32_e32 v3, v3, v5
	s_and_saveexec_b64 s[8:9], vcc
; %bb.30:
	ds_write_b32 v8, v3 offset:168
; %bb.31:
	s_or_b64 exec, exec, s[8:9]
	s_waitcnt lgkmcnt(0)
	s_barrier
	s_and_saveexec_b64 s[8:9], s[0:1]
; %bb.32:
	ds_read_b32 v3, v9 offset:168
; %bb.33:
	s_or_b64 exec, exec, s[8:9]
	s_waitcnt lgkmcnt(0)
	ds_bpermute_b32 v5, v29, v3
	v_lshlrev_b32_e32 v2, 2, v2
	v_and_b32_e32 v2, 0x100, v2
	s_waitcnt lgkmcnt(0)
	v_add_f32_e32 v3, v3, v5
	ds_bpermute_b32 v2, v2, v3
	s_and_saveexec_b64 s[0:1], s[2:3]
	s_cbranch_execz .LBB128_46
; %bb.34:
	s_waitcnt lgkmcnt(0)
	v_add_f32_e32 v2, 0x358637bd, v2
	v_div_scale_f32 v3, s[2:3], v2, v2, 1.0
	v_rcp_f32_e32 v5, v3
	v_div_scale_f32 v7, vcc, 1.0, v2, 1.0
	s_movk_i32 s2, 0x7f
	v_fma_f32 v8, -v3, v5, 1.0
	v_fmac_f32_e32 v5, v8, v5
	v_mul_f32_e32 v8, v7, v5
	v_fma_f32 v9, -v3, v8, v7
	v_fmac_f32_e32 v8, v9, v5
	v_fma_f32 v3, -v3, v8, v7
	v_div_fmas_f32 v3, v3, v5, v8
	v_xad_u32 v5, v0, -1, s15
	v_div_fixup_f32 v2, v3, v2, 1.0
	v_cmp_lt_u32_e32 vcc, s2, v5
	s_mov_b64 s[8:9], -1
	v_mov_b32_e32 v3, v0
	s_and_saveexec_b64 s[2:3], vcc
	s_cbranch_execz .LBB128_43
; %bb.35:
	v_lshrrev_b32_e32 v5, 7, v5
	v_add_u32_e32 v8, -1, v5
	v_lshrrev_b32_e32 v7, 1, v8
	v_mov_b32_e32 v3, v2
	v_add_u32_e32 v7, 1, v7
	v_cmp_lt_u32_e32 vcc, 13, v8
	v_mov_b32_e32 v10, 0
	s_and_saveexec_b64 s[8:9], vcc
	s_cbranch_execz .LBB128_39
; %bb.36:
	v_mov_b32_e32 v9, 0xb0
	v_and_b32_e32 v8, -8, v7
	v_lshl_add_u32 v9, v0, 2, v9
	s_mov_b32 s16, 0
	s_mov_b64 s[30:31], 0
.LBB128_37:                             ; =>This Inner Loop Header: Depth=1
	ds_read2st64_b32 v[10:11], v9 offset1:2
	ds_read2st64_b32 v[12:13], v9 offset0:4 offset1:6
	ds_read2st64_b32 v[14:15], v9 offset0:8 offset1:10
	;; [unrolled: 1-line block ×3, first 2 shown]
	v_add_u32_e32 v8, -8, v8
	s_waitcnt lgkmcnt(3)
	v_pk_mul_f32 v[10:11], v[2:3], v[10:11]
	s_waitcnt lgkmcnt(2)
	v_pk_mul_f32 v[12:13], v[2:3], v[12:13]
	ds_write2st64_b32 v9, v10, v11 offset1:2
	ds_write2st64_b32 v9, v12, v13 offset0:4 offset1:6
	ds_read2st64_b32 v[12:13], v9 offset0:16 offset1:18
	s_waitcnt lgkmcnt(4)
	v_pk_mul_f32 v[10:11], v[2:3], v[14:15]
	ds_write2st64_b32 v9, v10, v11 offset0:8 offset1:10
	s_waitcnt lgkmcnt(4)
	v_pk_mul_f32 v[10:11], v[2:3], v[16:17]
	ds_write2st64_b32 v9, v10, v11 offset0:12 offset1:14
	ds_read2st64_b32 v[10:11], v9 offset0:20 offset1:22
	s_waitcnt lgkmcnt(3)
	v_pk_mul_f32 v[12:13], v[2:3], v[12:13]
	ds_read2st64_b32 v[14:15], v9 offset0:24 offset1:26
	ds_write2st64_b32 v9, v12, v13 offset0:16 offset1:18
	ds_read2st64_b32 v[12:13], v9 offset0:28 offset1:30
	s_waitcnt lgkmcnt(3)
	v_pk_mul_f32 v[10:11], v[2:3], v[10:11]
	ds_write2st64_b32 v9, v10, v11 offset0:20 offset1:22
	s_waitcnt lgkmcnt(3)
	v_pk_mul_f32 v[10:11], v[2:3], v[14:15]
	ds_write2st64_b32 v9, v10, v11 offset0:24 offset1:26
	s_waitcnt lgkmcnt(2)
	v_pk_mul_f32 v[10:11], v[2:3], v[12:13]
	s_add_i32 s16, s16, 16
	v_cmp_eq_u32_e32 vcc, 0, v8
	ds_write2st64_b32 v9, v10, v11 offset0:28 offset1:30
	v_add_u32_e32 v9, 0x2000, v9
	s_or_b64 s[30:31], vcc, s[30:31]
	v_mov_b32_e32 v10, s16
	s_andn2_b64 exec, exec, s[30:31]
	s_cbranch_execnz .LBB128_37
; %bb.38:
	s_or_b64 exec, exec, s[30:31]
.LBB128_39:
	s_or_b64 exec, exec, s[8:9]
	v_and_b32_e32 v7, 7, v7
	v_cmp_ne_u32_e32 vcc, 0, v7
	s_and_saveexec_b64 s[8:9], vcc
	s_cbranch_execz .LBB128_42
; %bb.40:
	v_lshlrev_b32_e32 v8, 9, v10
	v_lshlrev_b32_e32 v9, 2, v0
	s_movk_i32 s16, 0xb0
	v_add3_u32 v8, v8, v9, s16
	s_mov_b64 s[30:31], 0
.LBB128_41:                             ; =>This Inner Loop Header: Depth=1
	ds_read2st64_b32 v[10:11], v8 offset1:2
	v_add_u32_e32 v7, -1, v7
	v_cmp_eq_u32_e32 vcc, 0, v7
	s_or_b64 s[30:31], vcc, s[30:31]
	s_waitcnt lgkmcnt(0)
	v_pk_mul_f32 v[10:11], v[2:3], v[10:11]
	ds_write2st64_b32 v8, v10, v11 offset1:2
	v_add_u32_e32 v8, 0x400, v8
	s_andn2_b64 exec, exec, s[30:31]
	s_cbranch_execnz .LBB128_41
.LBB128_42:
	s_or_b64 exec, exec, s[8:9]
	v_add_u32_e32 v5, 1, v5
	v_and_b32_e32 v7, 0x3fffffe, v5
	v_cmp_ne_u32_e32 vcc, v5, v7
	v_lshl_add_u32 v3, v7, 7, v0
	s_orn2_b64 s[8:9], vcc, exec
.LBB128_43:
	s_or_b64 exec, exec, s[2:3]
	s_and_b64 exec, exec, s[8:9]
	s_cbranch_execz .LBB128_46
; %bb.44:
	v_mov_b32_e32 v5, 0xb0
	v_lshl_add_u32 v5, v3, 2, v5
	s_mov_b64 s[2:3], 0
.LBB128_45:                             ; =>This Inner Loop Header: Depth=1
	ds_read_b32 v7, v5
	v_add_u32_e32 v3, 0x80, v3
	v_cmp_le_i32_e32 vcc, s15, v3
	s_or_b64 s[2:3], vcc, s[2:3]
	s_waitcnt lgkmcnt(0)
	v_mul_f32_e32 v7, v2, v7
	ds_write_b32 v5, v7
	v_add_u32_e32 v5, 0x200, v5
	s_andn2_b64 exec, exec, s[2:3]
	s_cbranch_execnz .LBB128_45
.LBB128_46:
	s_or_b64 exec, exec, s[0:1]
	v_lshrrev_b32_e32 v30, 1, v4
	s_waitcnt lgkmcnt(0)
	s_barrier
	s_and_saveexec_b64 s[0:1], s[6:7]
	s_xor_b64 s[0:1], exec, s[0:1]
; %bb.47:
	v_lshrrev_b32_e32 v30, 1, v4
                                        ; implicit-def: $vgpr28
                                        ; implicit-def: $vgpr1
                                        ; implicit-def: $vgpr6
; %bb.48:
	s_or_saveexec_b64 s[8:9], s[0:1]
	v_mov_b32_e32 v19, 0
	v_and_b32_e32 v31, 1, v0
	v_mov_b32_e32 v18, 0
	v_mov_b32_e32 v33, 0
	s_xor_b64 exec, exec, s[8:9]
	s_cbranch_execz .LBB128_62
; %bb.49:
	s_ashr_i32 s15, s14, 31
	s_sub_i32 s30, s12, s17
	s_lshl_b64 s[0:1], s[14:15], 1
	s_add_u32 s12, s28, s0
	s_mov_b32 s31, s13
	s_addc_u32 s13, s29, s1
	s_abs_i32 s28, s18
	v_cvt_f32_u32_e32 v3, s28
	s_sub_i32 s2, 0, s28
	v_lshlrev_b32_e32 v2, 3, v0
	s_add_i32 s29, s43, -1
	v_rcp_iflag_f32_e32 v3, v3
	v_and_b32_e32 v32, 8, v2
	v_or_b32_e32 v4, 64, v30
	s_movk_i32 s0, 0x50
	v_mul_f32_e32 v3, 0x4f7ffffe, v3
	v_cvt_u32_f32_e32 v3, v3
	v_lshl_or_b32 v2, v30, 4, v32
	v_mov_b32_e32 v21, 0
	v_cmp_gt_u32_e64 s[0:1], s0, v4
	v_mul_lo_u32 v5, s2, v3
	v_mul_hi_u32 v5, v3, v5
	s_lshl_b64 s[2:3], s[26:27], 2
	v_add_u32_e32 v34, v3, v5
	s_add_u32 s2, s24, s2
	v_lshlrev_b32_e32 v3, 5, v31
	v_lshl_or_b32 v4, v4, 4, v32
	v_and_b32_e32 v20, 60, v6
	s_addc_u32 s3, s25, s3
	v_lshl_or_b32 v3, v1, 6, v3
	s_mov_b32 s34, s33
	v_lshl_add_u64 v[22:23], s[2:3], 0, v[20:21]
	v_add_u32_e32 v35, 0xb0, v3
	s_mov_b64 s[14:15], 0
	v_lshlrev_b32_e32 v20, 1, v2
	s_mov_b32 s24, 0x5040100
	v_lshlrev_b32_e32 v24, 1, v4
	v_mov_b32_e32 v33, v21
	v_mov_b32_e32 v18, v21
	;; [unrolled: 1-line block ×3, first 2 shown]
	s_branch .LBB128_53
.LBB128_50:                             ;   in Loop: Header=BB128_53 Depth=1
	s_or_b64 exec, exec, s[18:19]
	s_waitcnt vmcnt(0)
	v_and_b32_e32 v17, 0xffff0000, v10
	v_and_b32_e32 v25, 0xffff0000, v37
	v_mul_f32_e32 v17, v25, v17
	v_lshlrev_b32_e32 v10, 16, v10
	v_lshlrev_b32_e32 v25, 16, v37
	v_mul_f32_e32 v10, v25, v10
	v_and_b32_e32 v25, 0xffff0000, v11
	v_and_b32_e32 v26, 0xffff0000, v16
	v_mul_f32_e32 v25, v26, v25
	v_lshlrev_b32_e32 v11, 16, v11
	v_lshlrev_b32_e32 v26, 16, v16
	v_mul_f32_e32 v11, v26, v11
	;; [unrolled: 6-line block ×3, first 2 shown]
	v_and_b32_e32 v27, 0xffff0000, v13
	v_and_b32_e32 v36, 0xffff0000, v14
	v_cvt_pk_bf16_f32 v17, v17, s0
	v_cvt_pk_bf16_f32 v10, v10, s0
	;; [unrolled: 1-line block ×4, first 2 shown]
	v_mul_f32_e32 v27, v36, v27
	v_lshlrev_b32_e32 v13, 16, v13
	v_lshlrev_b32_e32 v36, 16, v14
	v_cvt_pk_bf16_f32 v26, v26, s0
	v_cvt_pk_bf16_f32 v12, v12, s0
	v_mul_f32_e32 v13, v36, v13
	v_lshlrev_b32_e32 v10, 16, v10
	v_lshlrev_b32_e32 v17, 16, v17
	;; [unrolled: 1-line block ×4, first 2 shown]
	v_cvt_pk_bf16_f32 v27, v27, s0
	v_cvt_pk_bf16_f32 v13, v13, s0
	v_lshlrev_b32_e32 v12, 16, v12
	v_lshlrev_b32_e32 v26, 16, v26
	v_add_f32_e32 v10, v17, v10
	v_add_f32_e32 v11, v25, v11
	v_lshlrev_b32_e32 v13, 16, v13
	v_lshlrev_b32_e32 v27, 16, v27
	v_add_f32_e32 v10, v11, v10
	v_add_f32_e32 v11, v26, v12
	;; [unrolled: 1-line block ×6, first 2 shown]
.LBB128_51:                             ;   in Loop: Header=BB128_53 Depth=1
	s_or_b64 exec, exec, s[6:7]
	s_waitcnt vmcnt(0)
	v_and_b32_e32 v10, 0xffff0000, v6
	v_and_b32_e32 v11, 0xffff0000, v37
	v_lshlrev_b32_e32 v6, 16, v6
	v_lshlrev_b32_e32 v12, 16, v37
	v_mul_f32_e32 v10, v11, v10
	v_mul_f32_e32 v6, v12, v6
	v_and_b32_e32 v13, 0xffff0000, v7
	v_and_b32_e32 v17, 0xffff0000, v16
	v_lshlrev_b32_e32 v7, 16, v7
	v_lshlrev_b32_e32 v16, 16, v16
	v_cvt_pk_bf16_f32 v10, v10, s0
	v_cvt_pk_bf16_f32 v6, v6, s0
	v_mul_f32_e32 v13, v17, v13
	v_mul_f32_e32 v7, v16, v7
	v_cvt_pk_bf16_f32 v13, v13, s0
	v_cvt_pk_bf16_f32 v7, v7, s0
	v_and_b32_e32 v25, 0xffff0000, v8
	v_and_b32_e32 v26, 0xffff0000, v15
	v_lshlrev_b32_e32 v8, 16, v8
	v_lshlrev_b32_e32 v15, 16, v15
	;; [unrolled: 1-line block ×4, first 2 shown]
	v_mul_f32_e32 v25, v26, v25
	v_mul_f32_e32 v8, v15, v8
	v_add_f32_e32 v6, v6, v10
	v_lshlrev_b32_e32 v7, 16, v7
	v_lshlrev_b32_e32 v10, 16, v13
	v_cvt_pk_bf16_f32 v25, v25, s0
	v_cvt_pk_bf16_f32 v8, v8, s0
	v_and_b32_e32 v27, 0xffff0000, v9
	v_and_b32_e32 v36, 0xffff0000, v14
	v_lshlrev_b32_e32 v9, 16, v9
	v_lshlrev_b32_e32 v14, 16, v14
	v_add_f32_e32 v7, v7, v10
	v_mul_f32_e32 v27, v36, v27
	v_mul_f32_e32 v9, v14, v9
	v_add_f32_e32 v6, v7, v6
	v_lshlrev_b32_e32 v7, 16, v8
	v_lshlrev_b32_e32 v8, 16, v25
	v_cvt_pk_bf16_f32 v27, v27, s0
	v_cvt_pk_bf16_f32 v9, v9, s0
	v_add_f32_e32 v7, v7, v8
	v_add_f32_e32 v6, v7, v6
	v_lshlrev_b32_e32 v7, 16, v9
	v_lshlrev_b32_e32 v8, 16, v27
	v_add_f32_e32 v7, v7, v8
	v_add_f32_e32 v6, v7, v6
	;; [unrolled: 1-line block ×3, first 2 shown]
	v_and_b32_e32 v6, 0xffff0000, v2
	v_lshlrev_b32_e32 v2, 16, v2
	v_mul_f32_e32 v6, v11, v6
	v_mul_f32_e32 v2, v12, v2
	v_and_b32_e32 v7, 0xffff0000, v3
	v_lshlrev_b32_e32 v3, 16, v3
	v_cvt_pk_bf16_f32 v6, v6, s0
	v_cvt_pk_bf16_f32 v2, v2, s0
	v_mul_f32_e32 v7, v17, v7
	v_mul_f32_e32 v3, v16, v3
	v_cvt_pk_bf16_f32 v7, v7, s0
	v_cvt_pk_bf16_f32 v3, v3, s0
	v_and_b32_e32 v8, 0xffff0000, v4
	v_lshlrev_b32_e32 v4, 16, v4
	v_lshlrev_b32_e32 v2, 16, v2
	;; [unrolled: 1-line block ×3, first 2 shown]
	v_mul_f32_e32 v8, v26, v8
	v_mul_f32_e32 v4, v15, v4
	v_add_f32_e32 v2, v2, v6
	v_lshlrev_b32_e32 v3, 16, v3
	v_lshlrev_b32_e32 v6, 16, v7
	v_cvt_pk_bf16_f32 v8, v8, s0
	v_cvt_pk_bf16_f32 v4, v4, s0
	v_and_b32_e32 v9, 0xffff0000, v5
	v_lshlrev_b32_e32 v5, 16, v5
	v_add_f32_e32 v3, v3, v6
	v_mul_f32_e32 v9, v36, v9
	v_mul_f32_e32 v5, v14, v5
	v_add_f32_e32 v2, v3, v2
	v_lshlrev_b32_e32 v3, 16, v4
	v_lshlrev_b32_e32 v4, 16, v8
	v_cvt_pk_bf16_f32 v9, v9, s0
	v_cvt_pk_bf16_f32 v5, v5, s0
	v_add_f32_e32 v3, v3, v4
	v_add_f32_e32 v2, v3, v2
	v_lshlrev_b32_e32 v3, 16, v5
	v_lshlrev_b32_e32 v4, 16, v9
	v_add_f32_e32 v3, v3, v4
	v_add_f32_e32 v2, v3, v2
	;; [unrolled: 1-line block ×3, first 2 shown]
.LBB128_52:                             ;   in Loop: Header=BB128_53 Depth=1
	s_or_b64 exec, exec, s[16:17]
	v_add_u32_e32 v1, 2, v1
	v_cmp_le_i32_e32 vcc, s43, v1
	v_lshl_add_u64 v[22:23], v[22:23], 0, 8
	v_add_u32_e32 v28, 32, v28
	s_or_b64 s[14:15], vcc, s[14:15]
	v_add_u32_e32 v35, 0x80, v35
	s_andn2_b64 exec, exec, s[14:15]
	s_cbranch_execz .LBB128_61
.LBB128_53:                             ; =>This Inner Loop Header: Depth=1
	v_mul_hi_u32 v2, v28, s40
	v_mul_lo_u32 v3, v2, s21
	v_sub_u32_e32 v3, v28, v3
	v_add_u32_e32 v4, 1, v2
	v_cmp_le_u32_e32 vcc, s21, v3
	s_nop 1
	v_cndmask_b32_e32 v2, v2, v4, vcc
	v_subrev_u32_e32 v4, s21, v3
	v_cndmask_b32_e32 v3, v3, v4, vcc
	v_add_u32_e32 v4, 1, v2
	v_cmp_le_u32_e32 vcc, s21, v3
	s_nop 1
	v_cndmask_b32_e32 v2, v2, v4, vcc
	v_xor_b32_e32 v2, s42, v2
	v_subrev_u32_e32 v2, s42, v2
	v_add_u32_e32 v3, s41, v2
	v_sub_u32_e32 v5, 0, v3
	v_ashrrev_i32_e32 v4, 31, v3
	v_max_i32_e32 v3, v3, v5
	v_mul_hi_u32 v5, v3, v34
	v_mul_lo_u32 v5, v5, s28
	v_sub_u32_e32 v3, v3, v5
	v_subrev_u32_e32 v5, s28, v3
	v_cmp_le_u32_e32 vcc, s28, v3
	v_cmp_lt_i32_e64 s[2:3], s30, v2
	s_nop 0
	v_cndmask_b32_e32 v3, v3, v5, vcc
	v_subrev_u32_e32 v5, s28, v3
	v_cmp_le_u32_e32 vcc, s28, v3
	s_nop 1
	v_cndmask_b32_e32 v3, v3, v5, vcc
	v_xor_b32_e32 v3, v3, v4
	v_sub_u32_e32 v3, v3, v4
	v_cmp_eq_u32_e32 vcc, 0, v3
	s_or_b64 s[2:3], vcc, s[2:3]
	s_and_saveexec_b64 s[16:17], s[2:3]
	s_cbranch_execz .LBB128_52
; %bb.54:                               ;   in Loop: Header=BB128_53 Depth=1
	global_load_dword v2, v[22:23], off
	v_add_u32_e32 v36, v32, v28
	s_waitcnt vmcnt(0)
	v_mad_i64_i32 v[2:3], s[2:3], v2, s31, 0
	v_lshl_add_u64 v[26:27], v[2:3], 1, s[12:13]
	v_lshl_add_u64 v[6:7], v[26:27], 0, v[20:21]
	global_load_dwordx4 v[2:5], v[6:7], off
	ds_read2_b64 v[14:17], v35 offset1:1
	ds_read2_b64 v[10:13], v35 offset0:2 offset1:3
	v_cmp_eq_u32_e64 s[2:3], s29, v1
	s_and_saveexec_b64 s[18:19], s[2:3]
	s_cbranch_execz .LBB128_56
; %bb.55:                               ;   in Loop: Header=BB128_53 Depth=1
	v_add_u32_e32 v8, 1, v36
	v_cmp_gt_i32_e32 vcc, s34, v8
	v_or_b32_e32 v9, 2, v36
	v_cmp_gt_i32_e64 s[6:7], s33, v9
	s_waitcnt vmcnt(0)
	v_cndmask_b32_sdwa v8, v21, v2, vcc dst_sel:DWORD dst_unused:UNUSED_PAD src0_sel:DWORD src1_sel:WORD_1
	v_cmp_gt_i32_e32 vcc, s33, v36
	v_or_b32_e32 v9, 4, v36
	s_nop 0
	v_cndmask_b32_e32 v2, 0, v2, vcc
	v_perm_b32 v2, v8, v2, s24
	v_or_b32_e32 v8, 3, v36
	v_cmp_gt_i32_e32 vcc, s34, v8
	v_cndmask_b32_e64 v8, 0, v3, s[6:7]
	v_cmp_gt_i32_e64 s[6:7], s33, v9
	v_cndmask_b32_sdwa v3, v21, v3, vcc dst_sel:DWORD dst_unused:UNUSED_PAD src0_sel:DWORD src1_sel:WORD_1
	v_perm_b32 v3, v3, v8, s24
	v_or_b32_e32 v8, 5, v36
	v_cmp_gt_i32_e32 vcc, s34, v8
	v_cndmask_b32_e64 v8, 0, v4, s[6:7]
	v_or_b32_e32 v9, 6, v36
	v_cndmask_b32_sdwa v4, v21, v4, vcc dst_sel:DWORD dst_unused:UNUSED_PAD src0_sel:DWORD src1_sel:WORD_1
	v_perm_b32 v4, v4, v8, s24
	v_or_b32_e32 v8, 7, v36
	v_cmp_gt_i32_e32 vcc, s34, v8
	v_cmp_gt_i32_e64 s[6:7], s33, v9
	s_nop 1
	v_cndmask_b32_e64 v8, 0, v5, s[6:7]
	v_cndmask_b32_sdwa v5, v21, v5, vcc dst_sel:DWORD dst_unused:UNUSED_PAD src0_sel:DWORD src1_sel:WORD_1
	v_perm_b32 v5, v5, v8, s24
.LBB128_56:                             ;   in Loop: Header=BB128_53 Depth=1
	s_or_b64 exec, exec, s[18:19]
	global_load_dwordx4 v[6:9], v[6:7], off offset:1024
	s_and_saveexec_b64 s[18:19], s[2:3]
	s_cbranch_execz .LBB128_58
; %bb.57:                               ;   in Loop: Header=BB128_53 Depth=1
	v_add_u32_e32 v25, 1, v36
	v_cmp_gt_i32_e32 vcc, s34, v25
	v_or_b32_e32 v37, 2, v36
	v_cmp_gt_i32_e64 s[6:7], s33, v37
	s_waitcnt vmcnt(0)
	v_cndmask_b32_sdwa v25, v21, v6, vcc dst_sel:DWORD dst_unused:UNUSED_PAD src0_sel:DWORD src1_sel:WORD_1
	v_cmp_gt_i32_e32 vcc, s33, v36
	v_or_b32_e32 v37, 4, v36
	s_nop 0
	v_cndmask_b32_e32 v6, 0, v6, vcc
	v_perm_b32 v6, v25, v6, s24
	v_or_b32_e32 v25, 3, v36
	v_cmp_gt_i32_e32 vcc, s34, v25
	v_cndmask_b32_e64 v25, 0, v7, s[6:7]
	v_cmp_gt_i32_e64 s[6:7], s33, v37
	v_cndmask_b32_sdwa v7, v21, v7, vcc dst_sel:DWORD dst_unused:UNUSED_PAD src0_sel:DWORD src1_sel:WORD_1
	v_perm_b32 v7, v7, v25, s24
	v_or_b32_e32 v25, 5, v36
	v_cmp_gt_i32_e32 vcc, s34, v25
	v_cndmask_b32_e64 v25, 0, v8, s[6:7]
	v_or_b32_e32 v37, 6, v36
	v_cndmask_b32_sdwa v8, v21, v8, vcc dst_sel:DWORD dst_unused:UNUSED_PAD src0_sel:DWORD src1_sel:WORD_1
	v_perm_b32 v8, v8, v25, s24
	v_or_b32_e32 v25, 7, v36
	v_cmp_gt_i32_e32 vcc, s34, v25
	v_cmp_gt_i32_e64 s[6:7], s33, v37
	s_nop 1
	v_cndmask_b32_e64 v25, 0, v9, s[6:7]
	v_cndmask_b32_sdwa v9, v21, v9, vcc dst_sel:DWORD dst_unused:UNUSED_PAD src0_sel:DWORD src1_sel:WORD_1
	v_perm_b32 v9, v9, v25, s24
.LBB128_58:                             ;   in Loop: Header=BB128_53 Depth=1
	s_or_b64 exec, exec, s[18:19]
	s_waitcnt lgkmcnt(1)
	v_cvt_pk_bf16_f32 v37, v14, v15
	v_cvt_pk_bf16_f32 v16, v16, v17
	s_waitcnt lgkmcnt(0)
	v_cvt_pk_bf16_f32 v15, v10, v11
	v_cvt_pk_bf16_f32 v14, v12, v13
	s_and_saveexec_b64 s[6:7], s[0:1]
	s_cbranch_execz .LBB128_51
; %bb.59:                               ;   in Loop: Header=BB128_53 Depth=1
	v_mov_b32_e32 v25, v21
	v_lshl_add_u64 v[10:11], v[26:27], 0, v[24:25]
	global_load_dwordx4 v[10:13], v[10:11], off
	s_and_saveexec_b64 s[18:19], s[2:3]
	s_cbranch_execz .LBB128_50
; %bb.60:                               ;   in Loop: Header=BB128_53 Depth=1
	v_add_u32_e32 v17, 1, v36
	v_cmp_gt_i32_e32 vcc, s34, v17
	v_or_b32_e32 v25, 2, v36
	v_cmp_gt_i32_e64 s[2:3], s33, v25
	s_waitcnt vmcnt(0)
	v_cndmask_b32_sdwa v17, v21, v10, vcc dst_sel:DWORD dst_unused:UNUSED_PAD src0_sel:DWORD src1_sel:WORD_1
	v_cmp_gt_i32_e32 vcc, s33, v36
	v_or_b32_e32 v25, 4, v36
	s_nop 0
	v_cndmask_b32_e32 v10, 0, v10, vcc
	v_perm_b32 v10, v17, v10, s24
	v_or_b32_e32 v17, 3, v36
	v_cmp_gt_i32_e32 vcc, s34, v17
	v_cndmask_b32_e64 v17, 0, v11, s[2:3]
	v_cmp_gt_i32_e64 s[2:3], s33, v25
	v_cndmask_b32_sdwa v11, v21, v11, vcc dst_sel:DWORD dst_unused:UNUSED_PAD src0_sel:DWORD src1_sel:WORD_1
	v_perm_b32 v11, v11, v17, s24
	v_or_b32_e32 v17, 5, v36
	v_cmp_gt_i32_e32 vcc, s34, v17
	v_cndmask_b32_e64 v17, 0, v12, s[2:3]
	v_or_b32_e32 v25, 6, v36
	v_cndmask_b32_sdwa v12, v21, v12, vcc dst_sel:DWORD dst_unused:UNUSED_PAD src0_sel:DWORD src1_sel:WORD_1
	v_perm_b32 v12, v12, v17, s24
	v_or_b32_e32 v17, 7, v36
	v_cmp_gt_i32_e32 vcc, s34, v17
	v_cmp_gt_i32_e64 s[2:3], s33, v25
	s_nop 1
	v_cndmask_b32_e64 v17, 0, v13, s[2:3]
	v_cndmask_b32_sdwa v13, v21, v13, vcc dst_sel:DWORD dst_unused:UNUSED_PAD src0_sel:DWORD src1_sel:WORD_1
	v_perm_b32 v13, v13, v17, s24
	s_branch .LBB128_50
.LBB128_61:
	s_or_b64 exec, exec, s[14:15]
.LBB128_62:
	s_or_b64 exec, exec, s[8:9]
	ds_bpermute_b32 v2, v29, v18
	ds_bpermute_b32 v3, v29, v19
	;; [unrolled: 1-line block ×3, first 2 shown]
	v_and_b32_e32 v4, 0x3c0, v0
	v_cmp_eq_u32_e64 s[0:1], 64, v4
	v_cmp_eq_u32_e32 vcc, 0, v31
	s_waitcnt lgkmcnt(1)
	v_pk_add_f32 v[2:3], v[18:19], v[2:3]
	s_waitcnt lgkmcnt(0)
	v_add_f32_e32 v1, v33, v1
	s_barrier
	s_and_saveexec_b64 s[2:3], s[0:1]
	s_cbranch_execz .LBB128_67
; %bb.63:
	s_and_saveexec_b64 s[0:1], vcc
; %bb.64:
	v_mov_b32_e32 v4, 0xb0
	v_lshl_add_u32 v4, v30, 2, v4
	ds_write2_b32 v4, v2, v3 offset1:32
; %bb.65:
	s_or_b64 exec, exec, s[0:1]
	v_or_b32_e32 v4, 64, v30
	s_movk_i32 s0, 0x50
	v_cmp_gt_u32_e64 s[0:1], s0, v4
	s_and_b64 s[0:1], vcc, s[0:1]
	s_and_b64 exec, exec, s[0:1]
; %bb.66:
	v_mov_b32_e32 v4, 0xb0
	v_lshl_add_u32 v4, v30, 2, v4
	ds_write_b32 v4, v1 offset:256
.LBB128_67:
	s_or_b64 exec, exec, s[2:3]
	v_cmp_gt_u32_e64 s[0:1], 64, v0
	v_lshrrev_b32_e32 v0, 1, v0
	s_waitcnt lgkmcnt(0)
	s_barrier
	s_and_saveexec_b64 s[6:7], s[0:1]
	s_cbranch_execz .LBB128_75
; %bb.68:
	s_and_saveexec_b64 s[2:3], vcc
	s_cbranch_execz .LBB128_70
; %bb.69:
	v_mov_b32_e32 v4, 0xb0
	v_lshl_add_u32 v4, v0, 2, v4
	ds_read_b32 v4, v4
	s_waitcnt lgkmcnt(0)
	v_add_f32_e32 v2, v2, v4
.LBB128_70:
	s_or_b64 exec, exec, s[2:3]
	v_or_b32_e32 v4, 32, v0
	s_movk_i32 s8, 0x50
	v_cmp_gt_u32_e64 s[2:3], s8, v4
	s_and_b64 s[12:13], vcc, s[2:3]
	s_and_saveexec_b64 s[2:3], s[12:13]
	s_cbranch_execz .LBB128_72
; %bb.71:
	v_mov_b32_e32 v4, 0xb0
	v_lshl_add_u32 v4, v0, 2, v4
	ds_read_b32 v4, v4 offset:128
	s_waitcnt lgkmcnt(0)
	v_add_f32_e32 v3, v3, v4
.LBB128_72:
	s_or_b64 exec, exec, s[2:3]
	v_or_b32_e32 v4, 64, v0
	v_cmp_gt_u32_e64 s[2:3], s8, v4
	s_and_b64 s[8:9], vcc, s[2:3]
	s_and_saveexec_b64 s[2:3], s[8:9]
	s_cbranch_execz .LBB128_74
; %bb.73:
	v_mov_b32_e32 v4, 0xb0
	v_lshl_add_u32 v4, v0, 2, v4
	ds_read_b32 v4, v4 offset:256
	s_waitcnt lgkmcnt(0)
	v_add_f32_e32 v1, v1, v4
.LBB128_74:
	s_or_b64 exec, exec, s[2:3]
.LBB128_75:
	s_or_b64 exec, exec, s[6:7]
	s_barrier
	s_and_saveexec_b64 s[2:3], s[0:1]
	s_cbranch_execz .LBB128_82
; %bb.76:
	s_mul_i32 s0, s10, s11
	s_mul_i32 s0, s0, s5
	s_mulk_i32 s0, 0x50
	s_ashr_i32 s1, s0, 31
	s_lshl_b64 s[0:1], s[0:1], 1
	s_add_u32 s2, s22, s0
	s_mul_i32 s0, s11, s20
	s_addc_u32 s3, s23, s1
	s_ashr_i32 s1, s0, 31
	s_lshl_b64 s[0:1], s[0:1], 1
	s_add_u32 s2, s2, s0
	s_mul_i32 s0, s4, 0x50
	s_addc_u32 s3, s3, s1
	s_ashr_i32 s1, s0, 31
	s_lshl_b64 s[0:1], s[0:1], 1
	s_add_u32 s2, s2, s0
	s_movk_i32 s5, 0x50
	s_addc_u32 s3, s3, s1
	v_lshlrev_b32_e32 v4, 1, v0
	s_and_saveexec_b64 s[0:1], vcc
	s_cbranch_execz .LBB128_78
; %bb.77:
	v_cvt_pk_bf16_f32 v2, v2, s0
	global_store_short v4, v2, s[2:3]
.LBB128_78:
	s_or_b64 exec, exec, s[0:1]
	v_or_b32_e32 v2, 32, v0
	v_cmp_gt_u32_e64 s[0:1], s5, v2
	s_and_b64 s[4:5], vcc, s[0:1]
	s_and_saveexec_b64 s[0:1], s[4:5]
	s_cbranch_execz .LBB128_80
; %bb.79:
	v_cvt_pk_bf16_f32 v2, v3, s0
	global_store_short v4, v2, s[2:3] offset:64
.LBB128_80:
	s_or_b64 exec, exec, s[0:1]
	v_or_b32_e32 v0, 64, v0
	s_movk_i32 s0, 0x50
	v_cmp_gt_u32_e64 s[0:1], s0, v0
	s_and_b64 s[0:1], vcc, s[0:1]
	s_and_b64 exec, exec, s[0:1]
	s_cbranch_execz .LBB128_82
; %bb.81:
	v_cvt_pk_bf16_f32 v0, v1, s0
	global_store_short v4, v0, s[2:3] offset:128
.LBB128_82:
	s_endpgm
	.section	.rodata,"a",@progbits
	.p2align	6, 0x0
	.amdhsa_kernel _ZN4vllm25paged_attention_v1_kernelI14__hip_bfloat16S1_Li80ELi16ELi128ELNS_18Fp8KVCacheDataTypeE0ELb1EEEvPT_PKS3_PKT0_S9_ifPKiSB_iPKfiiiSD_SD_iiiii
		.amdhsa_group_segment_fixed_size 176
		.amdhsa_private_segment_fixed_size 0
		.amdhsa_kernarg_size 384
		.amdhsa_user_sgpr_count 2
		.amdhsa_user_sgpr_dispatch_ptr 0
		.amdhsa_user_sgpr_queue_ptr 0
		.amdhsa_user_sgpr_kernarg_segment_ptr 1
		.amdhsa_user_sgpr_dispatch_id 0
		.amdhsa_user_sgpr_kernarg_preload_length 0
		.amdhsa_user_sgpr_kernarg_preload_offset 0
		.amdhsa_user_sgpr_private_segment_size 0
		.amdhsa_uses_dynamic_stack 0
		.amdhsa_enable_private_segment 0
		.amdhsa_system_sgpr_workgroup_id_x 1
		.amdhsa_system_sgpr_workgroup_id_y 1
		.amdhsa_system_sgpr_workgroup_id_z 1
		.amdhsa_system_sgpr_workgroup_info 0
		.amdhsa_system_vgpr_workitem_id 0
		.amdhsa_next_free_vgpr 63
		.amdhsa_next_free_sgpr 45
		.amdhsa_accum_offset 64
		.amdhsa_reserve_vcc 1
		.amdhsa_float_round_mode_32 0
		.amdhsa_float_round_mode_16_64 0
		.amdhsa_float_denorm_mode_32 3
		.amdhsa_float_denorm_mode_16_64 3
		.amdhsa_dx10_clamp 1
		.amdhsa_ieee_mode 1
		.amdhsa_fp16_overflow 0
		.amdhsa_tg_split 0
		.amdhsa_exception_fp_ieee_invalid_op 0
		.amdhsa_exception_fp_denorm_src 0
		.amdhsa_exception_fp_ieee_div_zero 0
		.amdhsa_exception_fp_ieee_overflow 0
		.amdhsa_exception_fp_ieee_underflow 0
		.amdhsa_exception_fp_ieee_inexact 0
		.amdhsa_exception_int_div_zero 0
	.end_amdhsa_kernel
	.section	.text._ZN4vllm25paged_attention_v1_kernelI14__hip_bfloat16S1_Li80ELi16ELi128ELNS_18Fp8KVCacheDataTypeE0ELb1EEEvPT_PKS3_PKT0_S9_ifPKiSB_iPKfiiiSD_SD_iiiii,"axG",@progbits,_ZN4vllm25paged_attention_v1_kernelI14__hip_bfloat16S1_Li80ELi16ELi128ELNS_18Fp8KVCacheDataTypeE0ELb1EEEvPT_PKS3_PKT0_S9_ifPKiSB_iPKfiiiSD_SD_iiiii,comdat
.Lfunc_end128:
	.size	_ZN4vllm25paged_attention_v1_kernelI14__hip_bfloat16S1_Li80ELi16ELi128ELNS_18Fp8KVCacheDataTypeE0ELb1EEEvPT_PKS3_PKT0_S9_ifPKiSB_iPKfiiiSD_SD_iiiii, .Lfunc_end128-_ZN4vllm25paged_attention_v1_kernelI14__hip_bfloat16S1_Li80ELi16ELi128ELNS_18Fp8KVCacheDataTypeE0ELb1EEEvPT_PKS3_PKT0_S9_ifPKiSB_iPKfiiiSD_SD_iiiii
                                        ; -- End function
	.set _ZN4vllm25paged_attention_v1_kernelI14__hip_bfloat16S1_Li80ELi16ELi128ELNS_18Fp8KVCacheDataTypeE0ELb1EEEvPT_PKS3_PKT0_S9_ifPKiSB_iPKfiiiSD_SD_iiiii.num_vgpr, 63
	.set _ZN4vllm25paged_attention_v1_kernelI14__hip_bfloat16S1_Li80ELi16ELi128ELNS_18Fp8KVCacheDataTypeE0ELb1EEEvPT_PKS3_PKT0_S9_ifPKiSB_iPKfiiiSD_SD_iiiii.num_agpr, 0
	.set _ZN4vllm25paged_attention_v1_kernelI14__hip_bfloat16S1_Li80ELi16ELi128ELNS_18Fp8KVCacheDataTypeE0ELb1EEEvPT_PKS3_PKT0_S9_ifPKiSB_iPKfiiiSD_SD_iiiii.numbered_sgpr, 45
	.set _ZN4vllm25paged_attention_v1_kernelI14__hip_bfloat16S1_Li80ELi16ELi128ELNS_18Fp8KVCacheDataTypeE0ELb1EEEvPT_PKS3_PKT0_S9_ifPKiSB_iPKfiiiSD_SD_iiiii.num_named_barrier, 0
	.set _ZN4vllm25paged_attention_v1_kernelI14__hip_bfloat16S1_Li80ELi16ELi128ELNS_18Fp8KVCacheDataTypeE0ELb1EEEvPT_PKS3_PKT0_S9_ifPKiSB_iPKfiiiSD_SD_iiiii.private_seg_size, 0
	.set _ZN4vllm25paged_attention_v1_kernelI14__hip_bfloat16S1_Li80ELi16ELi128ELNS_18Fp8KVCacheDataTypeE0ELb1EEEvPT_PKS3_PKT0_S9_ifPKiSB_iPKfiiiSD_SD_iiiii.uses_vcc, 1
	.set _ZN4vllm25paged_attention_v1_kernelI14__hip_bfloat16S1_Li80ELi16ELi128ELNS_18Fp8KVCacheDataTypeE0ELb1EEEvPT_PKS3_PKT0_S9_ifPKiSB_iPKfiiiSD_SD_iiiii.uses_flat_scratch, 0
	.set _ZN4vllm25paged_attention_v1_kernelI14__hip_bfloat16S1_Li80ELi16ELi128ELNS_18Fp8KVCacheDataTypeE0ELb1EEEvPT_PKS3_PKT0_S9_ifPKiSB_iPKfiiiSD_SD_iiiii.has_dyn_sized_stack, 0
	.set _ZN4vllm25paged_attention_v1_kernelI14__hip_bfloat16S1_Li80ELi16ELi128ELNS_18Fp8KVCacheDataTypeE0ELb1EEEvPT_PKS3_PKT0_S9_ifPKiSB_iPKfiiiSD_SD_iiiii.has_recursion, 0
	.set _ZN4vllm25paged_attention_v1_kernelI14__hip_bfloat16S1_Li80ELi16ELi128ELNS_18Fp8KVCacheDataTypeE0ELb1EEEvPT_PKS3_PKT0_S9_ifPKiSB_iPKfiiiSD_SD_iiiii.has_indirect_call, 0
	.section	.AMDGPU.csdata,"",@progbits
; Kernel info:
; codeLenInByte = 5816
; TotalNumSgprs: 51
; NumVgprs: 63
; NumAgprs: 0
; TotalNumVgprs: 63
; ScratchSize: 0
; MemoryBound: 0
; FloatMode: 240
; IeeeMode: 1
; LDSByteSize: 176 bytes/workgroup (compile time only)
; SGPRBlocks: 6
; VGPRBlocks: 7
; NumSGPRsForWavesPerEU: 51
; NumVGPRsForWavesPerEU: 63
; AccumOffset: 64
; Occupancy: 8
; WaveLimiterHint : 1
; COMPUTE_PGM_RSRC2:SCRATCH_EN: 0
; COMPUTE_PGM_RSRC2:USER_SGPR: 2
; COMPUTE_PGM_RSRC2:TRAP_HANDLER: 0
; COMPUTE_PGM_RSRC2:TGID_X_EN: 1
; COMPUTE_PGM_RSRC2:TGID_Y_EN: 1
; COMPUTE_PGM_RSRC2:TGID_Z_EN: 1
; COMPUTE_PGM_RSRC2:TIDIG_COMP_CNT: 0
; COMPUTE_PGM_RSRC3_GFX90A:ACCUM_OFFSET: 15
; COMPUTE_PGM_RSRC3_GFX90A:TG_SPLIT: 0
	.section	.text._ZN4vllm25paged_attention_v1_kernelI14__hip_bfloat16S1_Li96ELi16ELi128ELNS_18Fp8KVCacheDataTypeE0ELb1EEEvPT_PKS3_PKT0_S9_ifPKiSB_iPKfiiiSD_SD_iiiii,"axG",@progbits,_ZN4vllm25paged_attention_v1_kernelI14__hip_bfloat16S1_Li96ELi16ELi128ELNS_18Fp8KVCacheDataTypeE0ELb1EEEvPT_PKS3_PKT0_S9_ifPKiSB_iPKfiiiSD_SD_iiiii,comdat
	.protected	_ZN4vllm25paged_attention_v1_kernelI14__hip_bfloat16S1_Li96ELi16ELi128ELNS_18Fp8KVCacheDataTypeE0ELb1EEEvPT_PKS3_PKT0_S9_ifPKiSB_iPKfiiiSD_SD_iiiii ; -- Begin function _ZN4vllm25paged_attention_v1_kernelI14__hip_bfloat16S1_Li96ELi16ELi128ELNS_18Fp8KVCacheDataTypeE0ELb1EEEvPT_PKS3_PKT0_S9_ifPKiSB_iPKfiiiSD_SD_iiiii
	.globl	_ZN4vllm25paged_attention_v1_kernelI14__hip_bfloat16S1_Li96ELi16ELi128ELNS_18Fp8KVCacheDataTypeE0ELb1EEEvPT_PKS3_PKT0_S9_ifPKiSB_iPKfiiiSD_SD_iiiii
	.p2align	8
	.type	_ZN4vllm25paged_attention_v1_kernelI14__hip_bfloat16S1_Li96ELi16ELi128ELNS_18Fp8KVCacheDataTypeE0ELb1EEEvPT_PKS3_PKT0_S9_ifPKiSB_iPKfiiiSD_SD_iiiii,@function
_ZN4vllm25paged_attention_v1_kernelI14__hip_bfloat16S1_Li96ELi16ELi128ELNS_18Fp8KVCacheDataTypeE0ELb1EEEvPT_PKS3_PKT0_S9_ifPKiSB_iPKfiiiSD_SD_iiiii: ; @_ZN4vllm25paged_attention_v1_kernelI14__hip_bfloat16S1_Li96ELi16ELi128ELNS_18Fp8KVCacheDataTypeE0ELb1EEEvPT_PKS3_PKT0_S9_ifPKiSB_iPKfiiiSD_SD_iiiii
; %bb.0:
	s_load_dword s5, s[0:1], 0x80
	s_load_dwordx2 s[6:7], s[0:1], 0x30
	s_load_dwordx2 s[30:31], s[0:1], 0x20
	s_mov_b32 s10, s3
	s_ashr_i32 s11, s3, 31
	s_lshl_b64 s[8:9], s[10:11], 2
	s_waitcnt lgkmcnt(0)
	s_add_u32 s6, s6, s8
	s_addc_u32 s7, s7, s9
	s_abs_i32 s3, s30
	v_cvt_f32_u32_e32 v1, s3
	s_sub_i32 s11, 0, s3
	s_abs_i32 s9, s5
	s_xor_b32 s8, s5, s30
	v_rcp_iflag_f32_e32 v1, v1
	s_ashr_i32 s8, s8, 31
	s_mov_b32 s42, 0
	v_mul_f32_e32 v1, 0x4f7ffffe, v1
	v_cvt_u32_f32_e32 v1, v1
	s_nop 0
	v_readfirstlane_b32 s12, v1
	s_mul_i32 s11, s11, s12
	s_mul_hi_u32 s11, s12, s11
	s_add_i32 s12, s12, s11
	s_mul_hi_u32 s11, s9, s12
	s_mul_i32 s12, s11, s3
	s_sub_i32 s9, s9, s12
	s_add_i32 s12, s11, 1
	s_sub_i32 s13, s9, s3
	s_cmp_ge_u32 s9, s3
	s_cselect_b32 s11, s12, s11
	s_cselect_b32 s9, s13, s9
	s_add_i32 s12, s11, 1
	s_cmp_ge_u32 s9, s3
	s_cselect_b32 s3, s12, s11
	s_xor_b32 s3, s3, s8
	s_sub_i32 s16, s3, s8
	s_abs_i32 s11, s16
	v_cvt_f32_u32_e32 v1, s11
	s_load_dwordx2 s[8:9], s[0:1], 0x40
	s_sub_i32 s3, 0, s11
	s_abs_i32 s22, s2
	v_rcp_iflag_f32_e32 v1, v1
	s_nop 0
	v_mul_f32_e32 v1, 0x4f7ffffe, v1
	v_cvt_u32_f32_e32 v1, v1
	s_nop 0
	v_readfirstlane_b32 s12, v1
	s_mul_i32 s3, s3, s12
	s_mul_hi_u32 s3, s12, s3
	s_add_i32 s12, s12, s3
	s_waitcnt lgkmcnt(0)
	s_cmp_eq_u64 s[8:9], 0
	s_mul_hi_u32 s23, s22, s12
	s_cbranch_scc1 .LBB129_2
; %bb.1:
	s_ashr_i32 s3, s2, 31
	s_lshl_b64 s[12:13], s[2:3], 2
	s_add_u32 s8, s8, s12
	s_addc_u32 s9, s9, s13
	s_load_dword s42, s[8:9], 0x0
.LBB129_2:
	s_load_dword s33, s[6:7], 0x0
	s_load_dwordx4 s[12:15], s[0:1], 0x48
	s_ashr_i32 s3, s2, 31
	s_ashr_i32 s9, s16, 31
	v_and_b32_e32 v4, 3, v0
	s_mul_i32 s20, s2, 0x60
	v_cmp_gt_u32_e32 vcc, 48, v0
	s_and_saveexec_b64 s[6:7], vcc
	s_cbranch_execz .LBB129_4
; %bb.3:
	s_load_dwordx2 s[16:17], s[0:1], 0x8
	s_waitcnt lgkmcnt(0)
	s_mul_i32 s18, s12, s10
	s_ashr_i32 s19, s18, 31
	s_lshl_b64 s[18:19], s[18:19], 1
	v_lshlrev_b32_e32 v1, 2, v0
	s_add_u32 s8, s16, s18
	s_addc_u32 s12, s17, s19
	s_ashr_i32 s21, s20, 31
	s_lshl_b64 s[16:17], s[20:21], 1
	s_add_u32 s16, s8, s16
	s_addc_u32 s17, s12, s17
	global_load_dword v1, v1, s[16:17]
	v_and_b32_e32 v2, 0x3fc, v0
	v_mad_u32_u24 v2, v4, 48, v2
	s_waitcnt vmcnt(0)
	ds_write_b32 v2, v1
.LBB129_4:
	s_or_b64 exec, exec, s[6:7]
	s_mul_i32 s6, s23, s11
	s_sub_i32 s6, s22, s6
	s_xor_b32 s3, s3, s9
	s_add_i32 s7, s23, 1
	s_sub_i32 s9, s6, s11
	s_load_dwordx4 s[16:19], s[0:1], 0x68
	s_load_dword s8, s[0:1], 0x78
	s_cmp_ge_u32 s6, s11
	s_cselect_b32 s7, s7, s23
	s_cselect_b32 s6, s9, s6
	s_add_i32 s9, s7, 1
	s_cmp_ge_u32 s6, s11
	s_cselect_b32 s6, s9, s7
	s_waitcnt lgkmcnt(0)
	s_abs_i32 s21, s19
	v_cvt_f32_u32_e32 v1, s21
	s_xor_b32 s6, s6, s3
	s_sub_i32 s3, s6, s3
	s_sub_i32 s6, 0, s21
	v_rcp_iflag_f32_e32 v1, v1
	s_add_i32 s11, s33, -1
	s_abs_i32 s9, s11
	v_mul_f32_e32 v1, 0x4f7ffffe, v1
	v_cvt_u32_f32_e32 v1, v1
	s_barrier
	v_readfirstlane_b32 s40, v1
	s_mul_i32 s6, s6, s40
	s_mul_hi_u32 s6, s40, s6
	s_add_i32 s40, s40, s6
	s_cmp_lt_i32 s8, 0
	s_mul_hi_u32 s12, s9, s40
	s_cbranch_scc0 .LBB129_6
; %bb.5:
	s_mul_i32 s6, s16, s30
	s_add_i32 s6, s3, s6
	s_mul_i32 s6, s6, s8
	s_sub_i32 s41, 1, s6
	s_mov_b64 s[6:7], 0
	s_branch .LBB129_7
.LBB129_6:
	s_mov_b64 s[6:7], -1
                                        ; implicit-def: $sgpr41
.LBB129_7:
	s_load_dwordx2 s[24:25], s[0:1], 0x28
	s_ashr_i32 s15, s11, 31
	s_andn2_b64 vcc, exec, s[6:7]
	s_ashr_i32 s19, s19, 31
	s_cbranch_vccnz .LBB129_9
; %bb.8:
	s_mul_i32 s6, s5, s16
	s_add_i32 s2, s6, s2
	s_mul_i32 s2, s2, s8
	s_add_i32 s41, s2, 1
.LBB129_9:
	s_load_dword s2, s[0:1], 0x38
	s_load_dwordx2 s[22:23], s[0:1], 0x0
	s_load_dwordx2 s[28:29], s[0:1], 0x18
	s_load_dword s11, s[0:1], 0x88
	s_xor_b32 s6, s15, s19
	s_waitcnt lgkmcnt(0)
	s_mul_i32 s26, s2, s10
	s_mul_i32 s2, s12, s21
	s_sub_i32 s2, s9, s2
	s_ashr_i32 s27, s26, 31
	s_add_i32 s7, s12, 1
	s_sub_i32 s8, s2, s21
	s_cmp_ge_u32 s2, s21
	s_cselect_b32 s7, s7, s12
	s_cselect_b32 s2, s8, s2
	s_add_i32 s8, s7, 1
	s_cmp_ge_u32 s2, s21
	s_cselect_b32 s2, s8, s7
	s_xor_b32 s2, s2, s6
	s_sub_i32 s12, s2, s6
	s_add_i32 s2, s33, 15
	s_ashr_i32 s6, s2, 31
	s_lshr_b32 s6, s6, 28
	s_add_i32 s2, s2, s6
	s_ashr_i32 s16, s2, 4
	v_lshrrev_b32_e32 v1, 6, v0
	v_cmp_gt_i32_e64 s[6:7], s16, v1
	v_mov_b32_e32 v10, 0xff7fffff
	s_mul_i32 s14, s3, s14
	v_lshrrev_b32_e32 v6, 4, v0
	v_lshlrev_b32_e32 v30, 4, v1
	v_mbcnt_lo_u32_b32 v7, -1, 0
	s_and_saveexec_b64 s[34:35], s[6:7]
	s_cbranch_execz .LBB129_21
; %bb.10:
	s_load_dwordx2 s[0:1], s[0:1], 0x10
	s_ashr_i32 s15, s14, 31
	s_sub_i32 s30, s12, s17
	s_lshl_b64 s[2:3], s[14:15], 1
	v_bfe_u32 v8, v0, 2, 4
	s_waitcnt lgkmcnt(0)
	s_add_u32 s0, s0, s2
	s_addc_u32 s1, s1, s3
	s_abs_i32 s15, s18
	v_cvt_f32_u32_e32 v5, s15
	v_lshlrev_b32_e32 v12, 4, v8
	v_mov_b32_e32 v13, 0
	v_lshl_add_u64 v[2:3], s[0:1], 0, v[12:13]
	v_rcp_iflag_f32_e32 v5, v5
	v_lshlrev_b32_e32 v9, 2, v0
	s_sub_i32 s0, 0, s15
	v_cmp_eq_u32_e32 vcc, 0, v4
	v_mul_f32_e32 v5, 0x4f7ffffe, v5
	v_cvt_u32_f32_e32 v5, v5
	v_and_b32_e32 v12, 12, v9
	v_mul_u32_u24_e32 v9, 48, v4
	v_lshl_add_u64 v[2:3], v[2:3], 0, v[12:13]
	v_mul_lo_u32 v4, s0, v5
	s_lshl_b64 s[0:1], s[26:27], 2
	s_add_u32 s0, s24, s0
	v_mul_hi_u32 v4, v5, v4
	v_and_b32_e32 v12, 60, v6
	s_addc_u32 s1, s25, s1
	v_subrev_u32_e32 v10, s33, v8
	v_add_u32_e32 v11, v5, v4
	v_lshl_add_u64 v[4:5], s[0:1], 0, v[12:13]
	v_add_u32_e32 v13, 1, v10
	v_lshlrev_b32_e32 v10, 2, v8
	v_lshl_or_b32 v10, v1, 6, v10
	v_mbcnt_hi_u32_b32 v16, -1, v7
	v_add_u32_e32 v14, 0xd0, v10
	v_and_b32_e32 v10, 64, v16
	s_mov_b32 s43, s13
	v_cmp_neq_f32_e64 s[2:3], s42, 0
	v_lshlrev_b32_e32 v12, 4, v1
	v_mov_b32_e32 v15, 0xff7fffff
	s_mov_b64 s[36:37], 0
	v_add_u32_e32 v17, 64, v10
	v_xor_b32_e32 v18, 2, v16
	v_xor_b32_e32 v19, 1, v16
	v_mov_b32_e32 v10, 0xff7fffff
	v_mov_b32_e32 v20, v1
	s_branch .LBB129_13
.LBB129_11:                             ;   in Loop: Header=BB129_13 Depth=1
	s_or_b64 exec, exec, s[38:39]
.LBB129_12:                             ;   in Loop: Header=BB129_13 Depth=1
	s_or_b64 exec, exec, s[8:9]
	v_add_u32_e32 v20, 2, v20
	v_cmp_le_i32_e64 s[0:1], s16, v20
	v_lshl_add_u64 v[4:5], v[4:5], 0, 8
	v_add_u32_e32 v12, 32, v12
	s_or_b64 s[36:37], s[0:1], s[36:37]
	v_add_u32_e32 v14, 0x80, v14
	s_andn2_b64 exec, exec, s[36:37]
	s_cbranch_execz .LBB129_20
.LBB129_13:                             ; =>This Inner Loop Header: Depth=1
	v_mul_hi_u32 v21, v12, s40
	s_waitcnt lgkmcnt(0)
	v_mul_lo_u32 v22, v21, s21
	v_sub_u32_e32 v22, v12, v22
	v_add_u32_e32 v23, 1, v21
	v_cmp_le_u32_e64 s[0:1], s21, v22
	s_nop 1
	v_cndmask_b32_e64 v21, v21, v23, s[0:1]
	v_subrev_u32_e32 v23, s21, v22
	v_cndmask_b32_e64 v22, v22, v23, s[0:1]
	v_add_u32_e32 v23, 1, v21
	v_cmp_le_u32_e64 s[0:1], s21, v22
	s_nop 1
	v_cndmask_b32_e64 v21, v21, v23, s[0:1]
	v_xor_b32_e32 v21, s19, v21
	v_subrev_u32_e32 v21, s19, v21
	v_add_u32_e32 v22, s41, v21
	v_sub_u32_e32 v24, 0, v22
	v_ashrrev_i32_e32 v23, 31, v22
	v_max_i32_e32 v22, v22, v24
	v_mul_hi_u32 v24, v22, v11
	v_mul_lo_u32 v24, v24, s15
	v_sub_u32_e32 v22, v22, v24
	v_subrev_u32_e32 v24, s15, v22
	v_cmp_le_u32_e64 s[0:1], s15, v22
	v_cmp_ge_i32_e64 s[8:9], s30, v21
	s_nop 0
	v_cndmask_b32_e64 v22, v22, v24, s[0:1]
	v_subrev_u32_e32 v24, s15, v22
	v_cmp_le_u32_e64 s[0:1], s15, v22
	s_nop 1
	v_cndmask_b32_e64 v22, v22, v24, s[0:1]
	v_xor_b32_e32 v22, v22, v23
	v_sub_u32_e32 v22, v22, v23
	v_cmp_ne_u32_e64 s[0:1], 0, v22
	s_and_b64 s[0:1], s[0:1], s[8:9]
	s_and_saveexec_b64 s[8:9], s[0:1]
	s_xor_b64 s[0:1], exec, s[8:9]
	s_cbranch_execz .LBB129_17
; %bb.14:                               ;   in Loop: Header=BB129_13 Depth=1
	s_and_saveexec_b64 s[8:9], vcc
; %bb.15:                               ;   in Loop: Header=BB129_13 Depth=1
	ds_write_b32 v14, v15
; %bb.16:                               ;   in Loop: Header=BB129_13 Depth=1
	s_or_b64 exec, exec, s[8:9]
.LBB129_17:                             ;   in Loop: Header=BB129_13 Depth=1
	s_andn2_saveexec_b64 s[8:9], s[0:1]
	s_cbranch_execz .LBB129_12
; %bb.18:                               ;   in Loop: Header=BB129_13 Depth=1
	global_load_dword v21, v[4:5], off
	s_waitcnt vmcnt(0)
	v_mad_i64_i32 v[22:23], s[0:1], v21, s43, 0
	v_lshl_add_u64 v[22:23], v[22:23], 1, v[2:3]
	global_load_dword v21, v[22:23], off
	global_load_dword v31, v[22:23], off offset:256
	global_load_dword v36, v[22:23], off offset:512
	;; [unrolled: 1-line block ×11, first 2 shown]
	ds_read_b128 v[22:25], v9
	ds_read_b128 v[26:29], v9 offset:16
	ds_read_b128 v[32:35], v9 offset:32
	v_cmp_lt_i32_e64 s[0:1], v18, v17
	s_waitcnt lgkmcnt(2)
	v_lshlrev_b32_e32 v48, 16, v23
	v_and_b32_e32 v23, 0xffff0000, v23
	v_lshlrev_b32_e32 v47, 16, v22
	v_and_b32_e32 v22, 0xffff0000, v22
	v_lshlrev_b32_e32 v49, 16, v24
	v_and_b32_e32 v24, 0xffff0000, v24
	v_lshlrev_b32_e32 v50, 16, v25
	v_and_b32_e32 v25, 0xffff0000, v25
	s_waitcnt lgkmcnt(1)
	v_lshlrev_b32_e32 v51, 16, v26
	v_and_b32_e32 v26, 0xffff0000, v26
	v_lshlrev_b32_e32 v52, 16, v27
	v_and_b32_e32 v27, 0xffff0000, v27
	v_lshlrev_b32_e32 v53, 16, v28
	v_and_b32_e32 v28, 0xffff0000, v28
	v_lshlrev_b32_e32 v54, 16, v29
	v_and_b32_e32 v29, 0xffff0000, v29
	;; [unrolled: 9-line block ×3, first 2 shown]
	v_cndmask_b32_e64 v46, v16, v18, s[0:1]
	v_lshlrev_b32_e32 v46, 2, v46
	v_cmp_lt_i32_e64 s[0:1], v19, v17
	s_waitcnt vmcnt(11)
	v_lshlrev_b32_e32 v59, 16, v21
	s_waitcnt vmcnt(10)
	v_lshlrev_b32_e32 v60, 16, v31
	v_and_b32_e32 v31, 0xffff0000, v31
	v_and_b32_e32 v21, 0xffff0000, v21
	v_mul_f32_e32 v48, v48, v60
	v_mul_f32_e32 v23, v23, v31
	s_waitcnt vmcnt(9)
	v_lshlrev_b32_e32 v61, 16, v36
	v_and_b32_e32 v36, 0xffff0000, v36
	v_fmac_f32_e32 v48, v47, v59
	v_fmac_f32_e32 v23, v22, v21
	s_waitcnt vmcnt(8)
	v_lshlrev_b32_e32 v62, 16, v37
	v_and_b32_e32 v37, 0xffff0000, v37
	v_fmac_f32_e32 v48, v49, v61
	v_fmac_f32_e32 v23, v24, v36
	;; [unrolled: 5-line block ×10, first 2 shown]
	v_fmac_f32_e32 v48, v58, v70
	v_fmac_f32_e32 v23, v35, v45
	v_add_f32_e32 v21, v48, v23
	ds_bpermute_b32 v22, v46, v21
	v_cndmask_b32_e64 v23, v16, v19, s[0:1]
	v_lshlrev_b32_e32 v23, 2, v23
	s_waitcnt lgkmcnt(0)
	v_add_f32_e32 v21, v21, v22
	ds_bpermute_b32 v22, v23, v21
	s_and_saveexec_b64 s[38:39], vcc
	s_cbranch_execz .LBB129_11
; %bb.19:                               ;   in Loop: Header=BB129_13 Depth=1
	v_add_u32_e32 v23, v13, v12
	v_cvt_f32_i32_e32 v23, v23
	s_waitcnt lgkmcnt(0)
	v_add_f32_e32 v21, v21, v22
	v_add_u32_e32 v24, v8, v12
	v_cmp_gt_i32_e64 s[0:1], s33, v24
	v_mul_f32_e32 v22, s42, v23
	v_cndmask_b32_e64 v22, 0, v22, s[2:3]
	v_fmac_f32_e32 v22, s31, v21
	v_cndmask_b32_e64 v21, 0, v22, s[0:1]
	ds_write_b32 v14, v21
	v_max_f32_e32 v21, v10, v10
	v_max_f32_e32 v21, v21, v22
	v_cndmask_b32_e64 v10, v10, v21, s[0:1]
	s_branch .LBB129_11
.LBB129_20:
	s_or_b64 exec, exec, s[36:37]
.LBB129_21:
	s_or_b64 exec, exec, s[34:35]
	v_mbcnt_hi_u32_b32 v2, -1, v7
	v_and_b32_e32 v11, 64, v2
	v_add_u32_e32 v3, 64, v11
	v_xor_b32_e32 v4, 32, v2
	v_cmp_lt_i32_e32 vcc, v4, v3
	v_xor_b32_e32 v8, 16, v2
	v_max_f32_e32 v7, v10, v10
	v_cndmask_b32_e32 v4, v2, v4, vcc
	v_lshlrev_b32_e32 v4, 2, v4
	ds_bpermute_b32 v5, v4, v10
	v_cmp_lt_i32_e32 vcc, v8, v3
	v_xor_b32_e32 v9, 8, v2
	v_xor_b32_e32 v10, 4, v2
	v_and_b32_e32 v31, 63, v0
	s_waitcnt lgkmcnt(0)
	v_max_f32_e32 v5, v5, v5
	v_max_f32_e32 v7, v7, v5
	v_cndmask_b32_e32 v5, v2, v8, vcc
	v_lshlrev_b32_e32 v5, 2, v5
	ds_bpermute_b32 v8, v5, v7
	v_cmp_lt_i32_e32 vcc, v9, v3
	s_waitcnt lgkmcnt(0)
	v_max_f32_e32 v8, v8, v8
	v_max_f32_e32 v7, v7, v8
	v_cndmask_b32_e32 v8, v2, v9, vcc
	v_lshlrev_b32_e32 v9, 2, v8
	ds_bpermute_b32 v8, v9, v7
	v_cmp_lt_i32_e32 vcc, v10, v3
	s_waitcnt lgkmcnt(0)
	v_max_f32_e32 v8, v8, v8
	v_max_f32_e32 v8, v7, v8
	v_cndmask_b32_e32 v7, v2, v10, vcc
	v_lshlrev_b32_e32 v10, 2, v7
	ds_bpermute_b32 v12, v10, v8
	v_cmp_eq_u32_e32 vcc, 0, v31
	v_lshlrev_b32_e32 v7, 2, v1
	s_and_saveexec_b64 s[0:1], vcc
	s_cbranch_execz .LBB129_23
; %bb.22:
	s_waitcnt lgkmcnt(0)
	v_max_f32_e32 v12, v12, v12
	v_max_f32_e32 v8, v8, v8
	;; [unrolled: 1-line block ×3, first 2 shown]
	ds_write_b32 v7, v8 offset:192
.LBB129_23:
	s_or_b64 exec, exec, s[0:1]
	v_cmp_gt_u32_e64 s[0:1], 2, v31
	s_waitcnt lgkmcnt(0)
	v_mov_b32_e32 v12, 0xff7fffff
	v_lshlrev_b32_e32 v8, 2, v31
	s_barrier
	s_and_saveexec_b64 s[2:3], s[0:1]
; %bb.24:
	ds_read_b32 v12, v8 offset:192
; %bb.25:
	s_or_b64 exec, exec, s[2:3]
	v_xor_b32_e32 v13, 1, v2
	v_cmp_lt_i32_e64 s[2:3], v13, v3
	v_lshlrev_b32_e32 v11, 2, v11
	s_nop 0
	v_cndmask_b32_e64 v13, v2, v13, s[2:3]
	v_lshlrev_b32_e32 v32, 2, v13
	s_waitcnt lgkmcnt(0)
	ds_bpermute_b32 v13, v32, v12
	v_max_f32_e32 v12, v12, v12
	s_lshl_b32 s2, s16, 4
	s_min_i32 s15, s2, s33
	v_cmp_gt_i32_e64 s[2:3], s15, v0
	s_waitcnt lgkmcnt(0)
	v_max_f32_e32 v13, v13, v13
	v_max_f32_e32 v12, v12, v13
	ds_bpermute_b32 v12, v11, v12
	v_mov_b32_e32 v11, 0
	s_and_saveexec_b64 s[30:31], s[2:3]
	s_cbranch_execz .LBB129_29
; %bb.26:
	v_mov_b32_e32 v11, 0xd0
	v_lshl_add_u32 v13, v0, 2, v11
	v_mov_b32_e32 v11, 0
	s_mov_b64 s[34:35], 0
	v_mov_b32_e32 v14, v0
.LBB129_27:                             ; =>This Inner Loop Header: Depth=1
	ds_read_b32 v15, v13
	v_add_u32_e32 v14, 0x80, v14
	v_cmp_le_i32_e64 s[8:9], s15, v14
	s_or_b64 s[34:35], s[8:9], s[34:35]
	s_waitcnt lgkmcnt(0)
	v_sub_f32_e32 v15, v15, v12
	v_mul_f32_e32 v15, 0x3fb8aa3b, v15
	v_exp_f32_e32 v15, v15
	ds_write_b32 v13, v15
	v_add_f32_e32 v11, v11, v15
	v_add_u32_e32 v13, 0x200, v13
	s_andn2_b64 exec, exec, s[34:35]
	s_cbranch_execnz .LBB129_27
; %bb.28:
	s_or_b64 exec, exec, s[34:35]
.LBB129_29:
	s_or_b64 exec, exec, s[30:31]
	ds_bpermute_b32 v4, v4, v11
	s_waitcnt lgkmcnt(0)
	v_add_f32_e32 v4, v11, v4
	ds_bpermute_b32 v5, v5, v4
	s_waitcnt lgkmcnt(0)
	v_add_f32_e32 v4, v4, v5
	ds_bpermute_b32 v5, v9, v4
	v_xor_b32_e32 v9, 2, v2
	v_cmp_lt_i32_e64 s[8:9], v9, v3
	s_waitcnt lgkmcnt(0)
	v_add_f32_e32 v4, v4, v5
	ds_bpermute_b32 v5, v10, v4
	v_cndmask_b32_e64 v3, v2, v9, s[8:9]
	v_lshlrev_b32_e32 v3, 2, v3
	s_waitcnt lgkmcnt(0)
	v_add_f32_e32 v4, v4, v5
	ds_bpermute_b32 v3, v3, v4
	s_waitcnt lgkmcnt(0)
	v_add_f32_e32 v3, v4, v3
	ds_bpermute_b32 v4, v32, v3
	s_waitcnt lgkmcnt(0)
	v_add_f32_e32 v3, v3, v4
	s_and_saveexec_b64 s[8:9], vcc
; %bb.30:
	ds_write_b32 v7, v3 offset:200
; %bb.31:
	s_or_b64 exec, exec, s[8:9]
	s_waitcnt lgkmcnt(0)
	s_barrier
	s_and_saveexec_b64 s[8:9], s[0:1]
; %bb.32:
	ds_read_b32 v3, v8 offset:200
; %bb.33:
	s_or_b64 exec, exec, s[8:9]
	s_waitcnt lgkmcnt(0)
	ds_bpermute_b32 v4, v32, v3
	v_lshlrev_b32_e32 v2, 2, v2
	v_and_b32_e32 v2, 0x100, v2
	s_waitcnt lgkmcnt(0)
	v_add_f32_e32 v3, v3, v4
	ds_bpermute_b32 v2, v2, v3
	s_and_saveexec_b64 s[0:1], s[2:3]
	s_cbranch_execz .LBB129_46
; %bb.34:
	s_waitcnt lgkmcnt(0)
	v_add_f32_e32 v2, 0x358637bd, v2
	v_div_scale_f32 v3, s[2:3], v2, v2, 1.0
	v_rcp_f32_e32 v4, v3
	v_div_scale_f32 v5, vcc, 1.0, v2, 1.0
	s_movk_i32 s2, 0x7f
	v_fma_f32 v7, -v3, v4, 1.0
	v_fmac_f32_e32 v4, v7, v4
	v_mul_f32_e32 v7, v5, v4
	v_fma_f32 v8, -v3, v7, v5
	v_fmac_f32_e32 v7, v8, v4
	v_fma_f32 v3, -v3, v7, v5
	v_div_fmas_f32 v3, v3, v4, v7
	v_xad_u32 v4, v0, -1, s15
	v_div_fixup_f32 v2, v3, v2, 1.0
	v_cmp_lt_u32_e32 vcc, s2, v4
	s_mov_b64 s[8:9], -1
	v_mov_b32_e32 v3, v0
	s_and_saveexec_b64 s[2:3], vcc
	s_cbranch_execz .LBB129_43
; %bb.35:
	v_lshrrev_b32_e32 v4, 7, v4
	v_add_u32_e32 v7, -1, v4
	v_lshrrev_b32_e32 v5, 1, v7
	v_mov_b32_e32 v3, v2
	v_add_u32_e32 v5, 1, v5
	v_cmp_lt_u32_e32 vcc, 13, v7
	v_mov_b32_e32 v9, 0
	s_and_saveexec_b64 s[8:9], vcc
	s_cbranch_execz .LBB129_39
; %bb.36:
	v_mov_b32_e32 v8, 0xd0
	v_and_b32_e32 v7, -8, v5
	v_lshl_add_u32 v8, v0, 2, v8
	s_mov_b32 s34, 0
	s_mov_b64 s[30:31], 0
.LBB129_37:                             ; =>This Inner Loop Header: Depth=1
	ds_read2st64_b32 v[10:11], v8 offset1:2
	ds_read2st64_b32 v[12:13], v8 offset0:4 offset1:6
	ds_read2st64_b32 v[14:15], v8 offset0:8 offset1:10
	;; [unrolled: 1-line block ×3, first 2 shown]
	v_add_u32_e32 v7, -8, v7
	s_waitcnt lgkmcnt(3)
	v_pk_mul_f32 v[10:11], v[2:3], v[10:11]
	s_waitcnt lgkmcnt(2)
	v_pk_mul_f32 v[12:13], v[2:3], v[12:13]
	ds_write2st64_b32 v8, v10, v11 offset1:2
	ds_write2st64_b32 v8, v12, v13 offset0:4 offset1:6
	ds_read2st64_b32 v[12:13], v8 offset0:16 offset1:18
	s_waitcnt lgkmcnt(4)
	v_pk_mul_f32 v[10:11], v[2:3], v[14:15]
	ds_write2st64_b32 v8, v10, v11 offset0:8 offset1:10
	s_waitcnt lgkmcnt(4)
	v_pk_mul_f32 v[10:11], v[2:3], v[16:17]
	ds_write2st64_b32 v8, v10, v11 offset0:12 offset1:14
	ds_read2st64_b32 v[10:11], v8 offset0:20 offset1:22
	s_waitcnt lgkmcnt(3)
	v_pk_mul_f32 v[12:13], v[2:3], v[12:13]
	ds_read2st64_b32 v[14:15], v8 offset0:24 offset1:26
	ds_write2st64_b32 v8, v12, v13 offset0:16 offset1:18
	ds_read2st64_b32 v[12:13], v8 offset0:28 offset1:30
	s_waitcnt lgkmcnt(3)
	v_pk_mul_f32 v[10:11], v[2:3], v[10:11]
	ds_write2st64_b32 v8, v10, v11 offset0:20 offset1:22
	s_waitcnt lgkmcnt(3)
	v_pk_mul_f32 v[10:11], v[2:3], v[14:15]
	ds_write2st64_b32 v8, v10, v11 offset0:24 offset1:26
	s_waitcnt lgkmcnt(2)
	v_pk_mul_f32 v[10:11], v[2:3], v[12:13]
	s_add_i32 s34, s34, 16
	v_cmp_eq_u32_e32 vcc, 0, v7
	ds_write2st64_b32 v8, v10, v11 offset0:28 offset1:30
	v_add_u32_e32 v8, 0x2000, v8
	s_or_b64 s[30:31], vcc, s[30:31]
	v_mov_b32_e32 v9, s34
	s_andn2_b64 exec, exec, s[30:31]
	s_cbranch_execnz .LBB129_37
; %bb.38:
	s_or_b64 exec, exec, s[30:31]
.LBB129_39:
	s_or_b64 exec, exec, s[8:9]
	v_and_b32_e32 v5, 7, v5
	v_cmp_ne_u32_e32 vcc, 0, v5
	s_and_saveexec_b64 s[8:9], vcc
	s_cbranch_execz .LBB129_42
; %bb.40:
	v_lshlrev_b32_e32 v7, 9, v9
	v_lshlrev_b32_e32 v8, 2, v0
	s_movk_i32 s30, 0xd0
	v_add3_u32 v7, v7, v8, s30
	s_mov_b64 s[30:31], 0
.LBB129_41:                             ; =>This Inner Loop Header: Depth=1
	ds_read2st64_b32 v[8:9], v7 offset1:2
	v_add_u32_e32 v5, -1, v5
	v_cmp_eq_u32_e32 vcc, 0, v5
	s_or_b64 s[30:31], vcc, s[30:31]
	s_waitcnt lgkmcnt(0)
	v_pk_mul_f32 v[8:9], v[2:3], v[8:9]
	ds_write2st64_b32 v7, v8, v9 offset1:2
	v_add_u32_e32 v7, 0x400, v7
	s_andn2_b64 exec, exec, s[30:31]
	s_cbranch_execnz .LBB129_41
.LBB129_42:
	s_or_b64 exec, exec, s[8:9]
	v_add_u32_e32 v4, 1, v4
	v_and_b32_e32 v5, 0x3fffffe, v4
	v_cmp_ne_u32_e32 vcc, v4, v5
	v_lshl_add_u32 v3, v5, 7, v0
	s_orn2_b64 s[8:9], vcc, exec
.LBB129_43:
	s_or_b64 exec, exec, s[2:3]
	s_and_b64 exec, exec, s[8:9]
	s_cbranch_execz .LBB129_46
; %bb.44:
	v_mov_b32_e32 v4, 0xd0
	v_lshl_add_u32 v4, v3, 2, v4
	s_mov_b64 s[2:3], 0
.LBB129_45:                             ; =>This Inner Loop Header: Depth=1
	ds_read_b32 v5, v4
	v_add_u32_e32 v3, 0x80, v3
	v_cmp_le_i32_e32 vcc, s15, v3
	s_or_b64 s[2:3], vcc, s[2:3]
	s_waitcnt lgkmcnt(0)
	v_mul_f32_e32 v5, v2, v5
	ds_write_b32 v4, v5
	v_add_u32_e32 v4, 0x200, v4
	s_andn2_b64 exec, exec, s[2:3]
	s_cbranch_execnz .LBB129_45
.LBB129_46:
	s_or_b64 exec, exec, s[0:1]
	v_mov_b32_e32 v23, 0
	v_and_b32_e32 v33, 1, v0
	v_mov_b32_e32 v22, 0
	v_mov_b32_e32 v24, 0
	s_waitcnt lgkmcnt(0)
	s_barrier
	s_and_saveexec_b64 s[8:9], s[6:7]
	s_cbranch_execz .LBB129_58
; %bb.47:
	s_ashr_i32 s15, s14, 31
	s_sub_i32 s17, s12, s17
	s_lshl_b64 s[0:1], s[14:15], 1
	s_add_u32 s0, s28, s0
	s_addc_u32 s1, s29, s1
	s_abs_i32 s18, s18
	v_cvt_f32_u32_e32 v3, s18
	v_lshlrev_b32_e32 v2, 3, v0
	v_and_b32_e32 v34, 8, v2
	v_mov_b32_e32 v25, 0
	v_rcp_iflag_f32_e32 v2, v3
	v_lshlrev_b32_e32 v3, 4, v0
	v_and_b32_e32 v24, 0x3f0, v3
	v_lshl_add_u64 v[26:27], s[0:1], 0, v[24:25]
	v_mul_f32_e32 v2, 0x4f7ffffe, v2
	v_cvt_u32_f32_e32 v2, v2
	s_sub_i32 s0, 0, s18
	s_add_i32 s29, s16, -1
	v_and_b32_e32 v24, 60, v6
	v_mul_lo_u32 v3, s0, v2
	v_mul_hi_u32 v3, v2, v3
	s_lshl_b64 s[0:1], s[26:27], 2
	v_add_u32_e32 v35, v2, v3
	s_add_u32 s0, s24, s0
	v_lshlrev_b32_e32 v2, 5, v33
	s_addc_u32 s1, s25, s1
	v_lshl_or_b32 v2, v1, 6, v2
	s_mov_b32 s28, s13
	s_mov_b32 s30, s33
	v_lshl_add_u64 v[28:29], s[0:1], 0, v[24:25]
	v_add_u32_e32 v36, 0xd0, v2
	s_mov_b64 s[6:7], 0
	s_mov_b32 s24, 0x5040100
	v_mov_b32_e32 v24, 0
	v_mov_b32_e32 v22, 0
	;; [unrolled: 1-line block ×3, first 2 shown]
	s_branch .LBB129_50
.LBB129_48:                             ;   in Loop: Header=BB129_50 Depth=1
	s_or_b64 exec, exec, s[2:3]
	s_waitcnt lgkmcnt(1)
	v_cvt_pk_bf16_f32 v14, v14, s0
	v_cvt_pk_bf16_f32 v15, v15, s0
	;; [unrolled: 1-line block ×4, first 2 shown]
	s_waitcnt vmcnt(1)
	v_and_b32_e32 v37, 0xffff0000, v18
	v_lshlrev_b32_e32 v15, 16, v15
	v_lshlrev_b32_e32 v18, 16, v18
	;; [unrolled: 1-line block ×3, first 2 shown]
	v_mul_f32_e32 v37, v15, v37
	v_mul_f32_e32 v18, v14, v18
	v_and_b32_e32 v38, 0xffff0000, v19
	v_lshlrev_b32_e32 v17, 16, v17
	v_lshlrev_b32_e32 v19, 16, v19
	;; [unrolled: 1-line block ×3, first 2 shown]
	s_waitcnt lgkmcnt(0)
	v_cvt_pk_bf16_f32 v10, v10, s0
	v_cvt_pk_bf16_f32 v11, v11, s0
	;; [unrolled: 1-line block ×4, first 2 shown]
	v_mul_f32_e32 v38, v17, v38
	v_mul_f32_e32 v19, v16, v19
	v_cvt_pk_bf16_f32 v38, v38, s0
	v_cvt_pk_bf16_f32 v19, v19, s0
	v_and_b32_e32 v39, 0xffff0000, v20
	v_lshlrev_b32_e32 v11, 16, v11
	v_lshlrev_b32_e32 v20, 16, v20
	;; [unrolled: 1-line block ×5, first 2 shown]
	v_cvt_pk_bf16_f32 v12, v12, s0
	v_cvt_pk_bf16_f32 v13, v13, s0
	v_mul_f32_e32 v39, v11, v39
	v_mul_f32_e32 v20, v10, v20
	v_add_f32_e32 v18, v18, v37
	v_lshlrev_b32_e32 v19, 16, v19
	v_lshlrev_b32_e32 v37, 16, v38
	v_cvt_pk_bf16_f32 v39, v39, s0
	v_cvt_pk_bf16_f32 v20, v20, s0
	v_and_b32_e32 v40, 0xffff0000, v21
	v_lshlrev_b32_e32 v13, 16, v13
	v_lshlrev_b32_e32 v21, 16, v21
	;; [unrolled: 1-line block ×3, first 2 shown]
	v_add_f32_e32 v19, v19, v37
	v_mul_f32_e32 v40, v13, v40
	v_mul_f32_e32 v21, v12, v21
	v_add_f32_e32 v18, v19, v18
	v_lshlrev_b32_e32 v19, 16, v20
	v_lshlrev_b32_e32 v20, 16, v39
	v_cvt_pk_bf16_f32 v40, v40, s0
	v_cvt_pk_bf16_f32 v21, v21, s0
	v_add_f32_e32 v19, v19, v20
	v_add_f32_e32 v18, v19, v18
	v_lshlrev_b32_e32 v19, 16, v21
	v_lshlrev_b32_e32 v20, 16, v40
	v_add_f32_e32 v19, v19, v20
	v_add_f32_e32 v18, v19, v18
	;; [unrolled: 1-line block ×3, first 2 shown]
	v_and_b32_e32 v18, 0xffff0000, v2
	v_lshlrev_b32_e32 v2, 16, v2
	v_mul_f32_e32 v18, v15, v18
	v_mul_f32_e32 v2, v14, v2
	v_and_b32_e32 v19, 0xffff0000, v3
	v_lshlrev_b32_e32 v3, 16, v3
	v_cvt_pk_bf16_f32 v18, v18, s0
	v_cvt_pk_bf16_f32 v2, v2, s0
	v_mul_f32_e32 v19, v17, v19
	v_mul_f32_e32 v3, v16, v3
	v_cvt_pk_bf16_f32 v19, v19, s0
	v_cvt_pk_bf16_f32 v3, v3, s0
	v_and_b32_e32 v20, 0xffff0000, v4
	v_lshlrev_b32_e32 v4, 16, v4
	v_lshlrev_b32_e32 v2, 16, v2
	;; [unrolled: 1-line block ×3, first 2 shown]
	v_mul_f32_e32 v20, v11, v20
	v_mul_f32_e32 v4, v10, v4
	v_add_f32_e32 v2, v2, v18
	v_lshlrev_b32_e32 v3, 16, v3
	v_lshlrev_b32_e32 v18, 16, v19
	v_cvt_pk_bf16_f32 v20, v20, s0
	v_cvt_pk_bf16_f32 v4, v4, s0
	v_and_b32_e32 v21, 0xffff0000, v5
	v_lshlrev_b32_e32 v5, 16, v5
	v_add_f32_e32 v3, v3, v18
	v_mul_f32_e32 v21, v13, v21
	v_mul_f32_e32 v5, v12, v5
	v_add_f32_e32 v2, v3, v2
	v_lshlrev_b32_e32 v3, 16, v4
	v_lshlrev_b32_e32 v4, 16, v20
	v_cvt_pk_bf16_f32 v21, v21, s0
	v_cvt_pk_bf16_f32 v5, v5, s0
	v_add_f32_e32 v3, v3, v4
	v_add_f32_e32 v2, v3, v2
	v_lshlrev_b32_e32 v3, 16, v5
	v_lshlrev_b32_e32 v4, 16, v21
	v_add_f32_e32 v3, v3, v4
	v_add_f32_e32 v2, v3, v2
	;; [unrolled: 1-line block ×3, first 2 shown]
	s_waitcnt vmcnt(0)
	v_and_b32_e32 v2, 0xffff0000, v6
	v_lshlrev_b32_e32 v3, 16, v6
	v_and_b32_e32 v4, 0xffff0000, v7
	v_lshlrev_b32_e32 v5, 16, v7
	v_mul_f32_e32 v2, v15, v2
	v_mul_f32_e32 v3, v14, v3
	;; [unrolled: 1-line block ×4, first 2 shown]
	v_and_b32_e32 v6, 0xffff0000, v8
	v_lshlrev_b32_e32 v7, 16, v8
	v_cvt_pk_bf16_f32 v2, v2, s0
	v_cvt_pk_bf16_f32 v3, v3, s0
	;; [unrolled: 1-line block ×4, first 2 shown]
	v_mul_f32_e32 v6, v11, v6
	v_mul_f32_e32 v7, v10, v7
	v_and_b32_e32 v8, 0xffff0000, v9
	v_lshlrev_b32_e32 v9, 16, v9
	v_cvt_pk_bf16_f32 v6, v6, s0
	v_cvt_pk_bf16_f32 v7, v7, s0
	v_mul_f32_e32 v8, v13, v8
	v_mul_f32_e32 v9, v12, v9
	v_lshlrev_b32_e32 v3, 16, v3
	v_lshlrev_b32_e32 v2, 16, v2
	;; [unrolled: 1-line block ×4, first 2 shown]
	v_cvt_pk_bf16_f32 v8, v8, s0
	v_cvt_pk_bf16_f32 v9, v9, s0
	v_lshlrev_b32_e32 v7, 16, v7
	v_lshlrev_b32_e32 v6, 16, v6
	v_add_f32_e32 v2, v2, v3
	v_add_f32_e32 v3, v4, v5
	v_lshlrev_b32_e32 v9, 16, v9
	v_lshlrev_b32_e32 v8, 16, v8
	v_add_f32_e32 v2, v3, v2
	v_add_f32_e32 v3, v6, v7
	;; [unrolled: 1-line block ×6, first 2 shown]
.LBB129_49:                             ;   in Loop: Header=BB129_50 Depth=1
	s_or_b64 exec, exec, s[12:13]
	v_add_u32_e32 v1, 2, v1
	v_cmp_le_i32_e32 vcc, s16, v1
	v_lshl_add_u64 v[28:29], v[28:29], 0, 8
	v_add_u32_e32 v30, 32, v30
	s_or_b64 s[6:7], vcc, s[6:7]
	v_add_u32_e32 v36, 0x80, v36
	s_andn2_b64 exec, exec, s[6:7]
	s_cbranch_execz .LBB129_57
.LBB129_50:                             ; =>This Inner Loop Header: Depth=1
	v_mul_hi_u32 v2, v30, s40
	v_mul_lo_u32 v3, v2, s21
	v_sub_u32_e32 v3, v30, v3
	v_add_u32_e32 v4, 1, v2
	v_cmp_le_u32_e32 vcc, s21, v3
	s_nop 1
	v_cndmask_b32_e32 v2, v2, v4, vcc
	v_subrev_u32_e32 v4, s21, v3
	v_cndmask_b32_e32 v3, v3, v4, vcc
	v_add_u32_e32 v4, 1, v2
	v_cmp_le_u32_e32 vcc, s21, v3
	s_nop 1
	v_cndmask_b32_e32 v2, v2, v4, vcc
	v_xor_b32_e32 v2, s19, v2
	v_subrev_u32_e32 v2, s19, v2
	v_add_u32_e32 v3, s41, v2
	v_sub_u32_e32 v5, 0, v3
	v_ashrrev_i32_e32 v4, 31, v3
	v_max_i32_e32 v3, v3, v5
	v_mul_hi_u32 v5, v3, v35
	v_mul_lo_u32 v5, v5, s18
	v_sub_u32_e32 v3, v3, v5
	v_subrev_u32_e32 v5, s18, v3
	v_cmp_le_u32_e32 vcc, s18, v3
	v_cmp_lt_i32_e64 s[0:1], s17, v2
	s_nop 0
	v_cndmask_b32_e32 v3, v3, v5, vcc
	v_subrev_u32_e32 v5, s18, v3
	v_cmp_le_u32_e32 vcc, s18, v3
	s_nop 1
	v_cndmask_b32_e32 v3, v3, v5, vcc
	v_xor_b32_e32 v3, v3, v4
	v_sub_u32_e32 v3, v3, v4
	v_cmp_eq_u32_e32 vcc, 0, v3
	s_or_b64 s[0:1], vcc, s[0:1]
	s_and_saveexec_b64 s[12:13], s[0:1]
	s_cbranch_execz .LBB129_49
; %bb.51:                               ;   in Loop: Header=BB129_50 Depth=1
	global_load_dword v2, v[28:29], off
	v_add_u32_e32 v39, v34, v30
	v_add_u32_e32 v44, 1, v39
	v_or_b32_e32 v42, 3, v39
	v_or_b32_e32 v43, 2, v39
	;; [unrolled: 1-line block ×6, first 2 shown]
	s_waitcnt vmcnt(0)
	v_mad_i64_i32 v[2:3], s[0:1], v2, s28, 0
	v_lshl_add_u64 v[6:7], v[2:3], 1, v[26:27]
	global_load_dwordx4 v[2:5], v[6:7], off
	ds_read2_b64 v[14:17], v36 offset1:1
	ds_read2_b64 v[10:13], v36 offset0:2 offset1:3
	v_cmp_eq_u32_e64 s[0:1], s29, v1
	s_and_saveexec_b64 s[14:15], s[0:1]
	s_cbranch_execnz .LBB129_54
; %bb.52:                               ;   in Loop: Header=BB129_50 Depth=1
	s_or_b64 exec, exec, s[14:15]
	global_load_dwordx4 v[18:21], v[6:7], off offset:1024
	s_and_saveexec_b64 s[14:15], s[0:1]
	s_cbranch_execnz .LBB129_55
.LBB129_53:                             ;   in Loop: Header=BB129_50 Depth=1
	s_or_b64 exec, exec, s[14:15]
	global_load_dwordx4 v[6:9], v[6:7], off offset:2048
	s_and_saveexec_b64 s[2:3], s[0:1]
	s_cbranch_execz .LBB129_48
	s_branch .LBB129_56
.LBB129_54:                             ;   in Loop: Header=BB129_50 Depth=1
	v_cmp_gt_i32_e32 vcc, s30, v44
	v_cmp_gt_i32_e64 s[2:3], s33, v43
	s_waitcnt vmcnt(0)
	v_cndmask_b32_sdwa v8, v25, v2, vcc dst_sel:DWORD dst_unused:UNUSED_PAD src0_sel:DWORD src1_sel:WORD_1
	v_cmp_gt_i32_e32 vcc, s33, v39
	s_nop 1
	v_cndmask_b32_e32 v2, 0, v2, vcc
	v_cmp_gt_i32_e32 vcc, s30, v42
	v_perm_b32 v2, v8, v2, s24
	v_cndmask_b32_e64 v8, 0, v3, s[2:3]
	v_cndmask_b32_sdwa v3, v25, v3, vcc dst_sel:DWORD dst_unused:UNUSED_PAD src0_sel:DWORD src1_sel:WORD_1
	v_cmp_gt_i32_e32 vcc, s30, v40
	v_cmp_gt_i32_e64 s[2:3], s33, v41
	v_perm_b32 v3, v3, v8, s24
	s_nop 0
	v_cndmask_b32_e64 v8, 0, v4, s[2:3]
	v_cndmask_b32_sdwa v4, v25, v4, vcc dst_sel:DWORD dst_unused:UNUSED_PAD src0_sel:DWORD src1_sel:WORD_1
	v_cmp_gt_i32_e32 vcc, s30, v37
	v_cmp_gt_i32_e64 s[2:3], s33, v38
	v_perm_b32 v4, v4, v8, s24
	s_nop 0
	v_cndmask_b32_e64 v8, 0, v5, s[2:3]
	v_cndmask_b32_sdwa v5, v25, v5, vcc dst_sel:DWORD dst_unused:UNUSED_PAD src0_sel:DWORD src1_sel:WORD_1
	v_perm_b32 v5, v5, v8, s24
	s_or_b64 exec, exec, s[14:15]
	global_load_dwordx4 v[18:21], v[6:7], off offset:1024
	s_and_saveexec_b64 s[14:15], s[0:1]
	s_cbranch_execz .LBB129_53
.LBB129_55:                             ;   in Loop: Header=BB129_50 Depth=1
	v_cmp_gt_i32_e32 vcc, s30, v44
	v_cmp_gt_i32_e64 s[2:3], s33, v43
	s_waitcnt vmcnt(0)
	v_cndmask_b32_sdwa v8, v25, v18, vcc dst_sel:DWORD dst_unused:UNUSED_PAD src0_sel:DWORD src1_sel:WORD_1
	v_cmp_gt_i32_e32 vcc, s33, v39
	s_nop 1
	v_cndmask_b32_e32 v9, 0, v18, vcc
	v_cmp_gt_i32_e32 vcc, s30, v42
	v_perm_b32 v18, v8, v9, s24
	v_cndmask_b32_e64 v8, 0, v19, s[2:3]
	v_cndmask_b32_sdwa v9, v25, v19, vcc dst_sel:DWORD dst_unused:UNUSED_PAD src0_sel:DWORD src1_sel:WORD_1
	v_cmp_gt_i32_e32 vcc, s30, v40
	v_cmp_gt_i32_e64 s[2:3], s33, v41
	v_perm_b32 v19, v9, v8, s24
	v_cndmask_b32_sdwa v9, v25, v20, vcc dst_sel:DWORD dst_unused:UNUSED_PAD src0_sel:DWORD src1_sel:WORD_1
	v_cndmask_b32_e64 v8, 0, v20, s[2:3]
	v_cmp_gt_i32_e32 vcc, s30, v37
	v_cmp_gt_i32_e64 s[2:3], s33, v38
	v_perm_b32 v20, v9, v8, s24
	v_cndmask_b32_sdwa v9, v25, v21, vcc dst_sel:DWORD dst_unused:UNUSED_PAD src0_sel:DWORD src1_sel:WORD_1
	v_cndmask_b32_e64 v8, 0, v21, s[2:3]
	v_perm_b32 v21, v9, v8, s24
	s_or_b64 exec, exec, s[14:15]
	global_load_dwordx4 v[6:9], v[6:7], off offset:2048
	s_and_saveexec_b64 s[2:3], s[0:1]
	s_cbranch_execz .LBB129_48
.LBB129_56:                             ;   in Loop: Header=BB129_50 Depth=1
	v_cmp_gt_i32_e32 vcc, s30, v44
	v_cmp_gt_i32_e64 s[0:1], s33, v43
	s_waitcnt vmcnt(0)
	v_cndmask_b32_sdwa v44, v25, v6, vcc dst_sel:DWORD dst_unused:UNUSED_PAD src0_sel:DWORD src1_sel:WORD_1
	v_cmp_gt_i32_e32 vcc, s33, v39
	v_cndmask_b32_e64 v39, 0, v7, s[0:1]
	v_cmp_gt_i32_e64 s[0:1], s33, v41
	v_cndmask_b32_e32 v6, 0, v6, vcc
	v_cmp_gt_i32_e32 vcc, s30, v42
	v_perm_b32 v6, v44, v6, s24
	s_nop 0
	v_cndmask_b32_sdwa v7, v25, v7, vcc dst_sel:DWORD dst_unused:UNUSED_PAD src0_sel:DWORD src1_sel:WORD_1
	v_cmp_gt_i32_e32 vcc, s30, v40
	v_perm_b32 v7, v7, v39, s24
	v_cndmask_b32_e64 v39, 0, v8, s[0:1]
	v_cndmask_b32_sdwa v8, v25, v8, vcc dst_sel:DWORD dst_unused:UNUSED_PAD src0_sel:DWORD src1_sel:WORD_1
	v_cmp_gt_i32_e32 vcc, s30, v37
	v_cmp_gt_i32_e64 s[0:1], s33, v38
	v_perm_b32 v8, v8, v39, s24
	s_nop 0
	v_cndmask_b32_e64 v37, 0, v9, s[0:1]
	v_cndmask_b32_sdwa v9, v25, v9, vcc dst_sel:DWORD dst_unused:UNUSED_PAD src0_sel:DWORD src1_sel:WORD_1
	v_perm_b32 v9, v9, v37, s24
	s_branch .LBB129_48
.LBB129_57:
	s_or_b64 exec, exec, s[6:7]
.LBB129_58:
	s_or_b64 exec, exec, s[8:9]
	ds_bpermute_b32 v2, v32, v22
	ds_bpermute_b32 v3, v32, v23
	;; [unrolled: 1-line block ×3, first 2 shown]
	v_and_b32_e32 v4, 0x3c1, v0
	v_cmp_ne_u32_e32 vcc, 64, v4
	s_waitcnt lgkmcnt(0)
	v_pk_add_f32 v[2:3], v[22:23], v[2:3]
	s_barrier
	s_and_saveexec_b64 s[0:1], vcc
	s_xor_b64 s[0:1], exec, s[0:1]
; %bb.59:
                                        ; implicit-def: $vgpr31
; %bb.60:
	s_or_saveexec_b64 s[0:1], s[0:1]
	v_add_f32_e32 v1, v24, v1
	s_xor_b64 exec, exec, s[0:1]
	s_cbranch_execz .LBB129_62
; %bb.61:
	v_mov_b32_e32 v5, 0xd0
	v_lshl_add_u32 v5, v31, 1, v5
	ds_write2_b32 v5, v2, v3 offset1:32
	ds_write_b32 v5, v1 offset:256
.LBB129_62:
	s_or_b64 exec, exec, s[0:1]
	v_cmp_gt_u32_e32 vcc, 64, v0
	v_lshrrev_b32_e32 v0, 1, v0
	s_waitcnt lgkmcnt(0)
	s_barrier
	s_and_saveexec_b64 s[0:1], vcc
	s_cbranch_execz .LBB129_68
; %bb.63:
	v_mov_b32_e32 v5, 0xd0
	v_cmp_eq_u32_e32 vcc, 0, v33
	v_lshl_add_u32 v5, v0, 2, v5
	s_and_saveexec_b64 s[2:3], vcc
	s_cbranch_execnz .LBB129_71
; %bb.64:
	s_or_b64 exec, exec, s[2:3]
	s_and_saveexec_b64 s[2:3], vcc
	s_cbranch_execnz .LBB129_72
.LBB129_65:
	s_or_b64 exec, exec, s[2:3]
	s_and_saveexec_b64 s[2:3], vcc
	s_cbranch_execz .LBB129_67
.LBB129_66:
	ds_read_b32 v5, v5 offset:256
	s_waitcnt lgkmcnt(0)
	v_add_f32_e32 v1, v1, v5
.LBB129_67:
	s_or_b64 exec, exec, s[2:3]
.LBB129_68:
	s_or_b64 exec, exec, s[0:1]
	v_cmp_eq_u32_e32 vcc, 0, v4
	s_barrier
	s_and_saveexec_b64 s[0:1], vcc
	s_cbranch_execz .LBB129_70
; %bb.69:
	s_mul_i32 s0, s10, s11
	s_mul_i32 s0, s0, s5
	s_mulk_i32 s0, 0x60
	s_ashr_i32 s1, s0, 31
	s_lshl_b64 s[0:1], s[0:1], 1
	s_add_u32 s2, s22, s0
	s_mul_i32 s0, s11, s20
	s_addc_u32 s3, s23, s1
	s_ashr_i32 s1, s0, 31
	s_lshl_b64 s[0:1], s[0:1], 1
	s_add_u32 s2, s2, s0
	s_mul_i32 s0, s4, 0x60
	s_addc_u32 s3, s3, s1
	s_ashr_i32 s1, s0, 31
	s_lshl_b64 s[0:1], s[0:1], 1
	s_add_u32 s0, s2, s0
	s_addc_u32 s1, s3, s1
	v_lshlrev_b32_e32 v0, 1, v0
	v_cvt_pk_bf16_f32 v2, v2, s0
	global_store_short v0, v2, s[0:1]
	v_cvt_pk_bf16_f32 v2, v3, s0
	v_cvt_pk_bf16_f32 v1, v1, s0
	global_store_short v0, v2, s[0:1] offset:64
	global_store_short v0, v1, s[0:1] offset:128
.LBB129_70:
	s_endpgm
.LBB129_71:
	ds_read_b32 v6, v5
	s_waitcnt lgkmcnt(0)
	v_add_f32_e32 v2, v2, v6
	s_or_b64 exec, exec, s[2:3]
	s_and_saveexec_b64 s[2:3], vcc
	s_cbranch_execz .LBB129_65
.LBB129_72:
	ds_read_b32 v6, v5 offset:128
	s_waitcnt lgkmcnt(0)
	v_add_f32_e32 v3, v3, v6
	s_or_b64 exec, exec, s[2:3]
	s_and_saveexec_b64 s[2:3], vcc
	s_cbranch_execnz .LBB129_66
	s_branch .LBB129_67
	.section	.rodata,"a",@progbits
	.p2align	6, 0x0
	.amdhsa_kernel _ZN4vllm25paged_attention_v1_kernelI14__hip_bfloat16S1_Li96ELi16ELi128ELNS_18Fp8KVCacheDataTypeE0ELb1EEEvPT_PKS3_PKT0_S9_ifPKiSB_iPKfiiiSD_SD_iiiii
		.amdhsa_group_segment_fixed_size 208
		.amdhsa_private_segment_fixed_size 0
		.amdhsa_kernarg_size 384
		.amdhsa_user_sgpr_count 2
		.amdhsa_user_sgpr_dispatch_ptr 0
		.amdhsa_user_sgpr_queue_ptr 0
		.amdhsa_user_sgpr_kernarg_segment_ptr 1
		.amdhsa_user_sgpr_dispatch_id 0
		.amdhsa_user_sgpr_kernarg_preload_length 0
		.amdhsa_user_sgpr_kernarg_preload_offset 0
		.amdhsa_user_sgpr_private_segment_size 0
		.amdhsa_uses_dynamic_stack 0
		.amdhsa_enable_private_segment 0
		.amdhsa_system_sgpr_workgroup_id_x 1
		.amdhsa_system_sgpr_workgroup_id_y 1
		.amdhsa_system_sgpr_workgroup_id_z 1
		.amdhsa_system_sgpr_workgroup_info 0
		.amdhsa_system_vgpr_workitem_id 0
		.amdhsa_next_free_vgpr 71
		.amdhsa_next_free_sgpr 44
		.amdhsa_accum_offset 72
		.amdhsa_reserve_vcc 1
		.amdhsa_float_round_mode_32 0
		.amdhsa_float_round_mode_16_64 0
		.amdhsa_float_denorm_mode_32 3
		.amdhsa_float_denorm_mode_16_64 3
		.amdhsa_dx10_clamp 1
		.amdhsa_ieee_mode 1
		.amdhsa_fp16_overflow 0
		.amdhsa_tg_split 0
		.amdhsa_exception_fp_ieee_invalid_op 0
		.amdhsa_exception_fp_denorm_src 0
		.amdhsa_exception_fp_ieee_div_zero 0
		.amdhsa_exception_fp_ieee_overflow 0
		.amdhsa_exception_fp_ieee_underflow 0
		.amdhsa_exception_fp_ieee_inexact 0
		.amdhsa_exception_int_div_zero 0
	.end_amdhsa_kernel
	.section	.text._ZN4vllm25paged_attention_v1_kernelI14__hip_bfloat16S1_Li96ELi16ELi128ELNS_18Fp8KVCacheDataTypeE0ELb1EEEvPT_PKS3_PKT0_S9_ifPKiSB_iPKfiiiSD_SD_iiiii,"axG",@progbits,_ZN4vllm25paged_attention_v1_kernelI14__hip_bfloat16S1_Li96ELi16ELi128ELNS_18Fp8KVCacheDataTypeE0ELb1EEEvPT_PKS3_PKT0_S9_ifPKiSB_iPKfiiiSD_SD_iiiii,comdat
.Lfunc_end129:
	.size	_ZN4vllm25paged_attention_v1_kernelI14__hip_bfloat16S1_Li96ELi16ELi128ELNS_18Fp8KVCacheDataTypeE0ELb1EEEvPT_PKS3_PKT0_S9_ifPKiSB_iPKfiiiSD_SD_iiiii, .Lfunc_end129-_ZN4vllm25paged_attention_v1_kernelI14__hip_bfloat16S1_Li96ELi16ELi128ELNS_18Fp8KVCacheDataTypeE0ELb1EEEvPT_PKS3_PKT0_S9_ifPKiSB_iPKfiiiSD_SD_iiiii
                                        ; -- End function
	.set _ZN4vllm25paged_attention_v1_kernelI14__hip_bfloat16S1_Li96ELi16ELi128ELNS_18Fp8KVCacheDataTypeE0ELb1EEEvPT_PKS3_PKT0_S9_ifPKiSB_iPKfiiiSD_SD_iiiii.num_vgpr, 71
	.set _ZN4vllm25paged_attention_v1_kernelI14__hip_bfloat16S1_Li96ELi16ELi128ELNS_18Fp8KVCacheDataTypeE0ELb1EEEvPT_PKS3_PKT0_S9_ifPKiSB_iPKfiiiSD_SD_iiiii.num_agpr, 0
	.set _ZN4vllm25paged_attention_v1_kernelI14__hip_bfloat16S1_Li96ELi16ELi128ELNS_18Fp8KVCacheDataTypeE0ELb1EEEvPT_PKS3_PKT0_S9_ifPKiSB_iPKfiiiSD_SD_iiiii.numbered_sgpr, 44
	.set _ZN4vllm25paged_attention_v1_kernelI14__hip_bfloat16S1_Li96ELi16ELi128ELNS_18Fp8KVCacheDataTypeE0ELb1EEEvPT_PKS3_PKT0_S9_ifPKiSB_iPKfiiiSD_SD_iiiii.num_named_barrier, 0
	.set _ZN4vllm25paged_attention_v1_kernelI14__hip_bfloat16S1_Li96ELi16ELi128ELNS_18Fp8KVCacheDataTypeE0ELb1EEEvPT_PKS3_PKT0_S9_ifPKiSB_iPKfiiiSD_SD_iiiii.private_seg_size, 0
	.set _ZN4vllm25paged_attention_v1_kernelI14__hip_bfloat16S1_Li96ELi16ELi128ELNS_18Fp8KVCacheDataTypeE0ELb1EEEvPT_PKS3_PKT0_S9_ifPKiSB_iPKfiiiSD_SD_iiiii.uses_vcc, 1
	.set _ZN4vllm25paged_attention_v1_kernelI14__hip_bfloat16S1_Li96ELi16ELi128ELNS_18Fp8KVCacheDataTypeE0ELb1EEEvPT_PKS3_PKT0_S9_ifPKiSB_iPKfiiiSD_SD_iiiii.uses_flat_scratch, 0
	.set _ZN4vllm25paged_attention_v1_kernelI14__hip_bfloat16S1_Li96ELi16ELi128ELNS_18Fp8KVCacheDataTypeE0ELb1EEEvPT_PKS3_PKT0_S9_ifPKiSB_iPKfiiiSD_SD_iiiii.has_dyn_sized_stack, 0
	.set _ZN4vllm25paged_attention_v1_kernelI14__hip_bfloat16S1_Li96ELi16ELi128ELNS_18Fp8KVCacheDataTypeE0ELb1EEEvPT_PKS3_PKT0_S9_ifPKiSB_iPKfiiiSD_SD_iiiii.has_recursion, 0
	.set _ZN4vllm25paged_attention_v1_kernelI14__hip_bfloat16S1_Li96ELi16ELi128ELNS_18Fp8KVCacheDataTypeE0ELb1EEEvPT_PKS3_PKT0_S9_ifPKiSB_iPKfiiiSD_SD_iiiii.has_indirect_call, 0
	.section	.AMDGPU.csdata,"",@progbits
; Kernel info:
; codeLenInByte = 5628
; TotalNumSgprs: 50
; NumVgprs: 71
; NumAgprs: 0
; TotalNumVgprs: 71
; ScratchSize: 0
; MemoryBound: 0
; FloatMode: 240
; IeeeMode: 1
; LDSByteSize: 208 bytes/workgroup (compile time only)
; SGPRBlocks: 6
; VGPRBlocks: 8
; NumSGPRsForWavesPerEU: 50
; NumVGPRsForWavesPerEU: 71
; AccumOffset: 72
; Occupancy: 7
; WaveLimiterHint : 1
; COMPUTE_PGM_RSRC2:SCRATCH_EN: 0
; COMPUTE_PGM_RSRC2:USER_SGPR: 2
; COMPUTE_PGM_RSRC2:TRAP_HANDLER: 0
; COMPUTE_PGM_RSRC2:TGID_X_EN: 1
; COMPUTE_PGM_RSRC2:TGID_Y_EN: 1
; COMPUTE_PGM_RSRC2:TGID_Z_EN: 1
; COMPUTE_PGM_RSRC2:TIDIG_COMP_CNT: 0
; COMPUTE_PGM_RSRC3_GFX90A:ACCUM_OFFSET: 17
; COMPUTE_PGM_RSRC3_GFX90A:TG_SPLIT: 0
	.section	.text._ZN4vllm25paged_attention_v1_kernelI14__hip_bfloat16S1_Li112ELi16ELi128ELNS_18Fp8KVCacheDataTypeE0ELb1EEEvPT_PKS3_PKT0_S9_ifPKiSB_iPKfiiiSD_SD_iiiii,"axG",@progbits,_ZN4vllm25paged_attention_v1_kernelI14__hip_bfloat16S1_Li112ELi16ELi128ELNS_18Fp8KVCacheDataTypeE0ELb1EEEvPT_PKS3_PKT0_S9_ifPKiSB_iPKfiiiSD_SD_iiiii,comdat
	.protected	_ZN4vllm25paged_attention_v1_kernelI14__hip_bfloat16S1_Li112ELi16ELi128ELNS_18Fp8KVCacheDataTypeE0ELb1EEEvPT_PKS3_PKT0_S9_ifPKiSB_iPKfiiiSD_SD_iiiii ; -- Begin function _ZN4vllm25paged_attention_v1_kernelI14__hip_bfloat16S1_Li112ELi16ELi128ELNS_18Fp8KVCacheDataTypeE0ELb1EEEvPT_PKS3_PKT0_S9_ifPKiSB_iPKfiiiSD_SD_iiiii
	.globl	_ZN4vllm25paged_attention_v1_kernelI14__hip_bfloat16S1_Li112ELi16ELi128ELNS_18Fp8KVCacheDataTypeE0ELb1EEEvPT_PKS3_PKT0_S9_ifPKiSB_iPKfiiiSD_SD_iiiii
	.p2align	8
	.type	_ZN4vllm25paged_attention_v1_kernelI14__hip_bfloat16S1_Li112ELi16ELi128ELNS_18Fp8KVCacheDataTypeE0ELb1EEEvPT_PKS3_PKT0_S9_ifPKiSB_iPKfiiiSD_SD_iiiii,@function
_ZN4vllm25paged_attention_v1_kernelI14__hip_bfloat16S1_Li112ELi16ELi128ELNS_18Fp8KVCacheDataTypeE0ELb1EEEvPT_PKS3_PKT0_S9_ifPKiSB_iPKfiiiSD_SD_iiiii: ; @_ZN4vllm25paged_attention_v1_kernelI14__hip_bfloat16S1_Li112ELi16ELi128ELNS_18Fp8KVCacheDataTypeE0ELb1EEEvPT_PKS3_PKT0_S9_ifPKiSB_iPKfiiiSD_SD_iiiii
; %bb.0:
	s_load_dword s5, s[0:1], 0x80
	s_load_dwordx2 s[6:7], s[0:1], 0x30
	s_load_dwordx2 s[30:31], s[0:1], 0x20
	s_mov_b32 s10, s3
	s_ashr_i32 s11, s3, 31
	s_lshl_b64 s[8:9], s[10:11], 2
	s_waitcnt lgkmcnt(0)
	s_add_u32 s6, s6, s8
	s_addc_u32 s7, s7, s9
	s_abs_i32 s3, s30
	v_cvt_f32_u32_e32 v1, s3
	s_sub_i32 s11, 0, s3
	s_abs_i32 s9, s5
	s_xor_b32 s8, s5, s30
	v_rcp_iflag_f32_e32 v1, v1
	s_ashr_i32 s8, s8, 31
	s_mov_b32 s44, 0
	v_mul_f32_e32 v1, 0x4f7ffffe, v1
	v_cvt_u32_f32_e32 v1, v1
	s_nop 0
	v_readfirstlane_b32 s12, v1
	s_mul_i32 s11, s11, s12
	s_mul_hi_u32 s11, s12, s11
	s_add_i32 s12, s12, s11
	s_mul_hi_u32 s11, s9, s12
	s_mul_i32 s12, s11, s3
	s_sub_i32 s9, s9, s12
	s_add_i32 s12, s11, 1
	s_sub_i32 s13, s9, s3
	s_cmp_ge_u32 s9, s3
	s_cselect_b32 s11, s12, s11
	s_cselect_b32 s9, s13, s9
	s_add_i32 s12, s11, 1
	s_cmp_ge_u32 s9, s3
	s_cselect_b32 s3, s12, s11
	s_xor_b32 s3, s3, s8
	s_sub_i32 s16, s3, s8
	s_abs_i32 s11, s16
	v_cvt_f32_u32_e32 v1, s11
	s_load_dwordx2 s[8:9], s[0:1], 0x40
	s_sub_i32 s3, 0, s11
	s_abs_i32 s22, s2
	v_rcp_iflag_f32_e32 v1, v1
	s_nop 0
	v_mul_f32_e32 v1, 0x4f7ffffe, v1
	v_cvt_u32_f32_e32 v1, v1
	s_nop 0
	v_readfirstlane_b32 s12, v1
	s_mul_i32 s3, s3, s12
	s_mul_hi_u32 s3, s12, s3
	s_add_i32 s12, s12, s3
	s_waitcnt lgkmcnt(0)
	s_cmp_eq_u64 s[8:9], 0
	s_mul_hi_u32 s23, s22, s12
	s_cbranch_scc1 .LBB130_2
; %bb.1:
	s_ashr_i32 s3, s2, 31
	s_lshl_b64 s[12:13], s[2:3], 2
	s_add_u32 s8, s8, s12
	s_addc_u32 s9, s9, s13
	s_load_dword s44, s[8:9], 0x0
.LBB130_2:
	s_load_dword s33, s[6:7], 0x0
	s_load_dwordx4 s[12:15], s[0:1], 0x48
	s_ashr_i32 s3, s2, 31
	s_ashr_i32 s9, s16, 31
	v_and_b32_e32 v4, 3, v0
	s_mul_i32 s20, s2, 0x70
	v_cmp_gt_u32_e32 vcc, 56, v0
	s_and_saveexec_b64 s[6:7], vcc
	s_cbranch_execz .LBB130_4
; %bb.3:
	s_load_dwordx2 s[16:17], s[0:1], 0x8
	s_waitcnt lgkmcnt(0)
	s_mul_i32 s18, s12, s10
	s_ashr_i32 s19, s18, 31
	s_lshl_b64 s[18:19], s[18:19], 1
	v_lshlrev_b32_e32 v1, 2, v0
	s_add_u32 s8, s16, s18
	s_addc_u32 s12, s17, s19
	s_ashr_i32 s21, s20, 31
	s_lshl_b64 s[16:17], s[20:21], 1
	s_add_u32 s16, s8, s16
	s_addc_u32 s17, s12, s17
	global_load_dword v1, v1, s[16:17]
	v_and_b32_e32 v2, 0x3fc, v0
	v_mad_u32_u24 v2, v4, 56, v2
	s_waitcnt vmcnt(0)
	ds_write_b32 v2, v1
.LBB130_4:
	s_or_b64 exec, exec, s[6:7]
	s_mul_i32 s6, s23, s11
	s_sub_i32 s6, s22, s6
	s_xor_b32 s3, s3, s9
	s_add_i32 s7, s23, 1
	s_sub_i32 s9, s6, s11
	s_load_dwordx4 s[16:19], s[0:1], 0x68
	s_load_dword s8, s[0:1], 0x78
	s_cmp_ge_u32 s6, s11
	s_cselect_b32 s7, s7, s23
	s_cselect_b32 s6, s9, s6
	s_add_i32 s9, s7, 1
	s_cmp_ge_u32 s6, s11
	s_cselect_b32 s6, s9, s7
	s_waitcnt lgkmcnt(0)
	s_abs_i32 s21, s19
	v_cvt_f32_u32_e32 v1, s21
	s_xor_b32 s6, s6, s3
	s_sub_i32 s3, s6, s3
	s_sub_i32 s6, 0, s21
	v_rcp_iflag_f32_e32 v1, v1
	s_add_i32 s11, s33, -1
	s_abs_i32 s9, s11
	v_mul_f32_e32 v1, 0x4f7ffffe, v1
	v_cvt_u32_f32_e32 v1, v1
	s_barrier
	v_readfirstlane_b32 s40, v1
	s_mul_i32 s6, s6, s40
	s_mul_hi_u32 s6, s40, s6
	s_add_i32 s40, s40, s6
	s_cmp_lt_i32 s8, 0
	s_mul_hi_u32 s12, s9, s40
	s_cbranch_scc0 .LBB130_6
; %bb.5:
	s_mul_i32 s6, s16, s30
	s_add_i32 s6, s3, s6
	s_mul_i32 s6, s6, s8
	s_sub_i32 s41, 1, s6
	s_mov_b64 s[6:7], 0
	s_branch .LBB130_7
.LBB130_6:
	s_mov_b64 s[6:7], -1
                                        ; implicit-def: $sgpr41
.LBB130_7:
	s_load_dwordx2 s[24:25], s[0:1], 0x28
	s_ashr_i32 s15, s11, 31
	s_andn2_b64 vcc, exec, s[6:7]
	s_ashr_i32 s42, s19, 31
	s_cbranch_vccnz .LBB130_9
; %bb.8:
	s_mul_i32 s6, s5, s16
	s_add_i32 s2, s6, s2
	s_mul_i32 s2, s2, s8
	s_add_i32 s41, s2, 1
.LBB130_9:
	s_load_dword s2, s[0:1], 0x38
	s_load_dwordx2 s[22:23], s[0:1], 0x0
	s_load_dwordx2 s[28:29], s[0:1], 0x18
	s_load_dword s11, s[0:1], 0x88
	s_xor_b32 s6, s15, s42
	s_waitcnt lgkmcnt(0)
	s_mul_i32 s26, s2, s10
	s_mul_i32 s2, s12, s21
	s_sub_i32 s2, s9, s2
	s_ashr_i32 s27, s26, 31
	s_add_i32 s7, s12, 1
	s_sub_i32 s8, s2, s21
	s_cmp_ge_u32 s2, s21
	s_cselect_b32 s7, s7, s12
	s_cselect_b32 s2, s8, s2
	s_add_i32 s8, s7, 1
	s_cmp_ge_u32 s2, s21
	s_cselect_b32 s2, s8, s7
	s_xor_b32 s2, s2, s6
	s_sub_i32 s12, s2, s6
	s_add_i32 s2, s33, 15
	s_ashr_i32 s6, s2, 31
	s_lshr_b32 s6, s6, 28
	s_add_i32 s2, s2, s6
	s_ashr_i32 s43, s2, 4
	v_lshrrev_b32_e32 v1, 6, v0
	v_cmp_le_i32_e64 s[6:7], s43, v1
	v_cmp_gt_i32_e32 vcc, s43, v1
	v_mov_b32_e32 v10, 0xff7fffff
	s_mul_i32 s14, s3, s14
	v_lshrrev_b32_e32 v6, 4, v0
	v_lshlrev_b32_e32 v34, 4, v1
	v_mbcnt_lo_u32_b32 v7, -1, 0
	s_and_saveexec_b64 s[34:35], vcc
	s_cbranch_execz .LBB130_21
; %bb.10:
	s_load_dwordx2 s[0:1], s[0:1], 0x10
	s_ashr_i32 s15, s14, 31
	s_sub_i32 s16, s12, s17
	s_lshl_b64 s[2:3], s[14:15], 1
	v_bfe_u32 v8, v0, 2, 4
	s_waitcnt lgkmcnt(0)
	s_add_u32 s0, s0, s2
	s_addc_u32 s1, s1, s3
	s_abs_i32 s15, s18
	v_cvt_f32_u32_e32 v5, s15
	v_lshlrev_b32_e32 v12, 4, v8
	v_mov_b32_e32 v13, 0
	v_lshl_add_u64 v[2:3], s[0:1], 0, v[12:13]
	v_rcp_iflag_f32_e32 v5, v5
	v_lshlrev_b32_e32 v9, 2, v0
	s_sub_i32 s0, 0, s15
	v_cmp_eq_u32_e32 vcc, 0, v4
	v_mul_f32_e32 v5, 0x4f7ffffe, v5
	v_cvt_u32_f32_e32 v5, v5
	v_and_b32_e32 v12, 12, v9
	v_mul_u32_u24_e32 v9, 56, v4
	v_lshl_add_u64 v[2:3], v[2:3], 0, v[12:13]
	v_mul_lo_u32 v4, s0, v5
	s_lshl_b64 s[0:1], s[26:27], 2
	s_add_u32 s0, s24, s0
	v_mul_hi_u32 v4, v5, v4
	v_and_b32_e32 v12, 60, v6
	s_addc_u32 s1, s25, s1
	v_subrev_u32_e32 v10, s33, v8
	v_add_u32_e32 v11, v5, v4
	v_lshl_add_u64 v[4:5], s[0:1], 0, v[12:13]
	v_add_u32_e32 v13, 1, v10
	v_lshlrev_b32_e32 v10, 2, v8
	v_lshl_or_b32 v10, v1, 6, v10
	v_mbcnt_hi_u32_b32 v16, -1, v7
	v_add_u32_e32 v14, 0xf0, v10
	v_and_b32_e32 v10, 64, v16
	s_mov_b32 s19, s13
	v_cmp_neq_f32_e64 s[2:3], s44, 0
	v_lshlrev_b32_e32 v12, 4, v1
	v_mov_b32_e32 v15, 0xff7fffff
	s_mov_b64 s[36:37], 0
	v_add_u32_e32 v17, 64, v10
	v_xor_b32_e32 v18, 2, v16
	v_xor_b32_e32 v19, 1, v16
	v_mov_b32_e32 v10, 0xff7fffff
	v_mov_b32_e32 v20, v1
	s_branch .LBB130_13
.LBB130_11:                             ;   in Loop: Header=BB130_13 Depth=1
	s_or_b64 exec, exec, s[38:39]
.LBB130_12:                             ;   in Loop: Header=BB130_13 Depth=1
	s_or_b64 exec, exec, s[8:9]
	v_add_u32_e32 v20, 2, v20
	v_cmp_le_i32_e64 s[0:1], s43, v20
	v_lshl_add_u64 v[4:5], v[4:5], 0, 8
	v_add_u32_e32 v12, 32, v12
	s_or_b64 s[36:37], s[0:1], s[36:37]
	v_add_u32_e32 v14, 0x80, v14
	s_andn2_b64 exec, exec, s[36:37]
	s_cbranch_execz .LBB130_20
.LBB130_13:                             ; =>This Inner Loop Header: Depth=1
	v_mul_hi_u32 v21, v12, s40
	s_waitcnt lgkmcnt(0)
	v_mul_lo_u32 v22, v21, s21
	v_sub_u32_e32 v22, v12, v22
	v_add_u32_e32 v23, 1, v21
	v_cmp_le_u32_e64 s[0:1], s21, v22
	s_nop 1
	v_cndmask_b32_e64 v21, v21, v23, s[0:1]
	v_subrev_u32_e32 v23, s21, v22
	v_cndmask_b32_e64 v22, v22, v23, s[0:1]
	v_add_u32_e32 v23, 1, v21
	v_cmp_le_u32_e64 s[0:1], s21, v22
	s_nop 1
	v_cndmask_b32_e64 v21, v21, v23, s[0:1]
	v_xor_b32_e32 v21, s42, v21
	v_subrev_u32_e32 v21, s42, v21
	v_add_u32_e32 v22, s41, v21
	v_sub_u32_e32 v24, 0, v22
	v_ashrrev_i32_e32 v23, 31, v22
	v_max_i32_e32 v22, v22, v24
	v_mul_hi_u32 v24, v22, v11
	v_mul_lo_u32 v24, v24, s15
	v_sub_u32_e32 v22, v22, v24
	v_subrev_u32_e32 v24, s15, v22
	v_cmp_le_u32_e64 s[0:1], s15, v22
	v_cmp_ge_i32_e64 s[8:9], s16, v21
	s_nop 0
	v_cndmask_b32_e64 v22, v22, v24, s[0:1]
	v_subrev_u32_e32 v24, s15, v22
	v_cmp_le_u32_e64 s[0:1], s15, v22
	s_nop 1
	v_cndmask_b32_e64 v22, v22, v24, s[0:1]
	v_xor_b32_e32 v22, v22, v23
	v_sub_u32_e32 v22, v22, v23
	v_cmp_ne_u32_e64 s[0:1], 0, v22
	s_and_b64 s[0:1], s[0:1], s[8:9]
	s_and_saveexec_b64 s[8:9], s[0:1]
	s_xor_b64 s[0:1], exec, s[8:9]
	s_cbranch_execz .LBB130_17
; %bb.14:                               ;   in Loop: Header=BB130_13 Depth=1
	s_and_saveexec_b64 s[8:9], vcc
; %bb.15:                               ;   in Loop: Header=BB130_13 Depth=1
	ds_write_b32 v14, v15
; %bb.16:                               ;   in Loop: Header=BB130_13 Depth=1
	s_or_b64 exec, exec, s[8:9]
.LBB130_17:                             ;   in Loop: Header=BB130_13 Depth=1
	s_andn2_saveexec_b64 s[8:9], s[0:1]
	s_cbranch_execz .LBB130_12
; %bb.18:                               ;   in Loop: Header=BB130_13 Depth=1
	global_load_dword v21, v[4:5], off
	s_waitcnt vmcnt(0)
	v_mad_i64_i32 v[22:23], s[0:1], v21, s19, 0
	v_lshl_add_u64 v[22:23], v[22:23], 1, v[2:3]
	global_load_dword v21, v[22:23], off
	global_load_dword v35, v[22:23], off offset:256
	global_load_dword v38, v[22:23], off offset:512
	;; [unrolled: 1-line block ×13, first 2 shown]
	ds_read2_b64 v[22:25], v9 offset1:1
	ds_read2_b64 v[26:29], v9 offset0:2 offset1:3
	ds_read2_b64 v[30:33], v9 offset0:4 offset1:5
	ds_read_b64 v[36:37], v9 offset:48
	v_cmp_lt_i32_e64 s[0:1], v18, v17
	s_waitcnt lgkmcnt(3)
	v_lshlrev_b32_e32 v52, 16, v23
	v_and_b32_e32 v23, 0xffff0000, v23
	v_lshlrev_b32_e32 v51, 16, v22
	v_and_b32_e32 v22, 0xffff0000, v22
	v_lshlrev_b32_e32 v53, 16, v24
	v_and_b32_e32 v24, 0xffff0000, v24
	v_lshlrev_b32_e32 v54, 16, v25
	v_and_b32_e32 v25, 0xffff0000, v25
	s_waitcnt lgkmcnt(2)
	v_lshlrev_b32_e32 v55, 16, v26
	v_and_b32_e32 v26, 0xffff0000, v26
	v_lshlrev_b32_e32 v56, 16, v27
	v_and_b32_e32 v27, 0xffff0000, v27
	v_lshlrev_b32_e32 v57, 16, v28
	v_and_b32_e32 v28, 0xffff0000, v28
	v_lshlrev_b32_e32 v58, 16, v29
	v_and_b32_e32 v29, 0xffff0000, v29
	;; [unrolled: 9-line block ×3, first 2 shown]
	s_waitcnt lgkmcnt(0)
	v_lshlrev_b32_e32 v63, 16, v36
	v_and_b32_e32 v36, 0xffff0000, v36
	v_lshlrev_b32_e32 v64, 16, v37
	v_and_b32_e32 v37, 0xffff0000, v37
	v_cndmask_b32_e64 v50, v16, v18, s[0:1]
	v_lshlrev_b32_e32 v50, 2, v50
	v_cmp_lt_i32_e64 s[0:1], v19, v17
	s_waitcnt vmcnt(13)
	v_lshlrev_b32_e32 v65, 16, v21
	s_waitcnt vmcnt(12)
	v_lshlrev_b32_e32 v66, 16, v35
	v_and_b32_e32 v35, 0xffff0000, v35
	v_and_b32_e32 v21, 0xffff0000, v21
	v_mul_f32_e32 v52, v52, v66
	v_mul_f32_e32 v23, v23, v35
	s_waitcnt vmcnt(11)
	v_lshlrev_b32_e32 v67, 16, v38
	v_and_b32_e32 v38, 0xffff0000, v38
	v_fmac_f32_e32 v52, v51, v65
	v_fmac_f32_e32 v23, v22, v21
	s_waitcnt vmcnt(10)
	v_lshlrev_b32_e32 v68, 16, v39
	v_and_b32_e32 v39, 0xffff0000, v39
	v_fmac_f32_e32 v52, v53, v67
	v_fmac_f32_e32 v23, v24, v38
	;; [unrolled: 5-line block ×12, first 2 shown]
	v_fmac_f32_e32 v52, v64, v78
	v_fmac_f32_e32 v23, v37, v49
	v_add_f32_e32 v21, v52, v23
	ds_bpermute_b32 v22, v50, v21
	v_cndmask_b32_e64 v23, v16, v19, s[0:1]
	v_lshlrev_b32_e32 v23, 2, v23
	s_waitcnt lgkmcnt(0)
	v_add_f32_e32 v21, v21, v22
	ds_bpermute_b32 v22, v23, v21
	s_and_saveexec_b64 s[38:39], vcc
	s_cbranch_execz .LBB130_11
; %bb.19:                               ;   in Loop: Header=BB130_13 Depth=1
	v_add_u32_e32 v23, v13, v12
	v_cvt_f32_i32_e32 v23, v23
	s_waitcnt lgkmcnt(0)
	v_add_f32_e32 v21, v21, v22
	v_add_u32_e32 v24, v8, v12
	v_cmp_gt_i32_e64 s[0:1], s33, v24
	v_mul_f32_e32 v22, s44, v23
	v_cndmask_b32_e64 v22, 0, v22, s[2:3]
	v_fmac_f32_e32 v22, s31, v21
	v_cndmask_b32_e64 v21, 0, v22, s[0:1]
	ds_write_b32 v14, v21
	v_max_f32_e32 v21, v10, v10
	v_max_f32_e32 v21, v21, v22
	v_cndmask_b32_e64 v10, v10, v21, s[0:1]
	s_branch .LBB130_11
.LBB130_20:
	s_or_b64 exec, exec, s[36:37]
.LBB130_21:
	s_or_b64 exec, exec, s[34:35]
	v_mbcnt_hi_u32_b32 v2, -1, v7
	v_and_b32_e32 v12, 64, v2
	v_add_u32_e32 v3, 64, v12
	v_xor_b32_e32 v4, 32, v2
	v_cmp_lt_i32_e32 vcc, v4, v3
	v_xor_b32_e32 v8, 16, v2
	v_max_f32_e32 v7, v10, v10
	v_cndmask_b32_e32 v4, v2, v4, vcc
	v_lshlrev_b32_e32 v5, 2, v4
	ds_bpermute_b32 v4, v5, v10
	v_cmp_lt_i32_e32 vcc, v8, v3
	v_xor_b32_e32 v9, 8, v2
	v_xor_b32_e32 v11, 4, v2
	s_waitcnt lgkmcnt(0)
	v_max_f32_e32 v4, v4, v4
	v_max_f32_e32 v4, v7, v4
	v_cndmask_b32_e32 v7, v2, v8, vcc
	v_lshlrev_b32_e32 v7, 2, v7
	ds_bpermute_b32 v8, v7, v4
	v_cmp_lt_i32_e32 vcc, v9, v3
	s_waitcnt lgkmcnt(0)
	v_max_f32_e32 v8, v8, v8
	v_max_f32_e32 v4, v4, v8
	v_cndmask_b32_e32 v8, v2, v9, vcc
	v_lshlrev_b32_e32 v10, 2, v8
	ds_bpermute_b32 v8, v10, v4
	v_cmp_lt_i32_e32 vcc, v11, v3
	s_waitcnt lgkmcnt(0)
	v_max_f32_e32 v8, v8, v8
	v_max_f32_e32 v9, v4, v8
	v_cndmask_b32_e32 v4, v2, v11, vcc
	v_lshlrev_b32_e32 v11, 2, v4
	ds_bpermute_b32 v13, v11, v9
	v_and_b32_e32 v4, 63, v0
	v_cmp_eq_u32_e32 vcc, 0, v4
	v_lshlrev_b32_e32 v8, 2, v1
	s_and_saveexec_b64 s[0:1], vcc
	s_cbranch_execz .LBB130_23
; %bb.22:
	s_waitcnt lgkmcnt(0)
	v_max_f32_e32 v13, v13, v13
	v_max_f32_e32 v9, v9, v9
	;; [unrolled: 1-line block ×3, first 2 shown]
	ds_write_b32 v8, v9 offset:224
.LBB130_23:
	s_or_b64 exec, exec, s[0:1]
	v_cmp_gt_u32_e64 s[0:1], 2, v4
	s_waitcnt lgkmcnt(0)
	v_mov_b32_e32 v13, 0xff7fffff
	v_lshlrev_b32_e32 v9, 2, v4
	s_barrier
	s_and_saveexec_b64 s[2:3], s[0:1]
; %bb.24:
	ds_read_b32 v13, v9 offset:224
; %bb.25:
	s_or_b64 exec, exec, s[2:3]
	v_xor_b32_e32 v14, 1, v2
	v_cmp_lt_i32_e64 s[2:3], v14, v3
	v_lshlrev_b32_e32 v12, 2, v12
	s_nop 0
	v_cndmask_b32_e64 v14, v2, v14, s[2:3]
	v_lshlrev_b32_e32 v35, 2, v14
	s_waitcnt lgkmcnt(0)
	ds_bpermute_b32 v14, v35, v13
	v_max_f32_e32 v13, v13, v13
	s_lshl_b32 s2, s43, 4
	s_min_i32 s15, s2, s33
	v_cmp_gt_i32_e64 s[2:3], s15, v0
	s_waitcnt lgkmcnt(0)
	v_max_f32_e32 v14, v14, v14
	v_max_f32_e32 v13, v13, v14
	ds_bpermute_b32 v13, v12, v13
	v_mov_b32_e32 v12, 0
	s_and_saveexec_b64 s[30:31], s[2:3]
	s_cbranch_execz .LBB130_29
; %bb.26:
	v_mov_b32_e32 v12, 0xf0
	v_lshl_add_u32 v14, v0, 2, v12
	v_mov_b32_e32 v12, 0
	s_mov_b64 s[34:35], 0
	v_mov_b32_e32 v15, v0
.LBB130_27:                             ; =>This Inner Loop Header: Depth=1
	ds_read_b32 v16, v14
	v_add_u32_e32 v15, 0x80, v15
	v_cmp_le_i32_e64 s[8:9], s15, v15
	s_or_b64 s[34:35], s[8:9], s[34:35]
	s_waitcnt lgkmcnt(0)
	v_sub_f32_e32 v16, v16, v13
	v_mul_f32_e32 v16, 0x3fb8aa3b, v16
	v_exp_f32_e32 v16, v16
	ds_write_b32 v14, v16
	v_add_f32_e32 v12, v12, v16
	v_add_u32_e32 v14, 0x200, v14
	s_andn2_b64 exec, exec, s[34:35]
	s_cbranch_execnz .LBB130_27
; %bb.28:
	s_or_b64 exec, exec, s[34:35]
.LBB130_29:
	s_or_b64 exec, exec, s[30:31]
	ds_bpermute_b32 v5, v5, v12
	s_waitcnt lgkmcnt(0)
	v_add_f32_e32 v5, v12, v5
	ds_bpermute_b32 v7, v7, v5
	s_waitcnt lgkmcnt(0)
	v_add_f32_e32 v5, v5, v7
	ds_bpermute_b32 v7, v10, v5
	v_xor_b32_e32 v10, 2, v2
	v_cmp_lt_i32_e64 s[8:9], v10, v3
	s_waitcnt lgkmcnt(0)
	v_add_f32_e32 v5, v5, v7
	ds_bpermute_b32 v7, v11, v5
	v_cndmask_b32_e64 v3, v2, v10, s[8:9]
	v_lshlrev_b32_e32 v3, 2, v3
	s_waitcnt lgkmcnt(0)
	v_add_f32_e32 v5, v5, v7
	ds_bpermute_b32 v3, v3, v5
	s_waitcnt lgkmcnt(0)
	v_add_f32_e32 v3, v5, v3
	ds_bpermute_b32 v5, v35, v3
	s_waitcnt lgkmcnt(0)
	v_add_f32_e32 v3, v3, v5
	s_and_saveexec_b64 s[8:9], vcc
; %bb.30:
	ds_write_b32 v8, v3 offset:232
; %bb.31:
	s_or_b64 exec, exec, s[8:9]
	s_waitcnt lgkmcnt(0)
	s_barrier
	s_and_saveexec_b64 s[8:9], s[0:1]
; %bb.32:
	ds_read_b32 v3, v9 offset:232
; %bb.33:
	s_or_b64 exec, exec, s[8:9]
	s_waitcnt lgkmcnt(0)
	ds_bpermute_b32 v5, v35, v3
	v_lshlrev_b32_e32 v2, 2, v2
	v_and_b32_e32 v2, 0x100, v2
	s_waitcnt lgkmcnt(0)
	v_add_f32_e32 v3, v3, v5
	ds_bpermute_b32 v2, v2, v3
	s_and_saveexec_b64 s[0:1], s[2:3]
	s_cbranch_execz .LBB130_46
; %bb.34:
	s_waitcnt lgkmcnt(0)
	v_add_f32_e32 v2, 0x358637bd, v2
	v_div_scale_f32 v3, s[2:3], v2, v2, 1.0
	v_rcp_f32_e32 v5, v3
	v_div_scale_f32 v7, vcc, 1.0, v2, 1.0
	s_movk_i32 s2, 0x7f
	v_fma_f32 v8, -v3, v5, 1.0
	v_fmac_f32_e32 v5, v8, v5
	v_mul_f32_e32 v8, v7, v5
	v_fma_f32 v9, -v3, v8, v7
	v_fmac_f32_e32 v8, v9, v5
	v_fma_f32 v3, -v3, v8, v7
	v_div_fmas_f32 v3, v3, v5, v8
	v_xad_u32 v5, v0, -1, s15
	v_div_fixup_f32 v2, v3, v2, 1.0
	v_cmp_lt_u32_e32 vcc, s2, v5
	s_mov_b64 s[8:9], -1
	v_mov_b32_e32 v3, v0
	s_and_saveexec_b64 s[2:3], vcc
	s_cbranch_execz .LBB130_43
; %bb.35:
	v_lshrrev_b32_e32 v5, 7, v5
	v_add_u32_e32 v8, -1, v5
	v_lshrrev_b32_e32 v7, 1, v8
	v_mov_b32_e32 v3, v2
	v_add_u32_e32 v7, 1, v7
	v_cmp_lt_u32_e32 vcc, 13, v8
	v_mov_b32_e32 v10, 0
	s_and_saveexec_b64 s[8:9], vcc
	s_cbranch_execz .LBB130_39
; %bb.36:
	v_mov_b32_e32 v9, 0xf0
	v_and_b32_e32 v8, -8, v7
	v_lshl_add_u32 v9, v0, 2, v9
	s_mov_b32 s16, 0
	s_mov_b64 s[30:31], 0
.LBB130_37:                             ; =>This Inner Loop Header: Depth=1
	ds_read2st64_b32 v[10:11], v9 offset1:2
	ds_read2st64_b32 v[12:13], v9 offset0:4 offset1:6
	ds_read2st64_b32 v[14:15], v9 offset0:8 offset1:10
	;; [unrolled: 1-line block ×3, first 2 shown]
	v_add_u32_e32 v8, -8, v8
	s_waitcnt lgkmcnt(3)
	v_pk_mul_f32 v[10:11], v[2:3], v[10:11]
	s_waitcnt lgkmcnt(2)
	v_pk_mul_f32 v[12:13], v[2:3], v[12:13]
	ds_write2st64_b32 v9, v10, v11 offset1:2
	ds_write2st64_b32 v9, v12, v13 offset0:4 offset1:6
	ds_read2st64_b32 v[12:13], v9 offset0:16 offset1:18
	s_waitcnt lgkmcnt(4)
	v_pk_mul_f32 v[10:11], v[2:3], v[14:15]
	ds_write2st64_b32 v9, v10, v11 offset0:8 offset1:10
	s_waitcnt lgkmcnt(4)
	v_pk_mul_f32 v[10:11], v[2:3], v[16:17]
	ds_write2st64_b32 v9, v10, v11 offset0:12 offset1:14
	ds_read2st64_b32 v[10:11], v9 offset0:20 offset1:22
	s_waitcnt lgkmcnt(3)
	v_pk_mul_f32 v[12:13], v[2:3], v[12:13]
	ds_read2st64_b32 v[14:15], v9 offset0:24 offset1:26
	ds_write2st64_b32 v9, v12, v13 offset0:16 offset1:18
	ds_read2st64_b32 v[12:13], v9 offset0:28 offset1:30
	s_waitcnt lgkmcnt(3)
	v_pk_mul_f32 v[10:11], v[2:3], v[10:11]
	ds_write2st64_b32 v9, v10, v11 offset0:20 offset1:22
	s_waitcnt lgkmcnt(3)
	v_pk_mul_f32 v[10:11], v[2:3], v[14:15]
	ds_write2st64_b32 v9, v10, v11 offset0:24 offset1:26
	s_waitcnt lgkmcnt(2)
	v_pk_mul_f32 v[10:11], v[2:3], v[12:13]
	s_add_i32 s16, s16, 16
	v_cmp_eq_u32_e32 vcc, 0, v8
	ds_write2st64_b32 v9, v10, v11 offset0:28 offset1:30
	v_add_u32_e32 v9, 0x2000, v9
	s_or_b64 s[30:31], vcc, s[30:31]
	v_mov_b32_e32 v10, s16
	s_andn2_b64 exec, exec, s[30:31]
	s_cbranch_execnz .LBB130_37
; %bb.38:
	s_or_b64 exec, exec, s[30:31]
.LBB130_39:
	s_or_b64 exec, exec, s[8:9]
	v_and_b32_e32 v7, 7, v7
	v_cmp_ne_u32_e32 vcc, 0, v7
	s_and_saveexec_b64 s[8:9], vcc
	s_cbranch_execz .LBB130_42
; %bb.40:
	v_lshlrev_b32_e32 v8, 9, v10
	v_lshlrev_b32_e32 v9, 2, v0
	s_movk_i32 s16, 0xf0
	v_add3_u32 v8, v8, v9, s16
	s_mov_b64 s[30:31], 0
.LBB130_41:                             ; =>This Inner Loop Header: Depth=1
	ds_read2st64_b32 v[10:11], v8 offset1:2
	v_add_u32_e32 v7, -1, v7
	v_cmp_eq_u32_e32 vcc, 0, v7
	s_or_b64 s[30:31], vcc, s[30:31]
	s_waitcnt lgkmcnt(0)
	v_pk_mul_f32 v[10:11], v[2:3], v[10:11]
	ds_write2st64_b32 v8, v10, v11 offset1:2
	v_add_u32_e32 v8, 0x400, v8
	s_andn2_b64 exec, exec, s[30:31]
	s_cbranch_execnz .LBB130_41
.LBB130_42:
	s_or_b64 exec, exec, s[8:9]
	v_add_u32_e32 v5, 1, v5
	v_and_b32_e32 v7, 0x3fffffe, v5
	v_cmp_ne_u32_e32 vcc, v5, v7
	v_lshl_add_u32 v3, v7, 7, v0
	s_orn2_b64 s[8:9], vcc, exec
.LBB130_43:
	s_or_b64 exec, exec, s[2:3]
	s_and_b64 exec, exec, s[8:9]
	s_cbranch_execz .LBB130_46
; %bb.44:
	v_mov_b32_e32 v5, 0xf0
	v_lshl_add_u32 v5, v3, 2, v5
	s_mov_b64 s[2:3], 0
.LBB130_45:                             ; =>This Inner Loop Header: Depth=1
	ds_read_b32 v7, v5
	v_add_u32_e32 v3, 0x80, v3
	v_cmp_le_i32_e32 vcc, s15, v3
	s_or_b64 s[2:3], vcc, s[2:3]
	s_waitcnt lgkmcnt(0)
	v_mul_f32_e32 v7, v2, v7
	ds_write_b32 v5, v7
	v_add_u32_e32 v5, 0x200, v5
	s_andn2_b64 exec, exec, s[2:3]
	s_cbranch_execnz .LBB130_45
.LBB130_46:
	s_or_b64 exec, exec, s[0:1]
	v_lshrrev_b32_e32 v36, 1, v4
	s_waitcnt lgkmcnt(0)
	s_barrier
	s_and_saveexec_b64 s[0:1], s[6:7]
	s_xor_b64 s[0:1], exec, s[0:1]
; %bb.47:
	v_lshrrev_b32_e32 v36, 1, v4
                                        ; implicit-def: $vgpr34
                                        ; implicit-def: $vgpr1
                                        ; implicit-def: $vgpr6
; %bb.48:
	s_or_saveexec_b64 s[8:9], s[0:1]
	v_mov_b32_e32 v23, 0
	v_and_b32_e32 v37, 1, v0
	v_mov_b32_e32 v22, 0
	v_mov_b32_e32 v25, 0
	;; [unrolled: 1-line block ×3, first 2 shown]
	s_xor_b64 exec, exec, s[8:9]
	s_cbranch_execz .LBB130_64
; %bb.49:
	s_ashr_i32 s15, s14, 31
	s_sub_i32 s30, s12, s17
	s_lshl_b64 s[0:1], s[14:15], 1
	s_add_u32 s12, s28, s0
	s_mov_b32 s31, s13
	s_addc_u32 s13, s29, s1
	s_abs_i32 s28, s18
	v_cvt_f32_u32_e32 v3, s28
	s_sub_i32 s2, 0, s28
	v_lshlrev_b32_e32 v2, 3, v0
	s_add_i32 s29, s43, -1
	v_rcp_iflag_f32_e32 v3, v3
	v_and_b32_e32 v38, 8, v2
	v_or_b32_e32 v4, 0x60, v36
	s_movk_i32 s0, 0x70
	v_mul_f32_e32 v3, 0x4f7ffffe, v3
	v_cvt_u32_f32_e32 v3, v3
	v_lshl_or_b32 v2, v36, 4, v38
	v_mov_b32_e32 v27, 0
	v_cmp_gt_u32_e64 s[0:1], s0, v4
	v_mul_lo_u32 v5, s2, v3
	v_mul_hi_u32 v5, v3, v5
	s_lshl_b64 s[2:3], s[26:27], 2
	v_add_u32_e32 v39, v3, v5
	s_add_u32 s2, s24, s2
	v_lshlrev_b32_e32 v3, 5, v37
	v_lshl_or_b32 v4, v4, 4, v38
	v_and_b32_e32 v26, 60, v6
	s_addc_u32 s3, s25, s3
	v_lshl_or_b32 v3, v1, 6, v3
	s_mov_b32 s34, s33
	v_lshl_add_u64 v[28:29], s[2:3], 0, v[26:27]
	v_add_u32_e32 v40, 0xf0, v3
	s_mov_b64 s[14:15], 0
	v_lshlrev_b32_e32 v26, 1, v2
	s_mov_b32 s24, 0x5040100
	v_lshlrev_b32_e32 v30, 1, v4
	v_mov_b32_e32 v24, v27
	v_mov_b32_e32 v25, v27
	;; [unrolled: 1-line block ×4, first 2 shown]
	s_branch .LBB130_53
.LBB130_50:                             ;   in Loop: Header=BB130_53 Depth=1
	s_or_b64 exec, exec, s[18:19]
	s_waitcnt vmcnt(0)
	v_and_b32_e32 v21, 0xffff0000, v14
	v_and_b32_e32 v31, 0xffff0000, v42
	v_mul_f32_e32 v21, v31, v21
	v_lshlrev_b32_e32 v14, 16, v14
	v_lshlrev_b32_e32 v31, 16, v42
	v_mul_f32_e32 v14, v31, v14
	v_and_b32_e32 v31, 0xffff0000, v15
	v_and_b32_e32 v32, 0xffff0000, v20
	v_mul_f32_e32 v31, v32, v31
	v_lshlrev_b32_e32 v15, 16, v15
	v_lshlrev_b32_e32 v32, 16, v20
	v_mul_f32_e32 v15, v32, v15
	v_and_b32_e32 v32, 0xffff0000, v16
	v_and_b32_e32 v33, 0xffff0000, v19
	v_mul_f32_e32 v32, v33, v32
	v_lshlrev_b32_e32 v16, 16, v16
	v_lshlrev_b32_e32 v33, 16, v19
	v_mul_f32_e32 v16, v33, v16
	v_and_b32_e32 v33, 0xffff0000, v17
	v_and_b32_e32 v41, 0xffff0000, v18
	v_cvt_pk_bf16_f32 v21, v21, s0
	v_cvt_pk_bf16_f32 v14, v14, s0
	v_cvt_pk_bf16_f32 v31, v31, s0
	v_cvt_pk_bf16_f32 v15, v15, s0
	v_mul_f32_e32 v33, v41, v33
	v_lshlrev_b32_e32 v17, 16, v17
	v_lshlrev_b32_e32 v41, 16, v18
	v_cvt_pk_bf16_f32 v32, v32, s0
	v_cvt_pk_bf16_f32 v16, v16, s0
	v_mul_f32_e32 v17, v41, v17
	v_lshlrev_b32_e32 v14, 16, v14
	v_lshlrev_b32_e32 v21, 16, v21
	;; [unrolled: 1-line block ×4, first 2 shown]
	v_cvt_pk_bf16_f32 v33, v33, s0
	v_cvt_pk_bf16_f32 v17, v17, s0
	v_lshlrev_b32_e32 v16, 16, v16
	v_lshlrev_b32_e32 v32, 16, v32
	v_add_f32_e32 v14, v21, v14
	v_add_f32_e32 v15, v31, v15
	v_lshlrev_b32_e32 v17, 16, v17
	v_lshlrev_b32_e32 v33, 16, v33
	v_add_f32_e32 v14, v15, v14
	v_add_f32_e32 v15, v32, v16
	;; [unrolled: 1-line block ×6, first 2 shown]
.LBB130_51:                             ;   in Loop: Header=BB130_53 Depth=1
	s_or_b64 exec, exec, s[6:7]
	s_waitcnt vmcnt(0)
	v_and_b32_e32 v14, 0xffff0000, v10
	v_and_b32_e32 v15, 0xffff0000, v42
	v_lshlrev_b32_e32 v10, 16, v10
	v_lshlrev_b32_e32 v16, 16, v42
	v_mul_f32_e32 v14, v15, v14
	v_mul_f32_e32 v10, v16, v10
	v_and_b32_e32 v17, 0xffff0000, v11
	v_and_b32_e32 v21, 0xffff0000, v20
	v_lshlrev_b32_e32 v11, 16, v11
	v_lshlrev_b32_e32 v20, 16, v20
	v_cvt_pk_bf16_f32 v14, v14, s0
	v_cvt_pk_bf16_f32 v10, v10, s0
	v_mul_f32_e32 v17, v21, v17
	v_mul_f32_e32 v11, v20, v11
	v_cvt_pk_bf16_f32 v17, v17, s0
	v_cvt_pk_bf16_f32 v11, v11, s0
	v_and_b32_e32 v31, 0xffff0000, v12
	v_and_b32_e32 v32, 0xffff0000, v19
	v_lshlrev_b32_e32 v12, 16, v12
	v_lshlrev_b32_e32 v19, 16, v19
	;; [unrolled: 1-line block ×4, first 2 shown]
	v_mul_f32_e32 v31, v32, v31
	v_mul_f32_e32 v12, v19, v12
	v_add_f32_e32 v10, v10, v14
	v_lshlrev_b32_e32 v11, 16, v11
	v_lshlrev_b32_e32 v14, 16, v17
	v_cvt_pk_bf16_f32 v31, v31, s0
	v_cvt_pk_bf16_f32 v12, v12, s0
	v_and_b32_e32 v33, 0xffff0000, v13
	v_and_b32_e32 v41, 0xffff0000, v18
	v_lshlrev_b32_e32 v13, 16, v13
	v_lshlrev_b32_e32 v18, 16, v18
	v_add_f32_e32 v11, v11, v14
	v_mul_f32_e32 v33, v41, v33
	v_mul_f32_e32 v13, v18, v13
	v_add_f32_e32 v10, v11, v10
	v_lshlrev_b32_e32 v11, 16, v12
	v_lshlrev_b32_e32 v12, 16, v31
	v_cvt_pk_bf16_f32 v33, v33, s0
	v_cvt_pk_bf16_f32 v13, v13, s0
	v_add_f32_e32 v11, v11, v12
	v_add_f32_e32 v10, v11, v10
	v_lshlrev_b32_e32 v11, 16, v13
	v_lshlrev_b32_e32 v12, 16, v33
	v_add_f32_e32 v11, v11, v12
	v_add_f32_e32 v10, v11, v10
	;; [unrolled: 1-line block ×3, first 2 shown]
	v_and_b32_e32 v10, 0xffff0000, v6
	v_lshlrev_b32_e32 v6, 16, v6
	v_mul_f32_e32 v10, v15, v10
	v_mul_f32_e32 v6, v16, v6
	v_and_b32_e32 v11, 0xffff0000, v7
	v_lshlrev_b32_e32 v7, 16, v7
	v_cvt_pk_bf16_f32 v10, v10, s0
	v_cvt_pk_bf16_f32 v6, v6, s0
	v_mul_f32_e32 v11, v21, v11
	v_mul_f32_e32 v7, v20, v7
	v_cvt_pk_bf16_f32 v11, v11, s0
	v_cvt_pk_bf16_f32 v7, v7, s0
	v_and_b32_e32 v12, 0xffff0000, v8
	v_lshlrev_b32_e32 v8, 16, v8
	v_lshlrev_b32_e32 v6, 16, v6
	v_lshlrev_b32_e32 v10, 16, v10
	v_mul_f32_e32 v12, v32, v12
	v_mul_f32_e32 v8, v19, v8
	v_add_f32_e32 v6, v6, v10
	v_lshlrev_b32_e32 v7, 16, v7
	v_lshlrev_b32_e32 v10, 16, v11
	v_cvt_pk_bf16_f32 v12, v12, s0
	v_cvt_pk_bf16_f32 v8, v8, s0
	v_and_b32_e32 v13, 0xffff0000, v9
	v_lshlrev_b32_e32 v9, 16, v9
	v_add_f32_e32 v7, v7, v10
	v_mul_f32_e32 v13, v41, v13
	v_mul_f32_e32 v9, v18, v9
	v_add_f32_e32 v6, v7, v6
	v_lshlrev_b32_e32 v7, 16, v8
	v_lshlrev_b32_e32 v8, 16, v12
	v_cvt_pk_bf16_f32 v13, v13, s0
	v_cvt_pk_bf16_f32 v9, v9, s0
	v_add_f32_e32 v7, v7, v8
	v_add_f32_e32 v6, v7, v6
	v_lshlrev_b32_e32 v7, 16, v9
	v_lshlrev_b32_e32 v8, 16, v13
	v_add_f32_e32 v7, v7, v8
	v_add_f32_e32 v6, v7, v6
	;; [unrolled: 1-line block ×3, first 2 shown]
	v_and_b32_e32 v6, 0xffff0000, v2
	v_lshlrev_b32_e32 v2, 16, v2
	v_mul_f32_e32 v6, v15, v6
	v_mul_f32_e32 v2, v16, v2
	v_and_b32_e32 v7, 0xffff0000, v3
	v_lshlrev_b32_e32 v3, 16, v3
	v_cvt_pk_bf16_f32 v6, v6, s0
	v_cvt_pk_bf16_f32 v2, v2, s0
	v_mul_f32_e32 v7, v21, v7
	v_mul_f32_e32 v3, v20, v3
	v_cvt_pk_bf16_f32 v7, v7, s0
	v_cvt_pk_bf16_f32 v3, v3, s0
	v_and_b32_e32 v8, 0xffff0000, v4
	v_lshlrev_b32_e32 v4, 16, v4
	v_lshlrev_b32_e32 v2, 16, v2
	;; [unrolled: 1-line block ×3, first 2 shown]
	v_mul_f32_e32 v8, v32, v8
	v_mul_f32_e32 v4, v19, v4
	v_add_f32_e32 v2, v2, v6
	v_lshlrev_b32_e32 v3, 16, v3
	v_lshlrev_b32_e32 v6, 16, v7
	v_cvt_pk_bf16_f32 v8, v8, s0
	v_cvt_pk_bf16_f32 v4, v4, s0
	v_and_b32_e32 v9, 0xffff0000, v5
	v_lshlrev_b32_e32 v5, 16, v5
	v_add_f32_e32 v3, v3, v6
	v_mul_f32_e32 v9, v41, v9
	v_mul_f32_e32 v5, v18, v5
	v_add_f32_e32 v2, v3, v2
	v_lshlrev_b32_e32 v3, 16, v4
	v_lshlrev_b32_e32 v4, 16, v8
	v_cvt_pk_bf16_f32 v9, v9, s0
	v_cvt_pk_bf16_f32 v5, v5, s0
	v_add_f32_e32 v3, v3, v4
	v_add_f32_e32 v2, v3, v2
	v_lshlrev_b32_e32 v3, 16, v5
	v_lshlrev_b32_e32 v4, 16, v9
	v_add_f32_e32 v3, v3, v4
	v_add_f32_e32 v2, v3, v2
	;; [unrolled: 1-line block ×3, first 2 shown]
.LBB130_52:                             ;   in Loop: Header=BB130_53 Depth=1
	s_or_b64 exec, exec, s[16:17]
	v_add_u32_e32 v1, 2, v1
	v_cmp_le_i32_e32 vcc, s43, v1
	v_lshl_add_u64 v[28:29], v[28:29], 0, 8
	v_add_u32_e32 v34, 32, v34
	s_or_b64 s[14:15], vcc, s[14:15]
	v_add_u32_e32 v40, 0x80, v40
	s_andn2_b64 exec, exec, s[14:15]
	s_cbranch_execz .LBB130_63
.LBB130_53:                             ; =>This Inner Loop Header: Depth=1
	v_mul_hi_u32 v2, v34, s40
	v_mul_lo_u32 v3, v2, s21
	v_sub_u32_e32 v3, v34, v3
	v_add_u32_e32 v4, 1, v2
	v_cmp_le_u32_e32 vcc, s21, v3
	s_nop 1
	v_cndmask_b32_e32 v2, v2, v4, vcc
	v_subrev_u32_e32 v4, s21, v3
	v_cndmask_b32_e32 v3, v3, v4, vcc
	v_add_u32_e32 v4, 1, v2
	v_cmp_le_u32_e32 vcc, s21, v3
	s_nop 1
	v_cndmask_b32_e32 v2, v2, v4, vcc
	v_xor_b32_e32 v2, s42, v2
	v_subrev_u32_e32 v2, s42, v2
	v_add_u32_e32 v3, s41, v2
	v_sub_u32_e32 v5, 0, v3
	v_ashrrev_i32_e32 v4, 31, v3
	v_max_i32_e32 v3, v3, v5
	v_mul_hi_u32 v5, v3, v39
	v_mul_lo_u32 v5, v5, s28
	v_sub_u32_e32 v3, v3, v5
	v_subrev_u32_e32 v5, s28, v3
	v_cmp_le_u32_e32 vcc, s28, v3
	v_cmp_lt_i32_e64 s[2:3], s30, v2
	s_nop 0
	v_cndmask_b32_e32 v3, v3, v5, vcc
	v_subrev_u32_e32 v5, s28, v3
	v_cmp_le_u32_e32 vcc, s28, v3
	s_nop 1
	v_cndmask_b32_e32 v3, v3, v5, vcc
	v_xor_b32_e32 v3, v3, v4
	v_sub_u32_e32 v3, v3, v4
	v_cmp_eq_u32_e32 vcc, 0, v3
	s_or_b64 s[2:3], vcc, s[2:3]
	s_and_saveexec_b64 s[16:17], s[2:3]
	s_cbranch_execz .LBB130_52
; %bb.54:                               ;   in Loop: Header=BB130_53 Depth=1
	global_load_dword v2, v[28:29], off
	v_add_u32_e32 v41, v38, v34
	s_waitcnt vmcnt(0)
	v_mad_i64_i32 v[2:3], s[2:3], v2, s31, 0
	v_lshl_add_u64 v[32:33], v[2:3], 1, s[12:13]
	v_lshl_add_u64 v[10:11], v[32:33], 0, v[26:27]
	global_load_dwordx4 v[2:5], v[10:11], off
	ds_read2_b64 v[18:21], v40 offset1:1
	ds_read2_b64 v[14:17], v40 offset0:2 offset1:3
	v_cmp_eq_u32_e64 s[2:3], s29, v1
	s_and_saveexec_b64 s[18:19], s[2:3]
	s_cbranch_execnz .LBB130_61
; %bb.55:                               ;   in Loop: Header=BB130_53 Depth=1
	s_or_b64 exec, exec, s[18:19]
	global_load_dwordx4 v[6:9], v[10:11], off offset:1024
	s_and_saveexec_b64 s[18:19], s[2:3]
	s_cbranch_execnz .LBB130_62
.LBB130_56:                             ;   in Loop: Header=BB130_53 Depth=1
	s_or_b64 exec, exec, s[18:19]
	global_load_dwordx4 v[10:13], v[10:11], off offset:2048
	s_and_saveexec_b64 s[18:19], s[2:3]
	s_cbranch_execz .LBB130_58
.LBB130_57:                             ;   in Loop: Header=BB130_53 Depth=1
	v_add_u32_e32 v31, 1, v41
	v_cmp_gt_i32_e32 vcc, s34, v31
	v_or_b32_e32 v42, 2, v41
	v_cmp_gt_i32_e64 s[6:7], s33, v42
	s_waitcnt vmcnt(0)
	v_cndmask_b32_sdwa v31, v27, v10, vcc dst_sel:DWORD dst_unused:UNUSED_PAD src0_sel:DWORD src1_sel:WORD_1
	v_cmp_gt_i32_e32 vcc, s33, v41
	v_or_b32_e32 v42, 4, v41
	s_nop 0
	v_cndmask_b32_e32 v10, 0, v10, vcc
	v_perm_b32 v10, v31, v10, s24
	v_or_b32_e32 v31, 3, v41
	v_cmp_gt_i32_e32 vcc, s34, v31
	v_cndmask_b32_e64 v31, 0, v11, s[6:7]
	v_cmp_gt_i32_e64 s[6:7], s33, v42
	v_cndmask_b32_sdwa v11, v27, v11, vcc dst_sel:DWORD dst_unused:UNUSED_PAD src0_sel:DWORD src1_sel:WORD_1
	v_perm_b32 v11, v11, v31, s24
	v_or_b32_e32 v31, 5, v41
	v_cmp_gt_i32_e32 vcc, s34, v31
	v_cndmask_b32_e64 v31, 0, v12, s[6:7]
	v_or_b32_e32 v42, 6, v41
	v_cndmask_b32_sdwa v12, v27, v12, vcc dst_sel:DWORD dst_unused:UNUSED_PAD src0_sel:DWORD src1_sel:WORD_1
	v_perm_b32 v12, v12, v31, s24
	v_or_b32_e32 v31, 7, v41
	v_cmp_gt_i32_e32 vcc, s34, v31
	v_cmp_gt_i32_e64 s[6:7], s33, v42
	s_nop 1
	v_cndmask_b32_e64 v31, 0, v13, s[6:7]
	v_cndmask_b32_sdwa v13, v27, v13, vcc dst_sel:DWORD dst_unused:UNUSED_PAD src0_sel:DWORD src1_sel:WORD_1
	v_perm_b32 v13, v13, v31, s24
.LBB130_58:                             ;   in Loop: Header=BB130_53 Depth=1
	s_or_b64 exec, exec, s[18:19]
	s_waitcnt lgkmcnt(1)
	v_cvt_pk_bf16_f32 v42, v18, v19
	v_cvt_pk_bf16_f32 v20, v20, v21
	s_waitcnt lgkmcnt(0)
	v_cvt_pk_bf16_f32 v19, v14, v15
	v_cvt_pk_bf16_f32 v18, v16, v17
	s_and_saveexec_b64 s[6:7], s[0:1]
	s_cbranch_execz .LBB130_51
; %bb.59:                               ;   in Loop: Header=BB130_53 Depth=1
	v_mov_b32_e32 v31, v27
	v_lshl_add_u64 v[14:15], v[32:33], 0, v[30:31]
	global_load_dwordx4 v[14:17], v[14:15], off
	s_and_saveexec_b64 s[18:19], s[2:3]
	s_cbranch_execz .LBB130_50
; %bb.60:                               ;   in Loop: Header=BB130_53 Depth=1
	v_add_u32_e32 v21, 1, v41
	v_cmp_gt_i32_e32 vcc, s34, v21
	v_or_b32_e32 v31, 2, v41
	v_cmp_gt_i32_e64 s[2:3], s33, v31
	s_waitcnt vmcnt(0)
	v_cndmask_b32_sdwa v21, v27, v14, vcc dst_sel:DWORD dst_unused:UNUSED_PAD src0_sel:DWORD src1_sel:WORD_1
	v_cmp_gt_i32_e32 vcc, s33, v41
	v_or_b32_e32 v31, 4, v41
	s_nop 0
	v_cndmask_b32_e32 v14, 0, v14, vcc
	v_perm_b32 v14, v21, v14, s24
	v_or_b32_e32 v21, 3, v41
	v_cmp_gt_i32_e32 vcc, s34, v21
	v_cndmask_b32_e64 v21, 0, v15, s[2:3]
	v_cmp_gt_i32_e64 s[2:3], s33, v31
	v_cndmask_b32_sdwa v15, v27, v15, vcc dst_sel:DWORD dst_unused:UNUSED_PAD src0_sel:DWORD src1_sel:WORD_1
	v_perm_b32 v15, v15, v21, s24
	v_or_b32_e32 v21, 5, v41
	v_cmp_gt_i32_e32 vcc, s34, v21
	v_cndmask_b32_e64 v21, 0, v16, s[2:3]
	v_or_b32_e32 v31, 6, v41
	v_cndmask_b32_sdwa v16, v27, v16, vcc dst_sel:DWORD dst_unused:UNUSED_PAD src0_sel:DWORD src1_sel:WORD_1
	v_perm_b32 v16, v16, v21, s24
	v_or_b32_e32 v21, 7, v41
	v_cmp_gt_i32_e32 vcc, s34, v21
	v_cmp_gt_i32_e64 s[2:3], s33, v31
	s_nop 1
	v_cndmask_b32_e64 v21, 0, v17, s[2:3]
	v_cndmask_b32_sdwa v17, v27, v17, vcc dst_sel:DWORD dst_unused:UNUSED_PAD src0_sel:DWORD src1_sel:WORD_1
	v_perm_b32 v17, v17, v21, s24
	s_branch .LBB130_50
.LBB130_61:                             ;   in Loop: Header=BB130_53 Depth=1
	v_add_u32_e32 v6, 1, v41
	v_cmp_gt_i32_e32 vcc, s34, v6
	v_or_b32_e32 v7, 2, v41
	v_cmp_gt_i32_e64 s[6:7], s33, v7
	s_waitcnt vmcnt(0)
	v_cndmask_b32_sdwa v6, v27, v2, vcc dst_sel:DWORD dst_unused:UNUSED_PAD src0_sel:DWORD src1_sel:WORD_1
	v_cmp_gt_i32_e32 vcc, s33, v41
	v_or_b32_e32 v7, 4, v41
	s_nop 0
	v_cndmask_b32_e32 v2, 0, v2, vcc
	v_perm_b32 v2, v6, v2, s24
	v_or_b32_e32 v6, 3, v41
	v_cmp_gt_i32_e32 vcc, s34, v6
	v_cndmask_b32_e64 v6, 0, v3, s[6:7]
	v_cmp_gt_i32_e64 s[6:7], s33, v7
	v_cndmask_b32_sdwa v3, v27, v3, vcc dst_sel:DWORD dst_unused:UNUSED_PAD src0_sel:DWORD src1_sel:WORD_1
	v_perm_b32 v3, v3, v6, s24
	v_or_b32_e32 v6, 5, v41
	v_cmp_gt_i32_e32 vcc, s34, v6
	v_cndmask_b32_e64 v6, 0, v4, s[6:7]
	v_or_b32_e32 v7, 6, v41
	v_cndmask_b32_sdwa v4, v27, v4, vcc dst_sel:DWORD dst_unused:UNUSED_PAD src0_sel:DWORD src1_sel:WORD_1
	v_perm_b32 v4, v4, v6, s24
	v_or_b32_e32 v6, 7, v41
	v_cmp_gt_i32_e32 vcc, s34, v6
	v_cmp_gt_i32_e64 s[6:7], s33, v7
	s_nop 1
	v_cndmask_b32_e64 v6, 0, v5, s[6:7]
	v_cndmask_b32_sdwa v5, v27, v5, vcc dst_sel:DWORD dst_unused:UNUSED_PAD src0_sel:DWORD src1_sel:WORD_1
	v_perm_b32 v5, v5, v6, s24
	s_or_b64 exec, exec, s[18:19]
	global_load_dwordx4 v[6:9], v[10:11], off offset:1024
	s_and_saveexec_b64 s[18:19], s[2:3]
	s_cbranch_execz .LBB130_56
.LBB130_62:                             ;   in Loop: Header=BB130_53 Depth=1
	v_add_u32_e32 v12, 1, v41
	v_cmp_gt_i32_e32 vcc, s34, v12
	v_or_b32_e32 v13, 2, v41
	v_cmp_gt_i32_e64 s[6:7], s33, v13
	s_waitcnt vmcnt(0)
	v_cndmask_b32_sdwa v12, v27, v6, vcc dst_sel:DWORD dst_unused:UNUSED_PAD src0_sel:DWORD src1_sel:WORD_1
	v_cmp_gt_i32_e32 vcc, s33, v41
	v_or_b32_e32 v13, 4, v41
	s_nop 0
	v_cndmask_b32_e32 v6, 0, v6, vcc
	v_perm_b32 v6, v12, v6, s24
	v_or_b32_e32 v12, 3, v41
	v_cmp_gt_i32_e32 vcc, s34, v12
	v_cndmask_b32_e64 v12, 0, v7, s[6:7]
	v_cmp_gt_i32_e64 s[6:7], s33, v13
	v_cndmask_b32_sdwa v7, v27, v7, vcc dst_sel:DWORD dst_unused:UNUSED_PAD src0_sel:DWORD src1_sel:WORD_1
	v_perm_b32 v7, v7, v12, s24
	v_or_b32_e32 v12, 5, v41
	v_cmp_gt_i32_e32 vcc, s34, v12
	v_cndmask_b32_e64 v12, 0, v8, s[6:7]
	v_or_b32_e32 v13, 6, v41
	v_cndmask_b32_sdwa v8, v27, v8, vcc dst_sel:DWORD dst_unused:UNUSED_PAD src0_sel:DWORD src1_sel:WORD_1
	v_perm_b32 v8, v8, v12, s24
	v_or_b32_e32 v12, 7, v41
	v_cmp_gt_i32_e32 vcc, s34, v12
	v_cmp_gt_i32_e64 s[6:7], s33, v13
	s_nop 1
	v_cndmask_b32_e64 v12, 0, v9, s[6:7]
	v_cndmask_b32_sdwa v9, v27, v9, vcc dst_sel:DWORD dst_unused:UNUSED_PAD src0_sel:DWORD src1_sel:WORD_1
	v_perm_b32 v9, v9, v12, s24
	s_or_b64 exec, exec, s[18:19]
	global_load_dwordx4 v[10:13], v[10:11], off offset:2048
	s_and_saveexec_b64 s[18:19], s[2:3]
	s_cbranch_execnz .LBB130_57
	s_branch .LBB130_58
.LBB130_63:
	s_or_b64 exec, exec, s[14:15]
.LBB130_64:
	s_or_b64 exec, exec, s[8:9]
	ds_bpermute_b32 v2, v35, v24
	ds_bpermute_b32 v3, v35, v25
	;; [unrolled: 1-line block ×4, first 2 shown]
	v_and_b32_e32 v1, 0x3c0, v0
	v_cmp_eq_u32_e64 s[0:1], 64, v1
	s_waitcnt lgkmcnt(2)
	v_pk_add_f32 v[4:5], v[24:25], v[2:3]
	v_cmp_eq_u32_e32 vcc, 0, v37
	s_waitcnt lgkmcnt(0)
	v_pk_add_f32 v[2:3], v[22:23], v[6:7]
	s_barrier
	s_and_saveexec_b64 s[2:3], s[0:1]
	s_cbranch_execz .LBB130_69
; %bb.65:
	s_and_saveexec_b64 s[0:1], vcc
	s_cbranch_execz .LBB130_67
; %bb.66:
	v_mov_b32_e32 v1, 0xf0
	v_lshl_add_u32 v1, v36, 2, v1
	ds_write2_b32 v1, v4, v5 offset1:32
	ds_write_b32 v1, v2 offset:256
.LBB130_67:
	s_or_b64 exec, exec, s[0:1]
	v_or_b32_e32 v1, 0x60, v36
	s_movk_i32 s0, 0x70
	v_cmp_gt_u32_e64 s[0:1], s0, v1
	s_and_b64 s[0:1], vcc, s[0:1]
	s_and_b64 exec, exec, s[0:1]
; %bb.68:
	v_mov_b32_e32 v1, 0xf0
	v_lshl_add_u32 v1, v36, 2, v1
	ds_write_b32 v1, v3 offset:384
.LBB130_69:
	s_or_b64 exec, exec, s[2:3]
	v_cmp_gt_u32_e64 s[0:1], 64, v0
	v_lshrrev_b32_e32 v0, 1, v0
	s_waitcnt lgkmcnt(0)
	s_barrier
	s_and_saveexec_b64 s[6:7], s[0:1]
	s_cbranch_execz .LBB130_79
; %bb.70:
	s_and_saveexec_b64 s[2:3], vcc
	s_cbranch_execz .LBB130_72
; %bb.71:
	v_mov_b32_e32 v1, 0xf0
	v_lshl_add_u32 v1, v0, 2, v1
	ds_read_b32 v1, v1
	s_waitcnt lgkmcnt(0)
	v_add_f32_e32 v4, v4, v1
.LBB130_72:
	s_or_b64 exec, exec, s[2:3]
	v_or_b32_e32 v1, 32, v0
	s_movk_i32 s8, 0x70
	v_cmp_gt_u32_e64 s[2:3], s8, v1
	s_and_b64 s[12:13], vcc, s[2:3]
	s_and_saveexec_b64 s[2:3], s[12:13]
	s_cbranch_execz .LBB130_74
; %bb.73:
	v_mov_b32_e32 v1, 0xf0
	v_lshl_add_u32 v1, v0, 2, v1
	ds_read_b32 v1, v1 offset:128
	s_waitcnt lgkmcnt(0)
	v_add_f32_e32 v5, v5, v1
.LBB130_74:
	s_or_b64 exec, exec, s[2:3]
	v_or_b32_e32 v1, 64, v0
	v_cmp_gt_u32_e64 s[2:3], s8, v1
	s_and_b64 s[8:9], vcc, s[2:3]
	s_and_saveexec_b64 s[2:3], s[8:9]
	s_cbranch_execz .LBB130_76
; %bb.75:
	v_mov_b32_e32 v1, 0xf0
	v_lshl_add_u32 v1, v0, 2, v1
	ds_read_b32 v1, v1 offset:256
	s_waitcnt lgkmcnt(0)
	v_add_f32_e32 v2, v2, v1
.LBB130_76:
	s_or_b64 exec, exec, s[2:3]
	v_or_b32_e32 v1, 0x60, v0
	s_movk_i32 s2, 0x70
	v_cmp_gt_u32_e64 s[2:3], s2, v1
	s_and_b64 s[8:9], vcc, s[2:3]
	s_and_saveexec_b64 s[2:3], s[8:9]
	s_cbranch_execz .LBB130_78
; %bb.77:
	v_mov_b32_e32 v1, 0xf0
	v_lshl_add_u32 v1, v0, 2, v1
	ds_read_b32 v1, v1 offset:384
	s_waitcnt lgkmcnt(0)
	v_add_f32_e32 v3, v3, v1
.LBB130_78:
	s_or_b64 exec, exec, s[2:3]
.LBB130_79:
	s_or_b64 exec, exec, s[6:7]
	s_barrier
	s_and_saveexec_b64 s[2:3], s[0:1]
	s_cbranch_execz .LBB130_88
; %bb.80:
	s_mul_i32 s0, s10, s11
	s_mul_i32 s0, s0, s5
	s_mulk_i32 s0, 0x70
	s_ashr_i32 s1, s0, 31
	s_lshl_b64 s[0:1], s[0:1], 1
	s_add_u32 s2, s22, s0
	s_mul_i32 s0, s11, s20
	s_addc_u32 s3, s23, s1
	s_ashr_i32 s1, s0, 31
	s_lshl_b64 s[0:1], s[0:1], 1
	s_add_u32 s2, s2, s0
	s_mul_i32 s0, s4, 0x70
	s_addc_u32 s3, s3, s1
	s_ashr_i32 s1, s0, 31
	s_lshl_b64 s[0:1], s[0:1], 1
	s_add_u32 s2, s2, s0
	s_movk_i32 s5, 0x70
	s_addc_u32 s3, s3, s1
	v_lshlrev_b32_e32 v1, 1, v0
	s_and_saveexec_b64 s[0:1], vcc
	s_cbranch_execz .LBB130_82
; %bb.81:
	v_cvt_pk_bf16_f32 v4, v4, s0
	global_store_short v1, v4, s[2:3]
.LBB130_82:
	s_or_b64 exec, exec, s[0:1]
	v_or_b32_e32 v4, 32, v0
	v_cmp_gt_u32_e64 s[0:1], s5, v4
	s_and_b64 s[4:5], vcc, s[0:1]
	s_and_saveexec_b64 s[0:1], s[4:5]
	s_cbranch_execz .LBB130_84
; %bb.83:
	v_cvt_pk_bf16_f32 v4, v5, s0
	global_store_short v1, v4, s[2:3] offset:64
.LBB130_84:
	s_or_b64 exec, exec, s[0:1]
	v_or_b32_e32 v4, 64, v0
	s_movk_i32 s4, 0x70
	v_cmp_gt_u32_e64 s[0:1], s4, v4
	s_and_b64 s[6:7], vcc, s[0:1]
	s_and_saveexec_b64 s[0:1], s[6:7]
	s_cbranch_execz .LBB130_86
; %bb.85:
	v_cvt_pk_bf16_f32 v2, v2, s0
	global_store_short v1, v2, s[2:3] offset:128
.LBB130_86:
	s_or_b64 exec, exec, s[0:1]
	v_or_b32_e32 v0, 0x60, v0
	v_cmp_gt_u32_e64 s[0:1], s4, v0
	s_and_b64 s[0:1], vcc, s[0:1]
	s_and_b64 exec, exec, s[0:1]
	s_cbranch_execz .LBB130_88
; %bb.87:
	v_cvt_pk_bf16_f32 v0, v3, s0
	global_store_short v1, v0, s[2:3] offset:192
.LBB130_88:
	s_endpgm
	.section	.rodata,"a",@progbits
	.p2align	6, 0x0
	.amdhsa_kernel _ZN4vllm25paged_attention_v1_kernelI14__hip_bfloat16S1_Li112ELi16ELi128ELNS_18Fp8KVCacheDataTypeE0ELb1EEEvPT_PKS3_PKT0_S9_ifPKiSB_iPKfiiiSD_SD_iiiii
		.amdhsa_group_segment_fixed_size 240
		.amdhsa_private_segment_fixed_size 0
		.amdhsa_kernarg_size 384
		.amdhsa_user_sgpr_count 2
		.amdhsa_user_sgpr_dispatch_ptr 0
		.amdhsa_user_sgpr_queue_ptr 0
		.amdhsa_user_sgpr_kernarg_segment_ptr 1
		.amdhsa_user_sgpr_dispatch_id 0
		.amdhsa_user_sgpr_kernarg_preload_length 0
		.amdhsa_user_sgpr_kernarg_preload_offset 0
		.amdhsa_user_sgpr_private_segment_size 0
		.amdhsa_uses_dynamic_stack 0
		.amdhsa_enable_private_segment 0
		.amdhsa_system_sgpr_workgroup_id_x 1
		.amdhsa_system_sgpr_workgroup_id_y 1
		.amdhsa_system_sgpr_workgroup_id_z 1
		.amdhsa_system_sgpr_workgroup_info 0
		.amdhsa_system_vgpr_workitem_id 0
		.amdhsa_next_free_vgpr 79
		.amdhsa_next_free_sgpr 45
		.amdhsa_accum_offset 80
		.amdhsa_reserve_vcc 1
		.amdhsa_float_round_mode_32 0
		.amdhsa_float_round_mode_16_64 0
		.amdhsa_float_denorm_mode_32 3
		.amdhsa_float_denorm_mode_16_64 3
		.amdhsa_dx10_clamp 1
		.amdhsa_ieee_mode 1
		.amdhsa_fp16_overflow 0
		.amdhsa_tg_split 0
		.amdhsa_exception_fp_ieee_invalid_op 0
		.amdhsa_exception_fp_denorm_src 0
		.amdhsa_exception_fp_ieee_div_zero 0
		.amdhsa_exception_fp_ieee_overflow 0
		.amdhsa_exception_fp_ieee_underflow 0
		.amdhsa_exception_fp_ieee_inexact 0
		.amdhsa_exception_int_div_zero 0
	.end_amdhsa_kernel
	.section	.text._ZN4vllm25paged_attention_v1_kernelI14__hip_bfloat16S1_Li112ELi16ELi128ELNS_18Fp8KVCacheDataTypeE0ELb1EEEvPT_PKS3_PKT0_S9_ifPKiSB_iPKfiiiSD_SD_iiiii,"axG",@progbits,_ZN4vllm25paged_attention_v1_kernelI14__hip_bfloat16S1_Li112ELi16ELi128ELNS_18Fp8KVCacheDataTypeE0ELb1EEEvPT_PKS3_PKT0_S9_ifPKiSB_iPKfiiiSD_SD_iiiii,comdat
.Lfunc_end130:
	.size	_ZN4vllm25paged_attention_v1_kernelI14__hip_bfloat16S1_Li112ELi16ELi128ELNS_18Fp8KVCacheDataTypeE0ELb1EEEvPT_PKS3_PKT0_S9_ifPKiSB_iPKfiiiSD_SD_iiiii, .Lfunc_end130-_ZN4vllm25paged_attention_v1_kernelI14__hip_bfloat16S1_Li112ELi16ELi128ELNS_18Fp8KVCacheDataTypeE0ELb1EEEvPT_PKS3_PKT0_S9_ifPKiSB_iPKfiiiSD_SD_iiiii
                                        ; -- End function
	.set _ZN4vllm25paged_attention_v1_kernelI14__hip_bfloat16S1_Li112ELi16ELi128ELNS_18Fp8KVCacheDataTypeE0ELb1EEEvPT_PKS3_PKT0_S9_ifPKiSB_iPKfiiiSD_SD_iiiii.num_vgpr, 79
	.set _ZN4vllm25paged_attention_v1_kernelI14__hip_bfloat16S1_Li112ELi16ELi128ELNS_18Fp8KVCacheDataTypeE0ELb1EEEvPT_PKS3_PKT0_S9_ifPKiSB_iPKfiiiSD_SD_iiiii.num_agpr, 0
	.set _ZN4vllm25paged_attention_v1_kernelI14__hip_bfloat16S1_Li112ELi16ELi128ELNS_18Fp8KVCacheDataTypeE0ELb1EEEvPT_PKS3_PKT0_S9_ifPKiSB_iPKfiiiSD_SD_iiiii.numbered_sgpr, 45
	.set _ZN4vllm25paged_attention_v1_kernelI14__hip_bfloat16S1_Li112ELi16ELi128ELNS_18Fp8KVCacheDataTypeE0ELb1EEEvPT_PKS3_PKT0_S9_ifPKiSB_iPKfiiiSD_SD_iiiii.num_named_barrier, 0
	.set _ZN4vllm25paged_attention_v1_kernelI14__hip_bfloat16S1_Li112ELi16ELi128ELNS_18Fp8KVCacheDataTypeE0ELb1EEEvPT_PKS3_PKT0_S9_ifPKiSB_iPKfiiiSD_SD_iiiii.private_seg_size, 0
	.set _ZN4vllm25paged_attention_v1_kernelI14__hip_bfloat16S1_Li112ELi16ELi128ELNS_18Fp8KVCacheDataTypeE0ELb1EEEvPT_PKS3_PKT0_S9_ifPKiSB_iPKfiiiSD_SD_iiiii.uses_vcc, 1
	.set _ZN4vllm25paged_attention_v1_kernelI14__hip_bfloat16S1_Li112ELi16ELi128ELNS_18Fp8KVCacheDataTypeE0ELb1EEEvPT_PKS3_PKT0_S9_ifPKiSB_iPKfiiiSD_SD_iiiii.uses_flat_scratch, 0
	.set _ZN4vllm25paged_attention_v1_kernelI14__hip_bfloat16S1_Li112ELi16ELi128ELNS_18Fp8KVCacheDataTypeE0ELb1EEEvPT_PKS3_PKT0_S9_ifPKiSB_iPKfiiiSD_SD_iiiii.has_dyn_sized_stack, 0
	.set _ZN4vllm25paged_attention_v1_kernelI14__hip_bfloat16S1_Li112ELi16ELi128ELNS_18Fp8KVCacheDataTypeE0ELb1EEEvPT_PKS3_PKT0_S9_ifPKiSB_iPKfiiiSD_SD_iiiii.has_recursion, 0
	.set _ZN4vllm25paged_attention_v1_kernelI14__hip_bfloat16S1_Li112ELi16ELi128ELNS_18Fp8KVCacheDataTypeE0ELb1EEEvPT_PKS3_PKT0_S9_ifPKiSB_iPKfiiiSD_SD_iiiii.has_indirect_call, 0
	.section	.AMDGPU.csdata,"",@progbits
; Kernel info:
; codeLenInByte = 6608
; TotalNumSgprs: 51
; NumVgprs: 79
; NumAgprs: 0
; TotalNumVgprs: 79
; ScratchSize: 0
; MemoryBound: 0
; FloatMode: 240
; IeeeMode: 1
; LDSByteSize: 240 bytes/workgroup (compile time only)
; SGPRBlocks: 6
; VGPRBlocks: 9
; NumSGPRsForWavesPerEU: 51
; NumVGPRsForWavesPerEU: 79
; AccumOffset: 80
; Occupancy: 6
; WaveLimiterHint : 1
; COMPUTE_PGM_RSRC2:SCRATCH_EN: 0
; COMPUTE_PGM_RSRC2:USER_SGPR: 2
; COMPUTE_PGM_RSRC2:TRAP_HANDLER: 0
; COMPUTE_PGM_RSRC2:TGID_X_EN: 1
; COMPUTE_PGM_RSRC2:TGID_Y_EN: 1
; COMPUTE_PGM_RSRC2:TGID_Z_EN: 1
; COMPUTE_PGM_RSRC2:TIDIG_COMP_CNT: 0
; COMPUTE_PGM_RSRC3_GFX90A:ACCUM_OFFSET: 19
; COMPUTE_PGM_RSRC3_GFX90A:TG_SPLIT: 0
	.section	.text._ZN4vllm25paged_attention_v1_kernelI14__hip_bfloat16S1_Li120ELi16ELi128ELNS_18Fp8KVCacheDataTypeE0ELb1EEEvPT_PKS3_PKT0_S9_ifPKiSB_iPKfiiiSD_SD_iiiii,"axG",@progbits,_ZN4vllm25paged_attention_v1_kernelI14__hip_bfloat16S1_Li120ELi16ELi128ELNS_18Fp8KVCacheDataTypeE0ELb1EEEvPT_PKS3_PKT0_S9_ifPKiSB_iPKfiiiSD_SD_iiiii,comdat
	.protected	_ZN4vllm25paged_attention_v1_kernelI14__hip_bfloat16S1_Li120ELi16ELi128ELNS_18Fp8KVCacheDataTypeE0ELb1EEEvPT_PKS3_PKT0_S9_ifPKiSB_iPKfiiiSD_SD_iiiii ; -- Begin function _ZN4vllm25paged_attention_v1_kernelI14__hip_bfloat16S1_Li120ELi16ELi128ELNS_18Fp8KVCacheDataTypeE0ELb1EEEvPT_PKS3_PKT0_S9_ifPKiSB_iPKfiiiSD_SD_iiiii
	.globl	_ZN4vllm25paged_attention_v1_kernelI14__hip_bfloat16S1_Li120ELi16ELi128ELNS_18Fp8KVCacheDataTypeE0ELb1EEEvPT_PKS3_PKT0_S9_ifPKiSB_iPKfiiiSD_SD_iiiii
	.p2align	8
	.type	_ZN4vllm25paged_attention_v1_kernelI14__hip_bfloat16S1_Li120ELi16ELi128ELNS_18Fp8KVCacheDataTypeE0ELb1EEEvPT_PKS3_PKT0_S9_ifPKiSB_iPKfiiiSD_SD_iiiii,@function
_ZN4vllm25paged_attention_v1_kernelI14__hip_bfloat16S1_Li120ELi16ELi128ELNS_18Fp8KVCacheDataTypeE0ELb1EEEvPT_PKS3_PKT0_S9_ifPKiSB_iPKfiiiSD_SD_iiiii: ; @_ZN4vllm25paged_attention_v1_kernelI14__hip_bfloat16S1_Li120ELi16ELi128ELNS_18Fp8KVCacheDataTypeE0ELb1EEEvPT_PKS3_PKT0_S9_ifPKiSB_iPKfiiiSD_SD_iiiii
; %bb.0:
	s_load_dword s5, s[0:1], 0x80
	s_load_dwordx2 s[6:7], s[0:1], 0x30
	s_load_dwordx2 s[30:31], s[0:1], 0x20
	s_mov_b32 s10, s3
	s_ashr_i32 s11, s3, 31
	s_lshl_b64 s[8:9], s[10:11], 2
	s_waitcnt lgkmcnt(0)
	s_add_u32 s6, s6, s8
	s_addc_u32 s7, s7, s9
	s_abs_i32 s3, s30
	v_cvt_f32_u32_e32 v1, s3
	s_sub_i32 s11, 0, s3
	s_abs_i32 s9, s5
	s_xor_b32 s8, s5, s30
	v_rcp_iflag_f32_e32 v1, v1
	s_ashr_i32 s8, s8, 31
	s_mov_b32 s44, 0
	v_mul_f32_e32 v1, 0x4f7ffffe, v1
	v_cvt_u32_f32_e32 v1, v1
	s_nop 0
	v_readfirstlane_b32 s12, v1
	s_mul_i32 s11, s11, s12
	s_mul_hi_u32 s11, s12, s11
	s_add_i32 s12, s12, s11
	s_mul_hi_u32 s11, s9, s12
	s_mul_i32 s12, s11, s3
	s_sub_i32 s9, s9, s12
	s_add_i32 s12, s11, 1
	s_sub_i32 s13, s9, s3
	s_cmp_ge_u32 s9, s3
	s_cselect_b32 s11, s12, s11
	s_cselect_b32 s9, s13, s9
	s_add_i32 s12, s11, 1
	s_cmp_ge_u32 s9, s3
	s_cselect_b32 s3, s12, s11
	s_xor_b32 s3, s3, s8
	s_sub_i32 s16, s3, s8
	s_abs_i32 s11, s16
	v_cvt_f32_u32_e32 v1, s11
	s_load_dwordx2 s[8:9], s[0:1], 0x40
	s_sub_i32 s3, 0, s11
	s_abs_i32 s22, s2
	v_rcp_iflag_f32_e32 v1, v1
	s_nop 0
	v_mul_f32_e32 v1, 0x4f7ffffe, v1
	v_cvt_u32_f32_e32 v1, v1
	s_nop 0
	v_readfirstlane_b32 s12, v1
	s_mul_i32 s3, s3, s12
	s_mul_hi_u32 s3, s12, s3
	s_add_i32 s12, s12, s3
	s_waitcnt lgkmcnt(0)
	s_cmp_eq_u64 s[8:9], 0
	s_mul_hi_u32 s23, s22, s12
	s_cbranch_scc1 .LBB131_2
; %bb.1:
	s_ashr_i32 s3, s2, 31
	s_lshl_b64 s[12:13], s[2:3], 2
	s_add_u32 s8, s8, s12
	s_addc_u32 s9, s9, s13
	s_load_dword s44, s[8:9], 0x0
.LBB131_2:
	s_load_dword s33, s[6:7], 0x0
	s_load_dwordx4 s[12:15], s[0:1], 0x48
	s_ashr_i32 s3, s2, 31
	s_ashr_i32 s9, s16, 31
	v_and_b32_e32 v4, 3, v0
	s_mul_i32 s20, s2, 0x78
	v_cmp_gt_u32_e32 vcc, 60, v0
	s_and_saveexec_b64 s[6:7], vcc
	s_cbranch_execz .LBB131_4
; %bb.3:
	s_load_dwordx2 s[16:17], s[0:1], 0x8
	s_waitcnt lgkmcnt(0)
	s_mul_i32 s18, s12, s10
	s_ashr_i32 s19, s18, 31
	s_lshl_b64 s[18:19], s[18:19], 1
	v_lshlrev_b32_e32 v1, 2, v0
	s_add_u32 s8, s16, s18
	s_addc_u32 s12, s17, s19
	s_ashr_i32 s21, s20, 31
	s_lshl_b64 s[16:17], s[20:21], 1
	s_add_u32 s16, s8, s16
	s_addc_u32 s17, s12, s17
	global_load_dword v1, v1, s[16:17]
	v_and_b32_e32 v2, 0x3fc, v0
	v_mad_u32_u24 v2, v4, 60, v2
	s_waitcnt vmcnt(0)
	ds_write_b32 v2, v1
.LBB131_4:
	s_or_b64 exec, exec, s[6:7]
	s_mul_i32 s6, s23, s11
	s_sub_i32 s6, s22, s6
	s_xor_b32 s3, s3, s9
	s_add_i32 s7, s23, 1
	s_sub_i32 s9, s6, s11
	s_load_dwordx4 s[16:19], s[0:1], 0x68
	s_load_dword s8, s[0:1], 0x78
	s_cmp_ge_u32 s6, s11
	s_cselect_b32 s7, s7, s23
	s_cselect_b32 s6, s9, s6
	s_add_i32 s9, s7, 1
	s_cmp_ge_u32 s6, s11
	s_cselect_b32 s6, s9, s7
	s_waitcnt lgkmcnt(0)
	s_abs_i32 s21, s19
	v_cvt_f32_u32_e32 v1, s21
	s_xor_b32 s6, s6, s3
	s_sub_i32 s3, s6, s3
	s_sub_i32 s6, 0, s21
	v_rcp_iflag_f32_e32 v1, v1
	s_add_i32 s11, s33, -1
	s_abs_i32 s9, s11
	v_mul_f32_e32 v1, 0x4f7ffffe, v1
	v_cvt_u32_f32_e32 v1, v1
	s_barrier
	v_readfirstlane_b32 s40, v1
	s_mul_i32 s6, s6, s40
	s_mul_hi_u32 s6, s40, s6
	s_add_i32 s40, s40, s6
	s_cmp_lt_i32 s8, 0
	s_mul_hi_u32 s12, s9, s40
	s_cbranch_scc0 .LBB131_6
; %bb.5:
	s_mul_i32 s6, s16, s30
	s_add_i32 s6, s3, s6
	s_mul_i32 s6, s6, s8
	s_sub_i32 s41, 1, s6
	s_mov_b64 s[6:7], 0
	s_branch .LBB131_7
.LBB131_6:
	s_mov_b64 s[6:7], -1
                                        ; implicit-def: $sgpr41
.LBB131_7:
	s_load_dwordx2 s[24:25], s[0:1], 0x28
	s_ashr_i32 s15, s11, 31
	s_andn2_b64 vcc, exec, s[6:7]
	s_ashr_i32 s42, s19, 31
	s_cbranch_vccnz .LBB131_9
; %bb.8:
	s_mul_i32 s6, s5, s16
	s_add_i32 s2, s6, s2
	s_mul_i32 s2, s2, s8
	s_add_i32 s41, s2, 1
.LBB131_9:
	s_load_dword s2, s[0:1], 0x38
	s_load_dwordx2 s[22:23], s[0:1], 0x0
	s_load_dwordx2 s[28:29], s[0:1], 0x18
	s_load_dword s11, s[0:1], 0x88
	s_xor_b32 s6, s15, s42
	s_waitcnt lgkmcnt(0)
	s_mul_i32 s26, s2, s10
	s_mul_i32 s2, s12, s21
	s_sub_i32 s2, s9, s2
	s_ashr_i32 s27, s26, 31
	s_add_i32 s7, s12, 1
	s_sub_i32 s8, s2, s21
	s_cmp_ge_u32 s2, s21
	s_cselect_b32 s7, s7, s12
	s_cselect_b32 s2, s8, s2
	s_add_i32 s8, s7, 1
	s_cmp_ge_u32 s2, s21
	s_cselect_b32 s2, s8, s7
	s_xor_b32 s2, s2, s6
	s_sub_i32 s12, s2, s6
	s_add_i32 s2, s33, 15
	s_ashr_i32 s6, s2, 31
	s_lshr_b32 s6, s6, 28
	s_add_i32 s2, s2, s6
	s_ashr_i32 s43, s2, 4
	v_lshrrev_b32_e32 v1, 6, v0
	v_cmp_le_i32_e64 s[6:7], s43, v1
	v_cmp_gt_i32_e32 vcc, s43, v1
	v_mov_b32_e32 v10, 0xff7fffff
	s_mul_i32 s14, s3, s14
	v_lshrrev_b32_e32 v6, 4, v0
	v_lshlrev_b32_e32 v34, 4, v1
	v_mbcnt_lo_u32_b32 v7, -1, 0
	s_and_saveexec_b64 s[34:35], vcc
	s_cbranch_execz .LBB131_21
; %bb.10:
	s_load_dwordx2 s[0:1], s[0:1], 0x10
	s_ashr_i32 s15, s14, 31
	s_sub_i32 s16, s12, s17
	s_lshl_b64 s[2:3], s[14:15], 1
	v_bfe_u32 v8, v0, 2, 4
	s_waitcnt lgkmcnt(0)
	s_add_u32 s0, s0, s2
	s_addc_u32 s1, s1, s3
	s_abs_i32 s15, s18
	v_cvt_f32_u32_e32 v5, s15
	v_lshlrev_b32_e32 v12, 4, v8
	v_mov_b32_e32 v13, 0
	v_lshl_add_u64 v[2:3], s[0:1], 0, v[12:13]
	v_rcp_iflag_f32_e32 v5, v5
	v_lshlrev_b32_e32 v9, 2, v0
	s_sub_i32 s0, 0, s15
	v_cmp_eq_u32_e32 vcc, 0, v4
	v_mul_f32_e32 v5, 0x4f7ffffe, v5
	v_cvt_u32_f32_e32 v5, v5
	v_and_b32_e32 v12, 12, v9
	v_mul_u32_u24_e32 v9, 60, v4
	v_lshl_add_u64 v[2:3], v[2:3], 0, v[12:13]
	v_mul_lo_u32 v4, s0, v5
	s_lshl_b64 s[0:1], s[26:27], 2
	s_add_u32 s0, s24, s0
	v_mul_hi_u32 v4, v5, v4
	v_and_b32_e32 v12, 60, v6
	s_addc_u32 s1, s25, s1
	v_subrev_u32_e32 v10, s33, v8
	v_add_u32_e32 v11, v5, v4
	v_lshl_add_u64 v[4:5], s[0:1], 0, v[12:13]
	v_add_u32_e32 v13, 1, v10
	v_lshlrev_b32_e32 v10, 2, v8
	v_lshl_or_b32 v10, v1, 6, v10
	v_mbcnt_hi_u32_b32 v16, -1, v7
	v_add_u32_e32 v14, 0x100, v10
	v_and_b32_e32 v10, 64, v16
	s_mov_b32 s19, s13
	v_cmp_neq_f32_e64 s[2:3], s44, 0
	v_lshlrev_b32_e32 v12, 4, v1
	v_mov_b32_e32 v15, 0xff7fffff
	s_mov_b64 s[36:37], 0
	v_add_u32_e32 v17, 64, v10
	v_xor_b32_e32 v18, 2, v16
	v_xor_b32_e32 v19, 1, v16
	v_mov_b32_e32 v10, 0xff7fffff
	v_mov_b32_e32 v20, v1
	s_branch .LBB131_13
.LBB131_11:                             ;   in Loop: Header=BB131_13 Depth=1
	s_or_b64 exec, exec, s[38:39]
.LBB131_12:                             ;   in Loop: Header=BB131_13 Depth=1
	s_or_b64 exec, exec, s[8:9]
	v_add_u32_e32 v20, 2, v20
	v_cmp_le_i32_e64 s[0:1], s43, v20
	v_lshl_add_u64 v[4:5], v[4:5], 0, 8
	v_add_u32_e32 v12, 32, v12
	s_or_b64 s[36:37], s[0:1], s[36:37]
	v_add_u32_e32 v14, 0x80, v14
	s_andn2_b64 exec, exec, s[36:37]
	s_cbranch_execz .LBB131_20
.LBB131_13:                             ; =>This Inner Loop Header: Depth=1
	v_mul_hi_u32 v21, v12, s40
	s_waitcnt lgkmcnt(0)
	v_mul_lo_u32 v22, v21, s21
	v_sub_u32_e32 v22, v12, v22
	v_add_u32_e32 v23, 1, v21
	v_cmp_le_u32_e64 s[0:1], s21, v22
	s_nop 1
	v_cndmask_b32_e64 v21, v21, v23, s[0:1]
	v_subrev_u32_e32 v23, s21, v22
	v_cndmask_b32_e64 v22, v22, v23, s[0:1]
	v_add_u32_e32 v23, 1, v21
	v_cmp_le_u32_e64 s[0:1], s21, v22
	s_nop 1
	v_cndmask_b32_e64 v21, v21, v23, s[0:1]
	v_xor_b32_e32 v21, s42, v21
	v_subrev_u32_e32 v21, s42, v21
	v_add_u32_e32 v22, s41, v21
	v_sub_u32_e32 v24, 0, v22
	v_ashrrev_i32_e32 v23, 31, v22
	v_max_i32_e32 v22, v22, v24
	v_mul_hi_u32 v24, v22, v11
	v_mul_lo_u32 v24, v24, s15
	v_sub_u32_e32 v22, v22, v24
	v_subrev_u32_e32 v24, s15, v22
	v_cmp_le_u32_e64 s[0:1], s15, v22
	v_cmp_ge_i32_e64 s[8:9], s16, v21
	s_nop 0
	v_cndmask_b32_e64 v22, v22, v24, s[0:1]
	v_subrev_u32_e32 v24, s15, v22
	v_cmp_le_u32_e64 s[0:1], s15, v22
	s_nop 1
	v_cndmask_b32_e64 v22, v22, v24, s[0:1]
	v_xor_b32_e32 v22, v22, v23
	v_sub_u32_e32 v22, v22, v23
	v_cmp_ne_u32_e64 s[0:1], 0, v22
	s_and_b64 s[0:1], s[0:1], s[8:9]
	s_and_saveexec_b64 s[8:9], s[0:1]
	s_xor_b64 s[0:1], exec, s[8:9]
	s_cbranch_execz .LBB131_17
; %bb.14:                               ;   in Loop: Header=BB131_13 Depth=1
	s_and_saveexec_b64 s[8:9], vcc
; %bb.15:                               ;   in Loop: Header=BB131_13 Depth=1
	ds_write_b32 v14, v15
; %bb.16:                               ;   in Loop: Header=BB131_13 Depth=1
	s_or_b64 exec, exec, s[8:9]
.LBB131_17:                             ;   in Loop: Header=BB131_13 Depth=1
	s_andn2_saveexec_b64 s[8:9], s[0:1]
	s_cbranch_execz .LBB131_12
; %bb.18:                               ;   in Loop: Header=BB131_13 Depth=1
	global_load_dword v21, v[4:5], off
	s_waitcnt vmcnt(0)
	v_mad_i64_i32 v[22:23], s[0:1], v21, s19, 0
	v_lshl_add_u64 v[22:23], v[22:23], 1, v[2:3]
	global_load_dword v21, v[22:23], off
	global_load_dword v35, v[22:23], off offset:256
	global_load_dword v38, v[22:23], off offset:512
	;; [unrolled: 1-line block ×14, first 2 shown]
	ds_read2_b32 v[22:23], v9 offset1:1
	ds_read2_b32 v[24:25], v9 offset0:2 offset1:3
	ds_read2_b32 v[26:27], v9 offset0:4 offset1:5
	;; [unrolled: 1-line block ×6, first 2 shown]
	ds_read_b32 v51, v9 offset:56
	s_waitcnt lgkmcnt(7)
	v_lshlrev_b32_e32 v54, 16, v23
	v_and_b32_e32 v23, 0xffff0000, v23
	v_lshlrev_b32_e32 v53, 16, v22
	v_and_b32_e32 v22, 0xffff0000, v22
	s_waitcnt lgkmcnt(6)
	v_lshlrev_b32_e32 v55, 16, v24
	v_and_b32_e32 v24, 0xffff0000, v24
	v_lshlrev_b32_e32 v56, 16, v25
	v_and_b32_e32 v25, 0xffff0000, v25
	;; [unrolled: 5-line block ×7, first 2 shown]
	v_cmp_lt_i32_e64 s[0:1], v18, v17
	s_waitcnt lgkmcnt(0)
	v_lshlrev_b32_e32 v67, 16, v51
	v_and_b32_e32 v51, 0xffff0000, v51
	v_cndmask_b32_e64 v52, v16, v18, s[0:1]
	v_lshlrev_b32_e32 v52, 2, v52
	v_cmp_lt_i32_e64 s[0:1], v19, v17
	s_waitcnt vmcnt(14)
	v_lshlrev_b32_e32 v68, 16, v21
	s_waitcnt vmcnt(13)
	v_lshlrev_b32_e32 v69, 16, v35
	v_and_b32_e32 v35, 0xffff0000, v35
	v_and_b32_e32 v21, 0xffff0000, v21
	v_mul_f32_e32 v54, v54, v69
	v_mul_f32_e32 v23, v23, v35
	s_waitcnt vmcnt(12)
	v_lshlrev_b32_e32 v70, 16, v38
	v_and_b32_e32 v38, 0xffff0000, v38
	v_fmac_f32_e32 v54, v53, v68
	v_fmac_f32_e32 v23, v22, v21
	s_waitcnt vmcnt(11)
	v_lshlrev_b32_e32 v71, 16, v39
	v_and_b32_e32 v39, 0xffff0000, v39
	v_fmac_f32_e32 v54, v55, v70
	v_fmac_f32_e32 v23, v24, v38
	;; [unrolled: 5-line block ×13, first 2 shown]
	v_fmac_f32_e32 v54, v67, v82
	v_fmac_f32_e32 v23, v51, v50
	v_add_f32_e32 v21, v54, v23
	ds_bpermute_b32 v22, v52, v21
	v_cndmask_b32_e64 v23, v16, v19, s[0:1]
	v_lshlrev_b32_e32 v23, 2, v23
	s_waitcnt lgkmcnt(0)
	v_add_f32_e32 v21, v21, v22
	ds_bpermute_b32 v22, v23, v21
	s_and_saveexec_b64 s[38:39], vcc
	s_cbranch_execz .LBB131_11
; %bb.19:                               ;   in Loop: Header=BB131_13 Depth=1
	v_add_u32_e32 v23, v13, v12
	v_cvt_f32_i32_e32 v23, v23
	s_waitcnt lgkmcnt(0)
	v_add_f32_e32 v21, v21, v22
	v_add_u32_e32 v24, v8, v12
	v_cmp_gt_i32_e64 s[0:1], s33, v24
	v_mul_f32_e32 v22, s44, v23
	v_cndmask_b32_e64 v22, 0, v22, s[2:3]
	v_fmac_f32_e32 v22, s31, v21
	v_cndmask_b32_e64 v21, 0, v22, s[0:1]
	ds_write_b32 v14, v21
	v_max_f32_e32 v21, v10, v10
	v_max_f32_e32 v21, v21, v22
	v_cndmask_b32_e64 v10, v10, v21, s[0:1]
	s_branch .LBB131_11
.LBB131_20:
	s_or_b64 exec, exec, s[36:37]
.LBB131_21:
	s_or_b64 exec, exec, s[34:35]
	v_mbcnt_hi_u32_b32 v2, -1, v7
	v_and_b32_e32 v12, 64, v2
	v_add_u32_e32 v3, 64, v12
	v_xor_b32_e32 v4, 32, v2
	v_cmp_lt_i32_e32 vcc, v4, v3
	v_xor_b32_e32 v8, 16, v2
	v_max_f32_e32 v7, v10, v10
	v_cndmask_b32_e32 v4, v2, v4, vcc
	v_lshlrev_b32_e32 v5, 2, v4
	ds_bpermute_b32 v4, v5, v10
	v_cmp_lt_i32_e32 vcc, v8, v3
	v_xor_b32_e32 v9, 8, v2
	v_xor_b32_e32 v11, 4, v2
	s_waitcnt lgkmcnt(0)
	v_max_f32_e32 v4, v4, v4
	v_max_f32_e32 v4, v7, v4
	v_cndmask_b32_e32 v7, v2, v8, vcc
	v_lshlrev_b32_e32 v7, 2, v7
	ds_bpermute_b32 v8, v7, v4
	v_cmp_lt_i32_e32 vcc, v9, v3
	s_waitcnt lgkmcnt(0)
	v_max_f32_e32 v8, v8, v8
	v_max_f32_e32 v4, v4, v8
	v_cndmask_b32_e32 v8, v2, v9, vcc
	v_lshlrev_b32_e32 v10, 2, v8
	ds_bpermute_b32 v8, v10, v4
	v_cmp_lt_i32_e32 vcc, v11, v3
	s_waitcnt lgkmcnt(0)
	v_max_f32_e32 v8, v8, v8
	v_max_f32_e32 v9, v4, v8
	v_cndmask_b32_e32 v4, v2, v11, vcc
	v_lshlrev_b32_e32 v11, 2, v4
	ds_bpermute_b32 v13, v11, v9
	v_and_b32_e32 v4, 63, v0
	v_cmp_eq_u32_e32 vcc, 0, v4
	v_lshlrev_b32_e32 v8, 2, v1
	s_and_saveexec_b64 s[0:1], vcc
	s_cbranch_execz .LBB131_23
; %bb.22:
	s_waitcnt lgkmcnt(0)
	v_max_f32_e32 v13, v13, v13
	v_max_f32_e32 v9, v9, v9
	v_max_f32_e32 v9, v9, v13
	ds_write_b32 v8, v9 offset:240
.LBB131_23:
	s_or_b64 exec, exec, s[0:1]
	v_cmp_gt_u32_e64 s[0:1], 2, v4
	s_waitcnt lgkmcnt(0)
	v_mov_b32_e32 v13, 0xff7fffff
	v_lshlrev_b32_e32 v9, 2, v4
	s_barrier
	s_and_saveexec_b64 s[2:3], s[0:1]
; %bb.24:
	ds_read_b32 v13, v9 offset:240
; %bb.25:
	s_or_b64 exec, exec, s[2:3]
	v_xor_b32_e32 v14, 1, v2
	v_cmp_lt_i32_e64 s[2:3], v14, v3
	v_lshlrev_b32_e32 v12, 2, v12
	s_nop 0
	v_cndmask_b32_e64 v14, v2, v14, s[2:3]
	v_lshlrev_b32_e32 v35, 2, v14
	s_waitcnt lgkmcnt(0)
	ds_bpermute_b32 v14, v35, v13
	v_max_f32_e32 v13, v13, v13
	s_lshl_b32 s2, s43, 4
	s_min_i32 s15, s2, s33
	v_cmp_gt_i32_e64 s[2:3], s15, v0
	s_waitcnt lgkmcnt(0)
	v_max_f32_e32 v14, v14, v14
	v_max_f32_e32 v13, v13, v14
	ds_bpermute_b32 v13, v12, v13
	v_mov_b32_e32 v12, 0
	s_and_saveexec_b64 s[30:31], s[2:3]
	s_cbranch_execz .LBB131_29
; %bb.26:
	v_mov_b32_e32 v12, 0x100
	v_lshl_add_u32 v14, v0, 2, v12
	v_mov_b32_e32 v12, 0
	s_mov_b64 s[34:35], 0
	v_mov_b32_e32 v15, v0
.LBB131_27:                             ; =>This Inner Loop Header: Depth=1
	ds_read_b32 v16, v14
	v_add_u32_e32 v15, 0x80, v15
	v_cmp_le_i32_e64 s[8:9], s15, v15
	s_or_b64 s[34:35], s[8:9], s[34:35]
	s_waitcnt lgkmcnt(0)
	v_sub_f32_e32 v16, v16, v13
	v_mul_f32_e32 v16, 0x3fb8aa3b, v16
	v_exp_f32_e32 v16, v16
	ds_write_b32 v14, v16
	v_add_f32_e32 v12, v12, v16
	v_add_u32_e32 v14, 0x200, v14
	s_andn2_b64 exec, exec, s[34:35]
	s_cbranch_execnz .LBB131_27
; %bb.28:
	s_or_b64 exec, exec, s[34:35]
.LBB131_29:
	s_or_b64 exec, exec, s[30:31]
	ds_bpermute_b32 v5, v5, v12
	s_waitcnt lgkmcnt(0)
	v_add_f32_e32 v5, v12, v5
	ds_bpermute_b32 v7, v7, v5
	s_waitcnt lgkmcnt(0)
	v_add_f32_e32 v5, v5, v7
	ds_bpermute_b32 v7, v10, v5
	v_xor_b32_e32 v10, 2, v2
	v_cmp_lt_i32_e64 s[8:9], v10, v3
	s_waitcnt lgkmcnt(0)
	v_add_f32_e32 v5, v5, v7
	ds_bpermute_b32 v7, v11, v5
	v_cndmask_b32_e64 v3, v2, v10, s[8:9]
	v_lshlrev_b32_e32 v3, 2, v3
	s_waitcnt lgkmcnt(0)
	v_add_f32_e32 v5, v5, v7
	ds_bpermute_b32 v3, v3, v5
	s_waitcnt lgkmcnt(0)
	v_add_f32_e32 v3, v5, v3
	ds_bpermute_b32 v5, v35, v3
	s_waitcnt lgkmcnt(0)
	v_add_f32_e32 v3, v3, v5
	s_and_saveexec_b64 s[8:9], vcc
; %bb.30:
	ds_write_b32 v8, v3 offset:248
; %bb.31:
	s_or_b64 exec, exec, s[8:9]
	s_waitcnt lgkmcnt(0)
	s_barrier
	s_and_saveexec_b64 s[8:9], s[0:1]
; %bb.32:
	ds_read_b32 v3, v9 offset:248
; %bb.33:
	s_or_b64 exec, exec, s[8:9]
	s_waitcnt lgkmcnt(0)
	ds_bpermute_b32 v5, v35, v3
	v_lshlrev_b32_e32 v2, 2, v2
	v_and_b32_e32 v2, 0x100, v2
	s_waitcnt lgkmcnt(0)
	v_add_f32_e32 v3, v3, v5
	ds_bpermute_b32 v2, v2, v3
	s_and_saveexec_b64 s[0:1], s[2:3]
	s_cbranch_execz .LBB131_46
; %bb.34:
	s_waitcnt lgkmcnt(0)
	v_add_f32_e32 v2, 0x358637bd, v2
	v_div_scale_f32 v3, s[2:3], v2, v2, 1.0
	v_rcp_f32_e32 v5, v3
	v_div_scale_f32 v7, vcc, 1.0, v2, 1.0
	s_movk_i32 s2, 0x7f
	v_fma_f32 v8, -v3, v5, 1.0
	v_fmac_f32_e32 v5, v8, v5
	v_mul_f32_e32 v8, v7, v5
	v_fma_f32 v9, -v3, v8, v7
	v_fmac_f32_e32 v8, v9, v5
	v_fma_f32 v3, -v3, v8, v7
	v_div_fmas_f32 v3, v3, v5, v8
	v_xad_u32 v5, v0, -1, s15
	v_div_fixup_f32 v2, v3, v2, 1.0
	v_cmp_lt_u32_e32 vcc, s2, v5
	s_mov_b64 s[8:9], -1
	v_mov_b32_e32 v3, v0
	s_and_saveexec_b64 s[2:3], vcc
	s_cbranch_execz .LBB131_43
; %bb.35:
	v_lshrrev_b32_e32 v5, 7, v5
	v_add_u32_e32 v8, -1, v5
	v_lshrrev_b32_e32 v7, 1, v8
	v_mov_b32_e32 v3, v2
	v_add_u32_e32 v7, 1, v7
	v_cmp_lt_u32_e32 vcc, 13, v8
	v_mov_b32_e32 v10, 0
	s_and_saveexec_b64 s[8:9], vcc
	s_cbranch_execz .LBB131_39
; %bb.36:
	v_mov_b32_e32 v9, 0x100
	v_and_b32_e32 v8, -8, v7
	v_lshl_add_u32 v9, v0, 2, v9
	s_mov_b32 s16, 0
	s_mov_b64 s[30:31], 0
.LBB131_37:                             ; =>This Inner Loop Header: Depth=1
	ds_read2st64_b32 v[10:11], v9 offset1:2
	ds_read2st64_b32 v[12:13], v9 offset0:4 offset1:6
	ds_read2st64_b32 v[14:15], v9 offset0:8 offset1:10
	;; [unrolled: 1-line block ×3, first 2 shown]
	v_add_u32_e32 v8, -8, v8
	s_waitcnt lgkmcnt(3)
	v_pk_mul_f32 v[10:11], v[2:3], v[10:11]
	s_waitcnt lgkmcnt(2)
	v_pk_mul_f32 v[12:13], v[2:3], v[12:13]
	ds_write2st64_b32 v9, v10, v11 offset1:2
	ds_write2st64_b32 v9, v12, v13 offset0:4 offset1:6
	ds_read2st64_b32 v[12:13], v9 offset0:16 offset1:18
	s_waitcnt lgkmcnt(4)
	v_pk_mul_f32 v[10:11], v[2:3], v[14:15]
	ds_write2st64_b32 v9, v10, v11 offset0:8 offset1:10
	s_waitcnt lgkmcnt(4)
	v_pk_mul_f32 v[10:11], v[2:3], v[16:17]
	ds_write2st64_b32 v9, v10, v11 offset0:12 offset1:14
	ds_read2st64_b32 v[10:11], v9 offset0:20 offset1:22
	s_waitcnt lgkmcnt(3)
	v_pk_mul_f32 v[12:13], v[2:3], v[12:13]
	ds_read2st64_b32 v[14:15], v9 offset0:24 offset1:26
	ds_write2st64_b32 v9, v12, v13 offset0:16 offset1:18
	ds_read2st64_b32 v[12:13], v9 offset0:28 offset1:30
	s_waitcnt lgkmcnt(3)
	v_pk_mul_f32 v[10:11], v[2:3], v[10:11]
	ds_write2st64_b32 v9, v10, v11 offset0:20 offset1:22
	s_waitcnt lgkmcnt(3)
	v_pk_mul_f32 v[10:11], v[2:3], v[14:15]
	ds_write2st64_b32 v9, v10, v11 offset0:24 offset1:26
	s_waitcnt lgkmcnt(2)
	v_pk_mul_f32 v[10:11], v[2:3], v[12:13]
	s_add_i32 s16, s16, 16
	v_cmp_eq_u32_e32 vcc, 0, v8
	ds_write2st64_b32 v9, v10, v11 offset0:28 offset1:30
	v_add_u32_e32 v9, 0x2000, v9
	s_or_b64 s[30:31], vcc, s[30:31]
	v_mov_b32_e32 v10, s16
	s_andn2_b64 exec, exec, s[30:31]
	s_cbranch_execnz .LBB131_37
; %bb.38:
	s_or_b64 exec, exec, s[30:31]
.LBB131_39:
	s_or_b64 exec, exec, s[8:9]
	v_and_b32_e32 v7, 7, v7
	v_cmp_ne_u32_e32 vcc, 0, v7
	s_and_saveexec_b64 s[8:9], vcc
	s_cbranch_execz .LBB131_42
; %bb.40:
	v_lshlrev_b32_e32 v8, 9, v10
	v_lshlrev_b32_e32 v9, 2, v0
	s_movk_i32 s16, 0x100
	v_add3_u32 v8, v8, v9, s16
	s_mov_b64 s[30:31], 0
.LBB131_41:                             ; =>This Inner Loop Header: Depth=1
	ds_read2st64_b32 v[10:11], v8 offset1:2
	v_add_u32_e32 v7, -1, v7
	v_cmp_eq_u32_e32 vcc, 0, v7
	s_or_b64 s[30:31], vcc, s[30:31]
	s_waitcnt lgkmcnt(0)
	v_pk_mul_f32 v[10:11], v[2:3], v[10:11]
	ds_write2st64_b32 v8, v10, v11 offset1:2
	v_add_u32_e32 v8, 0x400, v8
	s_andn2_b64 exec, exec, s[30:31]
	s_cbranch_execnz .LBB131_41
.LBB131_42:
	s_or_b64 exec, exec, s[8:9]
	v_add_u32_e32 v5, 1, v5
	v_and_b32_e32 v7, 0x3fffffe, v5
	v_cmp_ne_u32_e32 vcc, v5, v7
	v_lshl_add_u32 v3, v7, 7, v0
	s_orn2_b64 s[8:9], vcc, exec
.LBB131_43:
	s_or_b64 exec, exec, s[2:3]
	s_and_b64 exec, exec, s[8:9]
	s_cbranch_execz .LBB131_46
; %bb.44:
	v_mov_b32_e32 v5, 0x100
	v_lshl_add_u32 v5, v3, 2, v5
	s_mov_b64 s[2:3], 0
.LBB131_45:                             ; =>This Inner Loop Header: Depth=1
	ds_read_b32 v7, v5
	v_add_u32_e32 v3, 0x80, v3
	v_cmp_le_i32_e32 vcc, s15, v3
	s_or_b64 s[2:3], vcc, s[2:3]
	s_waitcnt lgkmcnt(0)
	v_mul_f32_e32 v7, v2, v7
	ds_write_b32 v5, v7
	v_add_u32_e32 v5, 0x200, v5
	s_andn2_b64 exec, exec, s[2:3]
	s_cbranch_execnz .LBB131_45
.LBB131_46:
	s_or_b64 exec, exec, s[0:1]
	v_lshrrev_b32_e32 v36, 1, v4
	s_waitcnt lgkmcnt(0)
	s_barrier
	s_and_saveexec_b64 s[0:1], s[6:7]
	s_xor_b64 s[0:1], exec, s[0:1]
; %bb.47:
	v_lshrrev_b32_e32 v36, 1, v4
                                        ; implicit-def: $vgpr34
                                        ; implicit-def: $vgpr1
                                        ; implicit-def: $vgpr6
; %bb.48:
	s_or_saveexec_b64 s[8:9], s[0:1]
	v_mov_b32_e32 v23, 0
	v_and_b32_e32 v37, 1, v0
	v_mov_b32_e32 v22, 0
	v_mov_b32_e32 v25, 0
	v_mov_b32_e32 v24, 0
	s_xor_b64 exec, exec, s[8:9]
	s_cbranch_execz .LBB131_64
; %bb.49:
	s_ashr_i32 s15, s14, 31
	s_sub_i32 s30, s12, s17
	s_lshl_b64 s[0:1], s[14:15], 1
	s_add_u32 s12, s28, s0
	s_mov_b32 s31, s13
	s_addc_u32 s13, s29, s1
	s_abs_i32 s28, s18
	v_cvt_f32_u32_e32 v3, s28
	s_sub_i32 s2, 0, s28
	v_lshlrev_b32_e32 v2, 3, v0
	s_add_i32 s29, s43, -1
	v_rcp_iflag_f32_e32 v3, v3
	v_and_b32_e32 v38, 8, v2
	v_or_b32_e32 v4, 0x60, v36
	s_movk_i32 s0, 0x78
	v_mul_f32_e32 v3, 0x4f7ffffe, v3
	v_cvt_u32_f32_e32 v3, v3
	v_lshl_or_b32 v2, v36, 4, v38
	v_mov_b32_e32 v27, 0
	v_cmp_gt_u32_e64 s[0:1], s0, v4
	v_mul_lo_u32 v5, s2, v3
	v_mul_hi_u32 v5, v3, v5
	s_lshl_b64 s[2:3], s[26:27], 2
	v_add_u32_e32 v39, v3, v5
	s_add_u32 s2, s24, s2
	v_lshlrev_b32_e32 v3, 5, v37
	v_lshl_or_b32 v4, v4, 4, v38
	v_and_b32_e32 v26, 60, v6
	s_addc_u32 s3, s25, s3
	v_lshl_or_b32 v3, v1, 6, v3
	s_mov_b32 s34, s33
	v_lshl_add_u64 v[28:29], s[2:3], 0, v[26:27]
	v_add_u32_e32 v40, 0x100, v3
	s_mov_b64 s[14:15], 0
	v_lshlrev_b32_e32 v26, 1, v2
	s_mov_b32 s24, 0x5040100
	v_lshlrev_b32_e32 v30, 1, v4
	v_mov_b32_e32 v24, v27
	v_mov_b32_e32 v25, v27
	;; [unrolled: 1-line block ×4, first 2 shown]
	s_branch .LBB131_53
.LBB131_50:                             ;   in Loop: Header=BB131_53 Depth=1
	s_or_b64 exec, exec, s[18:19]
	s_waitcnt vmcnt(0)
	v_and_b32_e32 v21, 0xffff0000, v14
	v_and_b32_e32 v31, 0xffff0000, v42
	v_mul_f32_e32 v21, v31, v21
	v_lshlrev_b32_e32 v14, 16, v14
	v_lshlrev_b32_e32 v31, 16, v42
	v_mul_f32_e32 v14, v31, v14
	v_and_b32_e32 v31, 0xffff0000, v15
	v_and_b32_e32 v32, 0xffff0000, v20
	v_mul_f32_e32 v31, v32, v31
	v_lshlrev_b32_e32 v15, 16, v15
	v_lshlrev_b32_e32 v32, 16, v20
	v_mul_f32_e32 v15, v32, v15
	;; [unrolled: 6-line block ×3, first 2 shown]
	v_and_b32_e32 v33, 0xffff0000, v17
	v_and_b32_e32 v41, 0xffff0000, v18
	v_cvt_pk_bf16_f32 v21, v21, s0
	v_cvt_pk_bf16_f32 v14, v14, s0
	;; [unrolled: 1-line block ×4, first 2 shown]
	v_mul_f32_e32 v33, v41, v33
	v_lshlrev_b32_e32 v17, 16, v17
	v_lshlrev_b32_e32 v41, 16, v18
	v_cvt_pk_bf16_f32 v32, v32, s0
	v_cvt_pk_bf16_f32 v16, v16, s0
	v_mul_f32_e32 v17, v41, v17
	v_lshlrev_b32_e32 v14, 16, v14
	v_lshlrev_b32_e32 v21, 16, v21
	v_lshlrev_b32_e32 v15, 16, v15
	v_lshlrev_b32_e32 v31, 16, v31
	v_cvt_pk_bf16_f32 v33, v33, s0
	v_cvt_pk_bf16_f32 v17, v17, s0
	v_lshlrev_b32_e32 v16, 16, v16
	v_lshlrev_b32_e32 v32, 16, v32
	v_add_f32_e32 v14, v21, v14
	v_add_f32_e32 v15, v31, v15
	v_lshlrev_b32_e32 v17, 16, v17
	v_lshlrev_b32_e32 v33, 16, v33
	v_add_f32_e32 v14, v15, v14
	v_add_f32_e32 v15, v32, v16
	;; [unrolled: 1-line block ×6, first 2 shown]
.LBB131_51:                             ;   in Loop: Header=BB131_53 Depth=1
	s_or_b64 exec, exec, s[6:7]
	s_waitcnt vmcnt(0)
	v_and_b32_e32 v14, 0xffff0000, v10
	v_and_b32_e32 v15, 0xffff0000, v42
	v_lshlrev_b32_e32 v10, 16, v10
	v_lshlrev_b32_e32 v16, 16, v42
	v_mul_f32_e32 v14, v15, v14
	v_mul_f32_e32 v10, v16, v10
	v_and_b32_e32 v17, 0xffff0000, v11
	v_and_b32_e32 v21, 0xffff0000, v20
	v_lshlrev_b32_e32 v11, 16, v11
	v_lshlrev_b32_e32 v20, 16, v20
	v_cvt_pk_bf16_f32 v14, v14, s0
	v_cvt_pk_bf16_f32 v10, v10, s0
	v_mul_f32_e32 v17, v21, v17
	v_mul_f32_e32 v11, v20, v11
	v_cvt_pk_bf16_f32 v17, v17, s0
	v_cvt_pk_bf16_f32 v11, v11, s0
	v_and_b32_e32 v31, 0xffff0000, v12
	v_and_b32_e32 v32, 0xffff0000, v19
	v_lshlrev_b32_e32 v12, 16, v12
	v_lshlrev_b32_e32 v19, 16, v19
	;; [unrolled: 1-line block ×4, first 2 shown]
	v_mul_f32_e32 v31, v32, v31
	v_mul_f32_e32 v12, v19, v12
	v_add_f32_e32 v10, v10, v14
	v_lshlrev_b32_e32 v11, 16, v11
	v_lshlrev_b32_e32 v14, 16, v17
	v_cvt_pk_bf16_f32 v31, v31, s0
	v_cvt_pk_bf16_f32 v12, v12, s0
	v_and_b32_e32 v33, 0xffff0000, v13
	v_and_b32_e32 v41, 0xffff0000, v18
	v_lshlrev_b32_e32 v13, 16, v13
	v_lshlrev_b32_e32 v18, 16, v18
	v_add_f32_e32 v11, v11, v14
	v_mul_f32_e32 v33, v41, v33
	v_mul_f32_e32 v13, v18, v13
	v_add_f32_e32 v10, v11, v10
	v_lshlrev_b32_e32 v11, 16, v12
	v_lshlrev_b32_e32 v12, 16, v31
	v_cvt_pk_bf16_f32 v33, v33, s0
	v_cvt_pk_bf16_f32 v13, v13, s0
	v_add_f32_e32 v11, v11, v12
	v_add_f32_e32 v10, v11, v10
	v_lshlrev_b32_e32 v11, 16, v13
	v_lshlrev_b32_e32 v12, 16, v33
	v_add_f32_e32 v11, v11, v12
	v_add_f32_e32 v10, v11, v10
	;; [unrolled: 1-line block ×3, first 2 shown]
	v_and_b32_e32 v10, 0xffff0000, v6
	v_lshlrev_b32_e32 v6, 16, v6
	v_mul_f32_e32 v10, v15, v10
	v_mul_f32_e32 v6, v16, v6
	v_and_b32_e32 v11, 0xffff0000, v7
	v_lshlrev_b32_e32 v7, 16, v7
	v_cvt_pk_bf16_f32 v10, v10, s0
	v_cvt_pk_bf16_f32 v6, v6, s0
	v_mul_f32_e32 v11, v21, v11
	v_mul_f32_e32 v7, v20, v7
	v_cvt_pk_bf16_f32 v11, v11, s0
	v_cvt_pk_bf16_f32 v7, v7, s0
	v_and_b32_e32 v12, 0xffff0000, v8
	v_lshlrev_b32_e32 v8, 16, v8
	v_lshlrev_b32_e32 v6, 16, v6
	;; [unrolled: 1-line block ×3, first 2 shown]
	v_mul_f32_e32 v12, v32, v12
	v_mul_f32_e32 v8, v19, v8
	v_add_f32_e32 v6, v6, v10
	v_lshlrev_b32_e32 v7, 16, v7
	v_lshlrev_b32_e32 v10, 16, v11
	v_cvt_pk_bf16_f32 v12, v12, s0
	v_cvt_pk_bf16_f32 v8, v8, s0
	v_and_b32_e32 v13, 0xffff0000, v9
	v_lshlrev_b32_e32 v9, 16, v9
	v_add_f32_e32 v7, v7, v10
	v_mul_f32_e32 v13, v41, v13
	v_mul_f32_e32 v9, v18, v9
	v_add_f32_e32 v6, v7, v6
	v_lshlrev_b32_e32 v7, 16, v8
	v_lshlrev_b32_e32 v8, 16, v12
	v_cvt_pk_bf16_f32 v13, v13, s0
	v_cvt_pk_bf16_f32 v9, v9, s0
	v_add_f32_e32 v7, v7, v8
	v_add_f32_e32 v6, v7, v6
	v_lshlrev_b32_e32 v7, 16, v9
	v_lshlrev_b32_e32 v8, 16, v13
	v_add_f32_e32 v7, v7, v8
	v_add_f32_e32 v6, v7, v6
	;; [unrolled: 1-line block ×3, first 2 shown]
	v_and_b32_e32 v6, 0xffff0000, v2
	v_lshlrev_b32_e32 v2, 16, v2
	v_mul_f32_e32 v6, v15, v6
	v_mul_f32_e32 v2, v16, v2
	v_and_b32_e32 v7, 0xffff0000, v3
	v_lshlrev_b32_e32 v3, 16, v3
	v_cvt_pk_bf16_f32 v6, v6, s0
	v_cvt_pk_bf16_f32 v2, v2, s0
	v_mul_f32_e32 v7, v21, v7
	v_mul_f32_e32 v3, v20, v3
	v_cvt_pk_bf16_f32 v7, v7, s0
	v_cvt_pk_bf16_f32 v3, v3, s0
	v_and_b32_e32 v8, 0xffff0000, v4
	v_lshlrev_b32_e32 v4, 16, v4
	v_lshlrev_b32_e32 v2, 16, v2
	;; [unrolled: 1-line block ×3, first 2 shown]
	v_mul_f32_e32 v8, v32, v8
	v_mul_f32_e32 v4, v19, v4
	v_add_f32_e32 v2, v2, v6
	v_lshlrev_b32_e32 v3, 16, v3
	v_lshlrev_b32_e32 v6, 16, v7
	v_cvt_pk_bf16_f32 v8, v8, s0
	v_cvt_pk_bf16_f32 v4, v4, s0
	v_and_b32_e32 v9, 0xffff0000, v5
	v_lshlrev_b32_e32 v5, 16, v5
	v_add_f32_e32 v3, v3, v6
	v_mul_f32_e32 v9, v41, v9
	v_mul_f32_e32 v5, v18, v5
	v_add_f32_e32 v2, v3, v2
	v_lshlrev_b32_e32 v3, 16, v4
	v_lshlrev_b32_e32 v4, 16, v8
	v_cvt_pk_bf16_f32 v9, v9, s0
	v_cvt_pk_bf16_f32 v5, v5, s0
	v_add_f32_e32 v3, v3, v4
	v_add_f32_e32 v2, v3, v2
	v_lshlrev_b32_e32 v3, 16, v5
	v_lshlrev_b32_e32 v4, 16, v9
	v_add_f32_e32 v3, v3, v4
	v_add_f32_e32 v2, v3, v2
	;; [unrolled: 1-line block ×3, first 2 shown]
.LBB131_52:                             ;   in Loop: Header=BB131_53 Depth=1
	s_or_b64 exec, exec, s[16:17]
	v_add_u32_e32 v1, 2, v1
	v_cmp_le_i32_e32 vcc, s43, v1
	v_lshl_add_u64 v[28:29], v[28:29], 0, 8
	v_add_u32_e32 v34, 32, v34
	s_or_b64 s[14:15], vcc, s[14:15]
	v_add_u32_e32 v40, 0x80, v40
	s_andn2_b64 exec, exec, s[14:15]
	s_cbranch_execz .LBB131_63
.LBB131_53:                             ; =>This Inner Loop Header: Depth=1
	v_mul_hi_u32 v2, v34, s40
	v_mul_lo_u32 v3, v2, s21
	v_sub_u32_e32 v3, v34, v3
	v_add_u32_e32 v4, 1, v2
	v_cmp_le_u32_e32 vcc, s21, v3
	s_nop 1
	v_cndmask_b32_e32 v2, v2, v4, vcc
	v_subrev_u32_e32 v4, s21, v3
	v_cndmask_b32_e32 v3, v3, v4, vcc
	v_add_u32_e32 v4, 1, v2
	v_cmp_le_u32_e32 vcc, s21, v3
	s_nop 1
	v_cndmask_b32_e32 v2, v2, v4, vcc
	v_xor_b32_e32 v2, s42, v2
	v_subrev_u32_e32 v2, s42, v2
	v_add_u32_e32 v3, s41, v2
	v_sub_u32_e32 v5, 0, v3
	v_ashrrev_i32_e32 v4, 31, v3
	v_max_i32_e32 v3, v3, v5
	v_mul_hi_u32 v5, v3, v39
	v_mul_lo_u32 v5, v5, s28
	v_sub_u32_e32 v3, v3, v5
	v_subrev_u32_e32 v5, s28, v3
	v_cmp_le_u32_e32 vcc, s28, v3
	v_cmp_lt_i32_e64 s[2:3], s30, v2
	s_nop 0
	v_cndmask_b32_e32 v3, v3, v5, vcc
	v_subrev_u32_e32 v5, s28, v3
	v_cmp_le_u32_e32 vcc, s28, v3
	s_nop 1
	v_cndmask_b32_e32 v3, v3, v5, vcc
	v_xor_b32_e32 v3, v3, v4
	v_sub_u32_e32 v3, v3, v4
	v_cmp_eq_u32_e32 vcc, 0, v3
	s_or_b64 s[2:3], vcc, s[2:3]
	s_and_saveexec_b64 s[16:17], s[2:3]
	s_cbranch_execz .LBB131_52
; %bb.54:                               ;   in Loop: Header=BB131_53 Depth=1
	global_load_dword v2, v[28:29], off
	v_add_u32_e32 v41, v38, v34
	s_waitcnt vmcnt(0)
	v_mad_i64_i32 v[2:3], s[2:3], v2, s31, 0
	v_lshl_add_u64 v[32:33], v[2:3], 1, s[12:13]
	v_lshl_add_u64 v[10:11], v[32:33], 0, v[26:27]
	global_load_dwordx4 v[2:5], v[10:11], off
	ds_read2_b64 v[18:21], v40 offset1:1
	ds_read2_b64 v[14:17], v40 offset0:2 offset1:3
	v_cmp_eq_u32_e64 s[2:3], s29, v1
	s_and_saveexec_b64 s[18:19], s[2:3]
	s_cbranch_execnz .LBB131_61
; %bb.55:                               ;   in Loop: Header=BB131_53 Depth=1
	s_or_b64 exec, exec, s[18:19]
	global_load_dwordx4 v[6:9], v[10:11], off offset:1024
	s_and_saveexec_b64 s[18:19], s[2:3]
	s_cbranch_execnz .LBB131_62
.LBB131_56:                             ;   in Loop: Header=BB131_53 Depth=1
	s_or_b64 exec, exec, s[18:19]
	global_load_dwordx4 v[10:13], v[10:11], off offset:2048
	s_and_saveexec_b64 s[18:19], s[2:3]
	s_cbranch_execz .LBB131_58
.LBB131_57:                             ;   in Loop: Header=BB131_53 Depth=1
	v_add_u32_e32 v31, 1, v41
	v_cmp_gt_i32_e32 vcc, s34, v31
	v_or_b32_e32 v42, 2, v41
	v_cmp_gt_i32_e64 s[6:7], s33, v42
	s_waitcnt vmcnt(0)
	v_cndmask_b32_sdwa v31, v27, v10, vcc dst_sel:DWORD dst_unused:UNUSED_PAD src0_sel:DWORD src1_sel:WORD_1
	v_cmp_gt_i32_e32 vcc, s33, v41
	v_or_b32_e32 v42, 4, v41
	s_nop 0
	v_cndmask_b32_e32 v10, 0, v10, vcc
	v_perm_b32 v10, v31, v10, s24
	v_or_b32_e32 v31, 3, v41
	v_cmp_gt_i32_e32 vcc, s34, v31
	v_cndmask_b32_e64 v31, 0, v11, s[6:7]
	v_cmp_gt_i32_e64 s[6:7], s33, v42
	v_cndmask_b32_sdwa v11, v27, v11, vcc dst_sel:DWORD dst_unused:UNUSED_PAD src0_sel:DWORD src1_sel:WORD_1
	v_perm_b32 v11, v11, v31, s24
	v_or_b32_e32 v31, 5, v41
	v_cmp_gt_i32_e32 vcc, s34, v31
	v_cndmask_b32_e64 v31, 0, v12, s[6:7]
	v_or_b32_e32 v42, 6, v41
	v_cndmask_b32_sdwa v12, v27, v12, vcc dst_sel:DWORD dst_unused:UNUSED_PAD src0_sel:DWORD src1_sel:WORD_1
	v_perm_b32 v12, v12, v31, s24
	v_or_b32_e32 v31, 7, v41
	v_cmp_gt_i32_e32 vcc, s34, v31
	v_cmp_gt_i32_e64 s[6:7], s33, v42
	s_nop 1
	v_cndmask_b32_e64 v31, 0, v13, s[6:7]
	v_cndmask_b32_sdwa v13, v27, v13, vcc dst_sel:DWORD dst_unused:UNUSED_PAD src0_sel:DWORD src1_sel:WORD_1
	v_perm_b32 v13, v13, v31, s24
.LBB131_58:                             ;   in Loop: Header=BB131_53 Depth=1
	s_or_b64 exec, exec, s[18:19]
	s_waitcnt lgkmcnt(1)
	v_cvt_pk_bf16_f32 v42, v18, v19
	v_cvt_pk_bf16_f32 v20, v20, v21
	s_waitcnt lgkmcnt(0)
	v_cvt_pk_bf16_f32 v19, v14, v15
	v_cvt_pk_bf16_f32 v18, v16, v17
	s_and_saveexec_b64 s[6:7], s[0:1]
	s_cbranch_execz .LBB131_51
; %bb.59:                               ;   in Loop: Header=BB131_53 Depth=1
	v_mov_b32_e32 v31, v27
	v_lshl_add_u64 v[14:15], v[32:33], 0, v[30:31]
	global_load_dwordx4 v[14:17], v[14:15], off
	s_and_saveexec_b64 s[18:19], s[2:3]
	s_cbranch_execz .LBB131_50
; %bb.60:                               ;   in Loop: Header=BB131_53 Depth=1
	v_add_u32_e32 v21, 1, v41
	v_cmp_gt_i32_e32 vcc, s34, v21
	v_or_b32_e32 v31, 2, v41
	v_cmp_gt_i32_e64 s[2:3], s33, v31
	s_waitcnt vmcnt(0)
	v_cndmask_b32_sdwa v21, v27, v14, vcc dst_sel:DWORD dst_unused:UNUSED_PAD src0_sel:DWORD src1_sel:WORD_1
	v_cmp_gt_i32_e32 vcc, s33, v41
	v_or_b32_e32 v31, 4, v41
	s_nop 0
	v_cndmask_b32_e32 v14, 0, v14, vcc
	v_perm_b32 v14, v21, v14, s24
	v_or_b32_e32 v21, 3, v41
	v_cmp_gt_i32_e32 vcc, s34, v21
	v_cndmask_b32_e64 v21, 0, v15, s[2:3]
	v_cmp_gt_i32_e64 s[2:3], s33, v31
	v_cndmask_b32_sdwa v15, v27, v15, vcc dst_sel:DWORD dst_unused:UNUSED_PAD src0_sel:DWORD src1_sel:WORD_1
	v_perm_b32 v15, v15, v21, s24
	v_or_b32_e32 v21, 5, v41
	v_cmp_gt_i32_e32 vcc, s34, v21
	v_cndmask_b32_e64 v21, 0, v16, s[2:3]
	v_or_b32_e32 v31, 6, v41
	v_cndmask_b32_sdwa v16, v27, v16, vcc dst_sel:DWORD dst_unused:UNUSED_PAD src0_sel:DWORD src1_sel:WORD_1
	v_perm_b32 v16, v16, v21, s24
	v_or_b32_e32 v21, 7, v41
	v_cmp_gt_i32_e32 vcc, s34, v21
	v_cmp_gt_i32_e64 s[2:3], s33, v31
	s_nop 1
	v_cndmask_b32_e64 v21, 0, v17, s[2:3]
	v_cndmask_b32_sdwa v17, v27, v17, vcc dst_sel:DWORD dst_unused:UNUSED_PAD src0_sel:DWORD src1_sel:WORD_1
	v_perm_b32 v17, v17, v21, s24
	s_branch .LBB131_50
.LBB131_61:                             ;   in Loop: Header=BB131_53 Depth=1
	v_add_u32_e32 v6, 1, v41
	v_cmp_gt_i32_e32 vcc, s34, v6
	v_or_b32_e32 v7, 2, v41
	v_cmp_gt_i32_e64 s[6:7], s33, v7
	s_waitcnt vmcnt(0)
	v_cndmask_b32_sdwa v6, v27, v2, vcc dst_sel:DWORD dst_unused:UNUSED_PAD src0_sel:DWORD src1_sel:WORD_1
	v_cmp_gt_i32_e32 vcc, s33, v41
	v_or_b32_e32 v7, 4, v41
	s_nop 0
	v_cndmask_b32_e32 v2, 0, v2, vcc
	v_perm_b32 v2, v6, v2, s24
	v_or_b32_e32 v6, 3, v41
	v_cmp_gt_i32_e32 vcc, s34, v6
	v_cndmask_b32_e64 v6, 0, v3, s[6:7]
	v_cmp_gt_i32_e64 s[6:7], s33, v7
	v_cndmask_b32_sdwa v3, v27, v3, vcc dst_sel:DWORD dst_unused:UNUSED_PAD src0_sel:DWORD src1_sel:WORD_1
	v_perm_b32 v3, v3, v6, s24
	v_or_b32_e32 v6, 5, v41
	v_cmp_gt_i32_e32 vcc, s34, v6
	v_cndmask_b32_e64 v6, 0, v4, s[6:7]
	v_or_b32_e32 v7, 6, v41
	v_cndmask_b32_sdwa v4, v27, v4, vcc dst_sel:DWORD dst_unused:UNUSED_PAD src0_sel:DWORD src1_sel:WORD_1
	v_perm_b32 v4, v4, v6, s24
	v_or_b32_e32 v6, 7, v41
	v_cmp_gt_i32_e32 vcc, s34, v6
	v_cmp_gt_i32_e64 s[6:7], s33, v7
	s_nop 1
	v_cndmask_b32_e64 v6, 0, v5, s[6:7]
	v_cndmask_b32_sdwa v5, v27, v5, vcc dst_sel:DWORD dst_unused:UNUSED_PAD src0_sel:DWORD src1_sel:WORD_1
	v_perm_b32 v5, v5, v6, s24
	s_or_b64 exec, exec, s[18:19]
	global_load_dwordx4 v[6:9], v[10:11], off offset:1024
	s_and_saveexec_b64 s[18:19], s[2:3]
	s_cbranch_execz .LBB131_56
.LBB131_62:                             ;   in Loop: Header=BB131_53 Depth=1
	v_add_u32_e32 v12, 1, v41
	v_cmp_gt_i32_e32 vcc, s34, v12
	v_or_b32_e32 v13, 2, v41
	v_cmp_gt_i32_e64 s[6:7], s33, v13
	s_waitcnt vmcnt(0)
	v_cndmask_b32_sdwa v12, v27, v6, vcc dst_sel:DWORD dst_unused:UNUSED_PAD src0_sel:DWORD src1_sel:WORD_1
	v_cmp_gt_i32_e32 vcc, s33, v41
	v_or_b32_e32 v13, 4, v41
	s_nop 0
	v_cndmask_b32_e32 v6, 0, v6, vcc
	v_perm_b32 v6, v12, v6, s24
	v_or_b32_e32 v12, 3, v41
	v_cmp_gt_i32_e32 vcc, s34, v12
	v_cndmask_b32_e64 v12, 0, v7, s[6:7]
	v_cmp_gt_i32_e64 s[6:7], s33, v13
	v_cndmask_b32_sdwa v7, v27, v7, vcc dst_sel:DWORD dst_unused:UNUSED_PAD src0_sel:DWORD src1_sel:WORD_1
	v_perm_b32 v7, v7, v12, s24
	v_or_b32_e32 v12, 5, v41
	v_cmp_gt_i32_e32 vcc, s34, v12
	v_cndmask_b32_e64 v12, 0, v8, s[6:7]
	v_or_b32_e32 v13, 6, v41
	v_cndmask_b32_sdwa v8, v27, v8, vcc dst_sel:DWORD dst_unused:UNUSED_PAD src0_sel:DWORD src1_sel:WORD_1
	v_perm_b32 v8, v8, v12, s24
	v_or_b32_e32 v12, 7, v41
	v_cmp_gt_i32_e32 vcc, s34, v12
	v_cmp_gt_i32_e64 s[6:7], s33, v13
	s_nop 1
	v_cndmask_b32_e64 v12, 0, v9, s[6:7]
	v_cndmask_b32_sdwa v9, v27, v9, vcc dst_sel:DWORD dst_unused:UNUSED_PAD src0_sel:DWORD src1_sel:WORD_1
	v_perm_b32 v9, v9, v12, s24
	s_or_b64 exec, exec, s[18:19]
	global_load_dwordx4 v[10:13], v[10:11], off offset:2048
	s_and_saveexec_b64 s[18:19], s[2:3]
	s_cbranch_execnz .LBB131_57
	s_branch .LBB131_58
.LBB131_63:
	s_or_b64 exec, exec, s[14:15]
.LBB131_64:
	s_or_b64 exec, exec, s[8:9]
	ds_bpermute_b32 v2, v35, v24
	ds_bpermute_b32 v3, v35, v25
	;; [unrolled: 1-line block ×4, first 2 shown]
	v_and_b32_e32 v1, 0x3c0, v0
	v_cmp_eq_u32_e64 s[0:1], 64, v1
	s_waitcnt lgkmcnt(2)
	v_pk_add_f32 v[4:5], v[24:25], v[2:3]
	v_cmp_eq_u32_e32 vcc, 0, v37
	s_waitcnt lgkmcnt(0)
	v_pk_add_f32 v[2:3], v[22:23], v[6:7]
	s_barrier
	s_and_saveexec_b64 s[2:3], s[0:1]
	s_cbranch_execz .LBB131_69
; %bb.65:
	s_and_saveexec_b64 s[0:1], vcc
	s_cbranch_execz .LBB131_67
; %bb.66:
	v_mov_b32_e32 v1, 0x100
	v_lshl_add_u32 v1, v36, 2, v1
	ds_write2_b32 v1, v4, v5 offset1:32
	ds_write_b32 v1, v2 offset:256
.LBB131_67:
	s_or_b64 exec, exec, s[0:1]
	v_or_b32_e32 v1, 0x60, v36
	s_movk_i32 s0, 0x78
	v_cmp_gt_u32_e64 s[0:1], s0, v1
	s_and_b64 s[0:1], vcc, s[0:1]
	s_and_b64 exec, exec, s[0:1]
; %bb.68:
	v_mov_b32_e32 v1, 0x100
	v_lshl_add_u32 v1, v36, 2, v1
	ds_write_b32 v1, v3 offset:384
.LBB131_69:
	s_or_b64 exec, exec, s[2:3]
	v_cmp_gt_u32_e64 s[0:1], 64, v0
	v_lshrrev_b32_e32 v0, 1, v0
	s_waitcnt lgkmcnt(0)
	s_barrier
	s_and_saveexec_b64 s[6:7], s[0:1]
	s_cbranch_execz .LBB131_79
; %bb.70:
	s_and_saveexec_b64 s[2:3], vcc
	s_cbranch_execz .LBB131_72
; %bb.71:
	v_mov_b32_e32 v1, 0x100
	v_lshl_add_u32 v1, v0, 2, v1
	ds_read_b32 v1, v1
	s_waitcnt lgkmcnt(0)
	v_add_f32_e32 v4, v4, v1
.LBB131_72:
	s_or_b64 exec, exec, s[2:3]
	v_or_b32_e32 v1, 32, v0
	s_movk_i32 s8, 0x78
	v_cmp_gt_u32_e64 s[2:3], s8, v1
	s_and_b64 s[12:13], vcc, s[2:3]
	s_and_saveexec_b64 s[2:3], s[12:13]
	s_cbranch_execz .LBB131_74
; %bb.73:
	v_mov_b32_e32 v1, 0x100
	v_lshl_add_u32 v1, v0, 2, v1
	ds_read_b32 v1, v1 offset:128
	s_waitcnt lgkmcnt(0)
	v_add_f32_e32 v5, v5, v1
.LBB131_74:
	s_or_b64 exec, exec, s[2:3]
	v_or_b32_e32 v1, 64, v0
	v_cmp_gt_u32_e64 s[2:3], s8, v1
	s_and_b64 s[8:9], vcc, s[2:3]
	s_and_saveexec_b64 s[2:3], s[8:9]
	s_cbranch_execz .LBB131_76
; %bb.75:
	v_mov_b32_e32 v1, 0x100
	v_lshl_add_u32 v1, v0, 2, v1
	ds_read_b32 v1, v1 offset:256
	s_waitcnt lgkmcnt(0)
	v_add_f32_e32 v2, v2, v1
.LBB131_76:
	s_or_b64 exec, exec, s[2:3]
	v_or_b32_e32 v1, 0x60, v0
	s_movk_i32 s2, 0x78
	v_cmp_gt_u32_e64 s[2:3], s2, v1
	s_and_b64 s[8:9], vcc, s[2:3]
	s_and_saveexec_b64 s[2:3], s[8:9]
	s_cbranch_execz .LBB131_78
; %bb.77:
	v_mov_b32_e32 v1, 0x100
	v_lshl_add_u32 v1, v0, 2, v1
	ds_read_b32 v1, v1 offset:384
	s_waitcnt lgkmcnt(0)
	v_add_f32_e32 v3, v3, v1
.LBB131_78:
	s_or_b64 exec, exec, s[2:3]
.LBB131_79:
	s_or_b64 exec, exec, s[6:7]
	s_barrier
	s_and_saveexec_b64 s[2:3], s[0:1]
	s_cbranch_execz .LBB131_88
; %bb.80:
	s_mul_i32 s0, s10, s11
	s_mul_i32 s0, s0, s5
	s_mulk_i32 s0, 0x78
	s_ashr_i32 s1, s0, 31
	s_lshl_b64 s[0:1], s[0:1], 1
	s_add_u32 s2, s22, s0
	s_mul_i32 s0, s11, s20
	s_addc_u32 s3, s23, s1
	s_ashr_i32 s1, s0, 31
	s_lshl_b64 s[0:1], s[0:1], 1
	s_add_u32 s2, s2, s0
	s_mul_i32 s0, s4, 0x78
	s_addc_u32 s3, s3, s1
	s_ashr_i32 s1, s0, 31
	s_lshl_b64 s[0:1], s[0:1], 1
	s_add_u32 s2, s2, s0
	s_movk_i32 s5, 0x78
	s_addc_u32 s3, s3, s1
	v_lshlrev_b32_e32 v1, 1, v0
	s_and_saveexec_b64 s[0:1], vcc
	s_cbranch_execz .LBB131_82
; %bb.81:
	v_cvt_pk_bf16_f32 v4, v4, s0
	global_store_short v1, v4, s[2:3]
.LBB131_82:
	s_or_b64 exec, exec, s[0:1]
	v_or_b32_e32 v4, 32, v0
	v_cmp_gt_u32_e64 s[0:1], s5, v4
	s_and_b64 s[4:5], vcc, s[0:1]
	s_and_saveexec_b64 s[0:1], s[4:5]
	s_cbranch_execz .LBB131_84
; %bb.83:
	v_cvt_pk_bf16_f32 v4, v5, s0
	global_store_short v1, v4, s[2:3] offset:64
.LBB131_84:
	s_or_b64 exec, exec, s[0:1]
	v_or_b32_e32 v4, 64, v0
	s_movk_i32 s4, 0x78
	v_cmp_gt_u32_e64 s[0:1], s4, v4
	s_and_b64 s[6:7], vcc, s[0:1]
	s_and_saveexec_b64 s[0:1], s[6:7]
	s_cbranch_execz .LBB131_86
; %bb.85:
	v_cvt_pk_bf16_f32 v2, v2, s0
	global_store_short v1, v2, s[2:3] offset:128
.LBB131_86:
	s_or_b64 exec, exec, s[0:1]
	v_or_b32_e32 v0, 0x60, v0
	v_cmp_gt_u32_e64 s[0:1], s4, v0
	s_and_b64 s[0:1], vcc, s[0:1]
	s_and_b64 exec, exec, s[0:1]
	s_cbranch_execz .LBB131_88
; %bb.87:
	v_cvt_pk_bf16_f32 v0, v3, s0
	global_store_short v1, v0, s[2:3] offset:192
.LBB131_88:
	s_endpgm
	.section	.rodata,"a",@progbits
	.p2align	6, 0x0
	.amdhsa_kernel _ZN4vllm25paged_attention_v1_kernelI14__hip_bfloat16S1_Li120ELi16ELi128ELNS_18Fp8KVCacheDataTypeE0ELb1EEEvPT_PKS3_PKT0_S9_ifPKiSB_iPKfiiiSD_SD_iiiii
		.amdhsa_group_segment_fixed_size 256
		.amdhsa_private_segment_fixed_size 0
		.amdhsa_kernarg_size 384
		.amdhsa_user_sgpr_count 2
		.amdhsa_user_sgpr_dispatch_ptr 0
		.amdhsa_user_sgpr_queue_ptr 0
		.amdhsa_user_sgpr_kernarg_segment_ptr 1
		.amdhsa_user_sgpr_dispatch_id 0
		.amdhsa_user_sgpr_kernarg_preload_length 0
		.amdhsa_user_sgpr_kernarg_preload_offset 0
		.amdhsa_user_sgpr_private_segment_size 0
		.amdhsa_uses_dynamic_stack 0
		.amdhsa_enable_private_segment 0
		.amdhsa_system_sgpr_workgroup_id_x 1
		.amdhsa_system_sgpr_workgroup_id_y 1
		.amdhsa_system_sgpr_workgroup_id_z 1
		.amdhsa_system_sgpr_workgroup_info 0
		.amdhsa_system_vgpr_workitem_id 0
		.amdhsa_next_free_vgpr 83
		.amdhsa_next_free_sgpr 45
		.amdhsa_accum_offset 84
		.amdhsa_reserve_vcc 1
		.amdhsa_float_round_mode_32 0
		.amdhsa_float_round_mode_16_64 0
		.amdhsa_float_denorm_mode_32 3
		.amdhsa_float_denorm_mode_16_64 3
		.amdhsa_dx10_clamp 1
		.amdhsa_ieee_mode 1
		.amdhsa_fp16_overflow 0
		.amdhsa_tg_split 0
		.amdhsa_exception_fp_ieee_invalid_op 0
		.amdhsa_exception_fp_denorm_src 0
		.amdhsa_exception_fp_ieee_div_zero 0
		.amdhsa_exception_fp_ieee_overflow 0
		.amdhsa_exception_fp_ieee_underflow 0
		.amdhsa_exception_fp_ieee_inexact 0
		.amdhsa_exception_int_div_zero 0
	.end_amdhsa_kernel
	.section	.text._ZN4vllm25paged_attention_v1_kernelI14__hip_bfloat16S1_Li120ELi16ELi128ELNS_18Fp8KVCacheDataTypeE0ELb1EEEvPT_PKS3_PKT0_S9_ifPKiSB_iPKfiiiSD_SD_iiiii,"axG",@progbits,_ZN4vllm25paged_attention_v1_kernelI14__hip_bfloat16S1_Li120ELi16ELi128ELNS_18Fp8KVCacheDataTypeE0ELb1EEEvPT_PKS3_PKT0_S9_ifPKiSB_iPKfiiiSD_SD_iiiii,comdat
.Lfunc_end131:
	.size	_ZN4vllm25paged_attention_v1_kernelI14__hip_bfloat16S1_Li120ELi16ELi128ELNS_18Fp8KVCacheDataTypeE0ELb1EEEvPT_PKS3_PKT0_S9_ifPKiSB_iPKfiiiSD_SD_iiiii, .Lfunc_end131-_ZN4vllm25paged_attention_v1_kernelI14__hip_bfloat16S1_Li120ELi16ELi128ELNS_18Fp8KVCacheDataTypeE0ELb1EEEvPT_PKS3_PKT0_S9_ifPKiSB_iPKfiiiSD_SD_iiiii
                                        ; -- End function
	.set _ZN4vllm25paged_attention_v1_kernelI14__hip_bfloat16S1_Li120ELi16ELi128ELNS_18Fp8KVCacheDataTypeE0ELb1EEEvPT_PKS3_PKT0_S9_ifPKiSB_iPKfiiiSD_SD_iiiii.num_vgpr, 83
	.set _ZN4vllm25paged_attention_v1_kernelI14__hip_bfloat16S1_Li120ELi16ELi128ELNS_18Fp8KVCacheDataTypeE0ELb1EEEvPT_PKS3_PKT0_S9_ifPKiSB_iPKfiiiSD_SD_iiiii.num_agpr, 0
	.set _ZN4vllm25paged_attention_v1_kernelI14__hip_bfloat16S1_Li120ELi16ELi128ELNS_18Fp8KVCacheDataTypeE0ELb1EEEvPT_PKS3_PKT0_S9_ifPKiSB_iPKfiiiSD_SD_iiiii.numbered_sgpr, 45
	.set _ZN4vllm25paged_attention_v1_kernelI14__hip_bfloat16S1_Li120ELi16ELi128ELNS_18Fp8KVCacheDataTypeE0ELb1EEEvPT_PKS3_PKT0_S9_ifPKiSB_iPKfiiiSD_SD_iiiii.num_named_barrier, 0
	.set _ZN4vllm25paged_attention_v1_kernelI14__hip_bfloat16S1_Li120ELi16ELi128ELNS_18Fp8KVCacheDataTypeE0ELb1EEEvPT_PKS3_PKT0_S9_ifPKiSB_iPKfiiiSD_SD_iiiii.private_seg_size, 0
	.set _ZN4vllm25paged_attention_v1_kernelI14__hip_bfloat16S1_Li120ELi16ELi128ELNS_18Fp8KVCacheDataTypeE0ELb1EEEvPT_PKS3_PKT0_S9_ifPKiSB_iPKfiiiSD_SD_iiiii.uses_vcc, 1
	.set _ZN4vllm25paged_attention_v1_kernelI14__hip_bfloat16S1_Li120ELi16ELi128ELNS_18Fp8KVCacheDataTypeE0ELb1EEEvPT_PKS3_PKT0_S9_ifPKiSB_iPKfiiiSD_SD_iiiii.uses_flat_scratch, 0
	.set _ZN4vllm25paged_attention_v1_kernelI14__hip_bfloat16S1_Li120ELi16ELi128ELNS_18Fp8KVCacheDataTypeE0ELb1EEEvPT_PKS3_PKT0_S9_ifPKiSB_iPKfiiiSD_SD_iiiii.has_dyn_sized_stack, 0
	.set _ZN4vllm25paged_attention_v1_kernelI14__hip_bfloat16S1_Li120ELi16ELi128ELNS_18Fp8KVCacheDataTypeE0ELb1EEEvPT_PKS3_PKT0_S9_ifPKiSB_iPKfiiiSD_SD_iiiii.has_recursion, 0
	.set _ZN4vllm25paged_attention_v1_kernelI14__hip_bfloat16S1_Li120ELi16ELi128ELNS_18Fp8KVCacheDataTypeE0ELb1EEEvPT_PKS3_PKT0_S9_ifPKiSB_iPKfiiiSD_SD_iiiii.has_indirect_call, 0
	.section	.AMDGPU.csdata,"",@progbits
; Kernel info:
; codeLenInByte = 6700
; TotalNumSgprs: 51
; NumVgprs: 83
; NumAgprs: 0
; TotalNumVgprs: 83
; ScratchSize: 0
; MemoryBound: 0
; FloatMode: 240
; IeeeMode: 1
; LDSByteSize: 256 bytes/workgroup (compile time only)
; SGPRBlocks: 6
; VGPRBlocks: 10
; NumSGPRsForWavesPerEU: 51
; NumVGPRsForWavesPerEU: 83
; AccumOffset: 84
; Occupancy: 5
; WaveLimiterHint : 1
; COMPUTE_PGM_RSRC2:SCRATCH_EN: 0
; COMPUTE_PGM_RSRC2:USER_SGPR: 2
; COMPUTE_PGM_RSRC2:TRAP_HANDLER: 0
; COMPUTE_PGM_RSRC2:TGID_X_EN: 1
; COMPUTE_PGM_RSRC2:TGID_Y_EN: 1
; COMPUTE_PGM_RSRC2:TGID_Z_EN: 1
; COMPUTE_PGM_RSRC2:TIDIG_COMP_CNT: 0
; COMPUTE_PGM_RSRC3_GFX90A:ACCUM_OFFSET: 20
; COMPUTE_PGM_RSRC3_GFX90A:TG_SPLIT: 0
	.section	.text._ZN4vllm25paged_attention_v1_kernelI14__hip_bfloat16S1_Li128ELi16ELi128ELNS_18Fp8KVCacheDataTypeE0ELb1EEEvPT_PKS3_PKT0_S9_ifPKiSB_iPKfiiiSD_SD_iiiii,"axG",@progbits,_ZN4vllm25paged_attention_v1_kernelI14__hip_bfloat16S1_Li128ELi16ELi128ELNS_18Fp8KVCacheDataTypeE0ELb1EEEvPT_PKS3_PKT0_S9_ifPKiSB_iPKfiiiSD_SD_iiiii,comdat
	.protected	_ZN4vllm25paged_attention_v1_kernelI14__hip_bfloat16S1_Li128ELi16ELi128ELNS_18Fp8KVCacheDataTypeE0ELb1EEEvPT_PKS3_PKT0_S9_ifPKiSB_iPKfiiiSD_SD_iiiii ; -- Begin function _ZN4vllm25paged_attention_v1_kernelI14__hip_bfloat16S1_Li128ELi16ELi128ELNS_18Fp8KVCacheDataTypeE0ELb1EEEvPT_PKS3_PKT0_S9_ifPKiSB_iPKfiiiSD_SD_iiiii
	.globl	_ZN4vllm25paged_attention_v1_kernelI14__hip_bfloat16S1_Li128ELi16ELi128ELNS_18Fp8KVCacheDataTypeE0ELb1EEEvPT_PKS3_PKT0_S9_ifPKiSB_iPKfiiiSD_SD_iiiii
	.p2align	8
	.type	_ZN4vllm25paged_attention_v1_kernelI14__hip_bfloat16S1_Li128ELi16ELi128ELNS_18Fp8KVCacheDataTypeE0ELb1EEEvPT_PKS3_PKT0_S9_ifPKiSB_iPKfiiiSD_SD_iiiii,@function
_ZN4vllm25paged_attention_v1_kernelI14__hip_bfloat16S1_Li128ELi16ELi128ELNS_18Fp8KVCacheDataTypeE0ELb1EEEvPT_PKS3_PKT0_S9_ifPKiSB_iPKfiiiSD_SD_iiiii: ; @_ZN4vllm25paged_attention_v1_kernelI14__hip_bfloat16S1_Li128ELi16ELi128ELNS_18Fp8KVCacheDataTypeE0ELb1EEEvPT_PKS3_PKT0_S9_ifPKiSB_iPKfiiiSD_SD_iiiii
; %bb.0:
	s_load_dword s5, s[0:1], 0x80
	s_load_dwordx2 s[6:7], s[0:1], 0x30
	s_load_dwordx2 s[34:35], s[0:1], 0x20
	s_mov_b32 s20, s3
	s_ashr_i32 s21, s3, 31
	s_lshl_b64 s[8:9], s[20:21], 2
	s_waitcnt lgkmcnt(0)
	s_add_u32 s6, s6, s8
	s_addc_u32 s7, s7, s9
	s_abs_i32 s3, s34
	v_cvt_f32_u32_e32 v1, s3
	s_sub_i32 s10, 0, s3
	s_abs_i32 s9, s5
	s_xor_b32 s8, s5, s34
	v_rcp_iflag_f32_e32 v1, v1
	s_ashr_i32 s8, s8, 31
	s_mov_b32 s44, 0
	v_mul_f32_e32 v1, 0x4f7ffffe, v1
	v_cvt_u32_f32_e32 v1, v1
	s_nop 0
	v_readfirstlane_b32 s11, v1
	s_mul_i32 s10, s10, s11
	s_mul_hi_u32 s10, s11, s10
	s_add_i32 s11, s11, s10
	s_mul_hi_u32 s10, s9, s11
	s_mul_i32 s11, s10, s3
	s_sub_i32 s9, s9, s11
	s_add_i32 s11, s10, 1
	s_sub_i32 s12, s9, s3
	s_cmp_ge_u32 s9, s3
	s_cselect_b32 s10, s11, s10
	s_cselect_b32 s9, s12, s9
	s_add_i32 s11, s10, 1
	s_cmp_ge_u32 s9, s3
	s_cselect_b32 s3, s11, s10
	s_xor_b32 s3, s3, s8
	s_sub_i32 s16, s3, s8
	s_abs_i32 s10, s16
	v_cvt_f32_u32_e32 v1, s10
	s_load_dwordx2 s[8:9], s[0:1], 0x40
	s_sub_i32 s3, 0, s10
	s_abs_i32 s11, s2
	v_rcp_iflag_f32_e32 v1, v1
	s_nop 0
	v_mul_f32_e32 v1, 0x4f7ffffe, v1
	v_cvt_u32_f32_e32 v1, v1
	s_nop 0
	v_readfirstlane_b32 s12, v1
	s_mul_i32 s3, s3, s12
	s_mul_hi_u32 s3, s12, s3
	s_add_i32 s12, s12, s3
	s_waitcnt lgkmcnt(0)
	s_cmp_eq_u64 s[8:9], 0
	s_mul_hi_u32 s24, s11, s12
	s_cbranch_scc1 .LBB132_2
; %bb.1:
	s_ashr_i32 s3, s2, 31
	s_lshl_b64 s[12:13], s[2:3], 2
	s_add_u32 s8, s8, s12
	s_addc_u32 s9, s9, s13
	s_load_dword s44, s[8:9], 0x0
.LBB132_2:
	s_load_dword s21, s[6:7], 0x0
	s_load_dwordx4 s[12:15], s[0:1], 0x48
	s_ashr_i32 s25, s2, 31
	s_waitcnt lgkmcnt(0)
	s_ashr_i32 s15, s16, 31
	v_and_b32_e32 v4, 3, v0
	s_lshl_b32 s22, s2, 7
	v_cmp_gt_u32_e64 s[6:7], 64, v0
	s_and_saveexec_b64 s[8:9], s[6:7]
	s_cbranch_execz .LBB132_4
; %bb.3:
	s_load_dwordx2 s[16:17], s[0:1], 0x8
	s_mul_i32 s18, s12, s20
	s_ashr_i32 s19, s18, 31
	s_lshl_b64 s[18:19], s[18:19], 1
	v_lshlrev_b32_e32 v1, 2, v0
	s_waitcnt lgkmcnt(0)
	s_add_u32 s3, s16, s18
	s_addc_u32 s12, s17, s19
	s_ashr_i32 s23, s22, 31
	s_lshl_b64 s[16:17], s[22:23], 1
	s_add_u32 s16, s3, s16
	s_addc_u32 s17, s12, s17
	global_load_dword v1, v1, s[16:17]
	v_and_b32_e32 v2, 0x3fc, v0
	v_lshl_add_u32 v2, v4, 6, v2
	s_waitcnt vmcnt(0)
	ds_write_b32 v2, v1
.LBB132_4:
	s_or_b64 exec, exec, s[8:9]
	s_mul_i32 s9, s24, s10
	s_sub_i32 s9, s11, s9
	s_xor_b32 s8, s25, s15
	s_add_i32 s11, s24, 1
	s_sub_i32 s12, s9, s10
	s_load_dwordx4 s[16:19], s[0:1], 0x68
	s_load_dword s3, s[0:1], 0x78
	s_cmp_ge_u32 s9, s10
	s_cselect_b32 s11, s11, s24
	s_cselect_b32 s9, s12, s9
	s_add_i32 s12, s11, 1
	s_cmp_ge_u32 s9, s10
	s_cselect_b32 s9, s12, s11
	s_waitcnt lgkmcnt(0)
	s_abs_i32 s23, s19
	v_cvt_f32_u32_e32 v1, s23
	s_xor_b32 s9, s9, s8
	s_sub_i32 s10, s9, s8
	s_sub_i32 s8, 0, s23
	v_rcp_iflag_f32_e32 v1, v1
	s_add_i32 s15, s21, -1
	s_abs_i32 s11, s15
	v_mul_f32_e32 v1, 0x4f7ffffe, v1
	v_cvt_u32_f32_e32 v1, v1
	s_barrier
	v_readfirstlane_b32 s33, v1
	s_mul_i32 s8, s8, s33
	s_mul_hi_u32 s8, s33, s8
	s_add_i32 s33, s33, s8
	s_cmp_lt_i32 s3, 0
	s_mul_hi_u32 s12, s11, s33
	s_cbranch_scc0 .LBB132_6
; %bb.5:
	s_mul_i32 s8, s16, s34
	s_add_i32 s8, s10, s8
	s_mul_i32 s8, s8, s3
	s_sub_i32 s42, 1, s8
	s_mov_b64 s[8:9], 0
	s_branch .LBB132_7
.LBB132_6:
	s_mov_b64 s[8:9], -1
                                        ; implicit-def: $sgpr42
.LBB132_7:
	s_load_dwordx2 s[26:27], s[0:1], 0x28
	s_ashr_i32 s15, s15, 31
	s_andn2_b64 vcc, exec, s[8:9]
	s_ashr_i32 s19, s19, 31
	s_cbranch_vccnz .LBB132_9
; %bb.8:
	s_mul_i32 s8, s5, s16
	s_add_i32 s2, s8, s2
	s_mul_i32 s2, s2, s3
	s_add_i32 s42, s2, 1
.LBB132_9:
	s_load_dword s2, s[0:1], 0x38
	s_load_dwordx2 s[24:25], s[0:1], 0x0
	s_load_dwordx2 s[30:31], s[0:1], 0x18
	s_load_dword s16, s[0:1], 0x88
	s_xor_b32 s3, s15, s19
	s_waitcnt lgkmcnt(0)
	s_mul_i32 s28, s2, s20
	s_mul_i32 s2, s12, s23
	s_sub_i32 s2, s11, s2
	s_ashr_i32 s29, s28, 31
	s_add_i32 s8, s12, 1
	s_sub_i32 s9, s2, s23
	s_cmp_ge_u32 s2, s23
	s_cselect_b32 s8, s8, s12
	s_cselect_b32 s2, s9, s2
	s_add_i32 s9, s8, 1
	s_cmp_ge_u32 s2, s23
	s_cselect_b32 s2, s9, s8
	s_xor_b32 s2, s2, s3
	s_sub_i32 s12, s2, s3
	s_add_i32 s2, s21, 15
	s_ashr_i32 s3, s2, 31
	s_lshr_b32 s3, s3, 28
	s_add_i32 s2, s2, s3
	s_ashr_i32 s43, s2, 4
	v_lshrrev_b32_e32 v1, 6, v0
	v_cmp_gt_i32_e64 s[2:3], s43, v1
	v_mov_b32_e32 v10, 0xff7fffff
	s_mul_i32 s14, s10, s14
	v_lshrrev_b32_e32 v6, 4, v0
	v_lshlrev_b32_e32 v36, 4, v1
	v_mbcnt_lo_u32_b32 v7, -1, 0
	s_and_saveexec_b64 s[36:37], s[2:3]
	s_cbranch_execz .LBB132_21
; %bb.10:
	s_load_dwordx2 s[0:1], s[0:1], 0x10
	s_ashr_i32 s15, s14, 31
	s_sub_i32 s34, s12, s17
	s_lshl_b64 s[8:9], s[14:15], 1
	v_bfe_u32 v8, v0, 2, 4
	s_waitcnt lgkmcnt(0)
	s_add_u32 s0, s0, s8
	s_addc_u32 s1, s1, s9
	s_abs_i32 s15, s18
	v_cvt_f32_u32_e32 v5, s15
	v_lshlrev_b32_e32 v12, 4, v8
	v_mov_b32_e32 v13, 0
	v_lshlrev_b32_e32 v9, 2, v0
	v_rcp_iflag_f32_e32 v5, v5
	s_sub_i32 s8, 0, s15
	v_cmp_eq_u32_e32 vcc, 0, v4
	v_lshl_add_u64 v[2:3], s[0:1], 0, v[12:13]
	v_mul_f32_e32 v5, 0x4f7ffffe, v5
	v_cvt_u32_f32_e32 v5, v5
	v_and_b32_e32 v12, 12, v9
	v_lshlrev_b32_e32 v9, 6, v4
	v_lshl_add_u64 v[2:3], v[2:3], 0, v[12:13]
	v_mul_lo_u32 v4, s8, v5
	s_lshl_b64 s[8:9], s[28:29], 2
	s_add_u32 s8, s26, s8
	v_mul_hi_u32 v4, v5, v4
	v_and_b32_e32 v12, 60, v6
	s_addc_u32 s9, s27, s9
	v_subrev_u32_e32 v10, s21, v8
	v_add_u32_e32 v11, v5, v4
	v_lshl_add_u64 v[4:5], s[8:9], 0, v[12:13]
	v_add_u32_e32 v13, 1, v10
	v_lshlrev_b32_e32 v10, 2, v8
	v_lshl_or_b32 v10, v1, 6, v10
	v_mbcnt_hi_u32_b32 v16, -1, v7
	v_add_u32_e32 v14, 0x110, v10
	v_and_b32_e32 v10, 64, v16
	s_mov_b32 s45, s13
	v_cmp_neq_f32_e64 s[0:1], s44, 0
	v_lshlrev_b32_e32 v12, 4, v1
	v_mov_b32_e32 v15, 0xff7fffff
	s_mov_b64 s[38:39], 0
	v_add_u32_e32 v17, 64, v10
	v_xor_b32_e32 v18, 2, v16
	v_xor_b32_e32 v19, 1, v16
	v_mov_b32_e32 v10, 0xff7fffff
	v_mov_b32_e32 v20, v1
	s_branch .LBB132_13
.LBB132_11:                             ;   in Loop: Header=BB132_13 Depth=1
	s_or_b64 exec, exec, s[40:41]
.LBB132_12:                             ;   in Loop: Header=BB132_13 Depth=1
	s_or_b64 exec, exec, s[10:11]
	v_add_u32_e32 v20, 2, v20
	v_cmp_le_i32_e64 s[8:9], s43, v20
	v_lshl_add_u64 v[4:5], v[4:5], 0, 8
	v_add_u32_e32 v12, 32, v12
	s_or_b64 s[38:39], s[8:9], s[38:39]
	v_add_u32_e32 v14, 0x80, v14
	s_andn2_b64 exec, exec, s[38:39]
	s_cbranch_execz .LBB132_20
.LBB132_13:                             ; =>This Inner Loop Header: Depth=1
	v_mul_hi_u32 v21, v12, s33
	s_waitcnt lgkmcnt(0)
	v_mul_lo_u32 v22, v21, s23
	v_sub_u32_e32 v22, v12, v22
	v_add_u32_e32 v23, 1, v21
	v_cmp_le_u32_e64 s[8:9], s23, v22
	s_nop 1
	v_cndmask_b32_e64 v21, v21, v23, s[8:9]
	v_subrev_u32_e32 v23, s23, v22
	v_cndmask_b32_e64 v22, v22, v23, s[8:9]
	v_add_u32_e32 v23, 1, v21
	v_cmp_le_u32_e64 s[8:9], s23, v22
	s_nop 1
	v_cndmask_b32_e64 v21, v21, v23, s[8:9]
	v_xor_b32_e32 v21, s19, v21
	v_subrev_u32_e32 v21, s19, v21
	v_add_u32_e32 v22, s42, v21
	v_sub_u32_e32 v24, 0, v22
	v_ashrrev_i32_e32 v23, 31, v22
	v_max_i32_e32 v22, v22, v24
	v_mul_hi_u32 v24, v22, v11
	v_mul_lo_u32 v24, v24, s15
	v_sub_u32_e32 v22, v22, v24
	v_subrev_u32_e32 v24, s15, v22
	v_cmp_le_u32_e64 s[8:9], s15, v22
	v_cmp_ge_i32_e64 s[10:11], s34, v21
	s_nop 0
	v_cndmask_b32_e64 v22, v22, v24, s[8:9]
	v_subrev_u32_e32 v24, s15, v22
	v_cmp_le_u32_e64 s[8:9], s15, v22
	s_nop 1
	v_cndmask_b32_e64 v22, v22, v24, s[8:9]
	v_xor_b32_e32 v22, v22, v23
	v_sub_u32_e32 v22, v22, v23
	v_cmp_ne_u32_e64 s[8:9], 0, v22
	s_and_b64 s[8:9], s[8:9], s[10:11]
	s_and_saveexec_b64 s[10:11], s[8:9]
	s_xor_b64 s[8:9], exec, s[10:11]
	s_cbranch_execz .LBB132_17
; %bb.14:                               ;   in Loop: Header=BB132_13 Depth=1
	s_and_saveexec_b64 s[10:11], vcc
; %bb.15:                               ;   in Loop: Header=BB132_13 Depth=1
	ds_write_b32 v14, v15
; %bb.16:                               ;   in Loop: Header=BB132_13 Depth=1
	s_or_b64 exec, exec, s[10:11]
.LBB132_17:                             ;   in Loop: Header=BB132_13 Depth=1
	s_andn2_saveexec_b64 s[10:11], s[8:9]
	s_cbranch_execz .LBB132_12
; %bb.18:                               ;   in Loop: Header=BB132_13 Depth=1
	global_load_dword v21, v[4:5], off
	s_waitcnt vmcnt(0)
	v_mad_i64_i32 v[22:23], s[8:9], v21, s45, 0
	v_lshl_add_u64 v[22:23], v[22:23], 1, v[2:3]
	global_load_dword v21, v[22:23], off
	global_load_dword v34, v[22:23], off offset:256
	global_load_dword v35, v[22:23], off offset:512
	;; [unrolled: 1-line block ×15, first 2 shown]
	ds_read_b128 v[22:25], v9
	ds_read_b128 v[26:29], v9 offset:16
	ds_read_b128 v[30:33], v9 offset:32
	;; [unrolled: 1-line block ×3, first 2 shown]
	v_cmp_lt_i32_e64 s[8:9], v18, v17
	s_waitcnt lgkmcnt(3)
	v_lshlrev_b32_e32 v56, 16, v23
	v_and_b32_e32 v23, 0xffff0000, v23
	v_lshlrev_b32_e32 v55, 16, v22
	v_and_b32_e32 v22, 0xffff0000, v22
	v_lshlrev_b32_e32 v57, 16, v24
	v_and_b32_e32 v24, 0xffff0000, v24
	v_lshlrev_b32_e32 v58, 16, v25
	v_and_b32_e32 v25, 0xffff0000, v25
	s_waitcnt lgkmcnt(2)
	v_lshlrev_b32_e32 v59, 16, v26
	v_and_b32_e32 v26, 0xffff0000, v26
	v_lshlrev_b32_e32 v60, 16, v27
	v_and_b32_e32 v27, 0xffff0000, v27
	v_lshlrev_b32_e32 v61, 16, v28
	v_and_b32_e32 v28, 0xffff0000, v28
	v_lshlrev_b32_e32 v62, 16, v29
	v_and_b32_e32 v29, 0xffff0000, v29
	;; [unrolled: 9-line block ×4, first 2 shown]
	v_cndmask_b32_e64 v54, v16, v18, s[8:9]
	v_lshlrev_b32_e32 v54, 2, v54
	v_cmp_lt_i32_e64 s[8:9], v19, v17
	s_waitcnt vmcnt(15)
	v_lshlrev_b32_e32 v71, 16, v21
	s_waitcnt vmcnt(14)
	v_lshlrev_b32_e32 v72, 16, v34
	v_and_b32_e32 v34, 0xffff0000, v34
	v_and_b32_e32 v21, 0xffff0000, v21
	v_mul_f32_e32 v56, v56, v72
	v_mul_f32_e32 v23, v23, v34
	s_waitcnt vmcnt(13)
	v_lshlrev_b32_e32 v73, 16, v35
	v_and_b32_e32 v35, 0xffff0000, v35
	v_fmac_f32_e32 v56, v55, v71
	v_fmac_f32_e32 v23, v22, v21
	s_waitcnt vmcnt(12)
	v_lshlrev_b32_e32 v74, 16, v37
	v_and_b32_e32 v37, 0xffff0000, v37
	v_fmac_f32_e32 v56, v57, v73
	v_fmac_f32_e32 v23, v24, v35
	;; [unrolled: 5-line block ×14, first 2 shown]
	v_fmac_f32_e32 v56, v70, v86
	v_fmac_f32_e32 v23, v41, v53
	v_add_f32_e32 v21, v56, v23
	ds_bpermute_b32 v22, v54, v21
	v_cndmask_b32_e64 v23, v16, v19, s[8:9]
	v_lshlrev_b32_e32 v23, 2, v23
	s_waitcnt lgkmcnt(0)
	v_add_f32_e32 v21, v21, v22
	ds_bpermute_b32 v22, v23, v21
	s_and_saveexec_b64 s[40:41], vcc
	s_cbranch_execz .LBB132_11
; %bb.19:                               ;   in Loop: Header=BB132_13 Depth=1
	v_add_u32_e32 v23, v13, v12
	v_cvt_f32_i32_e32 v23, v23
	s_waitcnt lgkmcnt(0)
	v_add_f32_e32 v21, v21, v22
	v_add_u32_e32 v24, v8, v12
	v_cmp_gt_i32_e64 s[8:9], s21, v24
	v_mul_f32_e32 v22, s44, v23
	v_cndmask_b32_e64 v22, 0, v22, s[0:1]
	v_fmac_f32_e32 v22, s35, v21
	v_cndmask_b32_e64 v21, 0, v22, s[8:9]
	ds_write_b32 v14, v21
	v_max_f32_e32 v21, v10, v10
	v_max_f32_e32 v21, v21, v22
	v_cndmask_b32_e64 v10, v10, v21, s[8:9]
	s_branch .LBB132_11
.LBB132_20:
	s_or_b64 exec, exec, s[38:39]
.LBB132_21:
	s_or_b64 exec, exec, s[36:37]
	v_mbcnt_hi_u32_b32 v2, -1, v7
	v_and_b32_e32 v11, 64, v2
	v_add_u32_e32 v3, 64, v11
	v_xor_b32_e32 v4, 32, v2
	v_cmp_lt_i32_e32 vcc, v4, v3
	v_xor_b32_e32 v8, 16, v2
	v_max_f32_e32 v7, v10, v10
	v_cndmask_b32_e32 v4, v2, v4, vcc
	v_lshlrev_b32_e32 v4, 2, v4
	ds_bpermute_b32 v5, v4, v10
	v_cmp_lt_i32_e32 vcc, v8, v3
	v_xor_b32_e32 v9, 8, v2
	v_xor_b32_e32 v10, 4, v2
	v_and_b32_e32 v37, 63, v0
	s_waitcnt lgkmcnt(0)
	v_max_f32_e32 v5, v5, v5
	v_max_f32_e32 v7, v7, v5
	v_cndmask_b32_e32 v5, v2, v8, vcc
	v_lshlrev_b32_e32 v5, 2, v5
	ds_bpermute_b32 v8, v5, v7
	v_cmp_lt_i32_e32 vcc, v9, v3
	s_waitcnt lgkmcnt(0)
	v_max_f32_e32 v8, v8, v8
	v_max_f32_e32 v7, v7, v8
	v_cndmask_b32_e32 v8, v2, v9, vcc
	v_lshlrev_b32_e32 v9, 2, v8
	ds_bpermute_b32 v8, v9, v7
	v_cmp_lt_i32_e32 vcc, v10, v3
	s_waitcnt lgkmcnt(0)
	v_max_f32_e32 v8, v8, v8
	v_max_f32_e32 v8, v7, v8
	v_cndmask_b32_e32 v7, v2, v10, vcc
	v_lshlrev_b32_e32 v10, 2, v7
	ds_bpermute_b32 v12, v10, v8
	v_cmp_eq_u32_e32 vcc, 0, v37
	v_lshlrev_b32_e32 v7, 2, v1
	s_and_saveexec_b64 s[0:1], vcc
	s_cbranch_execz .LBB132_23
; %bb.22:
	s_waitcnt lgkmcnt(0)
	v_max_f32_e32 v12, v12, v12
	v_max_f32_e32 v8, v8, v8
	;; [unrolled: 1-line block ×3, first 2 shown]
	ds_write_b32 v7, v8 offset:256
.LBB132_23:
	s_or_b64 exec, exec, s[0:1]
	v_cmp_gt_u32_e64 s[0:1], 2, v37
	s_waitcnt lgkmcnt(0)
	v_mov_b32_e32 v12, 0xff7fffff
	v_lshlrev_b32_e32 v8, 2, v37
	s_barrier
	s_and_saveexec_b64 s[8:9], s[0:1]
; %bb.24:
	ds_read_b32 v12, v8 offset:256
; %bb.25:
	s_or_b64 exec, exec, s[8:9]
	v_xor_b32_e32 v13, 1, v2
	v_cmp_lt_i32_e64 s[8:9], v13, v3
	v_lshlrev_b32_e32 v11, 2, v11
	s_nop 0
	v_cndmask_b32_e64 v13, v2, v13, s[8:9]
	v_lshlrev_b32_e32 v38, 2, v13
	s_waitcnt lgkmcnt(0)
	ds_bpermute_b32 v13, v38, v12
	v_max_f32_e32 v12, v12, v12
	s_lshl_b32 s8, s43, 4
	s_min_i32 s15, s8, s21
	v_cmp_gt_i32_e64 s[8:9], s15, v0
	s_waitcnt lgkmcnt(0)
	v_max_f32_e32 v13, v13, v13
	v_max_f32_e32 v12, v12, v13
	ds_bpermute_b32 v12, v11, v12
	v_mov_b32_e32 v11, 0
	s_and_saveexec_b64 s[34:35], s[8:9]
	s_cbranch_execz .LBB132_29
; %bb.26:
	v_mov_b32_e32 v11, 0x110
	v_lshl_add_u32 v13, v0, 2, v11
	v_mov_b32_e32 v11, 0
	s_mov_b64 s[36:37], 0
	v_mov_b32_e32 v14, v0
.LBB132_27:                             ; =>This Inner Loop Header: Depth=1
	ds_read_b32 v15, v13
	v_add_u32_e32 v14, 0x80, v14
	v_cmp_le_i32_e64 s[10:11], s15, v14
	s_or_b64 s[36:37], s[10:11], s[36:37]
	s_waitcnt lgkmcnt(0)
	v_sub_f32_e32 v15, v15, v12
	v_mul_f32_e32 v15, 0x3fb8aa3b, v15
	v_exp_f32_e32 v15, v15
	ds_write_b32 v13, v15
	v_add_f32_e32 v11, v11, v15
	v_add_u32_e32 v13, 0x200, v13
	s_andn2_b64 exec, exec, s[36:37]
	s_cbranch_execnz .LBB132_27
; %bb.28:
	s_or_b64 exec, exec, s[36:37]
.LBB132_29:
	s_or_b64 exec, exec, s[34:35]
	ds_bpermute_b32 v4, v4, v11
	s_waitcnt lgkmcnt(0)
	v_add_f32_e32 v4, v11, v4
	ds_bpermute_b32 v5, v5, v4
	s_waitcnt lgkmcnt(0)
	v_add_f32_e32 v4, v4, v5
	ds_bpermute_b32 v5, v9, v4
	v_xor_b32_e32 v9, 2, v2
	v_cmp_lt_i32_e64 s[10:11], v9, v3
	s_waitcnt lgkmcnt(0)
	v_add_f32_e32 v4, v4, v5
	ds_bpermute_b32 v5, v10, v4
	v_cndmask_b32_e64 v3, v2, v9, s[10:11]
	v_lshlrev_b32_e32 v3, 2, v3
	s_waitcnt lgkmcnt(0)
	v_add_f32_e32 v4, v4, v5
	ds_bpermute_b32 v3, v3, v4
	s_waitcnt lgkmcnt(0)
	v_add_f32_e32 v3, v4, v3
	ds_bpermute_b32 v4, v38, v3
	s_waitcnt lgkmcnt(0)
	v_add_f32_e32 v3, v3, v4
	s_and_saveexec_b64 s[10:11], vcc
; %bb.30:
	ds_write_b32 v7, v3 offset:264
; %bb.31:
	s_or_b64 exec, exec, s[10:11]
	s_waitcnt lgkmcnt(0)
	s_barrier
	s_and_saveexec_b64 s[10:11], s[0:1]
; %bb.32:
	ds_read_b32 v3, v8 offset:264
; %bb.33:
	s_or_b64 exec, exec, s[10:11]
	s_waitcnt lgkmcnt(0)
	ds_bpermute_b32 v4, v38, v3
	v_lshlrev_b32_e32 v2, 2, v2
	v_and_b32_e32 v2, 0x100, v2
	s_waitcnt lgkmcnt(0)
	v_add_f32_e32 v3, v3, v4
	ds_bpermute_b32 v2, v2, v3
	s_and_saveexec_b64 s[0:1], s[8:9]
	s_cbranch_execz .LBB132_46
; %bb.34:
	s_waitcnt lgkmcnt(0)
	v_add_f32_e32 v2, 0x358637bd, v2
	v_div_scale_f32 v3, s[8:9], v2, v2, 1.0
	v_rcp_f32_e32 v4, v3
	v_div_scale_f32 v5, vcc, 1.0, v2, 1.0
	s_movk_i32 s8, 0x7f
	v_fma_f32 v7, -v3, v4, 1.0
	v_fmac_f32_e32 v4, v7, v4
	v_mul_f32_e32 v7, v5, v4
	v_fma_f32 v8, -v3, v7, v5
	v_fmac_f32_e32 v7, v8, v4
	v_fma_f32 v3, -v3, v7, v5
	v_div_fmas_f32 v3, v3, v4, v7
	v_xad_u32 v4, v0, -1, s15
	v_div_fixup_f32 v2, v3, v2, 1.0
	v_cmp_lt_u32_e32 vcc, s8, v4
	s_mov_b64 s[10:11], -1
	v_mov_b32_e32 v3, v0
	s_and_saveexec_b64 s[8:9], vcc
	s_cbranch_execz .LBB132_43
; %bb.35:
	v_lshrrev_b32_e32 v4, 7, v4
	v_add_u32_e32 v7, -1, v4
	v_lshrrev_b32_e32 v5, 1, v7
	v_mov_b32_e32 v3, v2
	v_add_u32_e32 v5, 1, v5
	v_cmp_lt_u32_e32 vcc, 13, v7
	v_mov_b32_e32 v9, 0
	s_and_saveexec_b64 s[10:11], vcc
	s_cbranch_execz .LBB132_39
; %bb.36:
	v_mov_b32_e32 v8, 0x110
	v_and_b32_e32 v7, -8, v5
	v_lshl_add_u32 v8, v0, 2, v8
	s_mov_b32 s36, 0
	s_mov_b64 s[34:35], 0
.LBB132_37:                             ; =>This Inner Loop Header: Depth=1
	ds_read2st64_b32 v[10:11], v8 offset1:2
	ds_read2st64_b32 v[12:13], v8 offset0:4 offset1:6
	ds_read2st64_b32 v[14:15], v8 offset0:8 offset1:10
	;; [unrolled: 1-line block ×3, first 2 shown]
	v_add_u32_e32 v7, -8, v7
	s_waitcnt lgkmcnt(3)
	v_pk_mul_f32 v[10:11], v[2:3], v[10:11]
	s_waitcnt lgkmcnt(2)
	v_pk_mul_f32 v[12:13], v[2:3], v[12:13]
	ds_write2st64_b32 v8, v10, v11 offset1:2
	ds_write2st64_b32 v8, v12, v13 offset0:4 offset1:6
	ds_read2st64_b32 v[12:13], v8 offset0:16 offset1:18
	s_waitcnt lgkmcnt(4)
	v_pk_mul_f32 v[10:11], v[2:3], v[14:15]
	ds_write2st64_b32 v8, v10, v11 offset0:8 offset1:10
	s_waitcnt lgkmcnt(4)
	v_pk_mul_f32 v[10:11], v[2:3], v[16:17]
	ds_write2st64_b32 v8, v10, v11 offset0:12 offset1:14
	ds_read2st64_b32 v[10:11], v8 offset0:20 offset1:22
	s_waitcnt lgkmcnt(3)
	v_pk_mul_f32 v[12:13], v[2:3], v[12:13]
	ds_read2st64_b32 v[14:15], v8 offset0:24 offset1:26
	ds_write2st64_b32 v8, v12, v13 offset0:16 offset1:18
	ds_read2st64_b32 v[12:13], v8 offset0:28 offset1:30
	s_waitcnt lgkmcnt(3)
	v_pk_mul_f32 v[10:11], v[2:3], v[10:11]
	ds_write2st64_b32 v8, v10, v11 offset0:20 offset1:22
	s_waitcnt lgkmcnt(3)
	v_pk_mul_f32 v[10:11], v[2:3], v[14:15]
	ds_write2st64_b32 v8, v10, v11 offset0:24 offset1:26
	s_waitcnt lgkmcnt(2)
	v_pk_mul_f32 v[10:11], v[2:3], v[12:13]
	s_add_i32 s36, s36, 16
	v_cmp_eq_u32_e32 vcc, 0, v7
	ds_write2st64_b32 v8, v10, v11 offset0:28 offset1:30
	v_add_u32_e32 v8, 0x2000, v8
	s_or_b64 s[34:35], vcc, s[34:35]
	v_mov_b32_e32 v9, s36
	s_andn2_b64 exec, exec, s[34:35]
	s_cbranch_execnz .LBB132_37
; %bb.38:
	s_or_b64 exec, exec, s[34:35]
.LBB132_39:
	s_or_b64 exec, exec, s[10:11]
	v_and_b32_e32 v5, 7, v5
	v_cmp_ne_u32_e32 vcc, 0, v5
	s_and_saveexec_b64 s[10:11], vcc
	s_cbranch_execz .LBB132_42
; %bb.40:
	v_lshlrev_b32_e32 v7, 9, v9
	v_lshlrev_b32_e32 v8, 2, v0
	s_movk_i32 s34, 0x110
	v_add3_u32 v7, v7, v8, s34
	s_mov_b64 s[34:35], 0
.LBB132_41:                             ; =>This Inner Loop Header: Depth=1
	ds_read2st64_b32 v[8:9], v7 offset1:2
	v_add_u32_e32 v5, -1, v5
	v_cmp_eq_u32_e32 vcc, 0, v5
	s_or_b64 s[34:35], vcc, s[34:35]
	s_waitcnt lgkmcnt(0)
	v_pk_mul_f32 v[8:9], v[2:3], v[8:9]
	ds_write2st64_b32 v7, v8, v9 offset1:2
	v_add_u32_e32 v7, 0x400, v7
	s_andn2_b64 exec, exec, s[34:35]
	s_cbranch_execnz .LBB132_41
.LBB132_42:
	s_or_b64 exec, exec, s[10:11]
	v_add_u32_e32 v4, 1, v4
	v_and_b32_e32 v5, 0x3fffffe, v4
	v_cmp_ne_u32_e32 vcc, v4, v5
	v_lshl_add_u32 v3, v5, 7, v0
	s_orn2_b64 s[10:11], vcc, exec
.LBB132_43:
	s_or_b64 exec, exec, s[8:9]
	s_and_b64 exec, exec, s[10:11]
	s_cbranch_execz .LBB132_46
; %bb.44:
	v_mov_b32_e32 v4, 0x110
	v_lshl_add_u32 v4, v3, 2, v4
	s_mov_b64 s[8:9], 0
.LBB132_45:                             ; =>This Inner Loop Header: Depth=1
	ds_read_b32 v5, v4
	v_add_u32_e32 v3, 0x80, v3
	v_cmp_le_i32_e32 vcc, s15, v3
	s_or_b64 s[8:9], vcc, s[8:9]
	s_waitcnt lgkmcnt(0)
	v_mul_f32_e32 v5, v2, v5
	ds_write_b32 v4, v5
	v_add_u32_e32 v4, 0x200, v4
	s_andn2_b64 exec, exec, s[8:9]
	s_cbranch_execnz .LBB132_45
.LBB132_46:
	s_or_b64 exec, exec, s[0:1]
	v_mov_b32_e32 v27, 0
	v_and_b32_e32 v39, 1, v0
	v_mov_b32_e32 v26, v27
	v_mov_b32_e32 v29, v27
	;; [unrolled: 1-line block ×3, first 2 shown]
	s_waitcnt lgkmcnt(0)
	s_barrier
	s_and_saveexec_b64 s[8:9], s[2:3]
	s_cbranch_execz .LBB132_60
; %bb.47:
	s_ashr_i32 s15, s14, 31
	s_sub_i32 s17, s12, s17
	s_lshl_b64 s[0:1], s[14:15], 1
	s_add_u32 s0, s30, s0
	s_addc_u32 s1, s31, s1
	s_abs_i32 s18, s18
	v_cvt_f32_u32_e32 v3, s18
	v_lshlrev_b32_e32 v2, 3, v0
	v_and_b32_e32 v40, 8, v2
	v_mov_b32_e32 v31, 0
	v_rcp_iflag_f32_e32 v2, v3
	v_lshlrev_b32_e32 v3, 4, v0
	v_and_b32_e32 v30, 0x3f0, v3
	v_lshl_add_u64 v[32:33], s[0:1], 0, v[30:31]
	v_mul_f32_e32 v2, 0x4f7ffffe, v2
	v_cvt_u32_f32_e32 v2, v2
	s_sub_i32 s0, 0, s18
	s_add_i32 s31, s43, -1
	v_and_b32_e32 v30, 60, v6
	v_mul_lo_u32 v3, s0, v2
	v_mul_hi_u32 v3, v2, v3
	s_lshl_b64 s[0:1], s[28:29], 2
	v_add_u32_e32 v41, v2, v3
	s_add_u32 s0, s26, s0
	v_lshlrev_b32_e32 v2, 5, v39
	s_addc_u32 s1, s27, s1
	v_lshl_or_b32 v2, v1, 6, v2
	s_mov_b32 s30, s13
	s_mov_b32 s34, s21
	v_lshl_add_u64 v[34:35], s[0:1], 0, v[30:31]
	v_add_u32_e32 v30, 0x110, v2
	s_mov_b64 s[10:11], 0
	s_mov_b32 s26, 0x5040100
	v_mov_b32_e32 v28, 0
	v_mov_b32_e32 v29, 0
	;; [unrolled: 1-line block ×4, first 2 shown]
	s_branch .LBB132_50
.LBB132_48:                             ;   in Loop: Header=BB132_50 Depth=1
	s_or_b64 exec, exec, s[2:3]
	s_waitcnt lgkmcnt(1)
	v_cvt_pk_bf16_f32 v14, v14, s0
	v_cvt_pk_bf16_f32 v15, v15, s0
	;; [unrolled: 1-line block ×4, first 2 shown]
	s_waitcnt vmcnt(1)
	v_and_b32_e32 v42, 0xffff0000, v22
	v_lshlrev_b32_e32 v15, 16, v15
	v_lshlrev_b32_e32 v22, 16, v22
	;; [unrolled: 1-line block ×3, first 2 shown]
	v_mul_f32_e32 v42, v15, v42
	v_mul_f32_e32 v22, v14, v22
	v_and_b32_e32 v43, 0xffff0000, v23
	v_lshlrev_b32_e32 v17, 16, v17
	v_lshlrev_b32_e32 v23, 16, v23
	;; [unrolled: 1-line block ×3, first 2 shown]
	s_waitcnt lgkmcnt(0)
	v_cvt_pk_bf16_f32 v10, v10, s0
	v_cvt_pk_bf16_f32 v11, v11, s0
	;; [unrolled: 1-line block ×4, first 2 shown]
	v_mul_f32_e32 v43, v17, v43
	v_mul_f32_e32 v23, v16, v23
	v_cvt_pk_bf16_f32 v43, v43, s0
	v_cvt_pk_bf16_f32 v23, v23, s0
	v_and_b32_e32 v44, 0xffff0000, v24
	v_lshlrev_b32_e32 v11, 16, v11
	v_lshlrev_b32_e32 v24, 16, v24
	;; [unrolled: 1-line block ×5, first 2 shown]
	v_cvt_pk_bf16_f32 v12, v12, s0
	v_cvt_pk_bf16_f32 v13, v13, s0
	v_mul_f32_e32 v44, v11, v44
	v_mul_f32_e32 v24, v10, v24
	v_add_f32_e32 v22, v22, v42
	v_lshlrev_b32_e32 v23, 16, v23
	v_lshlrev_b32_e32 v42, 16, v43
	v_cvt_pk_bf16_f32 v44, v44, s0
	v_cvt_pk_bf16_f32 v24, v24, s0
	v_and_b32_e32 v45, 0xffff0000, v25
	v_lshlrev_b32_e32 v13, 16, v13
	v_lshlrev_b32_e32 v25, 16, v25
	;; [unrolled: 1-line block ×3, first 2 shown]
	v_add_f32_e32 v23, v23, v42
	v_mul_f32_e32 v45, v13, v45
	v_mul_f32_e32 v25, v12, v25
	v_add_f32_e32 v22, v23, v22
	v_lshlrev_b32_e32 v23, 16, v24
	v_lshlrev_b32_e32 v24, 16, v44
	v_cvt_pk_bf16_f32 v45, v45, s0
	v_cvt_pk_bf16_f32 v25, v25, s0
	v_add_f32_e32 v23, v23, v24
	v_add_f32_e32 v22, v23, v22
	v_lshlrev_b32_e32 v23, 16, v25
	v_lshlrev_b32_e32 v24, 16, v45
	v_add_f32_e32 v23, v23, v24
	v_add_f32_e32 v22, v23, v22
	v_add_f32_e32 v26, v26, v22
	v_and_b32_e32 v22, 0xffff0000, v6
	v_lshlrev_b32_e32 v6, 16, v6
	v_mul_f32_e32 v22, v15, v22
	v_mul_f32_e32 v6, v14, v6
	v_and_b32_e32 v23, 0xffff0000, v7
	v_lshlrev_b32_e32 v7, 16, v7
	v_cvt_pk_bf16_f32 v22, v22, s0
	v_cvt_pk_bf16_f32 v6, v6, s0
	v_mul_f32_e32 v23, v17, v23
	v_mul_f32_e32 v7, v16, v7
	v_cvt_pk_bf16_f32 v23, v23, s0
	v_cvt_pk_bf16_f32 v7, v7, s0
	v_and_b32_e32 v24, 0xffff0000, v8
	v_lshlrev_b32_e32 v8, 16, v8
	v_lshlrev_b32_e32 v6, 16, v6
	;; [unrolled: 1-line block ×3, first 2 shown]
	v_mul_f32_e32 v24, v11, v24
	v_mul_f32_e32 v8, v10, v8
	v_add_f32_e32 v6, v6, v22
	v_lshlrev_b32_e32 v7, 16, v7
	v_lshlrev_b32_e32 v22, 16, v23
	v_cvt_pk_bf16_f32 v24, v24, s0
	v_cvt_pk_bf16_f32 v8, v8, s0
	v_and_b32_e32 v25, 0xffff0000, v9
	v_lshlrev_b32_e32 v9, 16, v9
	v_add_f32_e32 v7, v7, v22
	v_mul_f32_e32 v25, v13, v25
	v_mul_f32_e32 v9, v12, v9
	v_add_f32_e32 v6, v7, v6
	v_lshlrev_b32_e32 v7, 16, v8
	v_lshlrev_b32_e32 v8, 16, v24
	v_cvt_pk_bf16_f32 v25, v25, s0
	v_cvt_pk_bf16_f32 v9, v9, s0
	v_add_f32_e32 v7, v7, v8
	v_add_f32_e32 v6, v7, v6
	v_lshlrev_b32_e32 v7, 16, v9
	v_lshlrev_b32_e32 v8, 16, v25
	v_add_f32_e32 v7, v7, v8
	v_add_f32_e32 v6, v7, v6
	v_add_f32_e32 v29, v29, v6
	v_and_b32_e32 v6, 0xffff0000, v2
	v_lshlrev_b32_e32 v2, 16, v2
	v_mul_f32_e32 v6, v15, v6
	v_mul_f32_e32 v2, v14, v2
	v_and_b32_e32 v7, 0xffff0000, v3
	v_lshlrev_b32_e32 v3, 16, v3
	v_cvt_pk_bf16_f32 v6, v6, s0
	v_cvt_pk_bf16_f32 v2, v2, s0
	v_mul_f32_e32 v7, v17, v7
	v_mul_f32_e32 v3, v16, v3
	v_cvt_pk_bf16_f32 v7, v7, s0
	v_cvt_pk_bf16_f32 v3, v3, s0
	v_and_b32_e32 v8, 0xffff0000, v4
	v_lshlrev_b32_e32 v4, 16, v4
	v_lshlrev_b32_e32 v2, 16, v2
	;; [unrolled: 1-line block ×3, first 2 shown]
	v_mul_f32_e32 v8, v11, v8
	v_mul_f32_e32 v4, v10, v4
	v_add_f32_e32 v2, v2, v6
	v_lshlrev_b32_e32 v3, 16, v3
	v_lshlrev_b32_e32 v6, 16, v7
	v_cvt_pk_bf16_f32 v8, v8, s0
	v_cvt_pk_bf16_f32 v4, v4, s0
	v_and_b32_e32 v9, 0xffff0000, v5
	v_lshlrev_b32_e32 v5, 16, v5
	v_add_f32_e32 v3, v3, v6
	v_mul_f32_e32 v5, v12, v5
	v_add_f32_e32 v2, v3, v2
	v_lshlrev_b32_e32 v3, 16, v4
	v_lshlrev_b32_e32 v4, 16, v8
	v_cvt_pk_bf16_f32 v5, v5, s0
	v_add_f32_e32 v3, v3, v4
	v_add_f32_e32 v2, v3, v2
	v_lshlrev_b32_e32 v3, 16, v5
	s_waitcnt vmcnt(0)
	v_and_b32_e32 v5, 0xffff0000, v19
	v_mul_f32_e32 v5, v17, v5
	v_mul_f32_e32 v9, v13, v9
	v_cvt_pk_bf16_f32 v6, v5, s0
	v_lshlrev_b32_e32 v5, 16, v20
	v_cvt_pk_bf16_f32 v9, v9, s0
	v_mul_f32_e32 v5, v10, v5
	v_lshlrev_b32_e32 v4, 16, v9
	v_cvt_pk_bf16_f32 v7, v5, s0
	v_and_b32_e32 v5, 0xffff0000, v20
	v_add_f32_e32 v3, v3, v4
	v_mul_f32_e32 v5, v11, v5
	v_add_f32_e32 v2, v3, v2
	v_cvt_pk_bf16_f32 v8, v5, s0
	v_lshlrev_b32_e32 v5, 16, v21
	v_add_f32_e32 v28, v28, v2
	v_lshlrev_b32_e32 v2, 16, v18
	v_and_b32_e32 v3, 0xffff0000, v18
	v_lshlrev_b32_e32 v4, 16, v19
	v_mul_f32_e32 v5, v12, v5
	v_mul_f32_e32 v2, v14, v2
	;; [unrolled: 1-line block ×4, first 2 shown]
	v_cvt_pk_bf16_f32 v9, v5, s0
	v_and_b32_e32 v5, 0xffff0000, v21
	v_cvt_pk_bf16_f32 v2, v2, s0
	v_cvt_pk_bf16_f32 v3, v3, s0
	;; [unrolled: 1-line block ×3, first 2 shown]
	v_mul_f32_e32 v5, v13, v5
	v_cvt_pk_bf16_f32 v10, v5, s0
	v_lshlrev_b32_e32 v3, 16, v3
	v_lshlrev_b32_e32 v5, 16, v2
	;; [unrolled: 1-line block ×4, first 2 shown]
	v_pk_add_f32 v[2:3], v[4:5], v[2:3]
	v_lshlrev_b32_e32 v5, 16, v8
	v_lshlrev_b32_e32 v7, 16, v7
	;; [unrolled: 1-line block ×4, first 2 shown]
	v_pk_add_f32 v[4:5], v[6:7], v[4:5]
	v_add_f32_e32 v2, v2, v3
	v_add_f32_e32 v2, v5, v2
	;; [unrolled: 1-line block ×4, first 2 shown]
.LBB132_49:                             ;   in Loop: Header=BB132_50 Depth=1
	s_or_b64 exec, exec, s[12:13]
	v_add_u32_e32 v1, 2, v1
	v_cmp_le_i32_e32 vcc, s43, v1
	v_lshl_add_u64 v[34:35], v[34:35], 0, 8
	v_add_u32_e32 v36, 32, v36
	s_or_b64 s[10:11], vcc, s[10:11]
	v_add_u32_e32 v30, 0x80, v30
	s_andn2_b64 exec, exec, s[10:11]
	s_cbranch_execz .LBB132_59
.LBB132_50:                             ; =>This Inner Loop Header: Depth=1
	v_mul_hi_u32 v2, v36, s33
	v_mul_lo_u32 v3, v2, s23
	v_sub_u32_e32 v3, v36, v3
	v_add_u32_e32 v4, 1, v2
	v_cmp_le_u32_e32 vcc, s23, v3
	s_nop 1
	v_cndmask_b32_e32 v2, v2, v4, vcc
	v_subrev_u32_e32 v4, s23, v3
	v_cndmask_b32_e32 v3, v3, v4, vcc
	v_add_u32_e32 v4, 1, v2
	v_cmp_le_u32_e32 vcc, s23, v3
	s_nop 1
	v_cndmask_b32_e32 v2, v2, v4, vcc
	v_xor_b32_e32 v2, s19, v2
	v_subrev_u32_e32 v2, s19, v2
	v_add_u32_e32 v3, s42, v2
	v_sub_u32_e32 v5, 0, v3
	v_ashrrev_i32_e32 v4, 31, v3
	v_max_i32_e32 v3, v3, v5
	v_mul_hi_u32 v5, v3, v41
	v_mul_lo_u32 v5, v5, s18
	v_sub_u32_e32 v3, v3, v5
	v_subrev_u32_e32 v5, s18, v3
	v_cmp_le_u32_e32 vcc, s18, v3
	v_cmp_lt_i32_e64 s[0:1], s17, v2
	s_nop 0
	v_cndmask_b32_e32 v3, v3, v5, vcc
	v_subrev_u32_e32 v5, s18, v3
	v_cmp_le_u32_e32 vcc, s18, v3
	s_nop 1
	v_cndmask_b32_e32 v3, v3, v5, vcc
	v_xor_b32_e32 v3, v3, v4
	v_sub_u32_e32 v3, v3, v4
	v_cmp_eq_u32_e32 vcc, 0, v3
	s_or_b64 s[0:1], vcc, s[0:1]
	s_and_saveexec_b64 s[12:13], s[0:1]
	s_cbranch_execz .LBB132_49
; %bb.51:                               ;   in Loop: Header=BB132_50 Depth=1
	global_load_dword v2, v[34:35], off
	v_add_u32_e32 v44, v40, v36
	v_add_u32_e32 v49, 1, v44
	v_or_b32_e32 v47, 3, v44
	v_or_b32_e32 v48, 2, v44
	;; [unrolled: 1-line block ×6, first 2 shown]
	s_waitcnt vmcnt(0)
	v_mad_i64_i32 v[2:3], s[0:1], v2, s30, 0
	v_lshl_add_u64 v[18:19], v[2:3], 1, v[32:33]
	global_load_dwordx4 v[2:5], v[18:19], off
	ds_read2_b64 v[14:17], v30 offset1:1
	ds_read2_b64 v[10:13], v30 offset0:2 offset1:3
	v_cmp_eq_u32_e64 s[0:1], s31, v1
	s_and_saveexec_b64 s[14:15], s[0:1]
	s_cbranch_execnz .LBB132_55
; %bb.52:                               ;   in Loop: Header=BB132_50 Depth=1
	s_or_b64 exec, exec, s[14:15]
	global_load_dwordx4 v[6:9], v[18:19], off offset:1024
	s_and_saveexec_b64 s[14:15], s[0:1]
	s_cbranch_execnz .LBB132_56
.LBB132_53:                             ;   in Loop: Header=BB132_50 Depth=1
	s_or_b64 exec, exec, s[14:15]
	global_load_dwordx4 v[22:25], v[18:19], off offset:2048
	s_and_saveexec_b64 s[14:15], s[0:1]
	s_cbranch_execnz .LBB132_57
.LBB132_54:                             ;   in Loop: Header=BB132_50 Depth=1
	s_or_b64 exec, exec, s[14:15]
	global_load_dwordx4 v[18:21], v[18:19], off offset:3072
	s_and_saveexec_b64 s[2:3], s[0:1]
	s_cbranch_execz .LBB132_48
	s_branch .LBB132_58
.LBB132_55:                             ;   in Loop: Header=BB132_50 Depth=1
	v_cmp_gt_i32_e32 vcc, s34, v49
	v_cmp_gt_i32_e64 s[2:3], s21, v48
	s_waitcnt vmcnt(0)
	v_cndmask_b32_sdwa v6, v31, v2, vcc dst_sel:DWORD dst_unused:UNUSED_PAD src0_sel:DWORD src1_sel:WORD_1
	v_cmp_gt_i32_e32 vcc, s21, v44
	s_nop 1
	v_cndmask_b32_e32 v2, 0, v2, vcc
	v_cmp_gt_i32_e32 vcc, s34, v47
	v_perm_b32 v2, v6, v2, s26
	v_cndmask_b32_e64 v6, 0, v3, s[2:3]
	v_cndmask_b32_sdwa v3, v31, v3, vcc dst_sel:DWORD dst_unused:UNUSED_PAD src0_sel:DWORD src1_sel:WORD_1
	v_cmp_gt_i32_e32 vcc, s34, v45
	v_cmp_gt_i32_e64 s[2:3], s21, v46
	v_perm_b32 v3, v3, v6, s26
	s_nop 0
	v_cndmask_b32_e64 v6, 0, v4, s[2:3]
	v_cndmask_b32_sdwa v4, v31, v4, vcc dst_sel:DWORD dst_unused:UNUSED_PAD src0_sel:DWORD src1_sel:WORD_1
	v_cmp_gt_i32_e32 vcc, s34, v42
	v_cmp_gt_i32_e64 s[2:3], s21, v43
	v_perm_b32 v4, v4, v6, s26
	s_nop 0
	v_cndmask_b32_e64 v6, 0, v5, s[2:3]
	v_cndmask_b32_sdwa v5, v31, v5, vcc dst_sel:DWORD dst_unused:UNUSED_PAD src0_sel:DWORD src1_sel:WORD_1
	v_perm_b32 v5, v5, v6, s26
	s_or_b64 exec, exec, s[14:15]
	global_load_dwordx4 v[6:9], v[18:19], off offset:1024
	s_and_saveexec_b64 s[14:15], s[0:1]
	s_cbranch_execz .LBB132_53
.LBB132_56:                             ;   in Loop: Header=BB132_50 Depth=1
	v_cmp_gt_i32_e32 vcc, s34, v49
	v_cmp_gt_i32_e64 s[2:3], s21, v48
	s_waitcnt vmcnt(0)
	v_cndmask_b32_sdwa v20, v31, v6, vcc dst_sel:DWORD dst_unused:UNUSED_PAD src0_sel:DWORD src1_sel:WORD_1
	v_cmp_gt_i32_e32 vcc, s21, v44
	s_nop 1
	v_cndmask_b32_e32 v6, 0, v6, vcc
	v_cmp_gt_i32_e32 vcc, s34, v47
	v_perm_b32 v6, v20, v6, s26
	v_cndmask_b32_e64 v20, 0, v7, s[2:3]
	v_cndmask_b32_sdwa v7, v31, v7, vcc dst_sel:DWORD dst_unused:UNUSED_PAD src0_sel:DWORD src1_sel:WORD_1
	v_cmp_gt_i32_e32 vcc, s34, v45
	v_cmp_gt_i32_e64 s[2:3], s21, v46
	v_perm_b32 v7, v7, v20, s26
	s_nop 0
	v_cndmask_b32_e64 v20, 0, v8, s[2:3]
	v_cndmask_b32_sdwa v8, v31, v8, vcc dst_sel:DWORD dst_unused:UNUSED_PAD src0_sel:DWORD src1_sel:WORD_1
	v_cmp_gt_i32_e32 vcc, s34, v42
	v_cmp_gt_i32_e64 s[2:3], s21, v43
	v_perm_b32 v8, v8, v20, s26
	s_nop 0
	v_cndmask_b32_e64 v20, 0, v9, s[2:3]
	v_cndmask_b32_sdwa v9, v31, v9, vcc dst_sel:DWORD dst_unused:UNUSED_PAD src0_sel:DWORD src1_sel:WORD_1
	v_perm_b32 v9, v9, v20, s26
	s_or_b64 exec, exec, s[14:15]
	global_load_dwordx4 v[22:25], v[18:19], off offset:2048
	s_and_saveexec_b64 s[14:15], s[0:1]
	s_cbranch_execz .LBB132_54
.LBB132_57:                             ;   in Loop: Header=BB132_50 Depth=1
	v_cmp_gt_i32_e32 vcc, s34, v49
	v_cmp_gt_i32_e64 s[2:3], s21, v48
	s_waitcnt vmcnt(0)
	v_cndmask_b32_sdwa v20, v31, v22, vcc dst_sel:DWORD dst_unused:UNUSED_PAD src0_sel:DWORD src1_sel:WORD_1
	v_cmp_gt_i32_e32 vcc, s21, v44
	s_nop 1
	v_cndmask_b32_e32 v21, 0, v22, vcc
	v_cmp_gt_i32_e32 vcc, s34, v47
	v_perm_b32 v22, v20, v21, s26
	v_cndmask_b32_e64 v20, 0, v23, s[2:3]
	v_cndmask_b32_sdwa v21, v31, v23, vcc dst_sel:DWORD dst_unused:UNUSED_PAD src0_sel:DWORD src1_sel:WORD_1
	v_cmp_gt_i32_e32 vcc, s34, v45
	v_cmp_gt_i32_e64 s[2:3], s21, v46
	v_perm_b32 v23, v21, v20, s26
	v_cndmask_b32_sdwa v21, v31, v24, vcc dst_sel:DWORD dst_unused:UNUSED_PAD src0_sel:DWORD src1_sel:WORD_1
	v_cndmask_b32_e64 v20, 0, v24, s[2:3]
	v_cmp_gt_i32_e32 vcc, s34, v42
	v_cmp_gt_i32_e64 s[2:3], s21, v43
	v_perm_b32 v24, v21, v20, s26
	v_cndmask_b32_sdwa v21, v31, v25, vcc dst_sel:DWORD dst_unused:UNUSED_PAD src0_sel:DWORD src1_sel:WORD_1
	v_cndmask_b32_e64 v20, 0, v25, s[2:3]
	v_perm_b32 v25, v21, v20, s26
	s_or_b64 exec, exec, s[14:15]
	global_load_dwordx4 v[18:21], v[18:19], off offset:3072
	s_and_saveexec_b64 s[2:3], s[0:1]
	s_cbranch_execz .LBB132_48
.LBB132_58:                             ;   in Loop: Header=BB132_50 Depth=1
	v_cmp_gt_i32_e32 vcc, s34, v49
	v_cmp_gt_i32_e64 s[0:1], s21, v48
	s_waitcnt vmcnt(0)
	v_cndmask_b32_sdwa v49, v31, v18, vcc dst_sel:DWORD dst_unused:UNUSED_PAD src0_sel:DWORD src1_sel:WORD_1
	v_cmp_gt_i32_e32 vcc, s21, v44
	v_cndmask_b32_e64 v44, 0, v19, s[0:1]
	v_cmp_gt_i32_e64 s[0:1], s21, v46
	v_cndmask_b32_e32 v18, 0, v18, vcc
	v_cmp_gt_i32_e32 vcc, s34, v47
	v_perm_b32 v18, v49, v18, s26
	s_nop 0
	v_cndmask_b32_sdwa v19, v31, v19, vcc dst_sel:DWORD dst_unused:UNUSED_PAD src0_sel:DWORD src1_sel:WORD_1
	v_cmp_gt_i32_e32 vcc, s34, v45
	v_perm_b32 v19, v19, v44, s26
	v_cndmask_b32_e64 v44, 0, v20, s[0:1]
	v_cndmask_b32_sdwa v20, v31, v20, vcc dst_sel:DWORD dst_unused:UNUSED_PAD src0_sel:DWORD src1_sel:WORD_1
	v_cmp_gt_i32_e32 vcc, s34, v42
	v_cmp_gt_i32_e64 s[0:1], s21, v43
	v_perm_b32 v20, v20, v44, s26
	s_nop 0
	v_cndmask_b32_e64 v42, 0, v21, s[0:1]
	v_cndmask_b32_sdwa v21, v31, v21, vcc dst_sel:DWORD dst_unused:UNUSED_PAD src0_sel:DWORD src1_sel:WORD_1
	v_perm_b32 v21, v21, v42, s26
	s_branch .LBB132_48
.LBB132_59:
	s_or_b64 exec, exec, s[10:11]
.LBB132_60:
	s_or_b64 exec, exec, s[8:9]
	ds_bpermute_b32 v2, v38, v28
	ds_bpermute_b32 v3, v38, v29
	;; [unrolled: 1-line block ×4, first 2 shown]
	v_and_b32_e32 v1, 0x3c1, v0
	v_cmp_ne_u32_e32 vcc, 64, v1
	s_waitcnt lgkmcnt(2)
	v_pk_add_f32 v[2:3], v[28:29], v[2:3]
	s_waitcnt lgkmcnt(0)
	s_barrier
	s_and_saveexec_b64 s[0:1], vcc
	s_xor_b64 s[0:1], exec, s[0:1]
; %bb.61:
                                        ; implicit-def: $vgpr37
; %bb.62:
	s_or_saveexec_b64 s[0:1], s[0:1]
	v_pk_add_f32 v[4:5], v[26:27], v[4:5]
	s_xor_b64 exec, exec, s[0:1]
	s_cbranch_execz .LBB132_64
; %bb.63:
	v_mov_b32_e32 v6, 0x110
	v_lshl_add_u32 v6, v37, 1, v6
	ds_write2_b32 v6, v2, v3 offset1:32
	ds_write2_b32 v6, v4, v5 offset0:64 offset1:96
.LBB132_64:
	s_or_b64 exec, exec, s[0:1]
	v_lshrrev_b32_e32 v0, 1, v0
	s_waitcnt lgkmcnt(0)
	s_barrier
	s_and_saveexec_b64 s[0:1], s[6:7]
	s_cbranch_execz .LBB132_71
; %bb.65:
	v_mov_b32_e32 v6, 0x110
	v_cmp_eq_u32_e32 vcc, 0, v39
	v_lshl_add_u32 v6, v0, 2, v6
	s_and_saveexec_b64 s[2:3], vcc
	s_cbranch_execnz .LBB132_74
; %bb.66:
	s_or_b64 exec, exec, s[2:3]
	s_and_saveexec_b64 s[2:3], vcc
	s_cbranch_execnz .LBB132_75
.LBB132_67:
	s_or_b64 exec, exec, s[2:3]
	s_and_saveexec_b64 s[2:3], vcc
	s_cbranch_execnz .LBB132_76
.LBB132_68:
	s_or_b64 exec, exec, s[2:3]
	s_and_saveexec_b64 s[2:3], vcc
	s_cbranch_execz .LBB132_70
.LBB132_69:
	ds_read_b32 v6, v6 offset:384
	s_waitcnt lgkmcnt(0)
	v_add_f32_e32 v5, v5, v6
.LBB132_70:
	s_or_b64 exec, exec, s[2:3]
.LBB132_71:
	s_or_b64 exec, exec, s[0:1]
	v_cmp_eq_u32_e32 vcc, 0, v1
	s_barrier
	s_and_saveexec_b64 s[0:1], vcc
	s_cbranch_execz .LBB132_73
; %bb.72:
	s_mul_i32 s0, s20, s16
	s_mul_i32 s0, s0, s5
	s_lshl_b32 s0, s0, 7
	s_ashr_i32 s1, s0, 31
	s_lshl_b64 s[0:1], s[0:1], 1
	s_add_u32 s2, s24, s0
	s_mul_i32 s0, s16, s22
	s_addc_u32 s3, s25, s1
	s_ashr_i32 s1, s0, 31
	s_lshl_b64 s[0:1], s[0:1], 1
	s_add_u32 s2, s2, s0
	s_addc_u32 s3, s3, s1
	s_lshl_b32 s0, s4, 7
	s_ashr_i32 s1, s0, 31
	s_lshl_b64 s[0:1], s[0:1], 1
	s_add_u32 s0, s2, s0
	s_addc_u32 s1, s3, s1
	v_lshlrev_b32_e32 v0, 1, v0
	v_cvt_pk_bf16_f32 v1, v2, s0
	global_store_short v0, v1, s[0:1]
	v_cvt_pk_bf16_f32 v1, v3, s0
	global_store_short v0, v1, s[0:1] offset:64
	v_cvt_pk_bf16_f32 v1, v4, s0
	global_store_short v0, v1, s[0:1] offset:128
	;; [unrolled: 2-line block ×3, first 2 shown]
.LBB132_73:
	s_endpgm
.LBB132_74:
	ds_read_b32 v7, v6
	s_waitcnt lgkmcnt(0)
	v_add_f32_e32 v2, v2, v7
	s_or_b64 exec, exec, s[2:3]
	s_and_saveexec_b64 s[2:3], vcc
	s_cbranch_execz .LBB132_67
.LBB132_75:
	ds_read_b32 v7, v6 offset:128
	s_waitcnt lgkmcnt(0)
	v_add_f32_e32 v3, v3, v7
	s_or_b64 exec, exec, s[2:3]
	s_and_saveexec_b64 s[2:3], vcc
	s_cbranch_execz .LBB132_68
.LBB132_76:
	ds_read_b32 v7, v6 offset:256
	s_waitcnt lgkmcnt(0)
	v_add_f32_e32 v4, v4, v7
	s_or_b64 exec, exec, s[2:3]
	s_and_saveexec_b64 s[2:3], vcc
	s_cbranch_execnz .LBB132_69
	s_branch .LBB132_70
	.section	.rodata,"a",@progbits
	.p2align	6, 0x0
	.amdhsa_kernel _ZN4vllm25paged_attention_v1_kernelI14__hip_bfloat16S1_Li128ELi16ELi128ELNS_18Fp8KVCacheDataTypeE0ELb1EEEvPT_PKS3_PKT0_S9_ifPKiSB_iPKfiiiSD_SD_iiiii
		.amdhsa_group_segment_fixed_size 272
		.amdhsa_private_segment_fixed_size 0
		.amdhsa_kernarg_size 384
		.amdhsa_user_sgpr_count 2
		.amdhsa_user_sgpr_dispatch_ptr 0
		.amdhsa_user_sgpr_queue_ptr 0
		.amdhsa_user_sgpr_kernarg_segment_ptr 1
		.amdhsa_user_sgpr_dispatch_id 0
		.amdhsa_user_sgpr_kernarg_preload_length 0
		.amdhsa_user_sgpr_kernarg_preload_offset 0
		.amdhsa_user_sgpr_private_segment_size 0
		.amdhsa_uses_dynamic_stack 0
		.amdhsa_enable_private_segment 0
		.amdhsa_system_sgpr_workgroup_id_x 1
		.amdhsa_system_sgpr_workgroup_id_y 1
		.amdhsa_system_sgpr_workgroup_id_z 1
		.amdhsa_system_sgpr_workgroup_info 0
		.amdhsa_system_vgpr_workitem_id 0
		.amdhsa_next_free_vgpr 87
		.amdhsa_next_free_sgpr 46
		.amdhsa_accum_offset 88
		.amdhsa_reserve_vcc 1
		.amdhsa_float_round_mode_32 0
		.amdhsa_float_round_mode_16_64 0
		.amdhsa_float_denorm_mode_32 3
		.amdhsa_float_denorm_mode_16_64 3
		.amdhsa_dx10_clamp 1
		.amdhsa_ieee_mode 1
		.amdhsa_fp16_overflow 0
		.amdhsa_tg_split 0
		.amdhsa_exception_fp_ieee_invalid_op 0
		.amdhsa_exception_fp_denorm_src 0
		.amdhsa_exception_fp_ieee_div_zero 0
		.amdhsa_exception_fp_ieee_overflow 0
		.amdhsa_exception_fp_ieee_underflow 0
		.amdhsa_exception_fp_ieee_inexact 0
		.amdhsa_exception_int_div_zero 0
	.end_amdhsa_kernel
	.section	.text._ZN4vllm25paged_attention_v1_kernelI14__hip_bfloat16S1_Li128ELi16ELi128ELNS_18Fp8KVCacheDataTypeE0ELb1EEEvPT_PKS3_PKT0_S9_ifPKiSB_iPKfiiiSD_SD_iiiii,"axG",@progbits,_ZN4vllm25paged_attention_v1_kernelI14__hip_bfloat16S1_Li128ELi16ELi128ELNS_18Fp8KVCacheDataTypeE0ELb1EEEvPT_PKS3_PKT0_S9_ifPKiSB_iPKfiiiSD_SD_iiiii,comdat
.Lfunc_end132:
	.size	_ZN4vllm25paged_attention_v1_kernelI14__hip_bfloat16S1_Li128ELi16ELi128ELNS_18Fp8KVCacheDataTypeE0ELb1EEEvPT_PKS3_PKT0_S9_ifPKiSB_iPKfiiiSD_SD_iiiii, .Lfunc_end132-_ZN4vllm25paged_attention_v1_kernelI14__hip_bfloat16S1_Li128ELi16ELi128ELNS_18Fp8KVCacheDataTypeE0ELb1EEEvPT_PKS3_PKT0_S9_ifPKiSB_iPKfiiiSD_SD_iiiii
                                        ; -- End function
	.set _ZN4vllm25paged_attention_v1_kernelI14__hip_bfloat16S1_Li128ELi16ELi128ELNS_18Fp8KVCacheDataTypeE0ELb1EEEvPT_PKS3_PKT0_S9_ifPKiSB_iPKfiiiSD_SD_iiiii.num_vgpr, 87
	.set _ZN4vllm25paged_attention_v1_kernelI14__hip_bfloat16S1_Li128ELi16ELi128ELNS_18Fp8KVCacheDataTypeE0ELb1EEEvPT_PKS3_PKT0_S9_ifPKiSB_iPKfiiiSD_SD_iiiii.num_agpr, 0
	.set _ZN4vllm25paged_attention_v1_kernelI14__hip_bfloat16S1_Li128ELi16ELi128ELNS_18Fp8KVCacheDataTypeE0ELb1EEEvPT_PKS3_PKT0_S9_ifPKiSB_iPKfiiiSD_SD_iiiii.numbered_sgpr, 46
	.set _ZN4vllm25paged_attention_v1_kernelI14__hip_bfloat16S1_Li128ELi16ELi128ELNS_18Fp8KVCacheDataTypeE0ELb1EEEvPT_PKS3_PKT0_S9_ifPKiSB_iPKfiiiSD_SD_iiiii.num_named_barrier, 0
	.set _ZN4vllm25paged_attention_v1_kernelI14__hip_bfloat16S1_Li128ELi16ELi128ELNS_18Fp8KVCacheDataTypeE0ELb1EEEvPT_PKS3_PKT0_S9_ifPKiSB_iPKfiiiSD_SD_iiiii.private_seg_size, 0
	.set _ZN4vllm25paged_attention_v1_kernelI14__hip_bfloat16S1_Li128ELi16ELi128ELNS_18Fp8KVCacheDataTypeE0ELb1EEEvPT_PKS3_PKT0_S9_ifPKiSB_iPKfiiiSD_SD_iiiii.uses_vcc, 1
	.set _ZN4vllm25paged_attention_v1_kernelI14__hip_bfloat16S1_Li128ELi16ELi128ELNS_18Fp8KVCacheDataTypeE0ELb1EEEvPT_PKS3_PKT0_S9_ifPKiSB_iPKfiiiSD_SD_iiiii.uses_flat_scratch, 0
	.set _ZN4vllm25paged_attention_v1_kernelI14__hip_bfloat16S1_Li128ELi16ELi128ELNS_18Fp8KVCacheDataTypeE0ELb1EEEvPT_PKS3_PKT0_S9_ifPKiSB_iPKfiiiSD_SD_iiiii.has_dyn_sized_stack, 0
	.set _ZN4vllm25paged_attention_v1_kernelI14__hip_bfloat16S1_Li128ELi16ELi128ELNS_18Fp8KVCacheDataTypeE0ELb1EEEvPT_PKS3_PKT0_S9_ifPKiSB_iPKfiiiSD_SD_iiiii.has_recursion, 0
	.set _ZN4vllm25paged_attention_v1_kernelI14__hip_bfloat16S1_Li128ELi16ELi128ELNS_18Fp8KVCacheDataTypeE0ELb1EEEvPT_PKS3_PKT0_S9_ifPKiSB_iPKfiiiSD_SD_iiiii.has_indirect_call, 0
	.section	.AMDGPU.csdata,"",@progbits
; Kernel info:
; codeLenInByte = 6292
; TotalNumSgprs: 52
; NumVgprs: 87
; NumAgprs: 0
; TotalNumVgprs: 87
; ScratchSize: 0
; MemoryBound: 0
; FloatMode: 240
; IeeeMode: 1
; LDSByteSize: 272 bytes/workgroup (compile time only)
; SGPRBlocks: 6
; VGPRBlocks: 10
; NumSGPRsForWavesPerEU: 52
; NumVGPRsForWavesPerEU: 87
; AccumOffset: 88
; Occupancy: 5
; WaveLimiterHint : 1
; COMPUTE_PGM_RSRC2:SCRATCH_EN: 0
; COMPUTE_PGM_RSRC2:USER_SGPR: 2
; COMPUTE_PGM_RSRC2:TRAP_HANDLER: 0
; COMPUTE_PGM_RSRC2:TGID_X_EN: 1
; COMPUTE_PGM_RSRC2:TGID_Y_EN: 1
; COMPUTE_PGM_RSRC2:TGID_Z_EN: 1
; COMPUTE_PGM_RSRC2:TIDIG_COMP_CNT: 0
; COMPUTE_PGM_RSRC3_GFX90A:ACCUM_OFFSET: 21
; COMPUTE_PGM_RSRC3_GFX90A:TG_SPLIT: 0
	.section	.text._ZN4vllm25paged_attention_v1_kernelI14__hip_bfloat16S1_Li192ELi16ELi128ELNS_18Fp8KVCacheDataTypeE0ELb1EEEvPT_PKS3_PKT0_S9_ifPKiSB_iPKfiiiSD_SD_iiiii,"axG",@progbits,_ZN4vllm25paged_attention_v1_kernelI14__hip_bfloat16S1_Li192ELi16ELi128ELNS_18Fp8KVCacheDataTypeE0ELb1EEEvPT_PKS3_PKT0_S9_ifPKiSB_iPKfiiiSD_SD_iiiii,comdat
	.protected	_ZN4vllm25paged_attention_v1_kernelI14__hip_bfloat16S1_Li192ELi16ELi128ELNS_18Fp8KVCacheDataTypeE0ELb1EEEvPT_PKS3_PKT0_S9_ifPKiSB_iPKfiiiSD_SD_iiiii ; -- Begin function _ZN4vllm25paged_attention_v1_kernelI14__hip_bfloat16S1_Li192ELi16ELi128ELNS_18Fp8KVCacheDataTypeE0ELb1EEEvPT_PKS3_PKT0_S9_ifPKiSB_iPKfiiiSD_SD_iiiii
	.globl	_ZN4vllm25paged_attention_v1_kernelI14__hip_bfloat16S1_Li192ELi16ELi128ELNS_18Fp8KVCacheDataTypeE0ELb1EEEvPT_PKS3_PKT0_S9_ifPKiSB_iPKfiiiSD_SD_iiiii
	.p2align	8
	.type	_ZN4vllm25paged_attention_v1_kernelI14__hip_bfloat16S1_Li192ELi16ELi128ELNS_18Fp8KVCacheDataTypeE0ELb1EEEvPT_PKS3_PKT0_S9_ifPKiSB_iPKfiiiSD_SD_iiiii,@function
_ZN4vllm25paged_attention_v1_kernelI14__hip_bfloat16S1_Li192ELi16ELi128ELNS_18Fp8KVCacheDataTypeE0ELb1EEEvPT_PKS3_PKT0_S9_ifPKiSB_iPKfiiiSD_SD_iiiii: ; @_ZN4vllm25paged_attention_v1_kernelI14__hip_bfloat16S1_Li192ELi16ELi128ELNS_18Fp8KVCacheDataTypeE0ELb1EEEvPT_PKS3_PKT0_S9_ifPKiSB_iPKfiiiSD_SD_iiiii
; %bb.0:
	s_load_dword s5, s[0:1], 0x80
	s_load_dwordx2 s[6:7], s[0:1], 0x30
	s_load_dwordx2 s[30:31], s[0:1], 0x20
	s_mov_b32 s10, s3
	s_ashr_i32 s11, s3, 31
	s_lshl_b64 s[8:9], s[10:11], 2
	s_waitcnt lgkmcnt(0)
	s_add_u32 s6, s6, s8
	s_addc_u32 s7, s7, s9
	s_abs_i32 s3, s30
	v_cvt_f32_u32_e32 v1, s3
	s_sub_i32 s11, 0, s3
	s_abs_i32 s9, s5
	s_xor_b32 s8, s5, s30
	v_rcp_iflag_f32_e32 v1, v1
	s_ashr_i32 s8, s8, 31
	s_mov_b32 s42, 0
	v_mul_f32_e32 v1, 0x4f7ffffe, v1
	v_cvt_u32_f32_e32 v1, v1
	s_nop 0
	v_readfirstlane_b32 s12, v1
	s_mul_i32 s11, s11, s12
	s_mul_hi_u32 s11, s12, s11
	s_add_i32 s12, s12, s11
	s_mul_hi_u32 s11, s9, s12
	s_mul_i32 s12, s11, s3
	s_sub_i32 s9, s9, s12
	s_add_i32 s12, s11, 1
	s_sub_i32 s13, s9, s3
	s_cmp_ge_u32 s9, s3
	s_cselect_b32 s11, s12, s11
	s_cselect_b32 s9, s13, s9
	s_add_i32 s12, s11, 1
	s_cmp_ge_u32 s9, s3
	s_cselect_b32 s3, s12, s11
	s_xor_b32 s3, s3, s8
	s_sub_i32 s12, s3, s8
	s_abs_i32 s11, s12
	v_cvt_f32_u32_e32 v1, s11
	s_load_dwordx2 s[8:9], s[0:1], 0x40
	s_sub_i32 s3, 0, s11
	s_abs_i32 s22, s2
	v_rcp_iflag_f32_e32 v1, v1
	s_nop 0
	v_mul_f32_e32 v1, 0x4f7ffffe, v1
	v_cvt_u32_f32_e32 v1, v1
	s_nop 0
	v_readfirstlane_b32 s13, v1
	s_mul_i32 s3, s3, s13
	s_mul_hi_u32 s3, s13, s3
	s_add_i32 s13, s13, s3
	s_waitcnt lgkmcnt(0)
	s_cmp_eq_u64 s[8:9], 0
	s_mul_hi_u32 s23, s22, s13
	s_cbranch_scc1 .LBB133_2
; %bb.1:
	s_ashr_i32 s3, s2, 31
	s_lshl_b64 s[14:15], s[2:3], 2
	s_add_u32 s8, s8, s14
	s_addc_u32 s9, s9, s15
	s_load_dword s42, s[8:9], 0x0
.LBB133_2:
	s_load_dword s33, s[6:7], 0x0
	s_ashr_i32 s9, s12, 31
	s_load_dwordx4 s[12:15], s[0:1], 0x48
	s_movk_i32 s8, 0x60
	s_ashr_i32 s3, s2, 31
	v_and_b32_e32 v2, 3, v0
	s_mul_i32 s20, s2, 0xc0
	v_cmp_gt_u32_e32 vcc, s8, v0
	s_and_saveexec_b64 s[6:7], vcc
	s_cbranch_execz .LBB133_4
; %bb.3:
	s_load_dwordx2 s[16:17], s[0:1], 0x8
	s_waitcnt lgkmcnt(0)
	s_mul_i32 s18, s12, s10
	s_ashr_i32 s19, s18, 31
	s_lshl_b64 s[18:19], s[18:19], 1
	v_lshlrev_b32_e32 v1, 2, v0
	s_add_u32 s12, s16, s18
	s_addc_u32 s15, s17, s19
	s_ashr_i32 s21, s20, 31
	s_lshl_b64 s[16:17], s[20:21], 1
	s_add_u32 s16, s12, s16
	s_addc_u32 s17, s15, s17
	global_load_dword v1, v1, s[16:17]
	v_and_b32_e32 v3, 0x3fc, v0
	v_mad_u32_u24 v3, v2, s8, v3
	s_waitcnt vmcnt(0)
	ds_write_b32 v3, v1
.LBB133_4:
	s_or_b64 exec, exec, s[6:7]
	s_mul_i32 s6, s23, s11
	s_sub_i32 s6, s22, s6
	s_xor_b32 s3, s3, s9
	s_add_i32 s7, s23, 1
	s_sub_i32 s9, s6, s11
	s_load_dwordx4 s[16:19], s[0:1], 0x68
	s_load_dword s8, s[0:1], 0x78
	s_cmp_ge_u32 s6, s11
	s_cselect_b32 s7, s7, s23
	s_cselect_b32 s6, s9, s6
	s_add_i32 s9, s7, 1
	s_cmp_ge_u32 s6, s11
	s_cselect_b32 s6, s9, s7
	s_waitcnt lgkmcnt(0)
	s_abs_i32 s21, s19
	v_cvt_f32_u32_e32 v1, s21
	s_xor_b32 s6, s6, s3
	s_sub_i32 s3, s6, s3
	s_sub_i32 s6, 0, s21
	v_rcp_iflag_f32_e32 v1, v1
	s_add_i32 s11, s33, -1
	s_abs_i32 s9, s11
	v_mul_f32_e32 v1, 0x4f7ffffe, v1
	v_cvt_u32_f32_e32 v1, v1
	s_barrier
	v_readfirstlane_b32 s40, v1
	s_mul_i32 s6, s6, s40
	s_mul_hi_u32 s6, s40, s6
	s_add_i32 s40, s40, s6
	s_cmp_lt_i32 s8, 0
	s_mul_hi_u32 s12, s9, s40
	s_cbranch_scc0 .LBB133_6
; %bb.5:
	s_mul_i32 s6, s16, s30
	s_add_i32 s6, s3, s6
	s_mul_i32 s6, s6, s8
	s_sub_i32 s41, 1, s6
	s_mov_b64 s[6:7], 0
	s_branch .LBB133_7
.LBB133_6:
	s_mov_b64 s[6:7], -1
                                        ; implicit-def: $sgpr41
.LBB133_7:
	s_load_dwordx2 s[24:25], s[0:1], 0x28
	s_ashr_i32 s15, s11, 31
	s_andn2_b64 vcc, exec, s[6:7]
	s_ashr_i32 s19, s19, 31
	s_cbranch_vccnz .LBB133_9
; %bb.8:
	s_mul_i32 s6, s5, s16
	s_add_i32 s2, s6, s2
	s_mul_i32 s2, s2, s8
	s_add_i32 s41, s2, 1
.LBB133_9:
	s_load_dword s2, s[0:1], 0x38
	s_load_dwordx2 s[22:23], s[0:1], 0x0
	s_load_dwordx2 s[28:29], s[0:1], 0x18
	s_load_dword s11, s[0:1], 0x88
	s_xor_b32 s6, s15, s19
	s_waitcnt lgkmcnt(0)
	s_mul_i32 s26, s2, s10
	s_mul_i32 s2, s12, s21
	s_sub_i32 s2, s9, s2
	s_ashr_i32 s27, s26, 31
	s_add_i32 s7, s12, 1
	s_sub_i32 s8, s2, s21
	s_cmp_ge_u32 s2, s21
	s_cselect_b32 s7, s7, s12
	s_cselect_b32 s2, s8, s2
	s_add_i32 s8, s7, 1
	s_cmp_ge_u32 s2, s21
	s_cselect_b32 s2, s8, s7
	s_xor_b32 s2, s2, s6
	s_sub_i32 s12, s2, s6
	s_add_i32 s2, s33, 15
	s_ashr_i32 s6, s2, 31
	s_lshr_b32 s6, s6, 28
	s_add_i32 s2, s2, s6
	s_ashr_i32 s16, s2, 4
	v_lshrrev_b32_e32 v1, 6, v0
	v_cmp_gt_i32_e64 s[6:7], s16, v1
	v_mov_b32_e32 v36, 0xff7fffff
	s_mul_i32 s14, s3, s14
	v_lshrrev_b32_e32 v32, 4, v0
	v_lshlrev_b32_e32 v46, 4, v1
	v_mbcnt_lo_u32_b32 v33, -1, 0
	s_and_saveexec_b64 s[34:35], s[6:7]
	s_cbranch_execz .LBB133_21
; %bb.10:
	s_load_dwordx2 s[0:1], s[0:1], 0x10
	s_ashr_i32 s15, s14, 31
	s_sub_i32 s30, s12, s17
	s_lshl_b64 s[2:3], s[14:15], 1
	v_bfe_u32 v34, v0, 2, 4
	s_waitcnt lgkmcnt(0)
	s_add_u32 s0, s0, s2
	s_addc_u32 s1, s1, s3
	s_abs_i32 s15, s18
	v_cvt_f32_u32_e32 v3, s15
	v_lshlrev_b32_e32 v4, 4, v34
	v_mov_b32_e32 v5, 0
	v_lshl_add_u64 v[6:7], s[0:1], 0, v[4:5]
	v_rcp_iflag_f32_e32 v3, v3
	s_sub_i32 s0, 0, s15
	v_cmp_eq_u32_e32 vcc, 0, v2
	v_mul_u32_u24_e32 v35, 0x60, v2
	v_mul_f32_e32 v3, 0x4f7ffffe, v3
	v_cvt_u32_f32_e32 v3, v3
	v_lshlrev_b32_e32 v4, 2, v0
	v_and_b32_e32 v4, 12, v4
	v_mbcnt_hi_u32_b32 v42, -1, v33
	v_mul_lo_u32 v2, s0, v3
	v_mul_hi_u32 v2, v3, v2
	v_add_u32_e32 v37, v3, v2
	v_subrev_u32_e32 v2, s33, v34
	s_lshl_b64 s[0:1], s[26:27], 2
	v_add_u32_e32 v39, 1, v2
	v_lshlrev_b32_e32 v2, 2, v34
	s_add_u32 s0, s24, s0
	v_lshl_or_b32 v2, v1, 6, v2
	v_lshl_add_u64 v[26:27], v[6:7], 0, v[4:5]
	v_and_b32_e32 v4, 60, v32
	s_addc_u32 s1, s25, s1
	v_add_u32_e32 v40, 0x190, v2
	v_and_b32_e32 v2, 64, v42
	s_mov_b32 s43, s13
	v_cmp_neq_f32_e64 s[2:3], s42, 0
	v_lshl_add_u64 v[28:29], s[0:1], 0, v[4:5]
	v_lshlrev_b32_e32 v38, 4, v1
	v_mov_b32_e32 v41, 0xff7fffff
	s_mov_b64 s[36:37], 0
	s_movk_i32 s44, 0x1000
	v_add_u32_e32 v43, 64, v2
	v_xor_b32_e32 v44, 2, v42
	v_xor_b32_e32 v45, 1, v42
	v_mov_b32_e32 v36, 0xff7fffff
	v_mov_b32_e32 v47, v1
	s_branch .LBB133_13
.LBB133_11:                             ;   in Loop: Header=BB133_13 Depth=1
	s_or_b64 exec, exec, s[38:39]
.LBB133_12:                             ;   in Loop: Header=BB133_13 Depth=1
	s_or_b64 exec, exec, s[8:9]
	v_add_u32_e32 v47, 2, v47
	v_cmp_le_i32_e64 s[0:1], s16, v47
	v_lshl_add_u64 v[28:29], v[28:29], 0, 8
	v_add_u32_e32 v38, 32, v38
	s_or_b64 s[36:37], s[0:1], s[36:37]
	v_add_u32_e32 v40, 0x80, v40
	s_andn2_b64 exec, exec, s[36:37]
	s_cbranch_execz .LBB133_20
.LBB133_13:                             ; =>This Inner Loop Header: Depth=1
	v_mul_hi_u32 v2, v38, s40
	s_waitcnt lgkmcnt(0)
	v_mul_lo_u32 v3, v2, s21
	v_sub_u32_e32 v3, v38, v3
	v_add_u32_e32 v4, 1, v2
	v_cmp_le_u32_e64 s[0:1], s21, v3
	s_nop 1
	v_cndmask_b32_e64 v2, v2, v4, s[0:1]
	v_subrev_u32_e32 v4, s21, v3
	v_cndmask_b32_e64 v3, v3, v4, s[0:1]
	v_add_u32_e32 v4, 1, v2
	v_cmp_le_u32_e64 s[0:1], s21, v3
	s_nop 1
	v_cndmask_b32_e64 v2, v2, v4, s[0:1]
	v_xor_b32_e32 v2, s19, v2
	v_subrev_u32_e32 v2, s19, v2
	v_add_u32_e32 v3, s41, v2
	v_sub_u32_e32 v5, 0, v3
	v_ashrrev_i32_e32 v4, 31, v3
	v_max_i32_e32 v3, v3, v5
	v_mul_hi_u32 v5, v3, v37
	v_mul_lo_u32 v5, v5, s15
	v_sub_u32_e32 v3, v3, v5
	v_subrev_u32_e32 v5, s15, v3
	v_cmp_le_u32_e64 s[0:1], s15, v3
	v_cmp_ge_i32_e64 s[8:9], s30, v2
	s_nop 0
	v_cndmask_b32_e64 v3, v3, v5, s[0:1]
	v_subrev_u32_e32 v5, s15, v3
	v_cmp_le_u32_e64 s[0:1], s15, v3
	s_nop 1
	v_cndmask_b32_e64 v3, v3, v5, s[0:1]
	v_xor_b32_e32 v3, v3, v4
	v_sub_u32_e32 v3, v3, v4
	v_cmp_ne_u32_e64 s[0:1], 0, v3
	s_and_b64 s[0:1], s[0:1], s[8:9]
	s_and_saveexec_b64 s[8:9], s[0:1]
	s_xor_b64 s[0:1], exec, s[8:9]
	s_cbranch_execz .LBB133_17
; %bb.14:                               ;   in Loop: Header=BB133_13 Depth=1
	s_and_saveexec_b64 s[8:9], vcc
; %bb.15:                               ;   in Loop: Header=BB133_13 Depth=1
	ds_write_b32 v40, v41
; %bb.16:                               ;   in Loop: Header=BB133_13 Depth=1
	s_or_b64 exec, exec, s[8:9]
.LBB133_17:                             ;   in Loop: Header=BB133_13 Depth=1
	s_andn2_saveexec_b64 s[8:9], s[0:1]
	s_cbranch_execz .LBB133_12
; %bb.18:                               ;   in Loop: Header=BB133_13 Depth=1
	global_load_dword v2, v[28:29], off
	s_waitcnt vmcnt(0)
	v_mad_i64_i32 v[2:3], s[0:1], v2, s43, 0
	v_lshl_add_u64 v[30:31], v[2:3], 1, v[26:27]
	global_load_dword v48, v[30:31], off offset:256
	global_load_dword v49, v[30:31], off offset:512
	;; [unrolled: 1-line block ×7, first 2 shown]
	global_load_dword v55, v[30:31], off
	ds_read_b128 v[22:25], v35
	ds_read_b128 v[18:21], v35 offset:16
	ds_read_b128 v[14:17], v35 offset:32
	;; [unrolled: 1-line block ×5, first 2 shown]
	global_load_dword v61, v[30:31], off offset:2048
	global_load_dword v63, v[30:31], off offset:2304
	;; [unrolled: 1-line block ×6, first 2 shown]
	v_cmp_lt_i32_e64 s[0:1], v44, v43
	global_load_dword v76, v[30:31], off offset:3584
	global_load_dword v77, v[30:31], off offset:3840
	v_cndmask_b32_e64 v56, v42, v44, s[0:1]
	v_add_co_u32_e64 v30, s[0:1], s44, v30
	s_waitcnt lgkmcnt(5)
	v_lshlrev_b32_e32 v58, 16, v23
	v_addc_co_u32_e64 v31, s[0:1], 0, v31, s[0:1]
	global_load_dword v78, v[30:31], off
	global_load_dword v80, v[30:31], off offset:256
	global_load_dword v83, v[30:31], off offset:512
	;; [unrolled: 1-line block ×6, first 2 shown]
	v_and_b32_e32 v23, 0xffff0000, v23
	global_load_dword v30, v[30:31], off offset:1792
	v_lshlrev_b32_e32 v57, 16, v22
	v_and_b32_e32 v22, 0xffff0000, v22
	v_lshlrev_b32_e32 v59, 16, v24
	v_and_b32_e32 v24, 0xffff0000, v24
	v_lshlrev_b32_e32 v60, 16, v25
	v_and_b32_e32 v25, 0xffff0000, v25
	s_waitcnt lgkmcnt(4)
	v_lshlrev_b32_e32 v62, 16, v18
	v_and_b32_e32 v18, 0xffff0000, v18
	v_lshlrev_b32_e32 v64, 16, v19
	v_and_b32_e32 v19, 0xffff0000, v19
	v_lshlrev_b32_e32 v65, 16, v20
	v_and_b32_e32 v20, 0xffff0000, v20
	v_lshlrev_b32_e32 v67, 16, v21
	v_and_b32_e32 v21, 0xffff0000, v21
	s_waitcnt lgkmcnt(3)
	v_lshlrev_b32_e32 v68, 16, v14
	v_and_b32_e32 v14, 0xffff0000, v14
	;; [unrolled: 9-line block ×5, first 2 shown]
	v_lshlrev_b32_e32 v92, 16, v3
	v_and_b32_e32 v3, 0xffff0000, v3
	v_lshlrev_b32_e32 v94, 16, v4
	v_and_b32_e32 v4, 0xffff0000, v4
	;; [unrolled: 2-line block ×3, first 2 shown]
	v_lshlrev_b32_e32 v56, 2, v56
	v_cmp_lt_i32_e64 s[0:1], v45, v43
	s_waitcnt vmcnt(23)
	v_lshlrev_b32_e32 v95, 16, v48
	v_and_b32_e32 v48, 0xffff0000, v48
	v_mul_f32_e32 v58, v58, v95
	v_mul_f32_e32 v23, v23, v48
	s_waitcnt vmcnt(22)
	v_lshlrev_b32_e32 v97, 16, v49
	v_and_b32_e32 v49, 0xffff0000, v49
	s_waitcnt vmcnt(21)
	v_lshlrev_b32_e32 v98, 16, v50
	s_waitcnt vmcnt(16)
	v_lshlrev_b32_e32 v96, 16, v55
	v_and_b32_e32 v55, 0xffff0000, v55
	v_fmac_f32_e32 v58, v57, v96
	v_fmac_f32_e32 v23, v22, v55
	v_and_b32_e32 v50, 0xffff0000, v50
	v_fmac_f32_e32 v58, v59, v97
	v_fmac_f32_e32 v23, v24, v49
	v_lshlrev_b32_e32 v99, 16, v51
	v_and_b32_e32 v51, 0xffff0000, v51
	v_fmac_f32_e32 v58, v60, v98
	v_fmac_f32_e32 v23, v25, v50
	v_lshlrev_b32_e32 v100, 16, v52
	;; [unrolled: 4-line block ×4, first 2 shown]
	v_and_b32_e32 v54, 0xffff0000, v54
	v_fmac_f32_e32 v58, v65, v101
	v_fmac_f32_e32 v23, v20, v53
	s_waitcnt vmcnt(15)
	v_lshlrev_b32_e32 v103, 16, v61
	v_and_b32_e32 v61, 0xffff0000, v61
	v_fmac_f32_e32 v58, v67, v102
	v_fmac_f32_e32 v23, v21, v54
	s_waitcnt vmcnt(14)
	v_lshlrev_b32_e32 v104, 16, v63
	;; [unrolled: 5-line block ×16, first 2 shown]
	v_and_b32_e32 v30, 0xffff0000, v30
	v_fmac_f32_e32 v58, v94, v25
	v_fmac_f32_e32 v23, v4, v50
	;; [unrolled: 1-line block ×4, first 2 shown]
	v_add_f32_e32 v2, v58, v23
	ds_bpermute_b32 v3, v56, v2
	v_cndmask_b32_e64 v4, v42, v45, s[0:1]
	v_lshlrev_b32_e32 v4, 2, v4
	s_waitcnt lgkmcnt(0)
	v_add_f32_e32 v2, v2, v3
	ds_bpermute_b32 v3, v4, v2
	s_and_saveexec_b64 s[38:39], vcc
	s_cbranch_execz .LBB133_11
; %bb.19:                               ;   in Loop: Header=BB133_13 Depth=1
	v_add_u32_e32 v4, v39, v38
	v_cvt_f32_i32_e32 v4, v4
	s_waitcnt lgkmcnt(0)
	v_add_f32_e32 v2, v2, v3
	v_add_u32_e32 v5, v34, v38
	v_cmp_gt_i32_e64 s[0:1], s33, v5
	v_mul_f32_e32 v3, s42, v4
	v_cndmask_b32_e64 v3, 0, v3, s[2:3]
	v_fmac_f32_e32 v3, s31, v2
	v_cndmask_b32_e64 v2, 0, v3, s[0:1]
	ds_write_b32 v40, v2
	v_max_f32_e32 v2, v36, v36
	v_max_f32_e32 v2, v2, v3
	v_cndmask_b32_e64 v36, v36, v2, s[0:1]
	s_branch .LBB133_11
.LBB133_20:
	s_or_b64 exec, exec, s[36:37]
.LBB133_21:
	s_or_b64 exec, exec, s[34:35]
	v_mbcnt_hi_u32_b32 v2, -1, v33
	v_and_b32_e32 v10, 64, v2
	s_waitcnt lgkmcnt(0)
	v_add_u32_e32 v3, 64, v10
	v_xor_b32_e32 v4, 32, v2
	v_cmp_lt_i32_e32 vcc, v4, v3
	v_xor_b32_e32 v7, 16, v2
	v_max_f32_e32 v6, v36, v36
	v_cndmask_b32_e32 v4, v2, v4, vcc
	v_lshlrev_b32_e32 v4, 2, v4
	ds_bpermute_b32 v5, v4, v36
	v_cmp_lt_i32_e32 vcc, v7, v3
	v_xor_b32_e32 v8, 8, v2
	v_xor_b32_e32 v9, 4, v2
	v_and_b32_e32 v47, 63, v0
	s_waitcnt lgkmcnt(0)
	v_max_f32_e32 v5, v5, v5
	v_max_f32_e32 v6, v6, v5
	v_cndmask_b32_e32 v5, v2, v7, vcc
	v_lshlrev_b32_e32 v5, 2, v5
	ds_bpermute_b32 v7, v5, v6
	v_cmp_lt_i32_e32 vcc, v8, v3
	s_waitcnt lgkmcnt(0)
	v_max_f32_e32 v7, v7, v7
	v_max_f32_e32 v6, v6, v7
	v_cndmask_b32_e32 v7, v2, v8, vcc
	v_lshlrev_b32_e32 v8, 2, v7
	ds_bpermute_b32 v7, v8, v6
	v_cmp_lt_i32_e32 vcc, v9, v3
	s_waitcnt lgkmcnt(0)
	v_max_f32_e32 v7, v7, v7
	v_max_f32_e32 v7, v6, v7
	v_cndmask_b32_e32 v6, v2, v9, vcc
	v_lshlrev_b32_e32 v9, 2, v6
	ds_bpermute_b32 v11, v9, v7
	v_cmp_eq_u32_e32 vcc, 0, v47
	v_lshlrev_b32_e32 v6, 2, v1
	s_and_saveexec_b64 s[0:1], vcc
	s_cbranch_execz .LBB133_23
; %bb.22:
	s_waitcnt lgkmcnt(0)
	v_max_f32_e32 v11, v11, v11
	v_max_f32_e32 v7, v7, v7
	v_max_f32_e32 v7, v7, v11
	ds_write_b32 v6, v7 offset:384
.LBB133_23:
	s_or_b64 exec, exec, s[0:1]
	v_cmp_gt_u32_e64 s[0:1], 2, v47
	s_waitcnt lgkmcnt(0)
	v_mov_b32_e32 v11, 0xff7fffff
	v_lshlrev_b32_e32 v7, 2, v47
	s_barrier
	s_and_saveexec_b64 s[2:3], s[0:1]
; %bb.24:
	ds_read_b32 v11, v7 offset:384
; %bb.25:
	s_or_b64 exec, exec, s[2:3]
	v_xor_b32_e32 v12, 1, v2
	v_cmp_lt_i32_e64 s[2:3], v12, v3
	v_lshlrev_b32_e32 v10, 2, v10
	s_nop 0
	v_cndmask_b32_e64 v12, v2, v12, s[2:3]
	v_lshlrev_b32_e32 v48, 2, v12
	s_waitcnt lgkmcnt(0)
	ds_bpermute_b32 v12, v48, v11
	v_max_f32_e32 v11, v11, v11
	s_lshl_b32 s2, s16, 4
	s_min_i32 s15, s2, s33
	v_cmp_gt_i32_e64 s[2:3], s15, v0
	s_waitcnt lgkmcnt(0)
	v_max_f32_e32 v12, v12, v12
	v_max_f32_e32 v11, v11, v12
	ds_bpermute_b32 v11, v10, v11
	v_mov_b32_e32 v10, 0
	s_and_saveexec_b64 s[30:31], s[2:3]
	s_cbranch_execz .LBB133_29
; %bb.26:
	v_mov_b32_e32 v10, 0x190
	v_lshl_add_u32 v12, v0, 2, v10
	v_mov_b32_e32 v10, 0
	s_mov_b64 s[34:35], 0
	v_mov_b32_e32 v13, v0
.LBB133_27:                             ; =>This Inner Loop Header: Depth=1
	ds_read_b32 v14, v12
	v_add_u32_e32 v13, 0x80, v13
	v_cmp_le_i32_e64 s[8:9], s15, v13
	s_or_b64 s[34:35], s[8:9], s[34:35]
	s_waitcnt lgkmcnt(0)
	v_sub_f32_e32 v14, v14, v11
	v_mul_f32_e32 v14, 0x3fb8aa3b, v14
	v_exp_f32_e32 v14, v14
	ds_write_b32 v12, v14
	v_add_f32_e32 v10, v10, v14
	v_add_u32_e32 v12, 0x200, v12
	s_andn2_b64 exec, exec, s[34:35]
	s_cbranch_execnz .LBB133_27
; %bb.28:
	s_or_b64 exec, exec, s[34:35]
.LBB133_29:
	s_or_b64 exec, exec, s[30:31]
	ds_bpermute_b32 v4, v4, v10
	s_waitcnt lgkmcnt(0)
	v_add_f32_e32 v4, v10, v4
	ds_bpermute_b32 v5, v5, v4
	s_waitcnt lgkmcnt(0)
	v_add_f32_e32 v4, v4, v5
	ds_bpermute_b32 v5, v8, v4
	v_xor_b32_e32 v8, 2, v2
	v_cmp_lt_i32_e64 s[8:9], v8, v3
	s_waitcnt lgkmcnt(0)
	v_add_f32_e32 v4, v4, v5
	ds_bpermute_b32 v5, v9, v4
	v_cndmask_b32_e64 v3, v2, v8, s[8:9]
	v_lshlrev_b32_e32 v3, 2, v3
	s_waitcnt lgkmcnt(0)
	v_add_f32_e32 v4, v4, v5
	ds_bpermute_b32 v3, v3, v4
	s_waitcnt lgkmcnt(0)
	v_add_f32_e32 v3, v4, v3
	ds_bpermute_b32 v4, v48, v3
	s_waitcnt lgkmcnt(0)
	v_add_f32_e32 v3, v3, v4
	s_and_saveexec_b64 s[8:9], vcc
; %bb.30:
	ds_write_b32 v6, v3 offset:392
; %bb.31:
	s_or_b64 exec, exec, s[8:9]
	s_waitcnt lgkmcnt(0)
	s_barrier
	s_and_saveexec_b64 s[8:9], s[0:1]
; %bb.32:
	ds_read_b32 v3, v7 offset:392
; %bb.33:
	s_or_b64 exec, exec, s[8:9]
	s_waitcnt lgkmcnt(0)
	ds_bpermute_b32 v4, v48, v3
	v_lshlrev_b32_e32 v2, 2, v2
	v_and_b32_e32 v2, 0x100, v2
	s_waitcnt lgkmcnt(0)
	v_add_f32_e32 v3, v3, v4
	ds_bpermute_b32 v2, v2, v3
	s_and_saveexec_b64 s[0:1], s[2:3]
	s_cbranch_execz .LBB133_46
; %bb.34:
	s_waitcnt lgkmcnt(0)
	v_add_f32_e32 v2, 0x358637bd, v2
	v_div_scale_f32 v3, s[2:3], v2, v2, 1.0
	v_rcp_f32_e32 v4, v3
	v_div_scale_f32 v5, vcc, 1.0, v2, 1.0
	s_movk_i32 s2, 0x7f
	v_fma_f32 v6, -v3, v4, 1.0
	v_fmac_f32_e32 v4, v6, v4
	v_mul_f32_e32 v6, v5, v4
	v_fma_f32 v7, -v3, v6, v5
	v_fmac_f32_e32 v6, v7, v4
	v_fma_f32 v3, -v3, v6, v5
	v_div_fmas_f32 v3, v3, v4, v6
	v_xad_u32 v4, v0, -1, s15
	v_div_fixup_f32 v2, v3, v2, 1.0
	v_cmp_lt_u32_e32 vcc, s2, v4
	s_mov_b64 s[8:9], -1
	v_mov_b32_e32 v3, v0
	s_and_saveexec_b64 s[2:3], vcc
	s_cbranch_execz .LBB133_43
; %bb.35:
	v_lshrrev_b32_e32 v4, 7, v4
	v_add_u32_e32 v6, -1, v4
	v_lshrrev_b32_e32 v5, 1, v6
	v_mov_b32_e32 v3, v2
	v_add_u32_e32 v5, 1, v5
	v_cmp_lt_u32_e32 vcc, 13, v6
	v_mov_b32_e32 v8, 0
	s_and_saveexec_b64 s[8:9], vcc
	s_cbranch_execz .LBB133_39
; %bb.36:
	v_mov_b32_e32 v7, 0x190
	v_and_b32_e32 v6, -8, v5
	v_lshl_add_u32 v7, v0, 2, v7
	s_mov_b32 s34, 0
	s_mov_b64 s[30:31], 0
.LBB133_37:                             ; =>This Inner Loop Header: Depth=1
	ds_read2st64_b32 v[8:9], v7 offset1:2
	ds_read2st64_b32 v[10:11], v7 offset0:4 offset1:6
	ds_read2st64_b32 v[12:13], v7 offset0:8 offset1:10
	ds_read2st64_b32 v[14:15], v7 offset0:12 offset1:14
	v_add_u32_e32 v6, -8, v6
	s_waitcnt lgkmcnt(3)
	v_pk_mul_f32 v[8:9], v[2:3], v[8:9]
	s_waitcnt lgkmcnt(2)
	v_pk_mul_f32 v[10:11], v[2:3], v[10:11]
	ds_write2st64_b32 v7, v8, v9 offset1:2
	ds_write2st64_b32 v7, v10, v11 offset0:4 offset1:6
	ds_read2st64_b32 v[10:11], v7 offset0:16 offset1:18
	s_waitcnt lgkmcnt(4)
	v_pk_mul_f32 v[8:9], v[2:3], v[12:13]
	ds_write2st64_b32 v7, v8, v9 offset0:8 offset1:10
	s_waitcnt lgkmcnt(4)
	v_pk_mul_f32 v[8:9], v[2:3], v[14:15]
	ds_write2st64_b32 v7, v8, v9 offset0:12 offset1:14
	ds_read2st64_b32 v[8:9], v7 offset0:20 offset1:22
	s_waitcnt lgkmcnt(3)
	v_pk_mul_f32 v[10:11], v[2:3], v[10:11]
	ds_read2st64_b32 v[12:13], v7 offset0:24 offset1:26
	ds_write2st64_b32 v7, v10, v11 offset0:16 offset1:18
	ds_read2st64_b32 v[10:11], v7 offset0:28 offset1:30
	s_waitcnt lgkmcnt(3)
	v_pk_mul_f32 v[8:9], v[2:3], v[8:9]
	ds_write2st64_b32 v7, v8, v9 offset0:20 offset1:22
	s_waitcnt lgkmcnt(3)
	v_pk_mul_f32 v[8:9], v[2:3], v[12:13]
	ds_write2st64_b32 v7, v8, v9 offset0:24 offset1:26
	s_waitcnt lgkmcnt(2)
	v_pk_mul_f32 v[8:9], v[2:3], v[10:11]
	s_add_i32 s34, s34, 16
	v_cmp_eq_u32_e32 vcc, 0, v6
	ds_write2st64_b32 v7, v8, v9 offset0:28 offset1:30
	v_add_u32_e32 v7, 0x2000, v7
	s_or_b64 s[30:31], vcc, s[30:31]
	v_mov_b32_e32 v8, s34
	s_andn2_b64 exec, exec, s[30:31]
	s_cbranch_execnz .LBB133_37
; %bb.38:
	s_or_b64 exec, exec, s[30:31]
.LBB133_39:
	s_or_b64 exec, exec, s[8:9]
	v_and_b32_e32 v5, 7, v5
	v_cmp_ne_u32_e32 vcc, 0, v5
	s_and_saveexec_b64 s[8:9], vcc
	s_cbranch_execz .LBB133_42
; %bb.40:
	v_lshlrev_b32_e32 v6, 9, v8
	v_lshlrev_b32_e32 v7, 2, v0
	s_movk_i32 s30, 0x190
	v_add3_u32 v6, v6, v7, s30
	s_mov_b64 s[30:31], 0
.LBB133_41:                             ; =>This Inner Loop Header: Depth=1
	ds_read2st64_b32 v[8:9], v6 offset1:2
	v_add_u32_e32 v5, -1, v5
	v_cmp_eq_u32_e32 vcc, 0, v5
	s_or_b64 s[30:31], vcc, s[30:31]
	s_waitcnt lgkmcnt(0)
	v_pk_mul_f32 v[8:9], v[2:3], v[8:9]
	ds_write2st64_b32 v6, v8, v9 offset1:2
	v_add_u32_e32 v6, 0x400, v6
	s_andn2_b64 exec, exec, s[30:31]
	s_cbranch_execnz .LBB133_41
.LBB133_42:
	s_or_b64 exec, exec, s[8:9]
	v_add_u32_e32 v4, 1, v4
	v_and_b32_e32 v5, 0x3fffffe, v4
	v_cmp_ne_u32_e32 vcc, v4, v5
	v_lshl_add_u32 v3, v5, 7, v0
	s_orn2_b64 s[8:9], vcc, exec
.LBB133_43:
	s_or_b64 exec, exec, s[2:3]
	s_and_b64 exec, exec, s[8:9]
	s_cbranch_execz .LBB133_46
; %bb.44:
	v_mov_b32_e32 v4, 0x190
	v_lshl_add_u32 v4, v3, 2, v4
	s_mov_b64 s[2:3], 0
.LBB133_45:                             ; =>This Inner Loop Header: Depth=1
	ds_read_b32 v5, v4
	v_add_u32_e32 v3, 0x80, v3
	v_cmp_le_i32_e32 vcc, s15, v3
	s_or_b64 s[2:3], vcc, s[2:3]
	s_waitcnt lgkmcnt(0)
	v_mul_f32_e32 v5, v2, v5
	ds_write_b32 v4, v5
	v_add_u32_e32 v4, 0x200, v4
	s_andn2_b64 exec, exec, s[2:3]
	s_cbranch_execnz .LBB133_45
.LBB133_46:
	s_or_b64 exec, exec, s[0:1]
	v_mov_b32_e32 v35, 0
	v_and_b32_e32 v49, 1, v0
	v_mov_b32_e32 v34, v35
	v_mov_b32_e32 v37, v35
	;; [unrolled: 1-line block ×5, first 2 shown]
	s_waitcnt lgkmcnt(0)
	s_barrier
	s_and_saveexec_b64 s[8:9], s[6:7]
	s_cbranch_execz .LBB133_64
; %bb.47:
	s_ashr_i32 s15, s14, 31
	s_sub_i32 s17, s12, s17
	s_lshl_b64 s[0:1], s[14:15], 1
	s_add_u32 s0, s28, s0
	s_addc_u32 s1, s29, s1
	s_abs_i32 s18, s18
	v_cvt_f32_u32_e32 v3, s18
	v_lshlrev_b32_e32 v2, 3, v0
	v_and_b32_e32 v50, 8, v2
	v_mov_b32_e32 v41, 0
	v_rcp_iflag_f32_e32 v2, v3
	v_lshlrev_b32_e32 v3, 4, v0
	v_and_b32_e32 v40, 0x3f0, v3
	v_lshl_add_u64 v[42:43], s[0:1], 0, v[40:41]
	v_mul_f32_e32 v2, 0x4f7ffffe, v2
	v_cvt_u32_f32_e32 v2, v2
	s_sub_i32 s0, 0, s18
	s_add_i32 s29, s16, -1
	v_and_b32_e32 v40, 60, v32
	v_mul_lo_u32 v3, s0, v2
	v_mul_hi_u32 v3, v2, v3
	s_lshl_b64 s[0:1], s[26:27], 2
	v_add_u32_e32 v51, v2, v3
	s_add_u32 s0, s24, s0
	v_lshlrev_b32_e32 v2, 5, v49
	s_addc_u32 s1, s25, s1
	v_lshl_or_b32 v2, v1, 6, v2
	s_mov_b32 s28, s13
	s_mov_b32 s30, s33
	v_lshl_add_u64 v[44:45], s[0:1], 0, v[40:41]
	v_add_u32_e32 v40, 0x190, v2
	s_mov_b64 s[6:7], 0
	s_mov_b32 s24, 0x5040100
	v_mov_b32_e32 v38, 0
	v_mov_b32_e32 v39, 0
	;; [unrolled: 1-line block ×6, first 2 shown]
	s_branch .LBB133_50
.LBB133_48:                             ;   in Loop: Header=BB133_50 Depth=1
	s_or_b64 exec, exec, s[2:3]
	s_waitcnt lgkmcnt(1)
	v_cvt_pk_bf16_f32 v18, v18, s0
	v_cvt_pk_bf16_f32 v19, v19, s0
	;; [unrolled: 1-line block ×4, first 2 shown]
	s_waitcnt vmcnt(1)
	v_and_b32_e32 v52, 0xffff0000, v30
	v_lshlrev_b32_e32 v19, 16, v19
	v_lshlrev_b32_e32 v30, 16, v30
	;; [unrolled: 1-line block ×3, first 2 shown]
	v_mul_f32_e32 v52, v19, v52
	v_mul_f32_e32 v30, v18, v30
	v_and_b32_e32 v53, 0xffff0000, v31
	v_lshlrev_b32_e32 v21, 16, v21
	v_lshlrev_b32_e32 v31, 16, v31
	;; [unrolled: 1-line block ×3, first 2 shown]
	s_waitcnt lgkmcnt(0)
	v_cvt_pk_bf16_f32 v14, v14, s0
	v_cvt_pk_bf16_f32 v15, v15, s0
	;; [unrolled: 1-line block ×4, first 2 shown]
	v_mul_f32_e32 v53, v21, v53
	v_mul_f32_e32 v31, v20, v31
	v_cvt_pk_bf16_f32 v53, v53, s0
	v_cvt_pk_bf16_f32 v31, v31, s0
	v_and_b32_e32 v54, 0xffff0000, v32
	v_lshlrev_b32_e32 v15, 16, v15
	v_lshlrev_b32_e32 v32, 16, v32
	;; [unrolled: 1-line block ×5, first 2 shown]
	v_cvt_pk_bf16_f32 v16, v16, s0
	v_cvt_pk_bf16_f32 v17, v17, s0
	v_mul_f32_e32 v54, v15, v54
	v_mul_f32_e32 v32, v14, v32
	v_add_f32_e32 v30, v30, v52
	v_lshlrev_b32_e32 v31, 16, v31
	v_lshlrev_b32_e32 v52, 16, v53
	v_cvt_pk_bf16_f32 v54, v54, s0
	v_cvt_pk_bf16_f32 v32, v32, s0
	v_and_b32_e32 v55, 0xffff0000, v33
	v_lshlrev_b32_e32 v17, 16, v17
	v_lshlrev_b32_e32 v33, 16, v33
	;; [unrolled: 1-line block ×3, first 2 shown]
	v_add_f32_e32 v31, v31, v52
	v_mul_f32_e32 v55, v17, v55
	v_mul_f32_e32 v33, v16, v33
	v_add_f32_e32 v30, v31, v30
	v_lshlrev_b32_e32 v31, 16, v32
	v_lshlrev_b32_e32 v32, 16, v54
	v_cvt_pk_bf16_f32 v55, v55, s0
	v_cvt_pk_bf16_f32 v33, v33, s0
	v_add_f32_e32 v31, v31, v32
	v_add_f32_e32 v30, v31, v30
	v_lshlrev_b32_e32 v31, 16, v33
	v_lshlrev_b32_e32 v32, 16, v55
	v_add_f32_e32 v31, v31, v32
	v_add_f32_e32 v30, v31, v30
	v_add_f32_e32 v34, v34, v30
	v_and_b32_e32 v30, 0xffff0000, v26
	v_lshlrev_b32_e32 v26, 16, v26
	v_mul_f32_e32 v30, v19, v30
	v_mul_f32_e32 v26, v18, v26
	v_and_b32_e32 v31, 0xffff0000, v27
	v_lshlrev_b32_e32 v27, 16, v27
	v_cvt_pk_bf16_f32 v30, v30, s0
	v_cvt_pk_bf16_f32 v26, v26, s0
	v_mul_f32_e32 v31, v21, v31
	v_mul_f32_e32 v27, v20, v27
	v_cvt_pk_bf16_f32 v31, v31, s0
	v_cvt_pk_bf16_f32 v27, v27, s0
	v_and_b32_e32 v32, 0xffff0000, v28
	v_lshlrev_b32_e32 v28, 16, v28
	v_lshlrev_b32_e32 v26, 16, v26
	v_lshlrev_b32_e32 v30, 16, v30
	v_mul_f32_e32 v32, v15, v32
	v_mul_f32_e32 v28, v14, v28
	v_add_f32_e32 v26, v26, v30
	v_lshlrev_b32_e32 v27, 16, v27
	v_lshlrev_b32_e32 v30, 16, v31
	v_cvt_pk_bf16_f32 v32, v32, s0
	v_cvt_pk_bf16_f32 v28, v28, s0
	v_and_b32_e32 v33, 0xffff0000, v29
	v_lshlrev_b32_e32 v29, 16, v29
	v_add_f32_e32 v27, v27, v30
	v_mul_f32_e32 v33, v17, v33
	v_mul_f32_e32 v29, v16, v29
	v_add_f32_e32 v26, v27, v26
	v_lshlrev_b32_e32 v27, 16, v28
	v_lshlrev_b32_e32 v28, 16, v32
	v_cvt_pk_bf16_f32 v33, v33, s0
	v_cvt_pk_bf16_f32 v29, v29, s0
	v_add_f32_e32 v27, v27, v28
	v_add_f32_e32 v26, v27, v26
	v_lshlrev_b32_e32 v27, 16, v29
	v_lshlrev_b32_e32 v28, 16, v33
	v_add_f32_e32 v27, v27, v28
	v_add_f32_e32 v26, v27, v26
	v_add_f32_e32 v37, v37, v26
	v_and_b32_e32 v26, 0xffff0000, v10
	v_lshlrev_b32_e32 v10, 16, v10
	v_mul_f32_e32 v26, v19, v26
	v_mul_f32_e32 v10, v18, v10
	v_and_b32_e32 v27, 0xffff0000, v11
	v_lshlrev_b32_e32 v11, 16, v11
	v_cvt_pk_bf16_f32 v26, v26, s0
	v_cvt_pk_bf16_f32 v10, v10, s0
	v_mul_f32_e32 v27, v21, v27
	v_mul_f32_e32 v11, v20, v11
	v_cvt_pk_bf16_f32 v27, v27, s0
	v_cvt_pk_bf16_f32 v11, v11, s0
	v_and_b32_e32 v28, 0xffff0000, v12
	v_lshlrev_b32_e32 v12, 16, v12
	v_lshlrev_b32_e32 v10, 16, v10
	v_lshlrev_b32_e32 v26, 16, v26
	v_mul_f32_e32 v28, v15, v28
	v_mul_f32_e32 v12, v14, v12
	v_add_f32_e32 v10, v10, v26
	v_lshlrev_b32_e32 v11, 16, v11
	v_lshlrev_b32_e32 v26, 16, v27
	v_cvt_pk_bf16_f32 v28, v28, s0
	v_cvt_pk_bf16_f32 v12, v12, s0
	v_and_b32_e32 v29, 0xffff0000, v13
	v_lshlrev_b32_e32 v13, 16, v13
	;; [unrolled: 40-line block ×4, first 2 shown]
	v_add_f32_e32 v3, v3, v6
	v_mul_f32_e32 v5, v16, v5
	v_add_f32_e32 v2, v3, v2
	v_lshlrev_b32_e32 v3, 16, v4
	v_lshlrev_b32_e32 v4, 16, v8
	v_cvt_pk_bf16_f32 v5, v5, s0
	v_add_f32_e32 v3, v3, v4
	v_add_f32_e32 v2, v3, v2
	v_lshlrev_b32_e32 v3, 16, v5
	s_waitcnt vmcnt(0)
	v_and_b32_e32 v5, 0xffff0000, v23
	v_mul_f32_e32 v5, v21, v5
	v_mul_f32_e32 v9, v17, v9
	v_cvt_pk_bf16_f32 v6, v5, s0
	v_lshlrev_b32_e32 v5, 16, v24
	v_cvt_pk_bf16_f32 v9, v9, s0
	v_mul_f32_e32 v5, v14, v5
	v_lshlrev_b32_e32 v4, 16, v9
	v_cvt_pk_bf16_f32 v7, v5, s0
	v_and_b32_e32 v5, 0xffff0000, v24
	v_add_f32_e32 v3, v3, v4
	v_mul_f32_e32 v5, v15, v5
	v_add_f32_e32 v2, v3, v2
	v_cvt_pk_bf16_f32 v8, v5, s0
	v_lshlrev_b32_e32 v5, 16, v25
	v_add_f32_e32 v38, v38, v2
	v_lshlrev_b32_e32 v2, 16, v22
	v_and_b32_e32 v3, 0xffff0000, v22
	v_lshlrev_b32_e32 v4, 16, v23
	v_mul_f32_e32 v5, v16, v5
	v_mul_f32_e32 v2, v18, v2
	;; [unrolled: 1-line block ×4, first 2 shown]
	v_cvt_pk_bf16_f32 v9, v5, s0
	v_and_b32_e32 v5, 0xffff0000, v25
	v_cvt_pk_bf16_f32 v2, v2, s0
	v_cvt_pk_bf16_f32 v3, v3, s0
	;; [unrolled: 1-line block ×3, first 2 shown]
	v_mul_f32_e32 v5, v17, v5
	v_cvt_pk_bf16_f32 v10, v5, s0
	v_lshlrev_b32_e32 v3, 16, v3
	v_lshlrev_b32_e32 v5, 16, v2
	;; [unrolled: 1-line block ×4, first 2 shown]
	v_pk_add_f32 v[2:3], v[4:5], v[2:3]
	v_lshlrev_b32_e32 v5, 16, v8
	v_lshlrev_b32_e32 v7, 16, v7
	v_lshlrev_b32_e32 v4, 16, v10
	v_lshlrev_b32_e32 v6, 16, v9
	v_pk_add_f32 v[4:5], v[6:7], v[4:5]
	v_add_f32_e32 v2, v2, v3
	v_add_f32_e32 v2, v5, v2
	;; [unrolled: 1-line block ×4, first 2 shown]
.LBB133_49:                             ;   in Loop: Header=BB133_50 Depth=1
	s_or_b64 exec, exec, s[12:13]
	v_add_u32_e32 v1, 2, v1
	v_cmp_le_i32_e32 vcc, s16, v1
	v_lshl_add_u64 v[44:45], v[44:45], 0, 8
	v_add_u32_e32 v46, 32, v46
	s_or_b64 s[6:7], vcc, s[6:7]
	v_add_u32_e32 v40, 0x80, v40
	s_andn2_b64 exec, exec, s[6:7]
	s_cbranch_execz .LBB133_63
.LBB133_50:                             ; =>This Inner Loop Header: Depth=1
	v_mul_hi_u32 v2, v46, s40
	v_mul_lo_u32 v3, v2, s21
	v_sub_u32_e32 v3, v46, v3
	v_add_u32_e32 v4, 1, v2
	v_cmp_le_u32_e32 vcc, s21, v3
	s_nop 1
	v_cndmask_b32_e32 v2, v2, v4, vcc
	v_subrev_u32_e32 v4, s21, v3
	v_cndmask_b32_e32 v3, v3, v4, vcc
	v_add_u32_e32 v4, 1, v2
	v_cmp_le_u32_e32 vcc, s21, v3
	s_nop 1
	v_cndmask_b32_e32 v2, v2, v4, vcc
	v_xor_b32_e32 v2, s19, v2
	v_subrev_u32_e32 v2, s19, v2
	v_add_u32_e32 v3, s41, v2
	v_sub_u32_e32 v5, 0, v3
	v_ashrrev_i32_e32 v4, 31, v3
	v_max_i32_e32 v3, v3, v5
	v_mul_hi_u32 v5, v3, v51
	v_mul_lo_u32 v5, v5, s18
	v_sub_u32_e32 v3, v3, v5
	v_subrev_u32_e32 v5, s18, v3
	v_cmp_le_u32_e32 vcc, s18, v3
	v_cmp_lt_i32_e64 s[0:1], s17, v2
	s_nop 0
	v_cndmask_b32_e32 v3, v3, v5, vcc
	v_subrev_u32_e32 v5, s18, v3
	v_cmp_le_u32_e32 vcc, s18, v3
	s_nop 1
	v_cndmask_b32_e32 v3, v3, v5, vcc
	v_xor_b32_e32 v3, v3, v4
	v_sub_u32_e32 v3, v3, v4
	v_cmp_eq_u32_e32 vcc, 0, v3
	s_or_b64 s[0:1], vcc, s[0:1]
	s_and_saveexec_b64 s[12:13], s[0:1]
	s_cbranch_execz .LBB133_49
; %bb.51:                               ;   in Loop: Header=BB133_50 Depth=1
	global_load_dword v2, v[44:45], off
	v_add_u32_e32 v54, v50, v46
	v_add_u32_e32 v59, 1, v54
	v_or_b32_e32 v57, 3, v54
	v_or_b32_e32 v58, 2, v54
	;; [unrolled: 1-line block ×6, first 2 shown]
	s_waitcnt vmcnt(0)
	v_mad_i64_i32 v[2:3], s[0:1], v2, s28, 0
	v_lshl_add_u64 v[22:23], v[2:3], 1, v[42:43]
	global_load_dwordx4 v[2:5], v[22:23], off
	ds_read2_b64 v[18:21], v40 offset1:1
	ds_read2_b64 v[14:17], v40 offset0:2 offset1:3
	v_cmp_eq_u32_e64 s[0:1], s29, v1
	s_and_saveexec_b64 s[14:15], s[0:1]
	s_cbranch_execnz .LBB133_60
; %bb.52:                               ;   in Loop: Header=BB133_50 Depth=1
	s_or_b64 exec, exec, s[14:15]
	global_load_dwordx4 v[6:9], v[22:23], off offset:1024
	s_and_saveexec_b64 s[14:15], s[0:1]
	s_cbranch_execnz .LBB133_61
.LBB133_53:                             ;   in Loop: Header=BB133_50 Depth=1
	s_or_b64 exec, exec, s[14:15]
	global_load_dwordx4 v[10:13], v[22:23], off offset:2048
	s_and_saveexec_b64 s[14:15], s[0:1]
	s_cbranch_execnz .LBB133_62
.LBB133_54:                             ;   in Loop: Header=BB133_50 Depth=1
	s_or_b64 exec, exec, s[14:15]
	global_load_dwordx4 v[26:29], v[22:23], off offset:3072
	s_and_saveexec_b64 s[14:15], s[0:1]
	s_cbranch_execz .LBB133_56
.LBB133_55:                             ;   in Loop: Header=BB133_50 Depth=1
	v_cmp_gt_i32_e32 vcc, s30, v59
	v_cmp_gt_i32_e64 s[2:3], s33, v58
	s_waitcnt vmcnt(0)
	v_cndmask_b32_sdwa v24, v41, v26, vcc dst_sel:DWORD dst_unused:UNUSED_PAD src0_sel:DWORD src1_sel:WORD_1
	v_cmp_gt_i32_e32 vcc, s33, v54
	s_nop 1
	v_cndmask_b32_e32 v25, 0, v26, vcc
	v_cmp_gt_i32_e32 vcc, s30, v57
	v_perm_b32 v26, v24, v25, s24
	v_cndmask_b32_e64 v24, 0, v27, s[2:3]
	v_cndmask_b32_sdwa v25, v41, v27, vcc dst_sel:DWORD dst_unused:UNUSED_PAD src0_sel:DWORD src1_sel:WORD_1
	v_cmp_gt_i32_e32 vcc, s30, v55
	v_cmp_gt_i32_e64 s[2:3], s33, v56
	v_perm_b32 v27, v25, v24, s24
	v_cndmask_b32_sdwa v25, v41, v28, vcc dst_sel:DWORD dst_unused:UNUSED_PAD src0_sel:DWORD src1_sel:WORD_1
	v_cndmask_b32_e64 v24, 0, v28, s[2:3]
	v_cmp_gt_i32_e32 vcc, s30, v52
	v_cmp_gt_i32_e64 s[2:3], s33, v53
	v_perm_b32 v28, v25, v24, s24
	v_cndmask_b32_sdwa v25, v41, v29, vcc dst_sel:DWORD dst_unused:UNUSED_PAD src0_sel:DWORD src1_sel:WORD_1
	v_cndmask_b32_e64 v24, 0, v29, s[2:3]
	v_perm_b32 v29, v25, v24, s24
.LBB133_56:                             ;   in Loop: Header=BB133_50 Depth=1
	s_or_b64 exec, exec, s[14:15]
	v_add_co_u32_e32 v24, vcc, 0x1000, v22
	s_nop 1
	v_addc_co_u32_e32 v25, vcc, 0, v23, vcc
	global_load_dwordx4 v[30:33], v[24:25], off
	s_and_saveexec_b64 s[14:15], s[0:1]
	s_cbranch_execz .LBB133_58
; %bb.57:                               ;   in Loop: Header=BB133_50 Depth=1
	v_cmp_gt_i32_e32 vcc, s30, v59
	v_cmp_gt_i32_e64 s[2:3], s33, v58
	s_waitcnt vmcnt(0)
	v_cndmask_b32_sdwa v24, v41, v30, vcc dst_sel:DWORD dst_unused:UNUSED_PAD src0_sel:DWORD src1_sel:WORD_1
	v_cmp_gt_i32_e32 vcc, s33, v54
	s_nop 1
	v_cndmask_b32_e32 v25, 0, v30, vcc
	v_cmp_gt_i32_e32 vcc, s30, v57
	v_perm_b32 v30, v24, v25, s24
	v_cndmask_b32_e64 v24, 0, v31, s[2:3]
	v_cndmask_b32_sdwa v25, v41, v31, vcc dst_sel:DWORD dst_unused:UNUSED_PAD src0_sel:DWORD src1_sel:WORD_1
	v_cmp_gt_i32_e32 vcc, s30, v55
	v_cmp_gt_i32_e64 s[2:3], s33, v56
	v_perm_b32 v31, v25, v24, s24
	v_cndmask_b32_sdwa v25, v41, v32, vcc dst_sel:DWORD dst_unused:UNUSED_PAD src0_sel:DWORD src1_sel:WORD_1
	v_cndmask_b32_e64 v24, 0, v32, s[2:3]
	v_cmp_gt_i32_e32 vcc, s30, v52
	v_cmp_gt_i32_e64 s[2:3], s33, v53
	v_perm_b32 v32, v25, v24, s24
	v_cndmask_b32_sdwa v25, v41, v33, vcc dst_sel:DWORD dst_unused:UNUSED_PAD src0_sel:DWORD src1_sel:WORD_1
	v_cndmask_b32_e64 v24, 0, v33, s[2:3]
	v_perm_b32 v33, v25, v24, s24
.LBB133_58:                             ;   in Loop: Header=BB133_50 Depth=1
	s_or_b64 exec, exec, s[14:15]
	v_add_co_u32_e32 v22, vcc, 0x1000, v22
	s_nop 1
	v_addc_co_u32_e32 v23, vcc, 0, v23, vcc
	global_load_dwordx4 v[22:25], v[22:23], off offset:1024
	s_and_saveexec_b64 s[2:3], s[0:1]
	s_cbranch_execz .LBB133_48
; %bb.59:                               ;   in Loop: Header=BB133_50 Depth=1
	v_cmp_gt_i32_e32 vcc, s30, v59
	v_cmp_gt_i32_e64 s[0:1], s33, v58
	s_waitcnt vmcnt(0)
	v_cndmask_b32_sdwa v59, v41, v22, vcc dst_sel:DWORD dst_unused:UNUSED_PAD src0_sel:DWORD src1_sel:WORD_1
	v_cmp_gt_i32_e32 vcc, s33, v54
	v_cndmask_b32_e64 v54, 0, v23, s[0:1]
	v_cmp_gt_i32_e64 s[0:1], s33, v56
	v_cndmask_b32_e32 v22, 0, v22, vcc
	v_cmp_gt_i32_e32 vcc, s30, v57
	v_perm_b32 v22, v59, v22, s24
	s_nop 0
	v_cndmask_b32_sdwa v23, v41, v23, vcc dst_sel:DWORD dst_unused:UNUSED_PAD src0_sel:DWORD src1_sel:WORD_1
	v_cmp_gt_i32_e32 vcc, s30, v55
	v_perm_b32 v23, v23, v54, s24
	v_cndmask_b32_e64 v54, 0, v24, s[0:1]
	v_cndmask_b32_sdwa v24, v41, v24, vcc dst_sel:DWORD dst_unused:UNUSED_PAD src0_sel:DWORD src1_sel:WORD_1
	v_cmp_gt_i32_e32 vcc, s30, v52
	v_cmp_gt_i32_e64 s[0:1], s33, v53
	v_perm_b32 v24, v24, v54, s24
	s_nop 0
	v_cndmask_b32_e64 v52, 0, v25, s[0:1]
	v_cndmask_b32_sdwa v25, v41, v25, vcc dst_sel:DWORD dst_unused:UNUSED_PAD src0_sel:DWORD src1_sel:WORD_1
	v_perm_b32 v25, v25, v52, s24
	s_branch .LBB133_48
.LBB133_60:                             ;   in Loop: Header=BB133_50 Depth=1
	v_cmp_gt_i32_e32 vcc, s30, v59
	v_cmp_gt_i32_e64 s[2:3], s33, v58
	s_waitcnt vmcnt(0)
	v_cndmask_b32_sdwa v6, v41, v2, vcc dst_sel:DWORD dst_unused:UNUSED_PAD src0_sel:DWORD src1_sel:WORD_1
	v_cmp_gt_i32_e32 vcc, s33, v54
	s_nop 1
	v_cndmask_b32_e32 v2, 0, v2, vcc
	v_cmp_gt_i32_e32 vcc, s30, v57
	v_perm_b32 v2, v6, v2, s24
	v_cndmask_b32_e64 v6, 0, v3, s[2:3]
	v_cndmask_b32_sdwa v3, v41, v3, vcc dst_sel:DWORD dst_unused:UNUSED_PAD src0_sel:DWORD src1_sel:WORD_1
	v_cmp_gt_i32_e32 vcc, s30, v55
	v_cmp_gt_i32_e64 s[2:3], s33, v56
	v_perm_b32 v3, v3, v6, s24
	s_nop 0
	v_cndmask_b32_e64 v6, 0, v4, s[2:3]
	v_cndmask_b32_sdwa v4, v41, v4, vcc dst_sel:DWORD dst_unused:UNUSED_PAD src0_sel:DWORD src1_sel:WORD_1
	v_cmp_gt_i32_e32 vcc, s30, v52
	v_cmp_gt_i32_e64 s[2:3], s33, v53
	v_perm_b32 v4, v4, v6, s24
	s_nop 0
	v_cndmask_b32_e64 v6, 0, v5, s[2:3]
	v_cndmask_b32_sdwa v5, v41, v5, vcc dst_sel:DWORD dst_unused:UNUSED_PAD src0_sel:DWORD src1_sel:WORD_1
	v_perm_b32 v5, v5, v6, s24
	s_or_b64 exec, exec, s[14:15]
	global_load_dwordx4 v[6:9], v[22:23], off offset:1024
	s_and_saveexec_b64 s[14:15], s[0:1]
	s_cbranch_execz .LBB133_53
.LBB133_61:                             ;   in Loop: Header=BB133_50 Depth=1
	v_cmp_gt_i32_e32 vcc, s30, v59
	v_cmp_gt_i32_e64 s[2:3], s33, v58
	s_waitcnt vmcnt(0)
	v_cndmask_b32_sdwa v10, v41, v6, vcc dst_sel:DWORD dst_unused:UNUSED_PAD src0_sel:DWORD src1_sel:WORD_1
	v_cmp_gt_i32_e32 vcc, s33, v54
	s_nop 1
	v_cndmask_b32_e32 v6, 0, v6, vcc
	v_cmp_gt_i32_e32 vcc, s30, v57
	v_perm_b32 v6, v10, v6, s24
	v_cndmask_b32_e64 v10, 0, v7, s[2:3]
	v_cndmask_b32_sdwa v7, v41, v7, vcc dst_sel:DWORD dst_unused:UNUSED_PAD src0_sel:DWORD src1_sel:WORD_1
	v_cmp_gt_i32_e32 vcc, s30, v55
	v_cmp_gt_i32_e64 s[2:3], s33, v56
	v_perm_b32 v7, v7, v10, s24
	s_nop 0
	v_cndmask_b32_e64 v10, 0, v8, s[2:3]
	v_cndmask_b32_sdwa v8, v41, v8, vcc dst_sel:DWORD dst_unused:UNUSED_PAD src0_sel:DWORD src1_sel:WORD_1
	v_cmp_gt_i32_e32 vcc, s30, v52
	v_cmp_gt_i32_e64 s[2:3], s33, v53
	v_perm_b32 v8, v8, v10, s24
	s_nop 0
	v_cndmask_b32_e64 v10, 0, v9, s[2:3]
	v_cndmask_b32_sdwa v9, v41, v9, vcc dst_sel:DWORD dst_unused:UNUSED_PAD src0_sel:DWORD src1_sel:WORD_1
	v_perm_b32 v9, v9, v10, s24
	s_or_b64 exec, exec, s[14:15]
	global_load_dwordx4 v[10:13], v[22:23], off offset:2048
	s_and_saveexec_b64 s[14:15], s[0:1]
	s_cbranch_execz .LBB133_54
.LBB133_62:                             ;   in Loop: Header=BB133_50 Depth=1
	v_cmp_gt_i32_e32 vcc, s30, v59
	v_cmp_gt_i32_e64 s[2:3], s33, v58
	s_waitcnt vmcnt(0)
	v_cndmask_b32_sdwa v24, v41, v10, vcc dst_sel:DWORD dst_unused:UNUSED_PAD src0_sel:DWORD src1_sel:WORD_1
	v_cmp_gt_i32_e32 vcc, s33, v54
	s_nop 1
	v_cndmask_b32_e32 v10, 0, v10, vcc
	v_cmp_gt_i32_e32 vcc, s30, v57
	v_perm_b32 v10, v24, v10, s24
	v_cndmask_b32_e64 v24, 0, v11, s[2:3]
	v_cndmask_b32_sdwa v11, v41, v11, vcc dst_sel:DWORD dst_unused:UNUSED_PAD src0_sel:DWORD src1_sel:WORD_1
	v_cmp_gt_i32_e32 vcc, s30, v55
	v_cmp_gt_i32_e64 s[2:3], s33, v56
	v_perm_b32 v11, v11, v24, s24
	s_nop 0
	v_cndmask_b32_e64 v24, 0, v12, s[2:3]
	v_cndmask_b32_sdwa v12, v41, v12, vcc dst_sel:DWORD dst_unused:UNUSED_PAD src0_sel:DWORD src1_sel:WORD_1
	v_cmp_gt_i32_e32 vcc, s30, v52
	v_cmp_gt_i32_e64 s[2:3], s33, v53
	v_perm_b32 v12, v12, v24, s24
	s_nop 0
	v_cndmask_b32_e64 v24, 0, v13, s[2:3]
	v_cndmask_b32_sdwa v13, v41, v13, vcc dst_sel:DWORD dst_unused:UNUSED_PAD src0_sel:DWORD src1_sel:WORD_1
	v_perm_b32 v13, v13, v24, s24
	s_or_b64 exec, exec, s[14:15]
	global_load_dwordx4 v[26:29], v[22:23], off offset:3072
	s_and_saveexec_b64 s[14:15], s[0:1]
	s_cbranch_execnz .LBB133_55
	s_branch .LBB133_56
.LBB133_63:
	s_or_b64 exec, exec, s[6:7]
.LBB133_64:
	s_or_b64 exec, exec, s[8:9]
	ds_bpermute_b32 v2, v48, v38
	ds_bpermute_b32 v3, v48, v39
	;; [unrolled: 1-line block ×4, first 2 shown]
	v_and_b32_e32 v1, 0x3c1, v0
	v_cmp_ne_u32_e32 vcc, 64, v1
	s_waitcnt lgkmcnt(2)
	v_pk_add_f32 v[4:5], v[38:39], v[2:3]
	s_waitcnt lgkmcnt(0)
	v_pk_add_f32 v[2:3], v[36:37], v[6:7]
	ds_bpermute_b32 v6, v48, v34
	ds_bpermute_b32 v7, v48, v35
	s_barrier
	s_waitcnt lgkmcnt(0)
	s_and_saveexec_b64 s[0:1], vcc
	s_xor_b64 s[0:1], exec, s[0:1]
; %bb.65:
                                        ; implicit-def: $vgpr47
; %bb.66:
	s_or_saveexec_b64 s[0:1], s[0:1]
	v_pk_add_f32 v[6:7], v[34:35], v[6:7]
	s_xor_b64 exec, exec, s[0:1]
	s_cbranch_execz .LBB133_68
; %bb.67:
	v_mov_b32_e32 v8, 0x190
	v_lshl_add_u32 v8, v47, 1, v8
	ds_write2_b32 v8, v4, v5 offset1:32
	ds_write2_b32 v8, v2, v3 offset0:64 offset1:96
	ds_write2_b32 v8, v6, v7 offset0:128 offset1:160
.LBB133_68:
	s_or_b64 exec, exec, s[0:1]
	v_cmp_gt_u32_e32 vcc, 64, v0
	v_lshrrev_b32_e32 v0, 1, v0
	s_waitcnt lgkmcnt(0)
	s_barrier
	s_and_saveexec_b64 s[0:1], vcc
	s_cbranch_execz .LBB133_77
; %bb.69:
	v_mov_b32_e32 v8, 0x190
	v_cmp_eq_u32_e32 vcc, 0, v49
	v_lshl_add_u32 v8, v0, 2, v8
	s_and_saveexec_b64 s[2:3], vcc
	s_cbranch_execnz .LBB133_80
; %bb.70:
	s_or_b64 exec, exec, s[2:3]
	s_and_saveexec_b64 s[2:3], vcc
	s_cbranch_execnz .LBB133_81
.LBB133_71:
	s_or_b64 exec, exec, s[2:3]
	s_and_saveexec_b64 s[2:3], vcc
	s_cbranch_execnz .LBB133_82
.LBB133_72:
	s_or_b64 exec, exec, s[2:3]
	s_and_saveexec_b64 s[2:3], vcc
	s_cbranch_execnz .LBB133_83
.LBB133_73:
	s_or_b64 exec, exec, s[2:3]
	s_and_saveexec_b64 s[2:3], vcc
	s_cbranch_execnz .LBB133_84
.LBB133_74:
	s_or_b64 exec, exec, s[2:3]
	s_and_saveexec_b64 s[2:3], vcc
	s_cbranch_execz .LBB133_76
.LBB133_75:
	ds_read_b32 v8, v8 offset:640
	s_waitcnt lgkmcnt(0)
	v_add_f32_e32 v7, v7, v8
.LBB133_76:
	s_or_b64 exec, exec, s[2:3]
.LBB133_77:
	s_or_b64 exec, exec, s[0:1]
	v_cmp_eq_u32_e32 vcc, 0, v1
	s_barrier
	s_and_saveexec_b64 s[0:1], vcc
	s_cbranch_execz .LBB133_79
; %bb.78:
	s_mul_i32 s0, s10, s11
	s_mul_i32 s0, s0, s5
	s_mulk_i32 s0, 0xc0
	s_ashr_i32 s1, s0, 31
	s_lshl_b64 s[0:1], s[0:1], 1
	s_add_u32 s2, s22, s0
	s_mul_i32 s0, s11, s20
	s_addc_u32 s3, s23, s1
	s_ashr_i32 s1, s0, 31
	s_lshl_b64 s[0:1], s[0:1], 1
	s_add_u32 s2, s2, s0
	s_mul_i32 s0, s4, 0xc0
	s_addc_u32 s3, s3, s1
	s_ashr_i32 s1, s0, 31
	s_lshl_b64 s[0:1], s[0:1], 1
	s_add_u32 s0, s2, s0
	s_addc_u32 s1, s3, s1
	v_lshlrev_b32_e32 v0, 1, v0
	v_cvt_pk_bf16_f32 v1, v4, s0
	global_store_short v0, v1, s[0:1]
	v_cvt_pk_bf16_f32 v1, v5, s0
	global_store_short v0, v1, s[0:1] offset:64
	v_cvt_pk_bf16_f32 v1, v2, s0
	global_store_short v0, v1, s[0:1] offset:128
	;; [unrolled: 2-line block ×5, first 2 shown]
.LBB133_79:
	s_endpgm
.LBB133_80:
	ds_read_b32 v9, v8
	s_waitcnt lgkmcnt(0)
	v_add_f32_e32 v4, v4, v9
	s_or_b64 exec, exec, s[2:3]
	s_and_saveexec_b64 s[2:3], vcc
	s_cbranch_execz .LBB133_71
.LBB133_81:
	ds_read_b32 v9, v8 offset:128
	s_waitcnt lgkmcnt(0)
	v_add_f32_e32 v5, v5, v9
	s_or_b64 exec, exec, s[2:3]
	s_and_saveexec_b64 s[2:3], vcc
	s_cbranch_execz .LBB133_72
.LBB133_82:
	ds_read_b32 v9, v8 offset:256
	s_waitcnt lgkmcnt(0)
	v_add_f32_e32 v2, v2, v9
	s_or_b64 exec, exec, s[2:3]
	s_and_saveexec_b64 s[2:3], vcc
	s_cbranch_execz .LBB133_73
.LBB133_83:
	ds_read_b32 v9, v8 offset:384
	s_waitcnt lgkmcnt(0)
	v_add_f32_e32 v3, v3, v9
	s_or_b64 exec, exec, s[2:3]
	s_and_saveexec_b64 s[2:3], vcc
	s_cbranch_execz .LBB133_74
.LBB133_84:
	ds_read_b32 v9, v8 offset:512
	s_waitcnt lgkmcnt(0)
	v_add_f32_e32 v6, v6, v9
	s_or_b64 exec, exec, s[2:3]
	s_and_saveexec_b64 s[2:3], vcc
	s_cbranch_execnz .LBB133_75
	s_branch .LBB133_76
	.section	.rodata,"a",@progbits
	.p2align	6, 0x0
	.amdhsa_kernel _ZN4vllm25paged_attention_v1_kernelI14__hip_bfloat16S1_Li192ELi16ELi128ELNS_18Fp8KVCacheDataTypeE0ELb1EEEvPT_PKS3_PKT0_S9_ifPKiSB_iPKfiiiSD_SD_iiiii
		.amdhsa_group_segment_fixed_size 400
		.amdhsa_private_segment_fixed_size 0
		.amdhsa_kernarg_size 384
		.amdhsa_user_sgpr_count 2
		.amdhsa_user_sgpr_dispatch_ptr 0
		.amdhsa_user_sgpr_queue_ptr 0
		.amdhsa_user_sgpr_kernarg_segment_ptr 1
		.amdhsa_user_sgpr_dispatch_id 0
		.amdhsa_user_sgpr_kernarg_preload_length 0
		.amdhsa_user_sgpr_kernarg_preload_offset 0
		.amdhsa_user_sgpr_private_segment_size 0
		.amdhsa_uses_dynamic_stack 0
		.amdhsa_enable_private_segment 0
		.amdhsa_system_sgpr_workgroup_id_x 1
		.amdhsa_system_sgpr_workgroup_id_y 1
		.amdhsa_system_sgpr_workgroup_id_z 1
		.amdhsa_system_sgpr_workgroup_info 0
		.amdhsa_system_vgpr_workitem_id 0
		.amdhsa_next_free_vgpr 105
		.amdhsa_next_free_sgpr 45
		.amdhsa_accum_offset 108
		.amdhsa_reserve_vcc 1
		.amdhsa_float_round_mode_32 0
		.amdhsa_float_round_mode_16_64 0
		.amdhsa_float_denorm_mode_32 3
		.amdhsa_float_denorm_mode_16_64 3
		.amdhsa_dx10_clamp 1
		.amdhsa_ieee_mode 1
		.amdhsa_fp16_overflow 0
		.amdhsa_tg_split 0
		.amdhsa_exception_fp_ieee_invalid_op 0
		.amdhsa_exception_fp_denorm_src 0
		.amdhsa_exception_fp_ieee_div_zero 0
		.amdhsa_exception_fp_ieee_overflow 0
		.amdhsa_exception_fp_ieee_underflow 0
		.amdhsa_exception_fp_ieee_inexact 0
		.amdhsa_exception_int_div_zero 0
	.end_amdhsa_kernel
	.section	.text._ZN4vllm25paged_attention_v1_kernelI14__hip_bfloat16S1_Li192ELi16ELi128ELNS_18Fp8KVCacheDataTypeE0ELb1EEEvPT_PKS3_PKT0_S9_ifPKiSB_iPKfiiiSD_SD_iiiii,"axG",@progbits,_ZN4vllm25paged_attention_v1_kernelI14__hip_bfloat16S1_Li192ELi16ELi128ELNS_18Fp8KVCacheDataTypeE0ELb1EEEvPT_PKS3_PKT0_S9_ifPKiSB_iPKfiiiSD_SD_iiiii,comdat
.Lfunc_end133:
	.size	_ZN4vllm25paged_attention_v1_kernelI14__hip_bfloat16S1_Li192ELi16ELi128ELNS_18Fp8KVCacheDataTypeE0ELb1EEEvPT_PKS3_PKT0_S9_ifPKiSB_iPKfiiiSD_SD_iiiii, .Lfunc_end133-_ZN4vllm25paged_attention_v1_kernelI14__hip_bfloat16S1_Li192ELi16ELi128ELNS_18Fp8KVCacheDataTypeE0ELb1EEEvPT_PKS3_PKT0_S9_ifPKiSB_iPKfiiiSD_SD_iiiii
                                        ; -- End function
	.set _ZN4vllm25paged_attention_v1_kernelI14__hip_bfloat16S1_Li192ELi16ELi128ELNS_18Fp8KVCacheDataTypeE0ELb1EEEvPT_PKS3_PKT0_S9_ifPKiSB_iPKfiiiSD_SD_iiiii.num_vgpr, 105
	.set _ZN4vllm25paged_attention_v1_kernelI14__hip_bfloat16S1_Li192ELi16ELi128ELNS_18Fp8KVCacheDataTypeE0ELb1EEEvPT_PKS3_PKT0_S9_ifPKiSB_iPKfiiiSD_SD_iiiii.num_agpr, 0
	.set _ZN4vllm25paged_attention_v1_kernelI14__hip_bfloat16S1_Li192ELi16ELi128ELNS_18Fp8KVCacheDataTypeE0ELb1EEEvPT_PKS3_PKT0_S9_ifPKiSB_iPKfiiiSD_SD_iiiii.numbered_sgpr, 45
	.set _ZN4vllm25paged_attention_v1_kernelI14__hip_bfloat16S1_Li192ELi16ELi128ELNS_18Fp8KVCacheDataTypeE0ELb1EEEvPT_PKS3_PKT0_S9_ifPKiSB_iPKfiiiSD_SD_iiiii.num_named_barrier, 0
	.set _ZN4vllm25paged_attention_v1_kernelI14__hip_bfloat16S1_Li192ELi16ELi128ELNS_18Fp8KVCacheDataTypeE0ELb1EEEvPT_PKS3_PKT0_S9_ifPKiSB_iPKfiiiSD_SD_iiiii.private_seg_size, 0
	.set _ZN4vllm25paged_attention_v1_kernelI14__hip_bfloat16S1_Li192ELi16ELi128ELNS_18Fp8KVCacheDataTypeE0ELb1EEEvPT_PKS3_PKT0_S9_ifPKiSB_iPKfiiiSD_SD_iiiii.uses_vcc, 1
	.set _ZN4vllm25paged_attention_v1_kernelI14__hip_bfloat16S1_Li192ELi16ELi128ELNS_18Fp8KVCacheDataTypeE0ELb1EEEvPT_PKS3_PKT0_S9_ifPKiSB_iPKfiiiSD_SD_iiiii.uses_flat_scratch, 0
	.set _ZN4vllm25paged_attention_v1_kernelI14__hip_bfloat16S1_Li192ELi16ELi128ELNS_18Fp8KVCacheDataTypeE0ELb1EEEvPT_PKS3_PKT0_S9_ifPKiSB_iPKfiiiSD_SD_iiiii.has_dyn_sized_stack, 0
	.set _ZN4vllm25paged_attention_v1_kernelI14__hip_bfloat16S1_Li192ELi16ELi128ELNS_18Fp8KVCacheDataTypeE0ELb1EEEvPT_PKS3_PKT0_S9_ifPKiSB_iPKfiiiSD_SD_iiiii.has_recursion, 0
	.set _ZN4vllm25paged_attention_v1_kernelI14__hip_bfloat16S1_Li192ELi16ELi128ELNS_18Fp8KVCacheDataTypeE0ELb1EEEvPT_PKS3_PKT0_S9_ifPKiSB_iPKfiiiSD_SD_iiiii.has_indirect_call, 0
	.section	.AMDGPU.csdata,"",@progbits
; Kernel info:
; codeLenInByte = 7636
; TotalNumSgprs: 51
; NumVgprs: 105
; NumAgprs: 0
; TotalNumVgprs: 105
; ScratchSize: 0
; MemoryBound: 0
; FloatMode: 240
; IeeeMode: 1
; LDSByteSize: 400 bytes/workgroup (compile time only)
; SGPRBlocks: 6
; VGPRBlocks: 13
; NumSGPRsForWavesPerEU: 51
; NumVGPRsForWavesPerEU: 105
; AccumOffset: 108
; Occupancy: 4
; WaveLimiterHint : 1
; COMPUTE_PGM_RSRC2:SCRATCH_EN: 0
; COMPUTE_PGM_RSRC2:USER_SGPR: 2
; COMPUTE_PGM_RSRC2:TRAP_HANDLER: 0
; COMPUTE_PGM_RSRC2:TGID_X_EN: 1
; COMPUTE_PGM_RSRC2:TGID_Y_EN: 1
; COMPUTE_PGM_RSRC2:TGID_Z_EN: 1
; COMPUTE_PGM_RSRC2:TIDIG_COMP_CNT: 0
; COMPUTE_PGM_RSRC3_GFX90A:ACCUM_OFFSET: 26
; COMPUTE_PGM_RSRC3_GFX90A:TG_SPLIT: 0
	.section	.text._ZN4vllm25paged_attention_v1_kernelI14__hip_bfloat16S1_Li256ELi16ELi128ELNS_18Fp8KVCacheDataTypeE0ELb1EEEvPT_PKS3_PKT0_S9_ifPKiSB_iPKfiiiSD_SD_iiiii,"axG",@progbits,_ZN4vllm25paged_attention_v1_kernelI14__hip_bfloat16S1_Li256ELi16ELi128ELNS_18Fp8KVCacheDataTypeE0ELb1EEEvPT_PKS3_PKT0_S9_ifPKiSB_iPKfiiiSD_SD_iiiii,comdat
	.protected	_ZN4vllm25paged_attention_v1_kernelI14__hip_bfloat16S1_Li256ELi16ELi128ELNS_18Fp8KVCacheDataTypeE0ELb1EEEvPT_PKS3_PKT0_S9_ifPKiSB_iPKfiiiSD_SD_iiiii ; -- Begin function _ZN4vllm25paged_attention_v1_kernelI14__hip_bfloat16S1_Li256ELi16ELi128ELNS_18Fp8KVCacheDataTypeE0ELb1EEEvPT_PKS3_PKT0_S9_ifPKiSB_iPKfiiiSD_SD_iiiii
	.globl	_ZN4vllm25paged_attention_v1_kernelI14__hip_bfloat16S1_Li256ELi16ELi128ELNS_18Fp8KVCacheDataTypeE0ELb1EEEvPT_PKS3_PKT0_S9_ifPKiSB_iPKfiiiSD_SD_iiiii
	.p2align	8
	.type	_ZN4vllm25paged_attention_v1_kernelI14__hip_bfloat16S1_Li256ELi16ELi128ELNS_18Fp8KVCacheDataTypeE0ELb1EEEvPT_PKS3_PKT0_S9_ifPKiSB_iPKfiiiSD_SD_iiiii,@function
_ZN4vllm25paged_attention_v1_kernelI14__hip_bfloat16S1_Li256ELi16ELi128ELNS_18Fp8KVCacheDataTypeE0ELb1EEEvPT_PKS3_PKT0_S9_ifPKiSB_iPKfiiiSD_SD_iiiii: ; @_ZN4vllm25paged_attention_v1_kernelI14__hip_bfloat16S1_Li256ELi16ELi128ELNS_18Fp8KVCacheDataTypeE0ELb1EEEvPT_PKS3_PKT0_S9_ifPKiSB_iPKfiiiSD_SD_iiiii
; %bb.0:
	s_load_dword s5, s[0:1], 0x80
	s_load_dwordx2 s[6:7], s[0:1], 0x30
	s_load_dwordx2 s[30:31], s[0:1], 0x20
	s_mov_b32 s10, s3
	s_ashr_i32 s11, s3, 31
	s_lshl_b64 s[8:9], s[10:11], 2
	s_waitcnt lgkmcnt(0)
	s_add_u32 s6, s6, s8
	s_addc_u32 s7, s7, s9
	s_abs_i32 s3, s30
	v_cvt_f32_u32_e32 v1, s3
	s_sub_i32 s11, 0, s3
	s_abs_i32 s9, s5
	s_xor_b32 s8, s5, s30
	v_rcp_iflag_f32_e32 v1, v1
	s_ashr_i32 s8, s8, 31
	s_mov_b32 s42, 0
	v_mul_f32_e32 v1, 0x4f7ffffe, v1
	v_cvt_u32_f32_e32 v1, v1
	s_nop 0
	v_readfirstlane_b32 s12, v1
	s_mul_i32 s11, s11, s12
	s_mul_hi_u32 s11, s12, s11
	s_add_i32 s12, s12, s11
	s_mul_hi_u32 s11, s9, s12
	s_mul_i32 s12, s11, s3
	s_sub_i32 s9, s9, s12
	s_add_i32 s12, s11, 1
	s_sub_i32 s13, s9, s3
	s_cmp_ge_u32 s9, s3
	s_cselect_b32 s11, s12, s11
	s_cselect_b32 s9, s13, s9
	s_add_i32 s12, s11, 1
	s_cmp_ge_u32 s9, s3
	s_cselect_b32 s3, s12, s11
	s_xor_b32 s3, s3, s8
	s_sub_i32 s12, s3, s8
	s_abs_i32 s11, s12
	v_cvt_f32_u32_e32 v1, s11
	s_load_dwordx2 s[8:9], s[0:1], 0x40
	s_sub_i32 s3, 0, s11
	s_abs_i32 s22, s2
	v_rcp_iflag_f32_e32 v1, v1
	s_nop 0
	v_mul_f32_e32 v1, 0x4f7ffffe, v1
	v_cvt_u32_f32_e32 v1, v1
	s_nop 0
	v_readfirstlane_b32 s13, v1
	s_mul_i32 s3, s3, s13
	s_mul_hi_u32 s3, s13, s3
	s_add_i32 s13, s13, s3
	s_waitcnt lgkmcnt(0)
	s_cmp_eq_u64 s[8:9], 0
	s_mul_hi_u32 s23, s22, s13
	s_cbranch_scc1 .LBB134_2
; %bb.1:
	s_ashr_i32 s3, s2, 31
	s_lshl_b64 s[14:15], s[2:3], 2
	s_add_u32 s8, s8, s14
	s_addc_u32 s9, s9, s15
	s_load_dword s42, s[8:9], 0x0
.LBB134_2:
	s_load_dword s33, s[6:7], 0x0
	s_ashr_i32 s9, s12, 31
	s_load_dwordx4 s[12:15], s[0:1], 0x48
	s_movk_i32 s6, 0x80
	s_ashr_i32 s3, s2, 31
	v_and_b32_e32 v2, 3, v0
	s_lshl_b32 s20, s2, 8
	v_cmp_gt_u32_e32 vcc, s6, v0
	s_and_saveexec_b64 s[6:7], vcc
	s_cbranch_execz .LBB134_4
; %bb.3:
	s_load_dwordx2 s[16:17], s[0:1], 0x8
	s_waitcnt lgkmcnt(0)
	s_mul_i32 s18, s12, s10
	s_ashr_i32 s19, s18, 31
	s_lshl_b64 s[18:19], s[18:19], 1
	v_lshlrev_b32_e32 v1, 2, v0
	s_add_u32 s8, s16, s18
	s_addc_u32 s12, s17, s19
	s_ashr_i32 s21, s20, 31
	s_lshl_b64 s[16:17], s[20:21], 1
	s_add_u32 s16, s8, s16
	s_addc_u32 s17, s12, s17
	global_load_dword v1, v1, s[16:17]
	v_and_b32_e32 v3, 0x3fc, v0
	v_lshl_add_u32 v3, v2, 7, v3
	s_waitcnt vmcnt(0)
	ds_write_b32 v3, v1
.LBB134_4:
	s_or_b64 exec, exec, s[6:7]
	s_mul_i32 s6, s23, s11
	s_sub_i32 s6, s22, s6
	s_xor_b32 s3, s3, s9
	s_add_i32 s7, s23, 1
	s_sub_i32 s9, s6, s11
	s_load_dwordx4 s[16:19], s[0:1], 0x68
	s_load_dword s8, s[0:1], 0x78
	s_cmp_ge_u32 s6, s11
	s_cselect_b32 s7, s7, s23
	s_cselect_b32 s6, s9, s6
	s_add_i32 s9, s7, 1
	s_cmp_ge_u32 s6, s11
	s_cselect_b32 s6, s9, s7
	s_waitcnt lgkmcnt(0)
	s_abs_i32 s21, s19
	v_cvt_f32_u32_e32 v1, s21
	s_xor_b32 s6, s6, s3
	s_sub_i32 s3, s6, s3
	s_sub_i32 s6, 0, s21
	v_rcp_iflag_f32_e32 v1, v1
	s_add_i32 s11, s33, -1
	s_abs_i32 s9, s11
	v_mul_f32_e32 v1, 0x4f7ffffe, v1
	v_cvt_u32_f32_e32 v1, v1
	s_barrier
	v_readfirstlane_b32 s40, v1
	s_mul_i32 s6, s6, s40
	s_mul_hi_u32 s6, s40, s6
	s_add_i32 s40, s40, s6
	s_cmp_lt_i32 s8, 0
	s_mul_hi_u32 s12, s9, s40
	s_cbranch_scc0 .LBB134_6
; %bb.5:
	s_mul_i32 s6, s16, s30
	s_add_i32 s6, s3, s6
	s_mul_i32 s6, s6, s8
	s_sub_i32 s41, 1, s6
	s_mov_b64 s[6:7], 0
	s_branch .LBB134_7
.LBB134_6:
	s_mov_b64 s[6:7], -1
                                        ; implicit-def: $sgpr41
.LBB134_7:
	s_load_dwordx2 s[24:25], s[0:1], 0x28
	s_ashr_i32 s15, s11, 31
	s_andn2_b64 vcc, exec, s[6:7]
	s_ashr_i32 s19, s19, 31
	s_cbranch_vccnz .LBB134_9
; %bb.8:
	s_mul_i32 s6, s5, s16
	s_add_i32 s2, s6, s2
	s_mul_i32 s2, s2, s8
	s_add_i32 s41, s2, 1
.LBB134_9:
	s_load_dword s2, s[0:1], 0x38
	s_load_dwordx2 s[22:23], s[0:1], 0x0
	s_load_dwordx2 s[28:29], s[0:1], 0x18
	s_load_dword s11, s[0:1], 0x88
	s_xor_b32 s6, s15, s19
	s_waitcnt lgkmcnt(0)
	s_mul_i32 s26, s2, s10
	s_mul_i32 s2, s12, s21
	s_sub_i32 s2, s9, s2
	s_ashr_i32 s27, s26, 31
	s_add_i32 s7, s12, 1
	s_sub_i32 s8, s2, s21
	s_cmp_ge_u32 s2, s21
	s_cselect_b32 s7, s7, s12
	s_cselect_b32 s2, s8, s2
	s_add_i32 s8, s7, 1
	s_cmp_ge_u32 s2, s21
	s_cselect_b32 s2, s8, s7
	s_xor_b32 s2, s2, s6
	s_sub_i32 s12, s2, s6
	s_add_i32 s2, s33, 15
	s_ashr_i32 s6, s2, 31
	s_lshr_b32 s6, s6, 28
	s_add_i32 s2, s2, s6
	s_ashr_i32 s16, s2, 4
	v_lshrrev_b32_e32 v1, 6, v0
	v_cmp_gt_i32_e64 s[6:7], s16, v1
	v_mov_b32_e32 v44, 0xff7fffff
	s_mul_i32 s14, s3, s14
	v_lshrrev_b32_e32 v40, 4, v0
	v_lshlrev_b32_e32 v56, 4, v1
	v_mbcnt_lo_u32_b32 v41, -1, 0
	s_and_saveexec_b64 s[34:35], s[6:7]
	s_cbranch_execz .LBB134_21
; %bb.10:
	s_load_dwordx2 s[0:1], s[0:1], 0x10
	s_ashr_i32 s15, s14, 31
	s_sub_i32 s30, s12, s17
	s_lshl_b64 s[2:3], s[14:15], 1
	v_bfe_u32 v42, v0, 2, 4
	s_waitcnt lgkmcnt(0)
	s_add_u32 s0, s0, s2
	s_addc_u32 s1, s1, s3
	s_abs_i32 s15, s18
	v_cvt_f32_u32_e32 v3, s15
	v_lshlrev_b32_e32 v4, 4, v42
	v_mov_b32_e32 v5, 0
	v_lshl_add_u64 v[6:7], s[0:1], 0, v[4:5]
	v_rcp_iflag_f32_e32 v3, v3
	s_sub_i32 s0, 0, s15
	v_cmp_eq_u32_e32 vcc, 0, v2
	v_lshlrev_b32_e32 v43, 7, v2
	v_mul_f32_e32 v3, 0x4f7ffffe, v3
	v_cvt_u32_f32_e32 v3, v3
	v_lshlrev_b32_e32 v4, 2, v0
	v_and_b32_e32 v4, 12, v4
	v_mbcnt_hi_u32_b32 v50, -1, v41
	v_mul_lo_u32 v2, s0, v3
	v_mul_hi_u32 v2, v3, v2
	v_add_u32_e32 v45, v3, v2
	v_subrev_u32_e32 v2, s33, v42
	s_lshl_b64 s[0:1], s[26:27], 2
	v_add_u32_e32 v47, 1, v2
	v_lshlrev_b32_e32 v2, 2, v42
	s_add_u32 s0, s24, s0
	v_lshl_or_b32 v2, v1, 6, v2
	v_lshl_add_u64 v[34:35], v[6:7], 0, v[4:5]
	v_and_b32_e32 v4, 60, v40
	s_addc_u32 s1, s25, s1
	v_add_u32_e32 v48, 0x210, v2
	v_and_b32_e32 v2, 64, v50
	s_mov_b32 s43, s13
	v_cmp_neq_f32_e64 s[2:3], s42, 0
	v_lshl_add_u64 v[36:37], s[0:1], 0, v[4:5]
	v_lshlrev_b32_e32 v46, 4, v1
	v_mov_b32_e32 v49, 0xff7fffff
	s_mov_b64 s[36:37], 0
	s_movk_i32 s44, 0x1000
	v_add_u32_e32 v51, 64, v2
	v_xor_b32_e32 v52, 2, v50
	v_xor_b32_e32 v53, 1, v50
	v_mov_b32_e32 v44, 0xff7fffff
	v_mov_b32_e32 v54, v1
	s_branch .LBB134_13
.LBB134_11:                             ;   in Loop: Header=BB134_13 Depth=1
	s_or_b64 exec, exec, s[38:39]
.LBB134_12:                             ;   in Loop: Header=BB134_13 Depth=1
	s_or_b64 exec, exec, s[8:9]
	v_add_u32_e32 v54, 2, v54
	v_cmp_le_i32_e64 s[0:1], s16, v54
	v_lshl_add_u64 v[36:37], v[36:37], 0, 8
	v_add_u32_e32 v46, 32, v46
	s_or_b64 s[36:37], s[0:1], s[36:37]
	v_add_u32_e32 v48, 0x80, v48
	s_andn2_b64 exec, exec, s[36:37]
	s_cbranch_execz .LBB134_20
.LBB134_13:                             ; =>This Inner Loop Header: Depth=1
	v_mul_hi_u32 v2, v46, s40
	s_waitcnt lgkmcnt(0)
	v_mul_lo_u32 v3, v2, s21
	v_sub_u32_e32 v3, v46, v3
	v_add_u32_e32 v4, 1, v2
	v_cmp_le_u32_e64 s[0:1], s21, v3
	s_nop 1
	v_cndmask_b32_e64 v2, v2, v4, s[0:1]
	v_subrev_u32_e32 v4, s21, v3
	v_cndmask_b32_e64 v3, v3, v4, s[0:1]
	v_add_u32_e32 v4, 1, v2
	v_cmp_le_u32_e64 s[0:1], s21, v3
	s_nop 1
	v_cndmask_b32_e64 v2, v2, v4, s[0:1]
	v_xor_b32_e32 v2, s19, v2
	v_subrev_u32_e32 v2, s19, v2
	v_add_u32_e32 v3, s41, v2
	v_sub_u32_e32 v5, 0, v3
	v_ashrrev_i32_e32 v4, 31, v3
	v_max_i32_e32 v3, v3, v5
	v_mul_hi_u32 v5, v3, v45
	v_mul_lo_u32 v5, v5, s15
	v_sub_u32_e32 v3, v3, v5
	v_subrev_u32_e32 v5, s15, v3
	v_cmp_le_u32_e64 s[0:1], s15, v3
	v_cmp_ge_i32_e64 s[8:9], s30, v2
	s_nop 0
	v_cndmask_b32_e64 v3, v3, v5, s[0:1]
	v_subrev_u32_e32 v5, s15, v3
	v_cmp_le_u32_e64 s[0:1], s15, v3
	s_nop 1
	v_cndmask_b32_e64 v3, v3, v5, s[0:1]
	v_xor_b32_e32 v3, v3, v4
	v_sub_u32_e32 v3, v3, v4
	v_cmp_ne_u32_e64 s[0:1], 0, v3
	s_and_b64 s[0:1], s[0:1], s[8:9]
	s_and_saveexec_b64 s[8:9], s[0:1]
	s_xor_b64 s[0:1], exec, s[8:9]
	s_cbranch_execz .LBB134_17
; %bb.14:                               ;   in Loop: Header=BB134_13 Depth=1
	s_and_saveexec_b64 s[8:9], vcc
; %bb.15:                               ;   in Loop: Header=BB134_13 Depth=1
	ds_write_b32 v48, v49
; %bb.16:                               ;   in Loop: Header=BB134_13 Depth=1
	s_or_b64 exec, exec, s[8:9]
.LBB134_17:                             ;   in Loop: Header=BB134_13 Depth=1
	s_andn2_saveexec_b64 s[8:9], s[0:1]
	s_cbranch_execz .LBB134_12
; %bb.18:                               ;   in Loop: Header=BB134_13 Depth=1
	global_load_dword v2, v[36:37], off
	s_waitcnt vmcnt(0)
	v_mad_i64_i32 v[2:3], s[0:1], v2, s43, 0
	v_lshl_add_u64 v[38:39], v[2:3], 1, v[34:35]
	global_load_dword v55, v[38:39], off offset:256
	global_load_dword v59, v[38:39], off offset:512
	;; [unrolled: 1-line block ×7, first 2 shown]
	global_load_dword v63, v[38:39], off
	ds_read_b128 v[26:29], v43
	ds_read_b128 v[22:25], v43 offset:16
	ds_read_b128 v[18:21], v43 offset:32
	;; [unrolled: 1-line block ×7, first 2 shown]
	global_load_dword v89, v[38:39], off offset:2048
	global_load_dword v90, v[38:39], off offset:2304
	;; [unrolled: 1-line block ×6, first 2 shown]
	v_cmp_lt_i32_e64 s[0:1], v52, v51
	s_waitcnt lgkmcnt(6)
	v_lshlrev_b32_e32 v69, 16, v22
	v_and_b32_e32 v93, 0xffff0000, v22
	v_cndmask_b32_e64 v64, v50, v52, s[0:1]
	v_add_co_u32_e64 v22, s[0:1], s44, v38
	v_lshlrev_b32_e32 v70, 16, v23
	v_and_b32_e32 v94, 0xffff0000, v23
	global_load_dword v97, v[38:39], off offset:3584
	global_load_dword v98, v[38:39], off offset:3840
	v_addc_co_u32_e64 v23, s[0:1], 0, v39, s[0:1]
	global_load_dword v38, v[22:23], off
	global_load_dword v39, v[22:23], off offset:256
	global_load_dword v99, v[22:23], off offset:512
	;; [unrolled: 1-line block ×4, first 2 shown]
	v_lshlrev_b32_e32 v66, 16, v27
	v_lshlrev_b32_e32 v65, 16, v26
	v_and_b32_e32 v27, 0xffff0000, v27
	v_lshlrev_b32_e32 v67, 16, v28
	v_and_b32_e32 v26, 0xffff0000, v26
	;; [unrolled: 2-line block ×3, first 2 shown]
	v_and_b32_e32 v29, 0xffff0000, v29
	v_lshlrev_b32_e32 v71, 16, v24
	v_and_b32_e32 v24, 0xffff0000, v24
	v_lshlrev_b32_e32 v72, 16, v25
	v_and_b32_e32 v25, 0xffff0000, v25
	s_waitcnt lgkmcnt(5)
	v_lshlrev_b32_e32 v73, 16, v18
	v_and_b32_e32 v18, 0xffff0000, v18
	v_lshlrev_b32_e32 v74, 16, v19
	v_and_b32_e32 v19, 0xffff0000, v19
	v_lshlrev_b32_e32 v75, 16, v20
	v_and_b32_e32 v20, 0xffff0000, v20
	v_lshlrev_b32_e32 v76, 16, v21
	v_and_b32_e32 v21, 0xffff0000, v21
	s_waitcnt lgkmcnt(4)
	v_lshlrev_b32_e32 v77, 16, v14
	v_and_b32_e32 v14, 0xffff0000, v14
	v_lshlrev_b32_e32 v78, 16, v15
	;; [unrolled: 9-line block ×5, first 2 shown]
	v_cmp_lt_i32_e64 s[0:1], v53, v51
	s_waitcnt vmcnt(20)
	v_lshlrev_b32_e32 v103, 16, v55
	v_mul_f32_e32 v66, v66, v103
	v_and_b32_e32 v55, 0xffff0000, v55
	v_mul_f32_e32 v27, v27, v55
	s_waitcnt vmcnt(19)
	v_lshlrev_b32_e32 v55, 16, v59
	v_and_b32_e32 v59, 0xffff0000, v59
	s_waitcnt vmcnt(13)
	v_lshlrev_b32_e32 v104, 16, v63
	v_fmac_f32_e32 v66, v65, v104
	global_load_dword v65, v[22:23], off offset:1280
	global_load_dword v103, v[22:23], off offset:1536
	global_load_dword v104, v[22:23], off offset:1792
	v_and_b32_e32 v63, 0xffff0000, v63
	v_fmac_f32_e32 v27, v26, v63
	v_lshlrev_b32_e32 v26, 16, v57
	v_fmac_f32_e32 v66, v67, v55
	v_fmac_f32_e32 v27, v28, v59
	;; [unrolled: 1-line block ×3, first 2 shown]
	global_load_dword v26, v[22:23], off offset:2048
	global_load_dword v28, v[22:23], off offset:2304
	;; [unrolled: 1-line block ×7, first 2 shown]
	s_nop 0
	global_load_dword v22, v[22:23], off offset:3840
	v_and_b32_e32 v23, 0xffff0000, v57
	v_fmac_f32_e32 v27, v29, v23
	v_lshlrev_b32_e32 v23, 16, v58
	v_and_b32_e32 v29, 0xffff0000, v58
	v_lshlrev_b32_e32 v57, 16, v60
	v_and_b32_e32 v58, 0xffff0000, v60
	v_fmac_f32_e32 v66, v69, v23
	v_fmac_f32_e32 v27, v93, v29
	v_lshlrev_b32_e32 v23, 16, v61
	v_and_b32_e32 v60, 0xffff0000, v61
	v_fmac_f32_e32 v66, v70, v57
	v_fmac_f32_e32 v27, v94, v58
	;; [unrolled: 4-line block ×3, first 2 shown]
	s_waitcnt vmcnt(23)
	v_lshlrev_b32_e32 v29, 16, v89
	v_and_b32_e32 v69, 0xffff0000, v89
	v_fmac_f32_e32 v66, v72, v61
	v_fmac_f32_e32 v27, v25, v62
	s_waitcnt vmcnt(22)
	v_lshlrev_b32_e32 v89, 16, v90
	v_and_b32_e32 v90, 0xffff0000, v90
	v_fmac_f32_e32 v66, v73, v29
	v_fmac_f32_e32 v27, v18, v69
	;; [unrolled: 5-line block ×13, first 2 shown]
	v_fmac_f32_e32 v66, v85, v25
	v_fmac_f32_e32 v27, v2, v62
	s_waitcnt vmcnt(10)
	v_lshlrev_b32_e32 v2, 16, v65
	v_and_b32_e32 v10, 0xffff0000, v65
	v_fmac_f32_e32 v66, v86, v2
	v_fmac_f32_e32 v27, v3, v10
	s_waitcnt vmcnt(9)
	v_lshlrev_b32_e32 v2, 16, v103
	v_and_b32_e32 v3, 0xffff0000, v103
	;; [unrolled: 5-line block ×4, first 2 shown]
	v_fmac_f32_e32 v66, v102, v2
	v_fmac_f32_e32 v27, v6, v3
	v_lshlrev_b32_e32 v2, 16, v7
	v_and_b32_e32 v3, 0xffff0000, v7
	s_waitcnt vmcnt(6)
	v_lshlrev_b32_e32 v4, 16, v28
	v_and_b32_e32 v5, 0xffff0000, v28
	v_fmac_f32_e32 v66, v4, v2
	v_fmac_f32_e32 v27, v5, v3
	v_lshlrev_b32_e32 v2, 16, v8
	v_and_b32_e32 v3, 0xffff0000, v8
	s_waitcnt vmcnt(5)
	v_lshlrev_b32_e32 v4, 16, v55
	v_and_b32_e32 v5, 0xffff0000, v55
	;; [unrolled: 7-line block ×3, first 2 shown]
	v_fmac_f32_e32 v66, v4, v2
	v_fmac_f32_e32 v27, v5, v3
	s_waitcnt lgkmcnt(0)
	v_lshlrev_b32_e32 v2, 16, v30
	v_and_b32_e32 v3, 0xffff0000, v30
	s_waitcnt vmcnt(3)
	v_lshlrev_b32_e32 v4, 16, v63
	v_and_b32_e32 v5, 0xffff0000, v63
	v_fmac_f32_e32 v66, v4, v2
	v_fmac_f32_e32 v27, v5, v3
	v_lshlrev_b32_e32 v2, 16, v31
	v_and_b32_e32 v3, 0xffff0000, v31
	s_waitcnt vmcnt(2)
	v_lshlrev_b32_e32 v4, 16, v67
	v_and_b32_e32 v5, 0xffff0000, v67
	v_fmac_f32_e32 v66, v4, v2
	v_fmac_f32_e32 v27, v5, v3
	v_lshlrev_b32_e32 v2, 16, v32
	v_and_b32_e32 v3, 0xffff0000, v32
	s_waitcnt vmcnt(1)
	v_lshlrev_b32_e32 v4, 16, v68
	v_and_b32_e32 v5, 0xffff0000, v68
	v_fmac_f32_e32 v66, v4, v2
	v_fmac_f32_e32 v27, v5, v3
	v_lshlrev_b32_e32 v2, 16, v33
	v_and_b32_e32 v3, 0xffff0000, v33
	s_waitcnt vmcnt(0)
	v_lshlrev_b32_e32 v4, 16, v22
	v_and_b32_e32 v5, 0xffff0000, v22
	v_fmac_f32_e32 v66, v4, v2
	v_fmac_f32_e32 v27, v5, v3
	v_add_f32_e32 v2, v66, v27
	ds_bpermute_b32 v3, v64, v2
	v_cndmask_b32_e64 v4, v50, v53, s[0:1]
	v_lshlrev_b32_e32 v4, 2, v4
	s_waitcnt lgkmcnt(0)
	v_add_f32_e32 v2, v2, v3
	ds_bpermute_b32 v3, v4, v2
	s_and_saveexec_b64 s[38:39], vcc
	s_cbranch_execz .LBB134_11
; %bb.19:                               ;   in Loop: Header=BB134_13 Depth=1
	v_add_u32_e32 v4, v47, v46
	v_cvt_f32_i32_e32 v4, v4
	s_waitcnt lgkmcnt(0)
	v_add_f32_e32 v2, v2, v3
	v_add_u32_e32 v5, v42, v46
	v_cmp_gt_i32_e64 s[0:1], s33, v5
	v_mul_f32_e32 v3, s42, v4
	v_cndmask_b32_e64 v3, 0, v3, s[2:3]
	v_fmac_f32_e32 v3, s31, v2
	v_cndmask_b32_e64 v2, 0, v3, s[0:1]
	ds_write_b32 v48, v2
	v_max_f32_e32 v2, v44, v44
	v_max_f32_e32 v2, v2, v3
	v_cndmask_b32_e64 v44, v44, v2, s[0:1]
	s_branch .LBB134_11
.LBB134_20:
	s_or_b64 exec, exec, s[36:37]
.LBB134_21:
	s_or_b64 exec, exec, s[34:35]
	v_mbcnt_hi_u32_b32 v2, -1, v41
	v_and_b32_e32 v10, 64, v2
	s_waitcnt lgkmcnt(0)
	v_add_u32_e32 v3, 64, v10
	v_xor_b32_e32 v4, 32, v2
	v_cmp_lt_i32_e32 vcc, v4, v3
	v_xor_b32_e32 v7, 16, v2
	v_max_f32_e32 v6, v44, v44
	v_cndmask_b32_e32 v4, v2, v4, vcc
	v_lshlrev_b32_e32 v4, 2, v4
	ds_bpermute_b32 v5, v4, v44
	v_cmp_lt_i32_e32 vcc, v7, v3
	v_xor_b32_e32 v8, 8, v2
	v_xor_b32_e32 v9, 4, v2
	v_and_b32_e32 v57, 63, v0
	s_waitcnt lgkmcnt(0)
	v_max_f32_e32 v5, v5, v5
	v_max_f32_e32 v6, v6, v5
	v_cndmask_b32_e32 v5, v2, v7, vcc
	v_lshlrev_b32_e32 v5, 2, v5
	ds_bpermute_b32 v7, v5, v6
	v_cmp_lt_i32_e32 vcc, v8, v3
	s_waitcnt lgkmcnt(0)
	v_max_f32_e32 v7, v7, v7
	v_max_f32_e32 v6, v6, v7
	v_cndmask_b32_e32 v7, v2, v8, vcc
	v_lshlrev_b32_e32 v8, 2, v7
	ds_bpermute_b32 v7, v8, v6
	v_cmp_lt_i32_e32 vcc, v9, v3
	s_waitcnt lgkmcnt(0)
	v_max_f32_e32 v7, v7, v7
	v_max_f32_e32 v7, v6, v7
	v_cndmask_b32_e32 v6, v2, v9, vcc
	v_lshlrev_b32_e32 v9, 2, v6
	ds_bpermute_b32 v11, v9, v7
	v_cmp_eq_u32_e32 vcc, 0, v57
	v_lshlrev_b32_e32 v6, 2, v1
	s_and_saveexec_b64 s[0:1], vcc
	s_cbranch_execz .LBB134_23
; %bb.22:
	s_waitcnt lgkmcnt(0)
	v_max_f32_e32 v11, v11, v11
	v_max_f32_e32 v7, v7, v7
	;; [unrolled: 1-line block ×3, first 2 shown]
	ds_write_b32 v6, v7 offset:512
.LBB134_23:
	s_or_b64 exec, exec, s[0:1]
	v_cmp_gt_u32_e64 s[0:1], 2, v57
	s_waitcnt lgkmcnt(0)
	v_mov_b32_e32 v11, 0xff7fffff
	v_lshlrev_b32_e32 v7, 2, v57
	s_barrier
	s_and_saveexec_b64 s[2:3], s[0:1]
; %bb.24:
	ds_read_b32 v11, v7 offset:512
; %bb.25:
	s_or_b64 exec, exec, s[2:3]
	v_xor_b32_e32 v12, 1, v2
	v_cmp_lt_i32_e64 s[2:3], v12, v3
	v_lshlrev_b32_e32 v10, 2, v10
	s_nop 0
	v_cndmask_b32_e64 v12, v2, v12, s[2:3]
	v_lshlrev_b32_e32 v58, 2, v12
	s_waitcnt lgkmcnt(0)
	ds_bpermute_b32 v12, v58, v11
	v_max_f32_e32 v11, v11, v11
	s_lshl_b32 s2, s16, 4
	s_min_i32 s15, s2, s33
	v_cmp_gt_i32_e64 s[2:3], s15, v0
	s_waitcnt lgkmcnt(0)
	v_max_f32_e32 v12, v12, v12
	v_max_f32_e32 v11, v11, v12
	ds_bpermute_b32 v11, v10, v11
	v_mov_b32_e32 v10, 0
	s_and_saveexec_b64 s[30:31], s[2:3]
	s_cbranch_execz .LBB134_29
; %bb.26:
	v_mov_b32_e32 v10, 0x210
	v_lshl_add_u32 v12, v0, 2, v10
	v_mov_b32_e32 v10, 0
	s_mov_b64 s[34:35], 0
	v_mov_b32_e32 v13, v0
.LBB134_27:                             ; =>This Inner Loop Header: Depth=1
	ds_read_b32 v14, v12
	v_add_u32_e32 v13, 0x80, v13
	v_cmp_le_i32_e64 s[8:9], s15, v13
	s_or_b64 s[34:35], s[8:9], s[34:35]
	s_waitcnt lgkmcnt(0)
	v_sub_f32_e32 v14, v14, v11
	v_mul_f32_e32 v14, 0x3fb8aa3b, v14
	v_exp_f32_e32 v14, v14
	ds_write_b32 v12, v14
	v_add_f32_e32 v10, v10, v14
	v_add_u32_e32 v12, 0x200, v12
	s_andn2_b64 exec, exec, s[34:35]
	s_cbranch_execnz .LBB134_27
; %bb.28:
	s_or_b64 exec, exec, s[34:35]
.LBB134_29:
	s_or_b64 exec, exec, s[30:31]
	ds_bpermute_b32 v4, v4, v10
	s_waitcnt lgkmcnt(0)
	v_add_f32_e32 v4, v10, v4
	ds_bpermute_b32 v5, v5, v4
	s_waitcnt lgkmcnt(0)
	v_add_f32_e32 v4, v4, v5
	ds_bpermute_b32 v5, v8, v4
	v_xor_b32_e32 v8, 2, v2
	v_cmp_lt_i32_e64 s[8:9], v8, v3
	s_waitcnt lgkmcnt(0)
	v_add_f32_e32 v4, v4, v5
	ds_bpermute_b32 v5, v9, v4
	v_cndmask_b32_e64 v3, v2, v8, s[8:9]
	v_lshlrev_b32_e32 v3, 2, v3
	s_waitcnt lgkmcnt(0)
	v_add_f32_e32 v4, v4, v5
	ds_bpermute_b32 v3, v3, v4
	s_waitcnt lgkmcnt(0)
	v_add_f32_e32 v3, v4, v3
	ds_bpermute_b32 v4, v58, v3
	s_waitcnt lgkmcnt(0)
	v_add_f32_e32 v3, v3, v4
	s_and_saveexec_b64 s[8:9], vcc
; %bb.30:
	ds_write_b32 v6, v3 offset:520
; %bb.31:
	s_or_b64 exec, exec, s[8:9]
	s_waitcnt lgkmcnt(0)
	s_barrier
	s_and_saveexec_b64 s[8:9], s[0:1]
; %bb.32:
	ds_read_b32 v3, v7 offset:520
; %bb.33:
	s_or_b64 exec, exec, s[8:9]
	s_waitcnt lgkmcnt(0)
	ds_bpermute_b32 v4, v58, v3
	v_lshlrev_b32_e32 v2, 2, v2
	v_and_b32_e32 v2, 0x100, v2
	s_waitcnt lgkmcnt(0)
	v_add_f32_e32 v3, v3, v4
	ds_bpermute_b32 v2, v2, v3
	s_and_saveexec_b64 s[0:1], s[2:3]
	s_cbranch_execz .LBB134_46
; %bb.34:
	s_waitcnt lgkmcnt(0)
	v_add_f32_e32 v2, 0x358637bd, v2
	v_div_scale_f32 v3, s[2:3], v2, v2, 1.0
	v_rcp_f32_e32 v4, v3
	v_div_scale_f32 v5, vcc, 1.0, v2, 1.0
	s_movk_i32 s2, 0x7f
	v_fma_f32 v6, -v3, v4, 1.0
	v_fmac_f32_e32 v4, v6, v4
	v_mul_f32_e32 v6, v5, v4
	v_fma_f32 v7, -v3, v6, v5
	v_fmac_f32_e32 v6, v7, v4
	v_fma_f32 v3, -v3, v6, v5
	v_div_fmas_f32 v3, v3, v4, v6
	v_xad_u32 v4, v0, -1, s15
	v_div_fixup_f32 v2, v3, v2, 1.0
	v_cmp_lt_u32_e32 vcc, s2, v4
	s_mov_b64 s[8:9], -1
	v_mov_b32_e32 v3, v0
	s_and_saveexec_b64 s[2:3], vcc
	s_cbranch_execz .LBB134_43
; %bb.35:
	v_lshrrev_b32_e32 v4, 7, v4
	v_add_u32_e32 v6, -1, v4
	v_lshrrev_b32_e32 v5, 1, v6
	v_mov_b32_e32 v3, v2
	v_add_u32_e32 v5, 1, v5
	v_cmp_lt_u32_e32 vcc, 13, v6
	v_mov_b32_e32 v8, 0
	s_and_saveexec_b64 s[8:9], vcc
	s_cbranch_execz .LBB134_39
; %bb.36:
	v_mov_b32_e32 v7, 0x210
	v_and_b32_e32 v6, -8, v5
	v_lshl_add_u32 v7, v0, 2, v7
	s_mov_b32 s34, 0
	s_mov_b64 s[30:31], 0
.LBB134_37:                             ; =>This Inner Loop Header: Depth=1
	ds_read2st64_b32 v[8:9], v7 offset1:2
	ds_read2st64_b32 v[10:11], v7 offset0:4 offset1:6
	ds_read2st64_b32 v[12:13], v7 offset0:8 offset1:10
	;; [unrolled: 1-line block ×3, first 2 shown]
	v_add_u32_e32 v6, -8, v6
	s_waitcnt lgkmcnt(3)
	v_pk_mul_f32 v[8:9], v[2:3], v[8:9]
	s_waitcnt lgkmcnt(2)
	v_pk_mul_f32 v[10:11], v[2:3], v[10:11]
	ds_write2st64_b32 v7, v8, v9 offset1:2
	ds_write2st64_b32 v7, v10, v11 offset0:4 offset1:6
	ds_read2st64_b32 v[10:11], v7 offset0:16 offset1:18
	s_waitcnt lgkmcnt(4)
	v_pk_mul_f32 v[8:9], v[2:3], v[12:13]
	ds_write2st64_b32 v7, v8, v9 offset0:8 offset1:10
	s_waitcnt lgkmcnt(4)
	v_pk_mul_f32 v[8:9], v[2:3], v[14:15]
	ds_write2st64_b32 v7, v8, v9 offset0:12 offset1:14
	ds_read2st64_b32 v[8:9], v7 offset0:20 offset1:22
	s_waitcnt lgkmcnt(3)
	v_pk_mul_f32 v[10:11], v[2:3], v[10:11]
	ds_read2st64_b32 v[12:13], v7 offset0:24 offset1:26
	ds_write2st64_b32 v7, v10, v11 offset0:16 offset1:18
	ds_read2st64_b32 v[10:11], v7 offset0:28 offset1:30
	s_waitcnt lgkmcnt(3)
	v_pk_mul_f32 v[8:9], v[2:3], v[8:9]
	ds_write2st64_b32 v7, v8, v9 offset0:20 offset1:22
	s_waitcnt lgkmcnt(3)
	v_pk_mul_f32 v[8:9], v[2:3], v[12:13]
	ds_write2st64_b32 v7, v8, v9 offset0:24 offset1:26
	s_waitcnt lgkmcnt(2)
	v_pk_mul_f32 v[8:9], v[2:3], v[10:11]
	s_add_i32 s34, s34, 16
	v_cmp_eq_u32_e32 vcc, 0, v6
	ds_write2st64_b32 v7, v8, v9 offset0:28 offset1:30
	v_add_u32_e32 v7, 0x2000, v7
	s_or_b64 s[30:31], vcc, s[30:31]
	v_mov_b32_e32 v8, s34
	s_andn2_b64 exec, exec, s[30:31]
	s_cbranch_execnz .LBB134_37
; %bb.38:
	s_or_b64 exec, exec, s[30:31]
.LBB134_39:
	s_or_b64 exec, exec, s[8:9]
	v_and_b32_e32 v5, 7, v5
	v_cmp_ne_u32_e32 vcc, 0, v5
	s_and_saveexec_b64 s[8:9], vcc
	s_cbranch_execz .LBB134_42
; %bb.40:
	v_lshlrev_b32_e32 v6, 9, v8
	v_lshlrev_b32_e32 v7, 2, v0
	s_movk_i32 s30, 0x210
	v_add3_u32 v6, v6, v7, s30
	s_mov_b64 s[30:31], 0
.LBB134_41:                             ; =>This Inner Loop Header: Depth=1
	ds_read2st64_b32 v[8:9], v6 offset1:2
	v_add_u32_e32 v5, -1, v5
	v_cmp_eq_u32_e32 vcc, 0, v5
	s_or_b64 s[30:31], vcc, s[30:31]
	s_waitcnt lgkmcnt(0)
	v_pk_mul_f32 v[8:9], v[2:3], v[8:9]
	ds_write2st64_b32 v6, v8, v9 offset1:2
	v_add_u32_e32 v6, 0x400, v6
	s_andn2_b64 exec, exec, s[30:31]
	s_cbranch_execnz .LBB134_41
.LBB134_42:
	s_or_b64 exec, exec, s[8:9]
	v_add_u32_e32 v4, 1, v4
	v_and_b32_e32 v5, 0x3fffffe, v4
	v_cmp_ne_u32_e32 vcc, v4, v5
	v_lshl_add_u32 v3, v5, 7, v0
	s_orn2_b64 s[8:9], vcc, exec
.LBB134_43:
	s_or_b64 exec, exec, s[2:3]
	s_and_b64 exec, exec, s[8:9]
	s_cbranch_execz .LBB134_46
; %bb.44:
	v_mov_b32_e32 v4, 0x210
	v_lshl_add_u32 v4, v3, 2, v4
	s_mov_b64 s[2:3], 0
.LBB134_45:                             ; =>This Inner Loop Header: Depth=1
	ds_read_b32 v5, v4
	v_add_u32_e32 v3, 0x80, v3
	v_cmp_le_i32_e32 vcc, s15, v3
	s_or_b64 s[2:3], vcc, s[2:3]
	s_waitcnt lgkmcnt(0)
	v_mul_f32_e32 v5, v2, v5
	ds_write_b32 v4, v5
	v_add_u32_e32 v4, 0x200, v4
	s_andn2_b64 exec, exec, s[2:3]
	s_cbranch_execnz .LBB134_45
.LBB134_46:
	s_or_b64 exec, exec, s[0:1]
	v_mov_b32_e32 v43, 0
	v_and_b32_e32 v59, 1, v0
	v_mov_b32_e32 v42, v43
	v_mov_b32_e32 v45, v43
	;; [unrolled: 1-line block ×7, first 2 shown]
	s_waitcnt lgkmcnt(0)
	s_barrier
	s_and_saveexec_b64 s[8:9], s[6:7]
	s_cbranch_execz .LBB134_68
; %bb.47:
	s_ashr_i32 s15, s14, 31
	s_sub_i32 s17, s12, s17
	s_lshl_b64 s[0:1], s[14:15], 1
	s_add_u32 s0, s28, s0
	s_addc_u32 s1, s29, s1
	s_abs_i32 s18, s18
	v_cvt_f32_u32_e32 v3, s18
	v_lshlrev_b32_e32 v2, 3, v0
	v_and_b32_e32 v60, 8, v2
	v_mov_b32_e32 v51, 0
	v_rcp_iflag_f32_e32 v2, v3
	v_lshlrev_b32_e32 v3, 4, v0
	v_and_b32_e32 v50, 0x3f0, v3
	v_lshl_add_u64 v[52:53], s[0:1], 0, v[50:51]
	v_mul_f32_e32 v2, 0x4f7ffffe, v2
	v_cvt_u32_f32_e32 v2, v2
	s_sub_i32 s0, 0, s18
	s_add_i32 s29, s16, -1
	v_and_b32_e32 v50, 60, v40
	v_mul_lo_u32 v3, s0, v2
	v_mul_hi_u32 v3, v2, v3
	s_lshl_b64 s[0:1], s[26:27], 2
	v_add_u32_e32 v61, v2, v3
	s_add_u32 s0, s24, s0
	v_lshlrev_b32_e32 v2, 5, v59
	s_addc_u32 s1, s25, s1
	v_lshl_or_b32 v2, v1, 6, v2
	s_mov_b32 s28, s13
	s_mov_b32 s30, s33
	v_lshl_add_u64 v[54:55], s[0:1], 0, v[50:51]
	v_add_u32_e32 v50, 0x210, v2
	s_mov_b64 s[6:7], 0
	s_mov_b32 s24, 0x5040100
	v_mov_b32_e32 v48, 0
	v_mov_b32_e32 v49, 0
	;; [unrolled: 1-line block ×8, first 2 shown]
	s_branch .LBB134_50
.LBB134_48:                             ;   in Loop: Header=BB134_50 Depth=1
	s_or_b64 exec, exec, s[2:3]
	s_waitcnt lgkmcnt(1)
	v_cvt_pk_bf16_f32 v19, v19, s0
	s_waitcnt lgkmcnt(0)
	v_cvt_pk_bf16_f32 v62, v14, s0
	v_cvt_pk_bf16_f32 v63, v15, s0
	s_waitcnt vmcnt(1)
	v_and_b32_e32 v15, 0xffff0000, v38
	v_lshlrev_b32_e32 v14, 16, v19
	v_cvt_pk_bf16_f32 v18, v18, s0
	v_mul_f32_e32 v15, v14, v15
	v_cvt_pk_bf16_f32 v65, v15, s0
	v_lshlrev_b32_e32 v15, 16, v38
	v_lshlrev_b32_e32 v18, 16, v18
	v_cvt_pk_bf16_f32 v21, v21, s0
	v_mul_f32_e32 v15, v18, v15
	v_cvt_pk_bf16_f32 v64, v16, s0
	v_cvt_pk_bf16_f32 v38, v15, s0
	v_and_b32_e32 v16, 0xffff0000, v39
	v_lshlrev_b32_e32 v15, 16, v21
	v_cvt_pk_bf16_f32 v20, v20, s0
	v_mul_f32_e32 v16, v15, v16
	v_cvt_pk_bf16_f32 v66, v16, s0
	v_lshlrev_b32_e32 v16, 16, v39
	v_lshlrev_b32_e32 v19, 16, v20
	v_mul_f32_e32 v16, v19, v16
	v_cvt_pk_bf16_f32 v39, v16, s0
	v_and_b32_e32 v20, 0xffff0000, v40
	v_lshlrev_b32_e32 v16, 16, v63
	v_mul_f32_e32 v20, v16, v20
	v_cvt_pk_bf16_f32 v63, v20, s0
	v_lshlrev_b32_e32 v21, 16, v40
	v_lshlrev_b32_e32 v20, 16, v62
	v_cvt_pk_bf16_f32 v17, v17, s0
	v_mul_f32_e32 v21, v20, v21
	v_cvt_pk_bf16_f32 v40, v21, s0
	v_and_b32_e32 v21, 0xffff0000, v41
	v_lshlrev_b32_e32 v17, 16, v17
	v_mul_f32_e32 v21, v17, v21
	v_cvt_pk_bf16_f32 v62, v21, s0
	v_lshlrev_b32_e32 v21, 16, v64
	v_lshlrev_b32_e32 v38, 16, v38
	;; [unrolled: 1-line block ×3, first 2 shown]
	v_add_f32_e32 v38, v38, v64
	v_lshlrev_b32_e32 v39, 16, v39
	v_lshlrev_b32_e32 v64, 16, v66
	;; [unrolled: 1-line block ×3, first 2 shown]
	v_add_f32_e32 v39, v39, v64
	v_mul_f32_e32 v41, v21, v41
	v_add_f32_e32 v38, v39, v38
	v_lshlrev_b32_e32 v39, 16, v40
	v_lshlrev_b32_e32 v40, 16, v63
	v_cvt_pk_bf16_f32 v41, v41, s0
	v_add_f32_e32 v39, v39, v40
	v_add_f32_e32 v38, v39, v38
	v_lshlrev_b32_e32 v39, 16, v41
	v_lshlrev_b32_e32 v40, 16, v62
	v_add_f32_e32 v39, v39, v40
	v_add_f32_e32 v38, v39, v38
	v_add_f32_e32 v42, v42, v38
	v_and_b32_e32 v38, 0xffff0000, v34
	v_lshlrev_b32_e32 v34, 16, v34
	v_mul_f32_e32 v38, v14, v38
	v_mul_f32_e32 v34, v18, v34
	v_and_b32_e32 v39, 0xffff0000, v35
	v_lshlrev_b32_e32 v35, 16, v35
	v_cvt_pk_bf16_f32 v38, v38, s0
	v_cvt_pk_bf16_f32 v34, v34, s0
	v_mul_f32_e32 v39, v15, v39
	v_mul_f32_e32 v35, v19, v35
	v_cvt_pk_bf16_f32 v39, v39, s0
	v_cvt_pk_bf16_f32 v35, v35, s0
	v_and_b32_e32 v40, 0xffff0000, v36
	v_lshlrev_b32_e32 v36, 16, v36
	v_lshlrev_b32_e32 v34, 16, v34
	v_lshlrev_b32_e32 v38, 16, v38
	v_mul_f32_e32 v40, v16, v40
	v_mul_f32_e32 v36, v20, v36
	v_add_f32_e32 v34, v34, v38
	v_lshlrev_b32_e32 v35, 16, v35
	v_lshlrev_b32_e32 v38, 16, v39
	v_cvt_pk_bf16_f32 v40, v40, s0
	v_cvt_pk_bf16_f32 v36, v36, s0
	v_and_b32_e32 v41, 0xffff0000, v37
	v_lshlrev_b32_e32 v37, 16, v37
	v_add_f32_e32 v35, v35, v38
	v_mul_f32_e32 v41, v17, v41
	v_mul_f32_e32 v37, v21, v37
	v_add_f32_e32 v34, v35, v34
	v_lshlrev_b32_e32 v35, 16, v36
	v_lshlrev_b32_e32 v36, 16, v40
	v_cvt_pk_bf16_f32 v41, v41, s0
	v_cvt_pk_bf16_f32 v37, v37, s0
	v_add_f32_e32 v35, v35, v36
	v_add_f32_e32 v34, v35, v34
	v_lshlrev_b32_e32 v35, 16, v37
	v_lshlrev_b32_e32 v36, 16, v41
	v_add_f32_e32 v35, v35, v36
	v_add_f32_e32 v34, v35, v34
	v_add_f32_e32 v45, v45, v34
	v_and_b32_e32 v34, 0xffff0000, v30
	v_lshlrev_b32_e32 v30, 16, v30
	v_mul_f32_e32 v34, v14, v34
	v_mul_f32_e32 v30, v18, v30
	v_and_b32_e32 v35, 0xffff0000, v31
	v_lshlrev_b32_e32 v31, 16, v31
	v_cvt_pk_bf16_f32 v34, v34, s0
	v_cvt_pk_bf16_f32 v30, v30, s0
	v_mul_f32_e32 v35, v15, v35
	v_mul_f32_e32 v31, v19, v31
	v_cvt_pk_bf16_f32 v35, v35, s0
	v_cvt_pk_bf16_f32 v31, v31, s0
	v_and_b32_e32 v36, 0xffff0000, v32
	v_lshlrev_b32_e32 v32, 16, v32
	v_lshlrev_b32_e32 v30, 16, v30
	v_lshlrev_b32_e32 v34, 16, v34
	v_mul_f32_e32 v36, v16, v36
	v_mul_f32_e32 v32, v20, v32
	v_add_f32_e32 v30, v30, v34
	v_lshlrev_b32_e32 v31, 16, v31
	v_lshlrev_b32_e32 v34, 16, v35
	v_cvt_pk_bf16_f32 v36, v36, s0
	v_cvt_pk_bf16_f32 v32, v32, s0
	v_and_b32_e32 v37, 0xffff0000, v33
	v_lshlrev_b32_e32 v33, 16, v33
	v_add_f32_e32 v31, v31, v34
	v_mul_f32_e32 v37, v17, v37
	v_mul_f32_e32 v33, v21, v33
	v_add_f32_e32 v30, v31, v30
	v_lshlrev_b32_e32 v31, 16, v32
	v_lshlrev_b32_e32 v32, 16, v36
	v_cvt_pk_bf16_f32 v37, v37, s0
	;; [unrolled: 40-line block ×5, first 2 shown]
	v_cvt_pk_bf16_f32 v9, v9, s0
	v_add_f32_e32 v7, v7, v8
	v_add_f32_e32 v6, v7, v6
	v_lshlrev_b32_e32 v7, 16, v9
	v_lshlrev_b32_e32 v8, 16, v13
	v_add_f32_e32 v7, v7, v8
	v_add_f32_e32 v6, v7, v6
	;; [unrolled: 1-line block ×3, first 2 shown]
	v_and_b32_e32 v6, 0xffff0000, v2
	v_lshlrev_b32_e32 v2, 16, v2
	v_mul_f32_e32 v6, v14, v6
	v_mul_f32_e32 v2, v18, v2
	v_and_b32_e32 v7, 0xffff0000, v3
	v_lshlrev_b32_e32 v3, 16, v3
	v_cvt_pk_bf16_f32 v6, v6, s0
	v_cvt_pk_bf16_f32 v2, v2, s0
	v_mul_f32_e32 v7, v15, v7
	v_mul_f32_e32 v3, v19, v3
	v_cvt_pk_bf16_f32 v7, v7, s0
	v_cvt_pk_bf16_f32 v3, v3, s0
	v_and_b32_e32 v8, 0xffff0000, v4
	v_lshlrev_b32_e32 v4, 16, v4
	v_lshlrev_b32_e32 v2, 16, v2
	;; [unrolled: 1-line block ×3, first 2 shown]
	v_mul_f32_e32 v8, v16, v8
	v_mul_f32_e32 v4, v20, v4
	v_add_f32_e32 v2, v2, v6
	v_lshlrev_b32_e32 v3, 16, v3
	v_lshlrev_b32_e32 v6, 16, v7
	v_cvt_pk_bf16_f32 v8, v8, s0
	v_cvt_pk_bf16_f32 v4, v4, s0
	v_and_b32_e32 v9, 0xffff0000, v5
	v_lshlrev_b32_e32 v5, 16, v5
	v_add_f32_e32 v3, v3, v6
	v_mul_f32_e32 v5, v21, v5
	v_add_f32_e32 v2, v3, v2
	v_lshlrev_b32_e32 v3, 16, v4
	v_lshlrev_b32_e32 v4, 16, v8
	v_cvt_pk_bf16_f32 v5, v5, s0
	v_add_f32_e32 v3, v3, v4
	v_add_f32_e32 v2, v3, v2
	v_lshlrev_b32_e32 v3, 16, v5
	s_waitcnt vmcnt(0)
	v_and_b32_e32 v5, 0xffff0000, v27
	v_mul_f32_e32 v5, v15, v5
	v_mul_f32_e32 v9, v17, v9
	v_cvt_pk_bf16_f32 v6, v5, s0
	v_lshlrev_b32_e32 v5, 16, v28
	v_cvt_pk_bf16_f32 v9, v9, s0
	v_mul_f32_e32 v5, v20, v5
	v_lshlrev_b32_e32 v4, 16, v9
	v_cvt_pk_bf16_f32 v7, v5, s0
	v_and_b32_e32 v5, 0xffff0000, v28
	v_add_f32_e32 v3, v3, v4
	v_mul_f32_e32 v5, v16, v5
	v_add_f32_e32 v2, v3, v2
	v_cvt_pk_bf16_f32 v8, v5, s0
	v_lshlrev_b32_e32 v5, 16, v29
	v_add_f32_e32 v48, v48, v2
	v_lshlrev_b32_e32 v2, 16, v26
	v_and_b32_e32 v3, 0xffff0000, v26
	v_lshlrev_b32_e32 v4, 16, v27
	v_mul_f32_e32 v5, v21, v5
	v_mul_f32_e32 v2, v18, v2
	;; [unrolled: 1-line block ×4, first 2 shown]
	v_cvt_pk_bf16_f32 v9, v5, s0
	v_and_b32_e32 v5, 0xffff0000, v29
	v_cvt_pk_bf16_f32 v2, v2, s0
	v_cvt_pk_bf16_f32 v3, v3, s0
	;; [unrolled: 1-line block ×3, first 2 shown]
	v_mul_f32_e32 v5, v17, v5
	v_cvt_pk_bf16_f32 v10, v5, s0
	v_lshlrev_b32_e32 v3, 16, v3
	v_lshlrev_b32_e32 v5, 16, v2
	v_lshlrev_b32_e32 v2, 16, v6
	v_lshlrev_b32_e32 v4, 16, v4
	v_pk_add_f32 v[2:3], v[4:5], v[2:3]
	v_lshlrev_b32_e32 v5, 16, v8
	v_lshlrev_b32_e32 v7, 16, v7
	;; [unrolled: 1-line block ×4, first 2 shown]
	v_pk_add_f32 v[4:5], v[6:7], v[4:5]
	v_add_f32_e32 v2, v2, v3
	v_add_f32_e32 v2, v5, v2
	;; [unrolled: 1-line block ×4, first 2 shown]
.LBB134_49:                             ;   in Loop: Header=BB134_50 Depth=1
	s_or_b64 exec, exec, s[12:13]
	v_add_u32_e32 v1, 2, v1
	v_cmp_le_i32_e32 vcc, s16, v1
	v_lshl_add_u64 v[54:55], v[54:55], 0, 8
	v_add_u32_e32 v56, 32, v56
	s_or_b64 s[6:7], vcc, s[6:7]
	v_add_u32_e32 v50, 0x80, v50
	s_andn2_b64 exec, exec, s[6:7]
	s_cbranch_execz .LBB134_67
.LBB134_50:                             ; =>This Inner Loop Header: Depth=1
	v_mul_hi_u32 v2, v56, s40
	v_mul_lo_u32 v3, v2, s21
	v_sub_u32_e32 v3, v56, v3
	v_add_u32_e32 v4, 1, v2
	v_cmp_le_u32_e32 vcc, s21, v3
	s_nop 1
	v_cndmask_b32_e32 v2, v2, v4, vcc
	v_subrev_u32_e32 v4, s21, v3
	v_cndmask_b32_e32 v3, v3, v4, vcc
	v_add_u32_e32 v4, 1, v2
	v_cmp_le_u32_e32 vcc, s21, v3
	s_nop 1
	v_cndmask_b32_e32 v2, v2, v4, vcc
	v_xor_b32_e32 v2, s19, v2
	v_subrev_u32_e32 v2, s19, v2
	v_add_u32_e32 v3, s41, v2
	v_sub_u32_e32 v5, 0, v3
	v_ashrrev_i32_e32 v4, 31, v3
	v_max_i32_e32 v3, v3, v5
	v_mul_hi_u32 v5, v3, v61
	v_mul_lo_u32 v5, v5, s18
	v_sub_u32_e32 v3, v3, v5
	v_subrev_u32_e32 v5, s18, v3
	v_cmp_le_u32_e32 vcc, s18, v3
	v_cmp_lt_i32_e64 s[0:1], s17, v2
	s_nop 0
	v_cndmask_b32_e32 v3, v3, v5, vcc
	v_subrev_u32_e32 v5, s18, v3
	v_cmp_le_u32_e32 vcc, s18, v3
	s_nop 1
	v_cndmask_b32_e32 v3, v3, v5, vcc
	v_xor_b32_e32 v3, v3, v4
	v_sub_u32_e32 v3, v3, v4
	v_cmp_eq_u32_e32 vcc, 0, v3
	s_or_b64 s[0:1], vcc, s[0:1]
	s_and_saveexec_b64 s[12:13], s[0:1]
	s_cbranch_execz .LBB134_49
; %bb.51:                               ;   in Loop: Header=BB134_50 Depth=1
	global_load_dword v2, v[54:55], off
	v_add_u32_e32 v64, v60, v56
	v_add_u32_e32 v69, 1, v64
	v_or_b32_e32 v67, 3, v64
	v_or_b32_e32 v68, 2, v64
	;; [unrolled: 1-line block ×6, first 2 shown]
	s_waitcnt vmcnt(0)
	v_mad_i64_i32 v[2:3], s[0:1], v2, s28, 0
	v_lshl_add_u64 v[26:27], v[2:3], 1, v[52:53]
	global_load_dwordx4 v[2:5], v[26:27], off
	ds_read2_b64 v[18:21], v50 offset1:1
	ds_read2_b64 v[14:17], v50 offset0:2 offset1:3
	v_cmp_eq_u32_e64 s[0:1], s29, v1
	s_and_saveexec_b64 s[14:15], s[0:1]
	s_cbranch_execnz .LBB134_64
; %bb.52:                               ;   in Loop: Header=BB134_50 Depth=1
	s_or_b64 exec, exec, s[14:15]
	global_load_dwordx4 v[6:9], v[26:27], off offset:1024
	s_and_saveexec_b64 s[14:15], s[0:1]
	s_cbranch_execnz .LBB134_65
.LBB134_53:                             ;   in Loop: Header=BB134_50 Depth=1
	s_or_b64 exec, exec, s[14:15]
	global_load_dwordx4 v[10:13], v[26:27], off offset:2048
	s_and_saveexec_b64 s[14:15], s[0:1]
	s_cbranch_execnz .LBB134_66
.LBB134_54:                             ;   in Loop: Header=BB134_50 Depth=1
	s_or_b64 exec, exec, s[14:15]
	global_load_dwordx4 v[22:25], v[26:27], off offset:3072
	s_and_saveexec_b64 s[14:15], s[0:1]
	s_cbranch_execz .LBB134_56
.LBB134_55:                             ;   in Loop: Header=BB134_50 Depth=1
	v_cmp_gt_i32_e32 vcc, s30, v69
	v_cmp_gt_i32_e64 s[2:3], s33, v68
	s_waitcnt vmcnt(0)
	v_cndmask_b32_sdwa v28, v51, v22, vcc dst_sel:DWORD dst_unused:UNUSED_PAD src0_sel:DWORD src1_sel:WORD_1
	v_cmp_gt_i32_e32 vcc, s33, v64
	s_nop 1
	v_cndmask_b32_e32 v22, 0, v22, vcc
	v_cmp_gt_i32_e32 vcc, s30, v67
	v_perm_b32 v22, v28, v22, s24
	v_cndmask_b32_e64 v28, 0, v23, s[2:3]
	v_cndmask_b32_sdwa v23, v51, v23, vcc dst_sel:DWORD dst_unused:UNUSED_PAD src0_sel:DWORD src1_sel:WORD_1
	v_cmp_gt_i32_e32 vcc, s30, v65
	v_cmp_gt_i32_e64 s[2:3], s33, v66
	v_perm_b32 v23, v23, v28, s24
	s_nop 0
	v_cndmask_b32_e64 v28, 0, v24, s[2:3]
	v_cndmask_b32_sdwa v24, v51, v24, vcc dst_sel:DWORD dst_unused:UNUSED_PAD src0_sel:DWORD src1_sel:WORD_1
	v_cmp_gt_i32_e32 vcc, s30, v62
	v_cmp_gt_i32_e64 s[2:3], s33, v63
	v_perm_b32 v24, v24, v28, s24
	s_nop 0
	v_cndmask_b32_e64 v28, 0, v25, s[2:3]
	v_cndmask_b32_sdwa v25, v51, v25, vcc dst_sel:DWORD dst_unused:UNUSED_PAD src0_sel:DWORD src1_sel:WORD_1
	v_perm_b32 v25, v25, v28, s24
.LBB134_56:                             ;   in Loop: Header=BB134_50 Depth=1
	s_or_b64 exec, exec, s[14:15]
	v_add_co_u32_e32 v28, vcc, 0x1000, v26
	s_nop 1
	v_addc_co_u32_e32 v29, vcc, 0, v27, vcc
	global_load_dwordx4 v[30:33], v[28:29], off
	s_and_saveexec_b64 s[14:15], s[0:1]
	s_cbranch_execz .LBB134_58
; %bb.57:                               ;   in Loop: Header=BB134_50 Depth=1
	v_cmp_gt_i32_e32 vcc, s30, v69
	v_cmp_gt_i32_e64 s[2:3], s33, v68
	s_waitcnt vmcnt(0)
	v_cndmask_b32_sdwa v28, v51, v30, vcc dst_sel:DWORD dst_unused:UNUSED_PAD src0_sel:DWORD src1_sel:WORD_1
	v_cmp_gt_i32_e32 vcc, s33, v64
	s_nop 1
	v_cndmask_b32_e32 v29, 0, v30, vcc
	v_cmp_gt_i32_e32 vcc, s30, v67
	v_perm_b32 v30, v28, v29, s24
	v_cndmask_b32_e64 v28, 0, v31, s[2:3]
	v_cndmask_b32_sdwa v29, v51, v31, vcc dst_sel:DWORD dst_unused:UNUSED_PAD src0_sel:DWORD src1_sel:WORD_1
	v_cmp_gt_i32_e32 vcc, s30, v65
	v_cmp_gt_i32_e64 s[2:3], s33, v66
	v_perm_b32 v31, v29, v28, s24
	v_cndmask_b32_sdwa v29, v51, v32, vcc dst_sel:DWORD dst_unused:UNUSED_PAD src0_sel:DWORD src1_sel:WORD_1
	v_cndmask_b32_e64 v28, 0, v32, s[2:3]
	v_cmp_gt_i32_e32 vcc, s30, v62
	v_cmp_gt_i32_e64 s[2:3], s33, v63
	v_perm_b32 v32, v29, v28, s24
	v_cndmask_b32_sdwa v29, v51, v33, vcc dst_sel:DWORD dst_unused:UNUSED_PAD src0_sel:DWORD src1_sel:WORD_1
	v_cndmask_b32_e64 v28, 0, v33, s[2:3]
	v_perm_b32 v33, v29, v28, s24
.LBB134_58:                             ;   in Loop: Header=BB134_50 Depth=1
	s_or_b64 exec, exec, s[14:15]
	v_add_co_u32_e32 v28, vcc, 0x1000, v26
	s_nop 1
	v_addc_co_u32_e32 v29, vcc, 0, v27, vcc
	global_load_dwordx4 v[34:37], v[28:29], off offset:1024
	s_and_saveexec_b64 s[14:15], s[0:1]
	s_cbranch_execz .LBB134_60
; %bb.59:                               ;   in Loop: Header=BB134_50 Depth=1
	v_cmp_gt_i32_e32 vcc, s30, v69
	v_cmp_gt_i32_e64 s[2:3], s33, v68
	s_waitcnt vmcnt(0)
	v_cndmask_b32_sdwa v28, v51, v34, vcc dst_sel:DWORD dst_unused:UNUSED_PAD src0_sel:DWORD src1_sel:WORD_1
	v_cmp_gt_i32_e32 vcc, s33, v64
	s_nop 1
	v_cndmask_b32_e32 v29, 0, v34, vcc
	v_cmp_gt_i32_e32 vcc, s30, v67
	v_perm_b32 v34, v28, v29, s24
	v_cndmask_b32_e64 v28, 0, v35, s[2:3]
	v_cndmask_b32_sdwa v29, v51, v35, vcc dst_sel:DWORD dst_unused:UNUSED_PAD src0_sel:DWORD src1_sel:WORD_1
	v_cmp_gt_i32_e32 vcc, s30, v65
	v_cmp_gt_i32_e64 s[2:3], s33, v66
	v_perm_b32 v35, v29, v28, s24
	v_cndmask_b32_sdwa v29, v51, v36, vcc dst_sel:DWORD dst_unused:UNUSED_PAD src0_sel:DWORD src1_sel:WORD_1
	v_cndmask_b32_e64 v28, 0, v36, s[2:3]
	v_cmp_gt_i32_e32 vcc, s30, v62
	v_cmp_gt_i32_e64 s[2:3], s33, v63
	v_perm_b32 v36, v29, v28, s24
	v_cndmask_b32_sdwa v29, v51, v37, vcc dst_sel:DWORD dst_unused:UNUSED_PAD src0_sel:DWORD src1_sel:WORD_1
	v_cndmask_b32_e64 v28, 0, v37, s[2:3]
	v_perm_b32 v37, v29, v28, s24
.LBB134_60:                             ;   in Loop: Header=BB134_50 Depth=1
	s_or_b64 exec, exec, s[14:15]
	v_add_co_u32_e32 v28, vcc, 0x1000, v26
	s_nop 1
	v_addc_co_u32_e32 v29, vcc, 0, v27, vcc
	global_load_dwordx4 v[38:41], v[28:29], off offset:2048
	;; [unrolled: 31-line block ×3, first 2 shown]
	s_and_saveexec_b64 s[2:3], s[0:1]
	s_cbranch_execz .LBB134_48
; %bb.63:                               ;   in Loop: Header=BB134_50 Depth=1
	v_cmp_gt_i32_e32 vcc, s30, v69
	v_cmp_gt_i32_e64 s[0:1], s33, v68
	s_waitcnt vmcnt(0)
	v_cndmask_b32_sdwa v69, v51, v26, vcc dst_sel:DWORD dst_unused:UNUSED_PAD src0_sel:DWORD src1_sel:WORD_1
	v_cmp_gt_i32_e32 vcc, s33, v64
	v_cndmask_b32_e64 v64, 0, v27, s[0:1]
	v_cmp_gt_i32_e64 s[0:1], s33, v66
	v_cndmask_b32_e32 v26, 0, v26, vcc
	v_cmp_gt_i32_e32 vcc, s30, v67
	v_perm_b32 v26, v69, v26, s24
	s_nop 0
	v_cndmask_b32_sdwa v27, v51, v27, vcc dst_sel:DWORD dst_unused:UNUSED_PAD src0_sel:DWORD src1_sel:WORD_1
	v_cmp_gt_i32_e32 vcc, s30, v65
	v_perm_b32 v27, v27, v64, s24
	v_cndmask_b32_e64 v64, 0, v28, s[0:1]
	v_cndmask_b32_sdwa v28, v51, v28, vcc dst_sel:DWORD dst_unused:UNUSED_PAD src0_sel:DWORD src1_sel:WORD_1
	v_cmp_gt_i32_e32 vcc, s30, v62
	v_cmp_gt_i32_e64 s[0:1], s33, v63
	v_perm_b32 v28, v28, v64, s24
	s_nop 0
	v_cndmask_b32_e64 v62, 0, v29, s[0:1]
	v_cndmask_b32_sdwa v29, v51, v29, vcc dst_sel:DWORD dst_unused:UNUSED_PAD src0_sel:DWORD src1_sel:WORD_1
	v_perm_b32 v29, v29, v62, s24
	s_branch .LBB134_48
.LBB134_64:                             ;   in Loop: Header=BB134_50 Depth=1
	v_cmp_gt_i32_e32 vcc, s30, v69
	v_cmp_gt_i32_e64 s[2:3], s33, v68
	s_waitcnt vmcnt(0)
	v_cndmask_b32_sdwa v6, v51, v2, vcc dst_sel:DWORD dst_unused:UNUSED_PAD src0_sel:DWORD src1_sel:WORD_1
	v_cmp_gt_i32_e32 vcc, s33, v64
	s_nop 1
	v_cndmask_b32_e32 v2, 0, v2, vcc
	v_cmp_gt_i32_e32 vcc, s30, v67
	v_perm_b32 v2, v6, v2, s24
	v_cndmask_b32_e64 v6, 0, v3, s[2:3]
	v_cndmask_b32_sdwa v3, v51, v3, vcc dst_sel:DWORD dst_unused:UNUSED_PAD src0_sel:DWORD src1_sel:WORD_1
	v_cmp_gt_i32_e32 vcc, s30, v65
	v_cmp_gt_i32_e64 s[2:3], s33, v66
	v_perm_b32 v3, v3, v6, s24
	s_nop 0
	v_cndmask_b32_e64 v6, 0, v4, s[2:3]
	v_cndmask_b32_sdwa v4, v51, v4, vcc dst_sel:DWORD dst_unused:UNUSED_PAD src0_sel:DWORD src1_sel:WORD_1
	v_cmp_gt_i32_e32 vcc, s30, v62
	v_cmp_gt_i32_e64 s[2:3], s33, v63
	v_perm_b32 v4, v4, v6, s24
	s_nop 0
	v_cndmask_b32_e64 v6, 0, v5, s[2:3]
	v_cndmask_b32_sdwa v5, v51, v5, vcc dst_sel:DWORD dst_unused:UNUSED_PAD src0_sel:DWORD src1_sel:WORD_1
	v_perm_b32 v5, v5, v6, s24
	s_or_b64 exec, exec, s[14:15]
	global_load_dwordx4 v[6:9], v[26:27], off offset:1024
	s_and_saveexec_b64 s[14:15], s[0:1]
	s_cbranch_execz .LBB134_53
.LBB134_65:                             ;   in Loop: Header=BB134_50 Depth=1
	v_cmp_gt_i32_e32 vcc, s30, v69
	v_cmp_gt_i32_e64 s[2:3], s33, v68
	s_waitcnt vmcnt(0)
	v_cndmask_b32_sdwa v10, v51, v6, vcc dst_sel:DWORD dst_unused:UNUSED_PAD src0_sel:DWORD src1_sel:WORD_1
	v_cmp_gt_i32_e32 vcc, s33, v64
	s_nop 1
	v_cndmask_b32_e32 v6, 0, v6, vcc
	v_cmp_gt_i32_e32 vcc, s30, v67
	v_perm_b32 v6, v10, v6, s24
	v_cndmask_b32_e64 v10, 0, v7, s[2:3]
	v_cndmask_b32_sdwa v7, v51, v7, vcc dst_sel:DWORD dst_unused:UNUSED_PAD src0_sel:DWORD src1_sel:WORD_1
	v_cmp_gt_i32_e32 vcc, s30, v65
	v_cmp_gt_i32_e64 s[2:3], s33, v66
	v_perm_b32 v7, v7, v10, s24
	s_nop 0
	v_cndmask_b32_e64 v10, 0, v8, s[2:3]
	v_cndmask_b32_sdwa v8, v51, v8, vcc dst_sel:DWORD dst_unused:UNUSED_PAD src0_sel:DWORD src1_sel:WORD_1
	v_cmp_gt_i32_e32 vcc, s30, v62
	v_cmp_gt_i32_e64 s[2:3], s33, v63
	v_perm_b32 v8, v8, v10, s24
	s_nop 0
	v_cndmask_b32_e64 v10, 0, v9, s[2:3]
	v_cndmask_b32_sdwa v9, v51, v9, vcc dst_sel:DWORD dst_unused:UNUSED_PAD src0_sel:DWORD src1_sel:WORD_1
	v_perm_b32 v9, v9, v10, s24
	s_or_b64 exec, exec, s[14:15]
	global_load_dwordx4 v[10:13], v[26:27], off offset:2048
	s_and_saveexec_b64 s[14:15], s[0:1]
	s_cbranch_execz .LBB134_54
.LBB134_66:                             ;   in Loop: Header=BB134_50 Depth=1
	v_cmp_gt_i32_e32 vcc, s30, v69
	v_cmp_gt_i32_e64 s[2:3], s33, v68
	s_waitcnt vmcnt(0)
	v_cndmask_b32_sdwa v22, v51, v10, vcc dst_sel:DWORD dst_unused:UNUSED_PAD src0_sel:DWORD src1_sel:WORD_1
	v_cmp_gt_i32_e32 vcc, s33, v64
	s_nop 1
	v_cndmask_b32_e32 v10, 0, v10, vcc
	v_cmp_gt_i32_e32 vcc, s30, v67
	v_perm_b32 v10, v22, v10, s24
	v_cndmask_b32_e64 v22, 0, v11, s[2:3]
	v_cndmask_b32_sdwa v11, v51, v11, vcc dst_sel:DWORD dst_unused:UNUSED_PAD src0_sel:DWORD src1_sel:WORD_1
	v_cmp_gt_i32_e32 vcc, s30, v65
	v_cmp_gt_i32_e64 s[2:3], s33, v66
	v_perm_b32 v11, v11, v22, s24
	s_nop 0
	v_cndmask_b32_e64 v22, 0, v12, s[2:3]
	v_cndmask_b32_sdwa v12, v51, v12, vcc dst_sel:DWORD dst_unused:UNUSED_PAD src0_sel:DWORD src1_sel:WORD_1
	v_cmp_gt_i32_e32 vcc, s30, v62
	v_cmp_gt_i32_e64 s[2:3], s33, v63
	v_perm_b32 v12, v12, v22, s24
	s_nop 0
	v_cndmask_b32_e64 v22, 0, v13, s[2:3]
	v_cndmask_b32_sdwa v13, v51, v13, vcc dst_sel:DWORD dst_unused:UNUSED_PAD src0_sel:DWORD src1_sel:WORD_1
	v_perm_b32 v13, v13, v22, s24
	s_or_b64 exec, exec, s[14:15]
	global_load_dwordx4 v[22:25], v[26:27], off offset:3072
	s_and_saveexec_b64 s[14:15], s[0:1]
	s_cbranch_execnz .LBB134_55
	s_branch .LBB134_56
.LBB134_67:
	s_or_b64 exec, exec, s[6:7]
.LBB134_68:
	s_or_b64 exec, exec, s[8:9]
	ds_bpermute_b32 v2, v58, v48
	ds_bpermute_b32 v3, v58, v49
	;; [unrolled: 1-line block ×6, first 2 shown]
	s_waitcnt lgkmcnt(4)
	v_pk_add_f32 v[6:7], v[48:49], v[2:3]
	v_and_b32_e32 v1, 0x3c1, v0
	s_waitcnt lgkmcnt(2)
	v_pk_add_f32 v[2:3], v[44:45], v[8:9]
	ds_bpermute_b32 v8, v58, v42
	ds_bpermute_b32 v9, v58, v43
	s_waitcnt lgkmcnt(2)
	v_pk_add_f32 v[4:5], v[46:47], v[4:5]
	v_cmp_ne_u32_e32 vcc, 64, v1
	s_waitcnt lgkmcnt(0)
	s_barrier
	s_and_saveexec_b64 s[0:1], vcc
	s_xor_b64 s[0:1], exec, s[0:1]
; %bb.69:
                                        ; implicit-def: $vgpr57
; %bb.70:
	s_or_saveexec_b64 s[0:1], s[0:1]
	v_pk_add_f32 v[8:9], v[42:43], v[8:9]
	s_xor_b64 exec, exec, s[0:1]
	s_cbranch_execz .LBB134_72
; %bb.71:
	v_mov_b32_e32 v10, 0x210
	v_lshl_add_u32 v10, v57, 1, v10
	ds_write2_b32 v10, v6, v7 offset1:32
	ds_write2_b32 v10, v4, v5 offset0:64 offset1:96
	ds_write2_b32 v10, v2, v3 offset0:128 offset1:160
	ds_write2_b32 v10, v8, v9 offset0:192 offset1:224
.LBB134_72:
	s_or_b64 exec, exec, s[0:1]
	v_cmp_gt_u32_e32 vcc, 64, v0
	v_lshrrev_b32_e32 v0, 1, v0
	s_waitcnt lgkmcnt(0)
	s_barrier
	s_and_saveexec_b64 s[0:1], vcc
	s_cbranch_execz .LBB134_83
; %bb.73:
	v_mov_b32_e32 v10, 0x210
	v_cmp_eq_u32_e32 vcc, 0, v59
	v_lshl_add_u32 v10, v0, 2, v10
	s_and_saveexec_b64 s[2:3], vcc
	s_cbranch_execnz .LBB134_86
; %bb.74:
	s_or_b64 exec, exec, s[2:3]
	s_and_saveexec_b64 s[2:3], vcc
	s_cbranch_execnz .LBB134_87
.LBB134_75:
	s_or_b64 exec, exec, s[2:3]
	s_and_saveexec_b64 s[2:3], vcc
	s_cbranch_execnz .LBB134_88
.LBB134_76:
	s_or_b64 exec, exec, s[2:3]
	s_and_saveexec_b64 s[2:3], vcc
	s_cbranch_execnz .LBB134_89
.LBB134_77:
	s_or_b64 exec, exec, s[2:3]
	s_and_saveexec_b64 s[2:3], vcc
	s_cbranch_execnz .LBB134_90
.LBB134_78:
	s_or_b64 exec, exec, s[2:3]
	s_and_saveexec_b64 s[2:3], vcc
	s_cbranch_execnz .LBB134_91
.LBB134_79:
	s_or_b64 exec, exec, s[2:3]
	s_and_saveexec_b64 s[2:3], vcc
	s_cbranch_execnz .LBB134_92
.LBB134_80:
	s_or_b64 exec, exec, s[2:3]
	s_and_saveexec_b64 s[2:3], vcc
	s_cbranch_execz .LBB134_82
.LBB134_81:
	ds_read_b32 v10, v10 offset:896
	s_waitcnt lgkmcnt(0)
	v_add_f32_e32 v9, v9, v10
.LBB134_82:
	s_or_b64 exec, exec, s[2:3]
.LBB134_83:
	s_or_b64 exec, exec, s[0:1]
	v_cmp_eq_u32_e32 vcc, 0, v1
	s_barrier
	s_and_saveexec_b64 s[0:1], vcc
	s_cbranch_execz .LBB134_85
; %bb.84:
	s_mul_i32 s0, s10, s11
	s_mul_i32 s0, s0, s5
	s_lshl_b32 s0, s0, 8
	s_ashr_i32 s1, s0, 31
	s_lshl_b64 s[0:1], s[0:1], 1
	s_add_u32 s2, s22, s0
	s_mul_i32 s0, s11, s20
	s_addc_u32 s3, s23, s1
	s_ashr_i32 s1, s0, 31
	s_lshl_b64 s[0:1], s[0:1], 1
	s_add_u32 s2, s2, s0
	s_addc_u32 s3, s3, s1
	s_lshl_b32 s0, s4, 8
	s_ashr_i32 s1, s0, 31
	s_lshl_b64 s[0:1], s[0:1], 1
	s_add_u32 s0, s2, s0
	s_addc_u32 s1, s3, s1
	v_lshlrev_b32_e32 v0, 1, v0
	v_cvt_pk_bf16_f32 v1, v6, s0
	global_store_short v0, v1, s[0:1]
	v_cvt_pk_bf16_f32 v1, v7, s0
	global_store_short v0, v1, s[0:1] offset:64
	v_cvt_pk_bf16_f32 v1, v4, s0
	global_store_short v0, v1, s[0:1] offset:128
	;; [unrolled: 2-line block ×7, first 2 shown]
.LBB134_85:
	s_endpgm
.LBB134_86:
	ds_read_b32 v11, v10
	s_waitcnt lgkmcnt(0)
	v_add_f32_e32 v6, v6, v11
	s_or_b64 exec, exec, s[2:3]
	s_and_saveexec_b64 s[2:3], vcc
	s_cbranch_execz .LBB134_75
.LBB134_87:
	ds_read_b32 v11, v10 offset:128
	s_waitcnt lgkmcnt(0)
	v_add_f32_e32 v7, v7, v11
	s_or_b64 exec, exec, s[2:3]
	s_and_saveexec_b64 s[2:3], vcc
	s_cbranch_execz .LBB134_76
.LBB134_88:
	ds_read_b32 v11, v10 offset:256
	s_waitcnt lgkmcnt(0)
	v_add_f32_e32 v4, v4, v11
	s_or_b64 exec, exec, s[2:3]
	s_and_saveexec_b64 s[2:3], vcc
	s_cbranch_execz .LBB134_77
.LBB134_89:
	ds_read_b32 v11, v10 offset:384
	s_waitcnt lgkmcnt(0)
	v_add_f32_e32 v5, v5, v11
	s_or_b64 exec, exec, s[2:3]
	s_and_saveexec_b64 s[2:3], vcc
	s_cbranch_execz .LBB134_78
.LBB134_90:
	ds_read_b32 v11, v10 offset:512
	s_waitcnt lgkmcnt(0)
	v_add_f32_e32 v2, v2, v11
	s_or_b64 exec, exec, s[2:3]
	s_and_saveexec_b64 s[2:3], vcc
	s_cbranch_execz .LBB134_79
.LBB134_91:
	ds_read_b32 v11, v10 offset:640
	s_waitcnt lgkmcnt(0)
	v_add_f32_e32 v3, v3, v11
	s_or_b64 exec, exec, s[2:3]
	s_and_saveexec_b64 s[2:3], vcc
	s_cbranch_execz .LBB134_80
.LBB134_92:
	ds_read_b32 v11, v10 offset:768
	s_waitcnt lgkmcnt(0)
	v_add_f32_e32 v8, v8, v11
	s_or_b64 exec, exec, s[2:3]
	s_and_saveexec_b64 s[2:3], vcc
	s_cbranch_execnz .LBB134_81
	s_branch .LBB134_82
	.section	.rodata,"a",@progbits
	.p2align	6, 0x0
	.amdhsa_kernel _ZN4vllm25paged_attention_v1_kernelI14__hip_bfloat16S1_Li256ELi16ELi128ELNS_18Fp8KVCacheDataTypeE0ELb1EEEvPT_PKS3_PKT0_S9_ifPKiSB_iPKfiiiSD_SD_iiiii
		.amdhsa_group_segment_fixed_size 528
		.amdhsa_private_segment_fixed_size 0
		.amdhsa_kernarg_size 384
		.amdhsa_user_sgpr_count 2
		.amdhsa_user_sgpr_dispatch_ptr 0
		.amdhsa_user_sgpr_queue_ptr 0
		.amdhsa_user_sgpr_kernarg_segment_ptr 1
		.amdhsa_user_sgpr_dispatch_id 0
		.amdhsa_user_sgpr_kernarg_preload_length 0
		.amdhsa_user_sgpr_kernarg_preload_offset 0
		.amdhsa_user_sgpr_private_segment_size 0
		.amdhsa_uses_dynamic_stack 0
		.amdhsa_enable_private_segment 0
		.amdhsa_system_sgpr_workgroup_id_x 1
		.amdhsa_system_sgpr_workgroup_id_y 1
		.amdhsa_system_sgpr_workgroup_id_z 1
		.amdhsa_system_sgpr_workgroup_info 0
		.amdhsa_system_vgpr_workitem_id 0
		.amdhsa_next_free_vgpr 105
		.amdhsa_next_free_sgpr 45
		.amdhsa_accum_offset 108
		.amdhsa_reserve_vcc 1
		.amdhsa_float_round_mode_32 0
		.amdhsa_float_round_mode_16_64 0
		.amdhsa_float_denorm_mode_32 3
		.amdhsa_float_denorm_mode_16_64 3
		.amdhsa_dx10_clamp 1
		.amdhsa_ieee_mode 1
		.amdhsa_fp16_overflow 0
		.amdhsa_tg_split 0
		.amdhsa_exception_fp_ieee_invalid_op 0
		.amdhsa_exception_fp_denorm_src 0
		.amdhsa_exception_fp_ieee_div_zero 0
		.amdhsa_exception_fp_ieee_overflow 0
		.amdhsa_exception_fp_ieee_underflow 0
		.amdhsa_exception_fp_ieee_inexact 0
		.amdhsa_exception_int_div_zero 0
	.end_amdhsa_kernel
	.section	.text._ZN4vllm25paged_attention_v1_kernelI14__hip_bfloat16S1_Li256ELi16ELi128ELNS_18Fp8KVCacheDataTypeE0ELb1EEEvPT_PKS3_PKT0_S9_ifPKiSB_iPKfiiiSD_SD_iiiii,"axG",@progbits,_ZN4vllm25paged_attention_v1_kernelI14__hip_bfloat16S1_Li256ELi16ELi128ELNS_18Fp8KVCacheDataTypeE0ELb1EEEvPT_PKS3_PKT0_S9_ifPKiSB_iPKfiiiSD_SD_iiiii,comdat
.Lfunc_end134:
	.size	_ZN4vllm25paged_attention_v1_kernelI14__hip_bfloat16S1_Li256ELi16ELi128ELNS_18Fp8KVCacheDataTypeE0ELb1EEEvPT_PKS3_PKT0_S9_ifPKiSB_iPKfiiiSD_SD_iiiii, .Lfunc_end134-_ZN4vllm25paged_attention_v1_kernelI14__hip_bfloat16S1_Li256ELi16ELi128ELNS_18Fp8KVCacheDataTypeE0ELb1EEEvPT_PKS3_PKT0_S9_ifPKiSB_iPKfiiiSD_SD_iiiii
                                        ; -- End function
	.set _ZN4vllm25paged_attention_v1_kernelI14__hip_bfloat16S1_Li256ELi16ELi128ELNS_18Fp8KVCacheDataTypeE0ELb1EEEvPT_PKS3_PKT0_S9_ifPKiSB_iPKfiiiSD_SD_iiiii.num_vgpr, 105
	.set _ZN4vllm25paged_attention_v1_kernelI14__hip_bfloat16S1_Li256ELi16ELi128ELNS_18Fp8KVCacheDataTypeE0ELb1EEEvPT_PKS3_PKT0_S9_ifPKiSB_iPKfiiiSD_SD_iiiii.num_agpr, 0
	.set _ZN4vllm25paged_attention_v1_kernelI14__hip_bfloat16S1_Li256ELi16ELi128ELNS_18Fp8KVCacheDataTypeE0ELb1EEEvPT_PKS3_PKT0_S9_ifPKiSB_iPKfiiiSD_SD_iiiii.numbered_sgpr, 45
	.set _ZN4vllm25paged_attention_v1_kernelI14__hip_bfloat16S1_Li256ELi16ELi128ELNS_18Fp8KVCacheDataTypeE0ELb1EEEvPT_PKS3_PKT0_S9_ifPKiSB_iPKfiiiSD_SD_iiiii.num_named_barrier, 0
	.set _ZN4vllm25paged_attention_v1_kernelI14__hip_bfloat16S1_Li256ELi16ELi128ELNS_18Fp8KVCacheDataTypeE0ELb1EEEvPT_PKS3_PKT0_S9_ifPKiSB_iPKfiiiSD_SD_iiiii.private_seg_size, 0
	.set _ZN4vllm25paged_attention_v1_kernelI14__hip_bfloat16S1_Li256ELi16ELi128ELNS_18Fp8KVCacheDataTypeE0ELb1EEEvPT_PKS3_PKT0_S9_ifPKiSB_iPKfiiiSD_SD_iiiii.uses_vcc, 1
	.set _ZN4vllm25paged_attention_v1_kernelI14__hip_bfloat16S1_Li256ELi16ELi128ELNS_18Fp8KVCacheDataTypeE0ELb1EEEvPT_PKS3_PKT0_S9_ifPKiSB_iPKfiiiSD_SD_iiiii.uses_flat_scratch, 0
	.set _ZN4vllm25paged_attention_v1_kernelI14__hip_bfloat16S1_Li256ELi16ELi128ELNS_18Fp8KVCacheDataTypeE0ELb1EEEvPT_PKS3_PKT0_S9_ifPKiSB_iPKfiiiSD_SD_iiiii.has_dyn_sized_stack, 0
	.set _ZN4vllm25paged_attention_v1_kernelI14__hip_bfloat16S1_Li256ELi16ELi128ELNS_18Fp8KVCacheDataTypeE0ELb1EEEvPT_PKS3_PKT0_S9_ifPKiSB_iPKfiiiSD_SD_iiiii.has_recursion, 0
	.set _ZN4vllm25paged_attention_v1_kernelI14__hip_bfloat16S1_Li256ELi16ELi128ELNS_18Fp8KVCacheDataTypeE0ELb1EEEvPT_PKS3_PKT0_S9_ifPKiSB_iPKfiiiSD_SD_iiiii.has_indirect_call, 0
	.section	.AMDGPU.csdata,"",@progbits
; Kernel info:
; codeLenInByte = 8944
; TotalNumSgprs: 51
; NumVgprs: 105
; NumAgprs: 0
; TotalNumVgprs: 105
; ScratchSize: 0
; MemoryBound: 0
; FloatMode: 240
; IeeeMode: 1
; LDSByteSize: 528 bytes/workgroup (compile time only)
; SGPRBlocks: 6
; VGPRBlocks: 13
; NumSGPRsForWavesPerEU: 51
; NumVGPRsForWavesPerEU: 105
; AccumOffset: 108
; Occupancy: 4
; WaveLimiterHint : 1
; COMPUTE_PGM_RSRC2:SCRATCH_EN: 0
; COMPUTE_PGM_RSRC2:USER_SGPR: 2
; COMPUTE_PGM_RSRC2:TRAP_HANDLER: 0
; COMPUTE_PGM_RSRC2:TGID_X_EN: 1
; COMPUTE_PGM_RSRC2:TGID_Y_EN: 1
; COMPUTE_PGM_RSRC2:TGID_Z_EN: 1
; COMPUTE_PGM_RSRC2:TIDIG_COMP_CNT: 0
; COMPUTE_PGM_RSRC3_GFX90A:ACCUM_OFFSET: 26
; COMPUTE_PGM_RSRC3_GFX90A:TG_SPLIT: 0
	.section	.text._ZN4vllm25paged_attention_v1_kernelI14__hip_bfloat16S1_Li32ELi16ELi128ELNS_18Fp8KVCacheDataTypeE0ELb0EEEvPT_PKS3_PKT0_S9_ifPKiSB_iPKfiiiSD_SD_iiiii,"axG",@progbits,_ZN4vllm25paged_attention_v1_kernelI14__hip_bfloat16S1_Li32ELi16ELi128ELNS_18Fp8KVCacheDataTypeE0ELb0EEEvPT_PKS3_PKT0_S9_ifPKiSB_iPKfiiiSD_SD_iiiii,comdat
	.protected	_ZN4vllm25paged_attention_v1_kernelI14__hip_bfloat16S1_Li32ELi16ELi128ELNS_18Fp8KVCacheDataTypeE0ELb0EEEvPT_PKS3_PKT0_S9_ifPKiSB_iPKfiiiSD_SD_iiiii ; -- Begin function _ZN4vllm25paged_attention_v1_kernelI14__hip_bfloat16S1_Li32ELi16ELi128ELNS_18Fp8KVCacheDataTypeE0ELb0EEEvPT_PKS3_PKT0_S9_ifPKiSB_iPKfiiiSD_SD_iiiii
	.globl	_ZN4vllm25paged_attention_v1_kernelI14__hip_bfloat16S1_Li32ELi16ELi128ELNS_18Fp8KVCacheDataTypeE0ELb0EEEvPT_PKS3_PKT0_S9_ifPKiSB_iPKfiiiSD_SD_iiiii
	.p2align	8
	.type	_ZN4vllm25paged_attention_v1_kernelI14__hip_bfloat16S1_Li32ELi16ELi128ELNS_18Fp8KVCacheDataTypeE0ELb0EEEvPT_PKS3_PKT0_S9_ifPKiSB_iPKfiiiSD_SD_iiiii,@function
_ZN4vllm25paged_attention_v1_kernelI14__hip_bfloat16S1_Li32ELi16ELi128ELNS_18Fp8KVCacheDataTypeE0ELb0EEEvPT_PKS3_PKT0_S9_ifPKiSB_iPKfiiiSD_SD_iiiii: ; @_ZN4vllm25paged_attention_v1_kernelI14__hip_bfloat16S1_Li32ELi16ELi128ELNS_18Fp8KVCacheDataTypeE0ELb0EEEvPT_PKS3_PKT0_S9_ifPKiSB_iPKfiiiSD_SD_iiiii
; %bb.0:
	s_load_dword s5, s[0:1], 0x80
	s_load_dwordx2 s[6:7], s[0:1], 0x30
	s_load_dwordx2 s[8:9], s[0:1], 0x20
	s_mov_b32 s10, s3
	s_ashr_i32 s11, s3, 31
	s_lshl_b64 s[12:13], s[10:11], 2
	s_waitcnt lgkmcnt(0)
	s_add_u32 s6, s6, s12
	s_addc_u32 s7, s7, s13
	s_abs_i32 s3, s8
	v_cvt_f32_u32_e32 v1, s3
	s_sub_i32 s12, 0, s3
	s_abs_i32 s11, s5
	s_xor_b32 s8, s5, s8
	v_rcp_iflag_f32_e32 v1, v1
	s_ashr_i32 s8, s8, 31
	v_mul_f32_e32 v1, 0x4f7ffffe, v1
	v_cvt_u32_f32_e32 v1, v1
	s_nop 0
	v_readfirstlane_b32 s13, v1
	s_mul_i32 s12, s12, s13
	s_mul_hi_u32 s12, s13, s12
	s_add_i32 s13, s13, s12
	s_mul_hi_u32 s12, s11, s13
	s_mul_i32 s13, s12, s3
	s_sub_i32 s11, s11, s13
	s_add_i32 s13, s12, 1
	s_sub_i32 s14, s11, s3
	s_cmp_ge_u32 s11, s3
	s_cselect_b32 s12, s13, s12
	s_cselect_b32 s11, s14, s11
	s_add_i32 s13, s12, 1
	s_cmp_ge_u32 s11, s3
	s_cselect_b32 s3, s13, s12
	s_xor_b32 s3, s3, s8
	s_sub_i32 s16, s3, s8
	s_abs_i32 s18, s16
	v_cvt_f32_u32_e32 v1, s18
	s_load_dwordx2 s[12:13], s[0:1], 0x40
	s_sub_i32 s3, 0, s18
	s_abs_i32 s19, s2
	v_rcp_iflag_f32_e32 v1, v1
	s_mov_b32 s8, 0
	v_mul_f32_e32 v1, 0x4f7ffffe, v1
	v_cvt_u32_f32_e32 v1, v1
	s_nop 0
	v_readfirstlane_b32 s11, v1
	s_mul_i32 s3, s3, s11
	s_mul_hi_u32 s3, s11, s3
	s_add_i32 s11, s11, s3
	s_waitcnt lgkmcnt(0)
	s_cmp_eq_u64 s[12:13], 0
	s_mul_hi_u32 s22, s19, s11
	s_cbranch_scc1 .LBB135_2
; %bb.1:
	s_ashr_i32 s3, s2, 31
	s_lshl_b64 s[14:15], s[2:3], 2
	s_add_u32 s12, s12, s14
	s_addc_u32 s13, s13, s15
	s_load_dword s8, s[12:13], 0x0
.LBB135_2:
	s_load_dword s11, s[6:7], 0x0
	s_nop 0
	s_load_dwordx4 s[12:15], s[0:1], 0x48
	s_ashr_i32 s6, s2, 31
	s_ashr_i32 s7, s16, 31
	v_and_b32_e32 v4, 3, v0
	s_lshl_b32 s16, s2, 5
	v_cmp_gt_u32_e32 vcc, 16, v0
	s_and_saveexec_b64 s[2:3], vcc
	s_cbranch_execz .LBB135_4
; %bb.3:
	s_load_dwordx2 s[20:21], s[0:1], 0x8
	s_waitcnt lgkmcnt(0)
	s_mul_i32 s24, s12, s10
	s_ashr_i32 s25, s24, 31
	s_lshl_b64 s[24:25], s[24:25], 1
	v_lshlrev_b32_e32 v1, 2, v0
	s_add_u32 s12, s20, s24
	s_addc_u32 s15, s21, s25
	s_ashr_i32 s17, s16, 31
	s_lshl_b64 s[20:21], s[16:17], 1
	s_add_u32 s20, s12, s20
	s_addc_u32 s21, s15, s21
	global_load_dword v1, v1, s[20:21]
	v_and_b32_e32 v2, 0x3fc, v0
	v_lshl_add_u32 v2, v4, 4, v2
	s_waitcnt vmcnt(0)
	ds_write_b32 v2, v1
.LBB135_4:
	s_or_b64 exec, exec, s[2:3]
	s_waitcnt lgkmcnt(0)
	s_add_i32 s3, s11, 15
	s_ashr_i32 s12, s3, 31
	s_lshr_b32 s12, s12, 28
	s_add_i32 s3, s3, s12
	s_ashr_i32 s17, s3, 4
	s_xor_b32 s3, s6, s7
	s_mul_i32 s6, s22, s18
	s_sub_i32 s6, s19, s6
	s_add_i32 s7, s22, 1
	s_sub_i32 s12, s6, s18
	s_load_dwordx2 s[20:21], s[0:1], 0x28
	s_load_dword s2, s[0:1], 0x38
	s_cmp_ge_u32 s6, s18
	s_cselect_b32 s7, s7, s22
	s_cselect_b32 s6, s12, s6
	s_add_i32 s12, s7, 1
	s_cmp_ge_u32 s6, s18
	s_cselect_b32 s6, s12, s7
	v_lshrrev_b32_e32 v1, 6, v0
	s_xor_b32 s6, s6, s3
	s_waitcnt lgkmcnt(0)
	s_mul_i32 s22, s2, s10
	s_sub_i32 s15, s6, s3
	s_ashr_i32 s23, s22, 31
	v_cmp_gt_i32_e64 s[2:3], s17, v1
	v_cmp_le_i32_e32 vcc, s17, v1
	v_mbcnt_lo_u32_b32 v5, -1, 0
	s_barrier
                                        ; implicit-def: $vgpr7
                                        ; implicit-def: $vgpr9
                                        ; implicit-def: $vgpr8
	s_and_saveexec_b64 s[6:7], vcc
	s_xor_b64 s[6:7], exec, s[6:7]
; %bb.5:
	v_mbcnt_hi_u32_b32 v7, -1, v5
	v_and_b32_e32 v9, 64, v7
	v_add_u32_e32 v8, 64, v9
                                        ; implicit-def: $vgpr4
                                        ; implicit-def: $vgpr5
; %bb.6:
	s_or_saveexec_b64 s[26:27], s[6:7]
	s_load_dwordx2 s[18:19], s[0:1], 0x0
	s_load_dwordx2 s[24:25], s[0:1], 0x18
	s_load_dword s12, s[0:1], 0x88
	v_mov_b32_e32 v11, 0xff7fffff
	s_mul_i32 s14, s15, s14
	v_lshrrev_b32_e32 v6, 4, v0
	s_xor_b64 exec, exec, s[26:27]
	s_cbranch_execz .LBB135_12
; %bb.7:
	s_load_dwordx2 s[0:1], s[0:1], 0x10
	s_ashr_i32 s15, s14, 31
	s_lshl_b64 s[6:7], s[14:15], 1
	v_bfe_u32 v11, v0, 2, 4
	v_lshlrev_b32_e32 v24, 4, v11
	s_waitcnt lgkmcnt(0)
	s_add_u32 s0, s0, s6
	s_addc_u32 s1, s1, s7
	v_mov_b32_e32 v25, 0
	v_lshlrev_b32_e32 v2, 4, v4
	v_lshlrev_b32_e32 v7, 2, v0
	ds_read_b128 v[16:19], v2
	v_lshl_add_u64 v[2:3], s[0:1], 0, v[24:25]
	v_and_b32_e32 v24, 12, v7
	v_mbcnt_hi_u32_b32 v7, -1, v5
	v_and_b32_e32 v9, 64, v7
	v_add_u32_e32 v8, 64, v9
	v_xor_b32_e32 v5, 2, v7
	v_cmp_lt_i32_e32 vcc, v5, v8
	s_waitcnt lgkmcnt(0)
	v_lshlrev_b32_e32 v10, 16, v16
	v_and_b32_e32 v12, 0xffff0000, v16
	v_cndmask_b32_e32 v5, v7, v5, vcc
	v_lshlrev_b32_e32 v13, 16, v17
	v_and_b32_e32 v14, 0xffff0000, v17
	v_lshlrev_b32_e32 v15, 16, v18
	v_and_b32_e32 v16, 0xffff0000, v18
	;; [unrolled: 2-line block ×3, first 2 shown]
	v_lshlrev_b32_e32 v19, 2, v5
	v_xor_b32_e32 v5, 1, v7
	v_cmp_lt_i32_e32 vcc, v5, v8
	s_sub_i32 s15, 1, s11
	s_lshl_b64 s[6:7], s[22:23], 2
	v_cndmask_b32_e32 v5, v7, v5, vcc
	v_cmp_eq_u32_e32 vcc, 0, v4
	v_lshlrev_b32_e32 v4, 2, v11
	s_add_u32 s6, s20, s6
	v_lshl_add_u64 v[2:3], v[2:3], 0, v[24:25]
	v_lshl_or_b32 v4, v1, 6, v4
	v_and_b32_e32 v24, 60, v6
	s_addc_u32 s7, s21, s7
	s_mov_b32 s33, s13
	v_lshlrev_b32_e32 v20, 2, v5
	v_cmp_neq_f32_e64 s[0:1], s8, 0
	v_lshl_or_b32 v21, v1, 4, v11
	v_add_u32_e32 v22, 0x50, v4
	v_lshl_add_u64 v[4:5], s[6:7], 0, v[24:25]
	v_mov_b32_e32 v11, 0xff7fffff
	s_mov_b64 s[28:29], 0
	v_mov_b32_e32 v23, v1
	s_branch .LBB135_9
.LBB135_8:                              ;   in Loop: Header=BB135_9 Depth=1
	s_or_b64 exec, exec, s[30:31]
	v_add_u32_e32 v23, 2, v23
	v_cmp_le_i32_e64 s[6:7], s17, v23
	v_add_u32_e32 v21, 32, v21
	v_add_u32_e32 v22, 0x80, v22
	s_or_b64 s[28:29], s[6:7], s[28:29]
	v_lshl_add_u64 v[4:5], v[4:5], 0, 8
	s_andn2_b64 exec, exec, s[28:29]
	s_cbranch_execz .LBB135_11
.LBB135_9:                              ; =>This Inner Loop Header: Depth=1
	global_load_dword v24, v[4:5], off
	s_waitcnt vmcnt(0) lgkmcnt(0)
	v_mad_i64_i32 v[24:25], s[6:7], v24, s33, 0
	v_lshl_add_u64 v[24:25], v[24:25], 1, v[2:3]
	global_load_dword v26, v[24:25], off
	global_load_dword v27, v[24:25], off offset:256
	global_load_dword v28, v[24:25], off offset:512
	;; [unrolled: 1-line block ×3, first 2 shown]
	s_waitcnt vmcnt(3)
	v_lshlrev_b32_e32 v24, 16, v26
	v_and_b32_e32 v25, 0xffff0000, v26
	s_waitcnt vmcnt(2)
	v_lshlrev_b32_e32 v26, 16, v27
	v_and_b32_e32 v27, 0xffff0000, v27
	v_mul_f32_e32 v26, v13, v26
	v_mul_f32_e32 v27, v14, v27
	s_waitcnt vmcnt(1)
	v_lshlrev_b32_e32 v30, 16, v28
	v_and_b32_e32 v28, 0xffff0000, v28
	v_fmac_f32_e32 v26, v10, v24
	v_fmac_f32_e32 v27, v12, v25
	s_waitcnt vmcnt(0)
	v_lshlrev_b32_e32 v31, 16, v29
	v_and_b32_e32 v29, 0xffff0000, v29
	v_fmac_f32_e32 v26, v15, v30
	v_fmac_f32_e32 v27, v16, v28
	;; [unrolled: 1-line block ×4, first 2 shown]
	v_add_f32_e32 v24, v26, v27
	ds_bpermute_b32 v25, v19, v24
	s_waitcnt lgkmcnt(0)
	v_add_f32_e32 v24, v24, v25
	ds_bpermute_b32 v25, v20, v24
	s_and_saveexec_b64 s[30:31], vcc
	s_cbranch_execz .LBB135_8
; %bb.10:                               ;   in Loop: Header=BB135_9 Depth=1
	v_add_u32_e32 v26, s15, v21
	v_cvt_f32_i32_e32 v26, v26
	s_waitcnt lgkmcnt(0)
	v_add_f32_e32 v24, v24, v25
	v_cmp_gt_i32_e64 s[6:7], s11, v21
	v_max_f32_e32 v25, v11, v11
	v_mul_f32_e32 v26, s8, v26
	v_cndmask_b32_e64 v26, 0, v26, s[0:1]
	v_fmac_f32_e32 v26, s9, v24
	v_cndmask_b32_e64 v24, 0, v26, s[6:7]
	ds_write_b32 v22, v24
	v_max_f32_e32 v24, v25, v26
	v_cndmask_b32_e64 v11, v11, v24, s[6:7]
	s_branch .LBB135_8
.LBB135_11:
	s_or_b64 exec, exec, s[28:29]
.LBB135_12:
	s_or_b64 exec, exec, s[26:27]
	v_xor_b32_e32 v2, 32, v7
	v_cmp_lt_i32_e32 vcc, v2, v8
	v_xor_b32_e32 v5, 16, v7
	v_max_f32_e32 v4, v11, v11
	v_cndmask_b32_e32 v2, v7, v2, vcc
	v_lshlrev_b32_e32 v2, 2, v2
	ds_bpermute_b32 v3, v2, v11
	v_cmp_lt_i32_e32 vcc, v5, v8
	v_xor_b32_e32 v10, 8, v7
	v_xor_b32_e32 v11, 4, v7
	v_and_b32_e32 v20, 63, v0
	s_waitcnt lgkmcnt(0)
	v_max_f32_e32 v3, v3, v3
	v_max_f32_e32 v4, v4, v3
	v_cndmask_b32_e32 v3, v7, v5, vcc
	v_lshlrev_b32_e32 v3, 2, v3
	ds_bpermute_b32 v5, v3, v4
	v_cmp_lt_i32_e32 vcc, v10, v8
	s_waitcnt lgkmcnt(0)
	v_max_f32_e32 v5, v5, v5
	v_max_f32_e32 v4, v4, v5
	v_cndmask_b32_e32 v5, v7, v10, vcc
	v_lshlrev_b32_e32 v10, 2, v5
	ds_bpermute_b32 v5, v10, v4
	v_cmp_lt_i32_e32 vcc, v11, v8
	s_waitcnt lgkmcnt(0)
	v_max_f32_e32 v5, v5, v5
	v_max_f32_e32 v5, v4, v5
	v_cndmask_b32_e32 v4, v7, v11, vcc
	v_lshlrev_b32_e32 v11, 2, v4
	ds_bpermute_b32 v12, v11, v5
	v_cmp_eq_u32_e32 vcc, 0, v20
	v_lshlrev_b32_e32 v4, 2, v1
	s_and_saveexec_b64 s[0:1], vcc
	s_cbranch_execz .LBB135_14
; %bb.13:
	s_waitcnt lgkmcnt(0)
	v_max_f32_e32 v12, v12, v12
	v_max_f32_e32 v5, v5, v5
	;; [unrolled: 1-line block ×3, first 2 shown]
	ds_write_b32 v4, v5 offset:64
.LBB135_14:
	s_or_b64 exec, exec, s[0:1]
	v_cmp_gt_u32_e64 s[0:1], 2, v20
	s_waitcnt lgkmcnt(0)
	v_mov_b32_e32 v12, 0xff7fffff
	v_lshlrev_b32_e32 v5, 2, v20
	s_barrier
	s_and_saveexec_b64 s[6:7], s[0:1]
; %bb.15:
	ds_read_b32 v12, v5 offset:64
; %bb.16:
	s_or_b64 exec, exec, s[6:7]
	v_xor_b32_e32 v13, 1, v7
	v_cmp_lt_i32_e64 s[6:7], v13, v8
	v_lshlrev_b32_e32 v9, 2, v9
	s_nop 0
	v_cndmask_b32_e64 v13, v7, v13, s[6:7]
	v_lshlrev_b32_e32 v21, 2, v13
	s_waitcnt lgkmcnt(0)
	ds_bpermute_b32 v13, v21, v12
	v_max_f32_e32 v12, v12, v12
	s_lshl_b32 s6, s17, 4
	s_min_i32 s15, s6, s11
	v_cmp_gt_i32_e64 s[6:7], s15, v0
	s_waitcnt lgkmcnt(0)
	v_max_f32_e32 v13, v13, v13
	v_max_f32_e32 v12, v12, v13
	ds_bpermute_b32 v12, v9, v12
	v_mov_b32_e32 v9, 0
	s_and_saveexec_b64 s[26:27], s[6:7]
	s_cbranch_execz .LBB135_20
; %bb.17:
	v_mov_b32_e32 v9, 0x50
	v_lshl_add_u32 v13, v0, 2, v9
	v_mov_b32_e32 v9, 0
	s_mov_b64 s[28:29], 0
	v_mov_b32_e32 v14, v0
.LBB135_18:                             ; =>This Inner Loop Header: Depth=1
	ds_read_b32 v15, v13
	v_add_u32_e32 v14, 0x80, v14
	v_cmp_le_i32_e64 s[8:9], s15, v14
	s_or_b64 s[28:29], s[8:9], s[28:29]
	s_waitcnt lgkmcnt(0)
	v_sub_f32_e32 v15, v15, v12
	v_mul_f32_e32 v15, 0x3fb8aa3b, v15
	v_exp_f32_e32 v15, v15
	ds_write_b32 v13, v15
	v_add_f32_e32 v9, v9, v15
	v_add_u32_e32 v13, 0x200, v13
	s_andn2_b64 exec, exec, s[28:29]
	s_cbranch_execnz .LBB135_18
; %bb.19:
	s_or_b64 exec, exec, s[28:29]
.LBB135_20:
	s_or_b64 exec, exec, s[26:27]
	ds_bpermute_b32 v2, v2, v9
	s_waitcnt lgkmcnt(0)
	v_add_f32_e32 v2, v9, v2
	ds_bpermute_b32 v3, v3, v2
	v_xor_b32_e32 v9, 2, v7
	v_cmp_lt_i32_e64 s[8:9], v9, v8
	s_waitcnt lgkmcnt(0)
	v_add_f32_e32 v2, v2, v3
	ds_bpermute_b32 v3, v10, v2
	v_cndmask_b32_e64 v8, v7, v9, s[8:9]
	s_waitcnt lgkmcnt(0)
	v_add_f32_e32 v2, v2, v3
	ds_bpermute_b32 v3, v11, v2
	s_waitcnt lgkmcnt(0)
	v_add_f32_e32 v2, v2, v3
	v_lshlrev_b32_e32 v3, 2, v8
	ds_bpermute_b32 v3, v3, v2
	s_waitcnt lgkmcnt(0)
	v_add_f32_e32 v2, v2, v3
	ds_bpermute_b32 v3, v21, v2
	s_waitcnt lgkmcnt(0)
	v_add_f32_e32 v2, v2, v3
	s_and_saveexec_b64 s[8:9], vcc
; %bb.21:
	ds_write_b32 v4, v2 offset:72
; %bb.22:
	s_or_b64 exec, exec, s[8:9]
	s_waitcnt lgkmcnt(0)
	s_barrier
	s_and_saveexec_b64 s[8:9], s[0:1]
; %bb.23:
	ds_read_b32 v2, v5 offset:72
; %bb.24:
	s_or_b64 exec, exec, s[8:9]
	s_waitcnt lgkmcnt(0)
	ds_bpermute_b32 v3, v21, v2
	v_lshlrev_b32_e32 v4, 2, v7
	s_waitcnt lgkmcnt(0)
	v_add_f32_e32 v2, v2, v3
	v_and_b32_e32 v3, 0xffffff00, v4
	ds_bpermute_b32 v2, v3, v2
	s_and_saveexec_b64 s[0:1], s[6:7]
	s_cbranch_execz .LBB135_37
; %bb.25:
	s_waitcnt lgkmcnt(0)
	v_add_f32_e32 v2, 0x358637bd, v2
	v_div_scale_f32 v3, s[6:7], v2, v2, 1.0
	v_rcp_f32_e32 v4, v3
	v_div_scale_f32 v5, vcc, 1.0, v2, 1.0
	s_movk_i32 s6, 0x7f
	v_fma_f32 v7, -v3, v4, 1.0
	v_fmac_f32_e32 v4, v7, v4
	v_mul_f32_e32 v7, v5, v4
	v_fma_f32 v8, -v3, v7, v5
	v_fmac_f32_e32 v7, v8, v4
	v_fma_f32 v3, -v3, v7, v5
	v_div_fmas_f32 v3, v3, v4, v7
	v_xad_u32 v4, v0, -1, s15
	v_div_fixup_f32 v2, v3, v2, 1.0
	v_cmp_lt_u32_e32 vcc, s6, v4
	s_mov_b64 s[8:9], -1
	v_mov_b32_e32 v3, v0
	s_and_saveexec_b64 s[6:7], vcc
	s_cbranch_execz .LBB135_34
; %bb.26:
	v_lshrrev_b32_e32 v4, 7, v4
	v_add_u32_e32 v7, -1, v4
	v_lshrrev_b32_e32 v5, 1, v7
	v_mov_b32_e32 v3, v2
	v_add_u32_e32 v5, 1, v5
	v_cmp_lt_u32_e32 vcc, 13, v7
	v_mov_b32_e32 v9, 0
	s_and_saveexec_b64 s[8:9], vcc
	s_cbranch_execz .LBB135_30
; %bb.27:
	v_mov_b32_e32 v8, 0x50
	v_and_b32_e32 v7, -8, v5
	v_lshl_add_u32 v8, v0, 2, v8
	s_mov_b32 s28, 0
	s_mov_b64 s[26:27], 0
.LBB135_28:                             ; =>This Inner Loop Header: Depth=1
	ds_read2st64_b32 v[10:11], v8 offset1:2
	ds_read2st64_b32 v[12:13], v8 offset0:4 offset1:6
	ds_read2st64_b32 v[14:15], v8 offset0:8 offset1:10
	;; [unrolled: 1-line block ×3, first 2 shown]
	v_add_u32_e32 v7, -8, v7
	s_waitcnt lgkmcnt(3)
	v_pk_mul_f32 v[10:11], v[2:3], v[10:11]
	s_waitcnt lgkmcnt(2)
	v_pk_mul_f32 v[12:13], v[2:3], v[12:13]
	ds_write2st64_b32 v8, v10, v11 offset1:2
	ds_write2st64_b32 v8, v12, v13 offset0:4 offset1:6
	ds_read2st64_b32 v[12:13], v8 offset0:16 offset1:18
	s_waitcnt lgkmcnt(4)
	v_pk_mul_f32 v[10:11], v[2:3], v[14:15]
	ds_write2st64_b32 v8, v10, v11 offset0:8 offset1:10
	s_waitcnt lgkmcnt(4)
	v_pk_mul_f32 v[10:11], v[2:3], v[16:17]
	ds_write2st64_b32 v8, v10, v11 offset0:12 offset1:14
	ds_read2st64_b32 v[10:11], v8 offset0:20 offset1:22
	s_waitcnt lgkmcnt(3)
	v_pk_mul_f32 v[12:13], v[2:3], v[12:13]
	ds_read2st64_b32 v[14:15], v8 offset0:24 offset1:26
	ds_write2st64_b32 v8, v12, v13 offset0:16 offset1:18
	ds_read2st64_b32 v[12:13], v8 offset0:28 offset1:30
	s_waitcnt lgkmcnt(3)
	v_pk_mul_f32 v[10:11], v[2:3], v[10:11]
	ds_write2st64_b32 v8, v10, v11 offset0:20 offset1:22
	s_waitcnt lgkmcnt(3)
	v_pk_mul_f32 v[10:11], v[2:3], v[14:15]
	ds_write2st64_b32 v8, v10, v11 offset0:24 offset1:26
	s_waitcnt lgkmcnt(2)
	v_pk_mul_f32 v[10:11], v[2:3], v[12:13]
	s_add_i32 s28, s28, 16
	v_cmp_eq_u32_e32 vcc, 0, v7
	ds_write2st64_b32 v8, v10, v11 offset0:28 offset1:30
	v_add_u32_e32 v8, 0x2000, v8
	s_or_b64 s[26:27], vcc, s[26:27]
	v_mov_b32_e32 v9, s28
	s_andn2_b64 exec, exec, s[26:27]
	s_cbranch_execnz .LBB135_28
; %bb.29:
	s_or_b64 exec, exec, s[26:27]
.LBB135_30:
	s_or_b64 exec, exec, s[8:9]
	v_and_b32_e32 v5, 7, v5
	v_cmp_ne_u32_e32 vcc, 0, v5
	s_and_saveexec_b64 s[8:9], vcc
	s_cbranch_execz .LBB135_33
; %bb.31:
	v_lshlrev_b32_e32 v7, 9, v9
	v_lshlrev_b32_e32 v8, 2, v0
	s_movk_i32 s26, 0x50
	v_add3_u32 v7, v7, v8, s26
	s_mov_b64 s[26:27], 0
.LBB135_32:                             ; =>This Inner Loop Header: Depth=1
	ds_read2st64_b32 v[8:9], v7 offset1:2
	v_add_u32_e32 v5, -1, v5
	v_cmp_eq_u32_e32 vcc, 0, v5
	s_or_b64 s[26:27], vcc, s[26:27]
	s_waitcnt lgkmcnt(0)
	v_pk_mul_f32 v[8:9], v[2:3], v[8:9]
	ds_write2st64_b32 v7, v8, v9 offset1:2
	v_add_u32_e32 v7, 0x400, v7
	s_andn2_b64 exec, exec, s[26:27]
	s_cbranch_execnz .LBB135_32
.LBB135_33:
	s_or_b64 exec, exec, s[8:9]
	v_add_u32_e32 v4, 1, v4
	v_and_b32_e32 v5, 0x3fffffe, v4
	v_cmp_ne_u32_e32 vcc, v4, v5
	v_lshl_add_u32 v3, v5, 7, v0
	s_orn2_b64 s[8:9], vcc, exec
.LBB135_34:
	s_or_b64 exec, exec, s[6:7]
	s_and_b64 exec, exec, s[8:9]
	s_cbranch_execz .LBB135_37
; %bb.35:
	v_mov_b32_e32 v4, 0x50
	v_lshl_add_u32 v4, v3, 2, v4
	s_mov_b64 s[6:7], 0
.LBB135_36:                             ; =>This Inner Loop Header: Depth=1
	ds_read_b32 v5, v4
	v_add_u32_e32 v3, 0x80, v3
	v_cmp_le_i32_e32 vcc, s15, v3
	s_or_b64 s[6:7], vcc, s[6:7]
	s_waitcnt lgkmcnt(0)
	v_mul_f32_e32 v5, v2, v5
	ds_write_b32 v4, v5
	v_add_u32_e32 v4, 0x200, v4
	s_andn2_b64 exec, exec, s[6:7]
	s_cbranch_execnz .LBB135_36
.LBB135_37:
	s_or_b64 exec, exec, s[0:1]
	v_mov_b32_e32 v14, 0
	s_waitcnt lgkmcnt(0)
	s_barrier
	s_and_saveexec_b64 s[6:7], s[2:3]
	s_cbranch_execz .LBB135_43
; %bb.38:
	s_ashr_i32 s15, s14, 31
	s_lshl_b64 s[0:1], s[14:15], 1
	v_lshlrev_b32_e32 v2, 3, v0
	s_add_u32 s0, s24, s0
	v_lshlrev_b32_e32 v3, 4, v0
	v_and_b32_e32 v2, 8, v2
	s_addc_u32 s1, s25, s1
	v_and_b32_e32 v14, 0x3f0, v3
	v_mov_b32_e32 v15, 0
	v_lshl_add_u64 v[16:17], s[0:1], 0, v[14:15]
	s_add_i32 s14, s17, -1
	v_lshl_or_b32 v22, v1, 4, v2
	v_and_b32_e32 v2, 1, v0
	s_lshl_b64 s[0:1], s[22:23], 2
	v_lshlrev_b32_e32 v2, 5, v2
	s_add_u32 s0, s20, s0
	v_lshl_or_b32 v2, v1, 6, v2
	v_and_b32_e32 v14, 60, v6
	s_addc_u32 s1, s21, s1
	s_mov_b32 s15, s11
	v_add_u32_e32 v23, 0x50, v2
	v_lshl_add_u64 v[18:19], s[0:1], 0, v[14:15]
	s_mov_b64 s[2:3], 0
	s_mov_b32 s20, 0x5040100
	v_mov_b32_e32 v14, 0
	s_branch .LBB135_40
.LBB135_39:                             ;   in Loop: Header=BB135_40 Depth=1
	s_or_b64 exec, exec, s[8:9]
	s_waitcnt lgkmcnt(1)
	v_cvt_pk_bf16_f32 v11, v11, s0
	v_cvt_pk_bf16_f32 v12, v12, s0
	s_waitcnt vmcnt(0)
	v_lshlrev_b32_e32 v24, 16, v2
	v_and_b32_e32 v2, 0xffff0000, v2
	v_lshlrev_b32_e32 v11, 16, v11
	v_cvt_pk_bf16_f32 v13, v13, s0
	v_mul_f32_e32 v2, v11, v2
	v_lshlrev_b32_e32 v11, 16, v3
	v_lshlrev_b32_e32 v12, 16, v12
	v_mul_f32_e32 v11, v12, v11
	v_and_b32_e32 v3, 0xffff0000, v3
	v_lshlrev_b32_e32 v12, 16, v13
	s_waitcnt lgkmcnt(0)
	v_cvt_pk_bf16_f32 v6, v6, s0
	v_mul_f32_e32 v3, v12, v3
	v_cvt_pk_bf16_f32 v12, v3, s0
	v_lshlrev_b32_e32 v3, 16, v4
	v_lshlrev_b32_e32 v6, 16, v6
	v_cvt_pk_bf16_f32 v7, v7, s0
	v_mul_f32_e32 v3, v6, v3
	v_cvt_pk_bf16_f32 v6, v3, s0
	v_and_b32_e32 v3, 0xffff0000, v4
	v_lshlrev_b32_e32 v4, 16, v7
	v_cvt_pk_bf16_f32 v8, v8, s0
	v_mul_f32_e32 v3, v4, v3
	v_cvt_pk_bf16_f32 v10, v10, s0
	v_cvt_pk_bf16_f32 v7, v3, s0
	v_lshlrev_b32_e32 v3, 16, v5
	v_lshlrev_b32_e32 v4, 16, v8
	v_cvt_pk_bf16_f32 v9, v9, s0
	v_lshlrev_b32_e32 v10, 16, v10
	v_mul_f32_e32 v3, v4, v3
	v_mul_f32_e32 v10, v10, v24
	v_cvt_pk_bf16_f32 v8, v3, s0
	v_and_b32_e32 v3, 0xffff0000, v5
	v_lshlrev_b32_e32 v4, 16, v9
	v_cvt_pk_bf16_f32 v10, v10, s0
	v_cvt_pk_bf16_f32 v2, v2, s0
	v_cvt_pk_bf16_f32 v11, v11, s0
	v_mul_f32_e32 v3, v4, v3
	v_cvt_pk_bf16_f32 v9, v3, s0
	v_lshlrev_b32_e32 v3, 16, v2
	v_lshlrev_b32_e32 v5, 16, v10
	;; [unrolled: 1-line block ×4, first 2 shown]
	v_pk_add_f32 v[2:3], v[4:5], v[2:3]
	v_lshlrev_b32_e32 v5, 16, v7
	v_lshlrev_b32_e32 v7, 16, v6
	;; [unrolled: 1-line block ×4, first 2 shown]
	v_pk_add_f32 v[4:5], v[6:7], v[4:5]
	v_add_f32_e32 v2, v2, v3
	v_add_f32_e32 v2, v5, v2
	v_add_u32_e32 v1, 2, v1
	v_add_f32_e32 v2, v4, v2
	v_cmp_le_i32_e32 vcc, s17, v1
	v_add_f32_e32 v14, v14, v2
	v_add_u32_e32 v22, 32, v22
	v_add_u32_e32 v23, 0x80, v23
	s_or_b64 s[2:3], vcc, s[2:3]
	v_lshl_add_u64 v[18:19], v[18:19], 0, 8
	s_andn2_b64 exec, exec, s[2:3]
	s_cbranch_execz .LBB135_42
.LBB135_40:                             ; =>This Inner Loop Header: Depth=1
	global_load_dword v2, v[18:19], off
	v_cmp_eq_u32_e32 vcc, s14, v1
	s_waitcnt vmcnt(0)
	v_mad_i64_i32 v[2:3], s[0:1], v2, s13, 0
	v_lshl_add_u64 v[2:3], v[2:3], 1, v[16:17]
	global_load_dwordx4 v[2:5], v[2:3], off
	ds_read2_b64 v[10:13], v23 offset1:1
	ds_read2_b64 v[6:9], v23 offset0:2 offset1:3
	s_and_saveexec_b64 s[8:9], vcc
	s_cbranch_execz .LBB135_39
; %bb.41:                               ;   in Loop: Header=BB135_40 Depth=1
	v_add_u32_e32 v24, 1, v22
	v_cmp_gt_i32_e32 vcc, s15, v24
	v_or_b32_e32 v25, 2, v22
	v_cmp_gt_i32_e64 s[0:1], s11, v25
	s_waitcnt vmcnt(0)
	v_cndmask_b32_sdwa v24, v15, v2, vcc dst_sel:DWORD dst_unused:UNUSED_PAD src0_sel:DWORD src1_sel:WORD_1
	v_cmp_gt_i32_e32 vcc, s11, v22
	v_or_b32_e32 v25, 4, v22
	s_nop 0
	v_cndmask_b32_e32 v2, 0, v2, vcc
	v_perm_b32 v2, v24, v2, s20
	v_or_b32_e32 v24, 3, v22
	v_cmp_gt_i32_e32 vcc, s15, v24
	v_cndmask_b32_e64 v24, 0, v3, s[0:1]
	v_cmp_gt_i32_e64 s[0:1], s11, v25
	v_cndmask_b32_sdwa v3, v15, v3, vcc dst_sel:DWORD dst_unused:UNUSED_PAD src0_sel:DWORD src1_sel:WORD_1
	v_perm_b32 v3, v3, v24, s20
	v_or_b32_e32 v24, 5, v22
	v_cmp_gt_i32_e32 vcc, s15, v24
	v_cndmask_b32_e64 v24, 0, v4, s[0:1]
	v_or_b32_e32 v25, 6, v22
	v_cndmask_b32_sdwa v4, v15, v4, vcc dst_sel:DWORD dst_unused:UNUSED_PAD src0_sel:DWORD src1_sel:WORD_1
	v_perm_b32 v4, v4, v24, s20
	v_or_b32_e32 v24, 7, v22
	v_cmp_gt_i32_e32 vcc, s15, v24
	v_cmp_gt_i32_e64 s[0:1], s11, v25
	s_nop 1
	v_cndmask_b32_e64 v24, 0, v5, s[0:1]
	v_cndmask_b32_sdwa v5, v15, v5, vcc dst_sel:DWORD dst_unused:UNUSED_PAD src0_sel:DWORD src1_sel:WORD_1
	v_perm_b32 v5, v5, v24, s20
	s_branch .LBB135_39
.LBB135_42:
	s_or_b64 exec, exec, s[2:3]
.LBB135_43:
	s_or_b64 exec, exec, s[6:7]
	ds_bpermute_b32 v1, v21, v14
	v_and_b32_e32 v2, 0x3c1, v0
	v_cmp_eq_u32_e32 vcc, 64, v2
	s_waitcnt lgkmcnt(0)
	s_barrier
	v_add_f32_e32 v1, v14, v1
	s_and_saveexec_b64 s[0:1], vcc
; %bb.44:
	v_mov_b32_e32 v3, 0x50
	v_lshl_add_u32 v3, v20, 1, v3
	ds_write_b32 v3, v1
; %bb.45:
	s_or_b64 exec, exec, s[0:1]
	v_lshrrev_b32_e32 v0, 1, v0
	v_cmp_eq_u32_e32 vcc, 0, v2
	s_waitcnt lgkmcnt(0)
	s_barrier
	s_and_saveexec_b64 s[0:1], vcc
	s_cbranch_execz .LBB135_47
; %bb.46:
	v_mov_b32_e32 v2, 0x50
	v_lshl_add_u32 v2, v0, 2, v2
	ds_read_b32 v2, v2
	s_waitcnt lgkmcnt(0)
	v_add_f32_e32 v1, v1, v2
.LBB135_47:
	s_or_b64 exec, exec, s[0:1]
	s_barrier
	s_and_saveexec_b64 s[0:1], vcc
	s_cbranch_execz .LBB135_49
; %bb.48:
	s_mul_i32 s0, s10, s12
	s_mul_i32 s0, s0, s5
	s_lshl_b32 s0, s0, 5
	s_ashr_i32 s1, s0, 31
	s_lshl_b64 s[0:1], s[0:1], 1
	s_add_u32 s2, s18, s0
	s_mul_i32 s0, s12, s16
	s_addc_u32 s3, s19, s1
	s_ashr_i32 s1, s0, 31
	s_lshl_b64 s[0:1], s[0:1], 1
	s_add_u32 s2, s2, s0
	s_addc_u32 s3, s3, s1
	s_lshl_b32 s0, s4, 5
	s_ashr_i32 s1, s0, 31
	s_lshl_b64 s[0:1], s[0:1], 1
	s_add_u32 s0, s2, s0
	s_addc_u32 s1, s3, s1
	v_lshlrev_b32_e32 v0, 1, v0
	v_cvt_pk_bf16_f32 v1, v1, s0
	global_store_short v0, v1, s[0:1]
.LBB135_49:
	s_endpgm
	.section	.rodata,"a",@progbits
	.p2align	6, 0x0
	.amdhsa_kernel _ZN4vllm25paged_attention_v1_kernelI14__hip_bfloat16S1_Li32ELi16ELi128ELNS_18Fp8KVCacheDataTypeE0ELb0EEEvPT_PKS3_PKT0_S9_ifPKiSB_iPKfiiiSD_SD_iiiii
		.amdhsa_group_segment_fixed_size 80
		.amdhsa_private_segment_fixed_size 0
		.amdhsa_kernarg_size 384
		.amdhsa_user_sgpr_count 2
		.amdhsa_user_sgpr_dispatch_ptr 0
		.amdhsa_user_sgpr_queue_ptr 0
		.amdhsa_user_sgpr_kernarg_segment_ptr 1
		.amdhsa_user_sgpr_dispatch_id 0
		.amdhsa_user_sgpr_kernarg_preload_length 0
		.amdhsa_user_sgpr_kernarg_preload_offset 0
		.amdhsa_user_sgpr_private_segment_size 0
		.amdhsa_uses_dynamic_stack 0
		.amdhsa_enable_private_segment 0
		.amdhsa_system_sgpr_workgroup_id_x 1
		.amdhsa_system_sgpr_workgroup_id_y 1
		.amdhsa_system_sgpr_workgroup_id_z 1
		.amdhsa_system_sgpr_workgroup_info 0
		.amdhsa_system_vgpr_workitem_id 0
		.amdhsa_next_free_vgpr 32
		.amdhsa_next_free_sgpr 34
		.amdhsa_accum_offset 32
		.amdhsa_reserve_vcc 1
		.amdhsa_float_round_mode_32 0
		.amdhsa_float_round_mode_16_64 0
		.amdhsa_float_denorm_mode_32 3
		.amdhsa_float_denorm_mode_16_64 3
		.amdhsa_dx10_clamp 1
		.amdhsa_ieee_mode 1
		.amdhsa_fp16_overflow 0
		.amdhsa_tg_split 0
		.amdhsa_exception_fp_ieee_invalid_op 0
		.amdhsa_exception_fp_denorm_src 0
		.amdhsa_exception_fp_ieee_div_zero 0
		.amdhsa_exception_fp_ieee_overflow 0
		.amdhsa_exception_fp_ieee_underflow 0
		.amdhsa_exception_fp_ieee_inexact 0
		.amdhsa_exception_int_div_zero 0
	.end_amdhsa_kernel
	.section	.text._ZN4vllm25paged_attention_v1_kernelI14__hip_bfloat16S1_Li32ELi16ELi128ELNS_18Fp8KVCacheDataTypeE0ELb0EEEvPT_PKS3_PKT0_S9_ifPKiSB_iPKfiiiSD_SD_iiiii,"axG",@progbits,_ZN4vllm25paged_attention_v1_kernelI14__hip_bfloat16S1_Li32ELi16ELi128ELNS_18Fp8KVCacheDataTypeE0ELb0EEEvPT_PKS3_PKT0_S9_ifPKiSB_iPKfiiiSD_SD_iiiii,comdat
.Lfunc_end135:
	.size	_ZN4vllm25paged_attention_v1_kernelI14__hip_bfloat16S1_Li32ELi16ELi128ELNS_18Fp8KVCacheDataTypeE0ELb0EEEvPT_PKS3_PKT0_S9_ifPKiSB_iPKfiiiSD_SD_iiiii, .Lfunc_end135-_ZN4vllm25paged_attention_v1_kernelI14__hip_bfloat16S1_Li32ELi16ELi128ELNS_18Fp8KVCacheDataTypeE0ELb0EEEvPT_PKS3_PKT0_S9_ifPKiSB_iPKfiiiSD_SD_iiiii
                                        ; -- End function
	.set _ZN4vllm25paged_attention_v1_kernelI14__hip_bfloat16S1_Li32ELi16ELi128ELNS_18Fp8KVCacheDataTypeE0ELb0EEEvPT_PKS3_PKT0_S9_ifPKiSB_iPKfiiiSD_SD_iiiii.num_vgpr, 32
	.set _ZN4vllm25paged_attention_v1_kernelI14__hip_bfloat16S1_Li32ELi16ELi128ELNS_18Fp8KVCacheDataTypeE0ELb0EEEvPT_PKS3_PKT0_S9_ifPKiSB_iPKfiiiSD_SD_iiiii.num_agpr, 0
	.set _ZN4vllm25paged_attention_v1_kernelI14__hip_bfloat16S1_Li32ELi16ELi128ELNS_18Fp8KVCacheDataTypeE0ELb0EEEvPT_PKS3_PKT0_S9_ifPKiSB_iPKfiiiSD_SD_iiiii.numbered_sgpr, 34
	.set _ZN4vllm25paged_attention_v1_kernelI14__hip_bfloat16S1_Li32ELi16ELi128ELNS_18Fp8KVCacheDataTypeE0ELb0EEEvPT_PKS3_PKT0_S9_ifPKiSB_iPKfiiiSD_SD_iiiii.num_named_barrier, 0
	.set _ZN4vllm25paged_attention_v1_kernelI14__hip_bfloat16S1_Li32ELi16ELi128ELNS_18Fp8KVCacheDataTypeE0ELb0EEEvPT_PKS3_PKT0_S9_ifPKiSB_iPKfiiiSD_SD_iiiii.private_seg_size, 0
	.set _ZN4vllm25paged_attention_v1_kernelI14__hip_bfloat16S1_Li32ELi16ELi128ELNS_18Fp8KVCacheDataTypeE0ELb0EEEvPT_PKS3_PKT0_S9_ifPKiSB_iPKfiiiSD_SD_iiiii.uses_vcc, 1
	.set _ZN4vllm25paged_attention_v1_kernelI14__hip_bfloat16S1_Li32ELi16ELi128ELNS_18Fp8KVCacheDataTypeE0ELb0EEEvPT_PKS3_PKT0_S9_ifPKiSB_iPKfiiiSD_SD_iiiii.uses_flat_scratch, 0
	.set _ZN4vllm25paged_attention_v1_kernelI14__hip_bfloat16S1_Li32ELi16ELi128ELNS_18Fp8KVCacheDataTypeE0ELb0EEEvPT_PKS3_PKT0_S9_ifPKiSB_iPKfiiiSD_SD_iiiii.has_dyn_sized_stack, 0
	.set _ZN4vllm25paged_attention_v1_kernelI14__hip_bfloat16S1_Li32ELi16ELi128ELNS_18Fp8KVCacheDataTypeE0ELb0EEEvPT_PKS3_PKT0_S9_ifPKiSB_iPKfiiiSD_SD_iiiii.has_recursion, 0
	.set _ZN4vllm25paged_attention_v1_kernelI14__hip_bfloat16S1_Li32ELi16ELi128ELNS_18Fp8KVCacheDataTypeE0ELb0EEEvPT_PKS3_PKT0_S9_ifPKiSB_iPKfiiiSD_SD_iiiii.has_indirect_call, 0
	.section	.AMDGPU.csdata,"",@progbits
; Kernel info:
; codeLenInByte = 3512
; TotalNumSgprs: 40
; NumVgprs: 32
; NumAgprs: 0
; TotalNumVgprs: 32
; ScratchSize: 0
; MemoryBound: 0
; FloatMode: 240
; IeeeMode: 1
; LDSByteSize: 80 bytes/workgroup (compile time only)
; SGPRBlocks: 4
; VGPRBlocks: 3
; NumSGPRsForWavesPerEU: 40
; NumVGPRsForWavesPerEU: 32
; AccumOffset: 32
; Occupancy: 8
; WaveLimiterHint : 1
; COMPUTE_PGM_RSRC2:SCRATCH_EN: 0
; COMPUTE_PGM_RSRC2:USER_SGPR: 2
; COMPUTE_PGM_RSRC2:TRAP_HANDLER: 0
; COMPUTE_PGM_RSRC2:TGID_X_EN: 1
; COMPUTE_PGM_RSRC2:TGID_Y_EN: 1
; COMPUTE_PGM_RSRC2:TGID_Z_EN: 1
; COMPUTE_PGM_RSRC2:TIDIG_COMP_CNT: 0
; COMPUTE_PGM_RSRC3_GFX90A:ACCUM_OFFSET: 7
; COMPUTE_PGM_RSRC3_GFX90A:TG_SPLIT: 0
	.section	.text._ZN4vllm25paged_attention_v1_kernelI14__hip_bfloat16S1_Li64ELi16ELi128ELNS_18Fp8KVCacheDataTypeE0ELb0EEEvPT_PKS3_PKT0_S9_ifPKiSB_iPKfiiiSD_SD_iiiii,"axG",@progbits,_ZN4vllm25paged_attention_v1_kernelI14__hip_bfloat16S1_Li64ELi16ELi128ELNS_18Fp8KVCacheDataTypeE0ELb0EEEvPT_PKS3_PKT0_S9_ifPKiSB_iPKfiiiSD_SD_iiiii,comdat
	.protected	_ZN4vllm25paged_attention_v1_kernelI14__hip_bfloat16S1_Li64ELi16ELi128ELNS_18Fp8KVCacheDataTypeE0ELb0EEEvPT_PKS3_PKT0_S9_ifPKiSB_iPKfiiiSD_SD_iiiii ; -- Begin function _ZN4vllm25paged_attention_v1_kernelI14__hip_bfloat16S1_Li64ELi16ELi128ELNS_18Fp8KVCacheDataTypeE0ELb0EEEvPT_PKS3_PKT0_S9_ifPKiSB_iPKfiiiSD_SD_iiiii
	.globl	_ZN4vllm25paged_attention_v1_kernelI14__hip_bfloat16S1_Li64ELi16ELi128ELNS_18Fp8KVCacheDataTypeE0ELb0EEEvPT_PKS3_PKT0_S9_ifPKiSB_iPKfiiiSD_SD_iiiii
	.p2align	8
	.type	_ZN4vllm25paged_attention_v1_kernelI14__hip_bfloat16S1_Li64ELi16ELi128ELNS_18Fp8KVCacheDataTypeE0ELb0EEEvPT_PKS3_PKT0_S9_ifPKiSB_iPKfiiiSD_SD_iiiii,@function
_ZN4vllm25paged_attention_v1_kernelI14__hip_bfloat16S1_Li64ELi16ELi128ELNS_18Fp8KVCacheDataTypeE0ELb0EEEvPT_PKS3_PKT0_S9_ifPKiSB_iPKfiiiSD_SD_iiiii: ; @_ZN4vllm25paged_attention_v1_kernelI14__hip_bfloat16S1_Li64ELi16ELi128ELNS_18Fp8KVCacheDataTypeE0ELb0EEEvPT_PKS3_PKT0_S9_ifPKiSB_iPKfiiiSD_SD_iiiii
; %bb.0:
	s_load_dword s5, s[0:1], 0x80
	s_load_dwordx2 s[6:7], s[0:1], 0x30
	s_load_dwordx2 s[8:9], s[0:1], 0x20
	s_mov_b32 s10, s3
	s_ashr_i32 s11, s3, 31
	s_lshl_b64 s[12:13], s[10:11], 2
	s_waitcnt lgkmcnt(0)
	s_add_u32 s6, s6, s12
	s_addc_u32 s7, s7, s13
	s_abs_i32 s3, s8
	v_cvt_f32_u32_e32 v1, s3
	s_sub_i32 s12, 0, s3
	s_abs_i32 s11, s5
	s_xor_b32 s8, s5, s8
	v_rcp_iflag_f32_e32 v1, v1
	s_ashr_i32 s8, s8, 31
	v_mul_f32_e32 v1, 0x4f7ffffe, v1
	v_cvt_u32_f32_e32 v1, v1
	s_nop 0
	v_readfirstlane_b32 s13, v1
	s_mul_i32 s12, s12, s13
	s_mul_hi_u32 s12, s13, s12
	s_add_i32 s13, s13, s12
	s_mul_hi_u32 s12, s11, s13
	s_mul_i32 s13, s12, s3
	s_sub_i32 s11, s11, s13
	s_add_i32 s13, s12, 1
	s_sub_i32 s14, s11, s3
	s_cmp_ge_u32 s11, s3
	s_cselect_b32 s12, s13, s12
	s_cselect_b32 s11, s14, s11
	s_add_i32 s13, s12, 1
	s_cmp_ge_u32 s11, s3
	s_cselect_b32 s3, s13, s12
	s_xor_b32 s3, s3, s8
	s_sub_i32 s16, s3, s8
	s_abs_i32 s11, s16
	v_cvt_f32_u32_e32 v1, s11
	s_load_dwordx2 s[12:13], s[0:1], 0x40
	s_sub_i32 s3, 0, s11
	s_abs_i32 s18, s2
	v_rcp_iflag_f32_e32 v1, v1
	s_mov_b32 s8, 0
	v_mul_f32_e32 v1, 0x4f7ffffe, v1
	v_cvt_u32_f32_e32 v1, v1
	s_nop 0
	v_readfirstlane_b32 s14, v1
	s_mul_i32 s3, s3, s14
	s_mul_hi_u32 s3, s14, s3
	s_add_i32 s14, s14, s3
	s_waitcnt lgkmcnt(0)
	s_cmp_eq_u64 s[12:13], 0
	s_mul_hi_u32 s19, s18, s14
	s_cbranch_scc1 .LBB136_2
; %bb.1:
	s_ashr_i32 s3, s2, 31
	s_lshl_b64 s[14:15], s[2:3], 2
	s_add_u32 s12, s12, s14
	s_addc_u32 s13, s13, s15
	s_load_dword s8, s[12:13], 0x0
.LBB136_2:
	s_load_dword s33, s[6:7], 0x0
	s_nop 0
	s_load_dwordx4 s[12:15], s[0:1], 0x48
	s_ashr_i32 s6, s2, 31
	s_ashr_i32 s7, s16, 31
	v_and_b32_e32 v4, 3, v0
	s_lshl_b32 s16, s2, 6
	v_cmp_gt_u32_e32 vcc, 32, v0
	s_and_saveexec_b64 s[2:3], vcc
	s_cbranch_execz .LBB136_4
; %bb.3:
	s_load_dwordx2 s[20:21], s[0:1], 0x8
	s_waitcnt lgkmcnt(0)
	s_mul_i32 s22, s12, s10
	s_ashr_i32 s23, s22, 31
	s_lshl_b64 s[22:23], s[22:23], 1
	v_lshlrev_b32_e32 v1, 2, v0
	s_add_u32 s12, s20, s22
	s_addc_u32 s15, s21, s23
	s_ashr_i32 s17, s16, 31
	s_lshl_b64 s[20:21], s[16:17], 1
	s_add_u32 s20, s12, s20
	s_addc_u32 s21, s15, s21
	global_load_dword v1, v1, s[20:21]
	v_and_b32_e32 v2, 0x3fc, v0
	v_lshl_add_u32 v2, v4, 5, v2
	s_waitcnt vmcnt(0)
	ds_write_b32 v2, v1
.LBB136_4:
	s_or_b64 exec, exec, s[2:3]
	s_waitcnt lgkmcnt(0)
	s_add_i32 s3, s33, 15
	s_ashr_i32 s12, s3, 31
	s_lshr_b32 s12, s12, 28
	s_add_i32 s3, s3, s12
	s_ashr_i32 s17, s3, 4
	s_xor_b32 s3, s6, s7
	s_mul_i32 s6, s19, s11
	s_sub_i32 s6, s18, s6
	s_add_i32 s7, s19, 1
	s_sub_i32 s12, s6, s11
	s_load_dwordx2 s[20:21], s[0:1], 0x28
	s_load_dword s2, s[0:1], 0x38
	s_cmp_ge_u32 s6, s11
	s_cselect_b32 s7, s7, s19
	s_cselect_b32 s6, s12, s6
	s_add_i32 s12, s7, 1
	s_cmp_ge_u32 s6, s11
	s_cselect_b32 s6, s12, s7
	v_lshrrev_b32_e32 v1, 6, v0
	s_xor_b32 s6, s6, s3
	s_waitcnt lgkmcnt(0)
	s_mul_i32 s22, s2, s10
	s_sub_i32 s12, s6, s3
	s_ashr_i32 s23, s22, 31
	v_cmp_gt_i32_e64 s[2:3], s17, v1
	v_cmp_le_i32_e32 vcc, s17, v1
	v_mbcnt_lo_u32_b32 v5, -1, 0
	s_barrier
                                        ; implicit-def: $vgpr7
                                        ; implicit-def: $vgpr9
                                        ; implicit-def: $vgpr8
	s_and_saveexec_b64 s[6:7], vcc
	s_xor_b64 s[6:7], exec, s[6:7]
; %bb.5:
	v_mbcnt_hi_u32_b32 v7, -1, v5
	v_and_b32_e32 v9, 64, v7
	v_add_u32_e32 v8, 64, v9
                                        ; implicit-def: $vgpr4
                                        ; implicit-def: $vgpr5
; %bb.6:
	s_or_saveexec_b64 s[26:27], s[6:7]
	s_load_dwordx2 s[18:19], s[0:1], 0x0
	s_load_dwordx2 s[24:25], s[0:1], 0x18
	s_load_dword s11, s[0:1], 0x88
	v_mov_b32_e32 v19, 0xff7fffff
	s_mul_i32 s14, s12, s14
	v_lshrrev_b32_e32 v6, 4, v0
	s_xor_b64 exec, exec, s[26:27]
	s_cbranch_execz .LBB136_12
; %bb.7:
	s_load_dwordx2 s[0:1], s[0:1], 0x10
	s_ashr_i32 s15, s14, 31
	s_lshl_b64 s[6:7], s[14:15], 1
	v_lshlrev_b32_e32 v7, 5, v4
	v_bfe_u32 v19, v0, 2, 4
	s_waitcnt lgkmcnt(0)
	s_add_u32 s0, s0, s6
	ds_read_b128 v[14:17], v7
	ds_read_b128 v[24:27], v7 offset:16
	v_mbcnt_hi_u32_b32 v7, -1, v5
	s_addc_u32 s1, s1, s7
	v_lshlrev_b32_e32 v32, 4, v19
	v_mov_b32_e32 v33, 0
	v_lshlrev_b32_e32 v8, 2, v0
	v_and_b32_e32 v9, 64, v7
	v_lshl_add_u64 v[2:3], s[0:1], 0, v[32:33]
	v_and_b32_e32 v32, 12, v8
	v_add_u32_e32 v8, 64, v9
	v_xor_b32_e32 v5, 2, v7
	v_cmp_lt_i32_e32 vcc, v5, v8
	s_waitcnt lgkmcnt(0)
	v_lshlrev_b32_e32 v18, 16, v24
	v_and_b32_e32 v20, 0xffff0000, v24
	v_cndmask_b32_e32 v5, v7, v5, vcc
	v_lshlrev_b32_e32 v21, 16, v25
	v_and_b32_e32 v22, 0xffff0000, v25
	v_lshlrev_b32_e32 v23, 16, v26
	v_and_b32_e32 v24, 0xffff0000, v26
	;; [unrolled: 2-line block ×3, first 2 shown]
	v_lshlrev_b32_e32 v27, 2, v5
	v_xor_b32_e32 v5, 1, v7
	v_cmp_lt_i32_e32 vcc, v5, v8
	s_sub_i32 s15, 1, s33
	s_lshl_b64 s[6:7], s[22:23], 2
	v_cndmask_b32_e32 v5, v7, v5, vcc
	v_cmp_eq_u32_e32 vcc, 0, v4
	v_lshlrev_b32_e32 v4, 2, v19
	s_add_u32 s6, s20, s6
	v_lshl_add_u64 v[2:3], v[2:3], 0, v[32:33]
	v_lshl_or_b32 v4, v1, 6, v4
	v_and_b32_e32 v32, 60, v6
	s_addc_u32 s7, s21, s7
	s_mov_b32 s12, s13
	v_lshlrev_b32_e32 v10, 16, v14
	v_and_b32_e32 v11, 0xffff0000, v14
	v_lshlrev_b32_e32 v12, 16, v15
	v_and_b32_e32 v13, 0xffff0000, v15
	;; [unrolled: 2-line block ×4, first 2 shown]
	v_lshlrev_b32_e32 v28, 2, v5
	v_cmp_neq_f32_e64 s[0:1], s8, 0
	v_lshl_or_b32 v29, v1, 4, v19
	v_add_u32_e32 v30, 0x90, v4
	v_lshl_add_u64 v[4:5], s[6:7], 0, v[32:33]
	v_mov_b32_e32 v19, 0xff7fffff
	s_mov_b64 s[28:29], 0
	v_mov_b32_e32 v31, v1
	s_branch .LBB136_9
.LBB136_8:                              ;   in Loop: Header=BB136_9 Depth=1
	s_or_b64 exec, exec, s[30:31]
	v_add_u32_e32 v31, 2, v31
	v_cmp_le_i32_e64 s[6:7], s17, v31
	v_add_u32_e32 v29, 32, v29
	v_add_u32_e32 v30, 0x80, v30
	s_or_b64 s[28:29], s[6:7], s[28:29]
	v_lshl_add_u64 v[4:5], v[4:5], 0, 8
	s_andn2_b64 exec, exec, s[28:29]
	s_cbranch_execz .LBB136_11
.LBB136_9:                              ; =>This Inner Loop Header: Depth=1
	global_load_dword v32, v[4:5], off
	s_waitcnt vmcnt(0) lgkmcnt(0)
	v_mad_i64_i32 v[32:33], s[6:7], v32, s12, 0
	v_lshl_add_u64 v[32:33], v[32:33], 1, v[2:3]
	global_load_dword v34, v[32:33], off
	global_load_dword v35, v[32:33], off offset:256
	global_load_dword v36, v[32:33], off offset:512
	;; [unrolled: 1-line block ×7, first 2 shown]
	s_waitcnt vmcnt(7)
	v_lshlrev_b32_e32 v32, 16, v34
	v_and_b32_e32 v33, 0xffff0000, v34
	s_waitcnt vmcnt(6)
	v_lshlrev_b32_e32 v34, 16, v35
	v_and_b32_e32 v35, 0xffff0000, v35
	v_mul_f32_e32 v34, v12, v34
	v_mul_f32_e32 v35, v13, v35
	s_waitcnt vmcnt(5)
	v_lshlrev_b32_e32 v42, 16, v36
	v_and_b32_e32 v36, 0xffff0000, v36
	v_fmac_f32_e32 v34, v10, v32
	v_fmac_f32_e32 v35, v11, v33
	s_waitcnt vmcnt(4)
	v_lshlrev_b32_e32 v43, 16, v37
	v_and_b32_e32 v37, 0xffff0000, v37
	v_fmac_f32_e32 v34, v14, v42
	v_fmac_f32_e32 v35, v15, v36
	;; [unrolled: 5-line block ×6, first 2 shown]
	v_fmac_f32_e32 v34, v25, v47
	v_fmac_f32_e32 v35, v26, v41
	v_add_f32_e32 v32, v34, v35
	ds_bpermute_b32 v33, v27, v32
	s_waitcnt lgkmcnt(0)
	v_add_f32_e32 v32, v32, v33
	ds_bpermute_b32 v33, v28, v32
	s_and_saveexec_b64 s[30:31], vcc
	s_cbranch_execz .LBB136_8
; %bb.10:                               ;   in Loop: Header=BB136_9 Depth=1
	v_add_u32_e32 v34, s15, v29
	v_cvt_f32_i32_e32 v34, v34
	s_waitcnt lgkmcnt(0)
	v_add_f32_e32 v32, v32, v33
	v_cmp_gt_i32_e64 s[6:7], s33, v29
	v_max_f32_e32 v33, v19, v19
	v_mul_f32_e32 v34, s8, v34
	v_cndmask_b32_e64 v34, 0, v34, s[0:1]
	v_fmac_f32_e32 v34, s9, v32
	v_cndmask_b32_e64 v32, 0, v34, s[6:7]
	ds_write_b32 v30, v32
	v_max_f32_e32 v32, v33, v34
	v_cndmask_b32_e64 v19, v19, v32, s[6:7]
	s_branch .LBB136_8
.LBB136_11:
	s_or_b64 exec, exec, s[28:29]
.LBB136_12:
	s_or_b64 exec, exec, s[26:27]
	v_xor_b32_e32 v2, 32, v7
	v_cmp_lt_i32_e32 vcc, v2, v8
	v_xor_b32_e32 v5, 16, v7
	v_max_f32_e32 v4, v19, v19
	v_cndmask_b32_e32 v2, v7, v2, vcc
	v_lshlrev_b32_e32 v2, 2, v2
	ds_bpermute_b32 v3, v2, v19
	v_cmp_lt_i32_e32 vcc, v5, v8
	v_xor_b32_e32 v10, 8, v7
	v_xor_b32_e32 v11, 4, v7
	v_and_b32_e32 v26, 63, v0
	s_waitcnt lgkmcnt(0)
	v_max_f32_e32 v3, v3, v3
	v_max_f32_e32 v4, v4, v3
	v_cndmask_b32_e32 v3, v7, v5, vcc
	v_lshlrev_b32_e32 v3, 2, v3
	ds_bpermute_b32 v5, v3, v4
	v_cmp_lt_i32_e32 vcc, v10, v8
	s_waitcnt lgkmcnt(0)
	v_max_f32_e32 v5, v5, v5
	v_max_f32_e32 v4, v4, v5
	v_cndmask_b32_e32 v5, v7, v10, vcc
	v_lshlrev_b32_e32 v10, 2, v5
	ds_bpermute_b32 v5, v10, v4
	v_cmp_lt_i32_e32 vcc, v11, v8
	s_waitcnt lgkmcnt(0)
	v_max_f32_e32 v5, v5, v5
	v_max_f32_e32 v5, v4, v5
	v_cndmask_b32_e32 v4, v7, v11, vcc
	v_lshlrev_b32_e32 v11, 2, v4
	ds_bpermute_b32 v12, v11, v5
	v_cmp_eq_u32_e32 vcc, 0, v26
	v_lshlrev_b32_e32 v4, 2, v1
	s_and_saveexec_b64 s[0:1], vcc
	s_cbranch_execz .LBB136_14
; %bb.13:
	s_waitcnt lgkmcnt(0)
	v_max_f32_e32 v12, v12, v12
	v_max_f32_e32 v5, v5, v5
	;; [unrolled: 1-line block ×3, first 2 shown]
	ds_write_b32 v4, v5 offset:128
.LBB136_14:
	s_or_b64 exec, exec, s[0:1]
	v_cmp_gt_u32_e64 s[0:1], 2, v26
	s_waitcnt lgkmcnt(0)
	v_mov_b32_e32 v12, 0xff7fffff
	v_lshlrev_b32_e32 v5, 2, v26
	s_barrier
	s_and_saveexec_b64 s[6:7], s[0:1]
; %bb.15:
	ds_read_b32 v12, v5 offset:128
; %bb.16:
	s_or_b64 exec, exec, s[6:7]
	v_xor_b32_e32 v13, 1, v7
	v_cmp_lt_i32_e64 s[6:7], v13, v8
	v_lshlrev_b32_e32 v9, 2, v9
	s_nop 0
	v_cndmask_b32_e64 v13, v7, v13, s[6:7]
	v_lshlrev_b32_e32 v27, 2, v13
	s_waitcnt lgkmcnt(0)
	ds_bpermute_b32 v13, v27, v12
	v_max_f32_e32 v12, v12, v12
	s_lshl_b32 s6, s17, 4
	s_min_i32 s12, s6, s33
	v_cmp_gt_i32_e64 s[6:7], s12, v0
	s_waitcnt lgkmcnt(0)
	v_max_f32_e32 v13, v13, v13
	v_max_f32_e32 v12, v12, v13
	ds_bpermute_b32 v12, v9, v12
	v_mov_b32_e32 v9, 0
	s_and_saveexec_b64 s[26:27], s[6:7]
	s_cbranch_execz .LBB136_20
; %bb.17:
	v_mov_b32_e32 v9, 0x90
	v_lshl_add_u32 v13, v0, 2, v9
	v_mov_b32_e32 v9, 0
	s_mov_b64 s[28:29], 0
	v_mov_b32_e32 v14, v0
.LBB136_18:                             ; =>This Inner Loop Header: Depth=1
	ds_read_b32 v15, v13
	v_add_u32_e32 v14, 0x80, v14
	v_cmp_le_i32_e64 s[8:9], s12, v14
	s_or_b64 s[28:29], s[8:9], s[28:29]
	s_waitcnt lgkmcnt(0)
	v_sub_f32_e32 v15, v15, v12
	v_mul_f32_e32 v15, 0x3fb8aa3b, v15
	v_exp_f32_e32 v15, v15
	ds_write_b32 v13, v15
	v_add_f32_e32 v9, v9, v15
	v_add_u32_e32 v13, 0x200, v13
	s_andn2_b64 exec, exec, s[28:29]
	s_cbranch_execnz .LBB136_18
; %bb.19:
	s_or_b64 exec, exec, s[28:29]
.LBB136_20:
	s_or_b64 exec, exec, s[26:27]
	ds_bpermute_b32 v2, v2, v9
	s_waitcnt lgkmcnt(0)
	v_add_f32_e32 v2, v9, v2
	ds_bpermute_b32 v3, v3, v2
	v_xor_b32_e32 v9, 2, v7
	v_cmp_lt_i32_e64 s[8:9], v9, v8
	s_waitcnt lgkmcnt(0)
	v_add_f32_e32 v2, v2, v3
	ds_bpermute_b32 v3, v10, v2
	v_cndmask_b32_e64 v8, v7, v9, s[8:9]
	s_waitcnt lgkmcnt(0)
	v_add_f32_e32 v2, v2, v3
	ds_bpermute_b32 v3, v11, v2
	s_waitcnt lgkmcnt(0)
	v_add_f32_e32 v2, v2, v3
	v_lshlrev_b32_e32 v3, 2, v8
	ds_bpermute_b32 v3, v3, v2
	s_waitcnt lgkmcnt(0)
	v_add_f32_e32 v2, v2, v3
	ds_bpermute_b32 v3, v27, v2
	s_waitcnt lgkmcnt(0)
	v_add_f32_e32 v2, v2, v3
	s_and_saveexec_b64 s[8:9], vcc
; %bb.21:
	ds_write_b32 v4, v2 offset:136
; %bb.22:
	s_or_b64 exec, exec, s[8:9]
	s_waitcnt lgkmcnt(0)
	s_barrier
	s_and_saveexec_b64 s[8:9], s[0:1]
; %bb.23:
	ds_read_b32 v2, v5 offset:136
; %bb.24:
	s_or_b64 exec, exec, s[8:9]
	s_waitcnt lgkmcnt(0)
	ds_bpermute_b32 v3, v27, v2
	v_lshlrev_b32_e32 v4, 2, v7
	s_waitcnt lgkmcnt(0)
	v_add_f32_e32 v2, v2, v3
	v_and_b32_e32 v3, 0xffffff00, v4
	ds_bpermute_b32 v2, v3, v2
	s_and_saveexec_b64 s[0:1], s[6:7]
	s_cbranch_execz .LBB136_37
; %bb.25:
	s_waitcnt lgkmcnt(0)
	v_add_f32_e32 v2, 0x358637bd, v2
	v_div_scale_f32 v3, s[6:7], v2, v2, 1.0
	v_rcp_f32_e32 v4, v3
	v_div_scale_f32 v5, vcc, 1.0, v2, 1.0
	s_movk_i32 s6, 0x7f
	v_fma_f32 v7, -v3, v4, 1.0
	v_fmac_f32_e32 v4, v7, v4
	v_mul_f32_e32 v7, v5, v4
	v_fma_f32 v8, -v3, v7, v5
	v_fmac_f32_e32 v7, v8, v4
	v_fma_f32 v3, -v3, v7, v5
	v_div_fmas_f32 v3, v3, v4, v7
	v_xad_u32 v4, v0, -1, s12
	v_div_fixup_f32 v2, v3, v2, 1.0
	v_cmp_lt_u32_e32 vcc, s6, v4
	s_mov_b64 s[8:9], -1
	v_mov_b32_e32 v3, v0
	s_and_saveexec_b64 s[6:7], vcc
	s_cbranch_execz .LBB136_34
; %bb.26:
	v_lshrrev_b32_e32 v4, 7, v4
	v_add_u32_e32 v7, -1, v4
	v_lshrrev_b32_e32 v5, 1, v7
	v_mov_b32_e32 v3, v2
	v_add_u32_e32 v5, 1, v5
	v_cmp_lt_u32_e32 vcc, 13, v7
	v_mov_b32_e32 v9, 0
	s_and_saveexec_b64 s[8:9], vcc
	s_cbranch_execz .LBB136_30
; %bb.27:
	v_mov_b32_e32 v8, 0x90
	v_and_b32_e32 v7, -8, v5
	v_lshl_add_u32 v8, v0, 2, v8
	s_mov_b32 s15, 0
	s_mov_b64 s[26:27], 0
.LBB136_28:                             ; =>This Inner Loop Header: Depth=1
	ds_read2st64_b32 v[10:11], v8 offset1:2
	ds_read2st64_b32 v[12:13], v8 offset0:4 offset1:6
	ds_read2st64_b32 v[14:15], v8 offset0:8 offset1:10
	;; [unrolled: 1-line block ×3, first 2 shown]
	v_add_u32_e32 v7, -8, v7
	s_waitcnt lgkmcnt(3)
	v_pk_mul_f32 v[10:11], v[2:3], v[10:11]
	s_waitcnt lgkmcnt(2)
	v_pk_mul_f32 v[12:13], v[2:3], v[12:13]
	ds_write2st64_b32 v8, v10, v11 offset1:2
	ds_write2st64_b32 v8, v12, v13 offset0:4 offset1:6
	ds_read2st64_b32 v[12:13], v8 offset0:16 offset1:18
	s_waitcnt lgkmcnt(4)
	v_pk_mul_f32 v[10:11], v[2:3], v[14:15]
	ds_write2st64_b32 v8, v10, v11 offset0:8 offset1:10
	s_waitcnt lgkmcnt(4)
	v_pk_mul_f32 v[10:11], v[2:3], v[16:17]
	ds_write2st64_b32 v8, v10, v11 offset0:12 offset1:14
	ds_read2st64_b32 v[10:11], v8 offset0:20 offset1:22
	s_waitcnt lgkmcnt(3)
	v_pk_mul_f32 v[12:13], v[2:3], v[12:13]
	ds_read2st64_b32 v[14:15], v8 offset0:24 offset1:26
	ds_write2st64_b32 v8, v12, v13 offset0:16 offset1:18
	ds_read2st64_b32 v[12:13], v8 offset0:28 offset1:30
	s_waitcnt lgkmcnt(3)
	v_pk_mul_f32 v[10:11], v[2:3], v[10:11]
	ds_write2st64_b32 v8, v10, v11 offset0:20 offset1:22
	s_waitcnt lgkmcnt(3)
	v_pk_mul_f32 v[10:11], v[2:3], v[14:15]
	ds_write2st64_b32 v8, v10, v11 offset0:24 offset1:26
	s_waitcnt lgkmcnt(2)
	v_pk_mul_f32 v[10:11], v[2:3], v[12:13]
	s_add_i32 s15, s15, 16
	v_cmp_eq_u32_e32 vcc, 0, v7
	ds_write2st64_b32 v8, v10, v11 offset0:28 offset1:30
	v_add_u32_e32 v8, 0x2000, v8
	s_or_b64 s[26:27], vcc, s[26:27]
	v_mov_b32_e32 v9, s15
	s_andn2_b64 exec, exec, s[26:27]
	s_cbranch_execnz .LBB136_28
; %bb.29:
	s_or_b64 exec, exec, s[26:27]
.LBB136_30:
	s_or_b64 exec, exec, s[8:9]
	v_and_b32_e32 v5, 7, v5
	v_cmp_ne_u32_e32 vcc, 0, v5
	s_and_saveexec_b64 s[8:9], vcc
	s_cbranch_execz .LBB136_33
; %bb.31:
	v_lshlrev_b32_e32 v7, 9, v9
	v_lshlrev_b32_e32 v8, 2, v0
	s_movk_i32 s15, 0x90
	v_add3_u32 v7, v7, v8, s15
	s_mov_b64 s[26:27], 0
.LBB136_32:                             ; =>This Inner Loop Header: Depth=1
	ds_read2st64_b32 v[8:9], v7 offset1:2
	v_add_u32_e32 v5, -1, v5
	v_cmp_eq_u32_e32 vcc, 0, v5
	s_or_b64 s[26:27], vcc, s[26:27]
	s_waitcnt lgkmcnt(0)
	v_pk_mul_f32 v[8:9], v[2:3], v[8:9]
	ds_write2st64_b32 v7, v8, v9 offset1:2
	v_add_u32_e32 v7, 0x400, v7
	s_andn2_b64 exec, exec, s[26:27]
	s_cbranch_execnz .LBB136_32
.LBB136_33:
	s_or_b64 exec, exec, s[8:9]
	v_add_u32_e32 v4, 1, v4
	v_and_b32_e32 v5, 0x3fffffe, v4
	v_cmp_ne_u32_e32 vcc, v4, v5
	v_lshl_add_u32 v3, v5, 7, v0
	s_orn2_b64 s[8:9], vcc, exec
.LBB136_34:
	s_or_b64 exec, exec, s[6:7]
	s_and_b64 exec, exec, s[8:9]
	s_cbranch_execz .LBB136_37
; %bb.35:
	v_mov_b32_e32 v4, 0x90
	v_lshl_add_u32 v4, v3, 2, v4
	s_mov_b64 s[6:7], 0
.LBB136_36:                             ; =>This Inner Loop Header: Depth=1
	ds_read_b32 v5, v4
	v_add_u32_e32 v3, 0x80, v3
	v_cmp_le_i32_e32 vcc, s12, v3
	s_or_b64 s[6:7], vcc, s[6:7]
	s_waitcnt lgkmcnt(0)
	v_mul_f32_e32 v5, v2, v5
	ds_write_b32 v4, v5
	v_add_u32_e32 v4, 0x200, v4
	s_andn2_b64 exec, exec, s[6:7]
	s_cbranch_execnz .LBB136_36
.LBB136_37:
	s_or_b64 exec, exec, s[0:1]
	v_mov_b32_e32 v19, 0
	v_and_b32_e32 v28, 1, v0
	v_mov_b32_e32 v18, v19
	s_waitcnt lgkmcnt(0)
	s_barrier
	s_and_saveexec_b64 s[6:7], s[2:3]
	s_cbranch_execz .LBB136_45
; %bb.38:
	s_ashr_i32 s15, s14, 31
	s_lshl_b64 s[0:1], s[14:15], 1
	s_add_u32 s0, s24, s0
	v_lshlrev_b32_e32 v3, 4, v0
	v_lshlrev_b32_e32 v2, 3, v0
	s_addc_u32 s1, s25, s1
	v_and_b32_e32 v20, 0x3f0, v3
	v_mov_b32_e32 v21, 0
	v_and_b32_e32 v2, 8, v2
	s_add_i32 s14, s17, -1
	v_lshl_add_u64 v[22:23], s[0:1], 0, v[20:21]
	s_lshl_b64 s[0:1], s[22:23], 2
	v_lshl_or_b32 v29, v1, 4, v2
	v_lshlrev_b32_e32 v2, 5, v28
	s_add_u32 s0, s20, s0
	v_lshl_or_b32 v2, v1, 6, v2
	v_and_b32_e32 v20, 60, v6
	s_addc_u32 s1, s21, s1
	s_mov_b32 s26, s13
	s_mov_b32 s15, s33
	v_add_u32_e32 v30, 0x90, v2
	v_lshl_add_u64 v[24:25], s[0:1], 0, v[20:21]
	s_mov_b64 s[8:9], 0
	s_mov_b32 s20, 0x5040100
	v_mov_b32_e32 v18, 0
	v_mov_b32_e32 v19, v21
	s_branch .LBB136_40
.LBB136_39:                             ;   in Loop: Header=BB136_40 Depth=1
	s_or_b64 exec, exec, s[2:3]
	s_waitcnt lgkmcnt(0)
	v_cvt_pk_bf16_f32 v10, v10, s0
	s_waitcnt vmcnt(1)
	v_and_b32_e32 v32, 0xffff0000, v4
	v_lshlrev_b32_e32 v4, 16, v4
	v_lshlrev_b32_e32 v33, 16, v10
	v_cvt_pk_bf16_f32 v13, v13, s0
	v_mul_f32_e32 v4, v33, v4
	v_cvt_pk_bf16_f32 v14, v14, s0
	v_cvt_pk_bf16_f32 v15, v15, s0
	;; [unrolled: 1-line block ×3, first 2 shown]
	v_and_b32_e32 v4, 0xffff0000, v5
	v_lshlrev_b32_e32 v13, 16, v13
	v_cvt_pk_bf16_f32 v16, v16, s0
	v_cvt_pk_bf16_f32 v17, v17, s0
	v_cvt_pk_bf16_f32 v12, v12, s0
	v_and_b32_e32 v20, 0xffff0000, v2
	v_lshlrev_b32_e32 v15, 16, v15
	v_lshlrev_b32_e32 v2, 16, v2
	v_lshlrev_b32_e32 v14, 16, v14
	v_mul_f32_e32 v4, v13, v4
	v_cvt_pk_bf16_f32 v11, v11, s0
	v_mul_f32_e32 v20, v15, v20
	v_mul_f32_e32 v2, v14, v2
	v_and_b32_e32 v31, 0xffff0000, v3
	v_lshlrev_b32_e32 v17, 16, v17
	v_lshlrev_b32_e32 v3, 16, v3
	v_lshlrev_b32_e32 v16, 16, v16
	v_cvt_pk_bf16_f32 v34, v4, s0
	v_lshlrev_b32_e32 v4, 16, v5
	v_lshlrev_b32_e32 v5, 16, v12
	v_cvt_pk_bf16_f32 v20, v20, s0
	v_cvt_pk_bf16_f32 v2, v2, s0
	v_mul_f32_e32 v31, v17, v31
	v_mul_f32_e32 v3, v16, v3
	v_lshlrev_b32_e32 v11, 16, v11
	v_mul_f32_e32 v4, v5, v4
	v_cvt_pk_bf16_f32 v31, v31, s0
	v_cvt_pk_bf16_f32 v3, v3, s0
	v_mul_f32_e32 v32, v11, v32
	v_cvt_pk_bf16_f32 v12, v4, s0
	v_lshlrev_b32_e32 v2, 16, v2
	v_lshlrev_b32_e32 v4, 16, v20
	v_cvt_pk_bf16_f32 v32, v32, s0
	v_add_f32_e32 v2, v4, v2
	v_lshlrev_b32_e32 v3, 16, v3
	v_lshlrev_b32_e32 v4, 16, v31
	v_add_f32_e32 v4, v4, v3
	v_lshlrev_b32_e32 v3, 16, v10
	v_lshlrev_b32_e32 v10, 16, v32
	;; [unrolled: 3-line block ×3, first 2 shown]
	v_add_f32_e32 v12, v12, v3
	s_waitcnt vmcnt(0)
	v_lshlrev_b32_e32 v3, 16, v6
	v_mul_f32_e32 v3, v14, v3
	v_lshlrev_b32_e32 v14, 16, v7
	v_and_b32_e32 v7, 0xffff0000, v7
	v_and_b32_e32 v6, 0xffff0000, v6
	v_mul_f32_e32 v7, v17, v7
	v_mul_f32_e32 v6, v15, v6
	v_cvt_pk_bf16_f32 v15, v7, s0
	v_lshlrev_b32_e32 v7, 16, v8
	v_mul_f32_e32 v7, v33, v7
	v_mul_f32_e32 v14, v16, v14
	v_cvt_pk_bf16_f32 v16, v7, s0
	v_and_b32_e32 v7, 0xffff0000, v8
	v_mul_f32_e32 v7, v11, v7
	v_cvt_pk_bf16_f32 v11, v7, s0
	v_lshlrev_b32_e32 v7, 16, v9
	v_mul_f32_e32 v5, v5, v7
	v_and_b32_e32 v7, 0xffff0000, v9
	v_cvt_pk_bf16_f32 v3, v3, s0
	v_cvt_pk_bf16_f32 v6, v6, s0
	;; [unrolled: 1-line block ×3, first 2 shown]
	v_mul_f32_e32 v7, v13, v7
	v_cvt_pk_bf16_f32 v5, v5, s0
	v_cvt_pk_bf16_f32 v13, v7, s0
	v_lshlrev_b32_e32 v7, 16, v6
	v_lshlrev_b32_e32 v9, 16, v3
	;; [unrolled: 1-line block ×4, first 2 shown]
	v_pk_add_f32 v[6:7], v[8:9], v[6:7]
	v_lshlrev_b32_e32 v9, 16, v11
	v_lshlrev_b32_e32 v15, 16, v16
	;; [unrolled: 1-line block ×4, first 2 shown]
	v_pk_add_f32 v[8:9], v[14:15], v[8:9]
	v_mov_b32_e32 v5, v6
	v_mov_b32_e32 v3, v7
	v_mov_b32_e32 v11, v9
	v_pk_add_f32 v[2:3], v[4:5], v[2:3]
	v_mov_b32_e32 v13, v8
	v_pk_add_f32 v[2:3], v[10:11], v[2:3]
	v_add_u32_e32 v1, 2, v1
	v_pk_add_f32 v[2:3], v[12:13], v[2:3]
	v_cmp_le_i32_e32 vcc, s17, v1
	v_pk_add_f32 v[18:19], v[18:19], v[2:3]
	v_add_u32_e32 v29, 32, v29
	v_add_u32_e32 v30, 0x80, v30
	s_or_b64 s[8:9], vcc, s[8:9]
	v_lshl_add_u64 v[24:25], v[24:25], 0, 8
	s_andn2_b64 exec, exec, s[8:9]
	s_cbranch_execz .LBB136_44
.LBB136_40:                             ; =>This Inner Loop Header: Depth=1
	global_load_dword v2, v[24:25], off
	v_add_u32_e32 v36, 1, v29
	v_or_b32_e32 v34, 3, v29
	v_or_b32_e32 v35, 2, v29
	;; [unrolled: 1-line block ×6, first 2 shown]
	s_waitcnt vmcnt(0)
	v_mad_i64_i32 v[2:3], s[0:1], v2, s26, 0
	v_lshl_add_u64 v[6:7], v[2:3], 1, v[22:23]
	global_load_dwordx4 v[2:5], v[6:7], off
	ds_read2_b64 v[14:17], v30 offset1:1
	ds_read2_b64 v[10:13], v30 offset0:2 offset1:3
	v_cmp_eq_u32_e64 s[0:1], s14, v1
	s_and_saveexec_b64 s[12:13], s[0:1]
	s_cbranch_execz .LBB136_42
; %bb.41:                               ;   in Loop: Header=BB136_40 Depth=1
	v_cmp_gt_i32_e32 vcc, s15, v36
	v_cmp_gt_i32_e64 s[2:3], s33, v35
	s_waitcnt vmcnt(0)
	v_cndmask_b32_sdwa v8, v21, v2, vcc dst_sel:DWORD dst_unused:UNUSED_PAD src0_sel:DWORD src1_sel:WORD_1
	v_cmp_gt_i32_e32 vcc, s33, v29
	s_nop 1
	v_cndmask_b32_e32 v2, 0, v2, vcc
	v_cmp_gt_i32_e32 vcc, s15, v34
	v_perm_b32 v2, v8, v2, s20
	v_cndmask_b32_e64 v8, 0, v3, s[2:3]
	v_cndmask_b32_sdwa v3, v21, v3, vcc dst_sel:DWORD dst_unused:UNUSED_PAD src0_sel:DWORD src1_sel:WORD_1
	v_cmp_gt_i32_e32 vcc, s15, v32
	v_cmp_gt_i32_e64 s[2:3], s33, v33
	v_perm_b32 v3, v3, v8, s20
	s_nop 0
	v_cndmask_b32_e64 v8, 0, v4, s[2:3]
	v_cndmask_b32_sdwa v4, v21, v4, vcc dst_sel:DWORD dst_unused:UNUSED_PAD src0_sel:DWORD src1_sel:WORD_1
	v_cmp_gt_i32_e32 vcc, s15, v20
	v_cmp_gt_i32_e64 s[2:3], s33, v31
	v_perm_b32 v4, v4, v8, s20
	s_nop 0
	v_cndmask_b32_e64 v8, 0, v5, s[2:3]
	v_cndmask_b32_sdwa v5, v21, v5, vcc dst_sel:DWORD dst_unused:UNUSED_PAD src0_sel:DWORD src1_sel:WORD_1
	v_perm_b32 v5, v5, v8, s20
.LBB136_42:                             ;   in Loop: Header=BB136_40 Depth=1
	s_or_b64 exec, exec, s[12:13]
	global_load_dwordx4 v[6:9], v[6:7], off offset:1024
	s_and_saveexec_b64 s[2:3], s[0:1]
	s_cbranch_execz .LBB136_39
; %bb.43:                               ;   in Loop: Header=BB136_40 Depth=1
	v_cmp_gt_i32_e32 vcc, s15, v36
	v_cmp_gt_i32_e64 s[0:1], s33, v35
	s_waitcnt vmcnt(0)
	v_cndmask_b32_sdwa v36, v21, v6, vcc dst_sel:DWORD dst_unused:UNUSED_PAD src0_sel:DWORD src1_sel:WORD_1
	v_cmp_gt_i32_e32 vcc, s33, v29
	s_nop 1
	v_cndmask_b32_e32 v6, 0, v6, vcc
	v_cmp_gt_i32_e32 vcc, s15, v34
	v_cndmask_b32_e64 v34, 0, v7, s[0:1]
	v_cmp_gt_i32_e64 s[0:1], s33, v33
	v_cndmask_b32_sdwa v7, v21, v7, vcc dst_sel:DWORD dst_unused:UNUSED_PAD src0_sel:DWORD src1_sel:WORD_1
	v_cmp_gt_i32_e32 vcc, s15, v32
	v_cndmask_b32_e64 v32, 0, v8, s[0:1]
	v_cmp_gt_i32_e64 s[0:1], s33, v31
	v_cndmask_b32_sdwa v8, v21, v8, vcc dst_sel:DWORD dst_unused:UNUSED_PAD src0_sel:DWORD src1_sel:WORD_1
	v_cmp_gt_i32_e32 vcc, s15, v20
	v_cndmask_b32_e64 v20, 0, v9, s[0:1]
	v_perm_b32 v6, v36, v6, s20
	v_cndmask_b32_sdwa v9, v21, v9, vcc dst_sel:DWORD dst_unused:UNUSED_PAD src0_sel:DWORD src1_sel:WORD_1
	v_perm_b32 v7, v7, v34, s20
	v_perm_b32 v8, v8, v32, s20
	;; [unrolled: 1-line block ×3, first 2 shown]
	s_branch .LBB136_39
.LBB136_44:
	s_or_b64 exec, exec, s[8:9]
.LBB136_45:
	s_or_b64 exec, exec, s[6:7]
	ds_bpermute_b32 v2, v27, v18
	ds_bpermute_b32 v3, v27, v19
	v_and_b32_e32 v1, 0x3c1, v0
	v_cmp_eq_u32_e32 vcc, 64, v1
	s_waitcnt lgkmcnt(0)
	s_barrier
	v_pk_add_f32 v[2:3], v[18:19], v[2:3]
	s_and_saveexec_b64 s[0:1], vcc
; %bb.46:
	v_mov_b32_e32 v4, 0x90
	v_lshl_add_u32 v4, v26, 1, v4
	ds_write2_b32 v4, v2, v3 offset1:32
; %bb.47:
	s_or_b64 exec, exec, s[0:1]
	v_cmp_gt_u32_e32 vcc, 64, v0
	v_lshrrev_b32_e32 v0, 1, v0
	s_waitcnt lgkmcnt(0)
	s_barrier
	s_and_saveexec_b64 s[0:1], vcc
	s_cbranch_execz .LBB136_53
; %bb.48:
	v_mov_b32_e32 v4, 0x90
	v_cmp_eq_u32_e32 vcc, 0, v28
	v_lshl_add_u32 v4, v0, 2, v4
	s_and_saveexec_b64 s[2:3], vcc
	s_cbranch_execz .LBB136_50
; %bb.49:
	ds_read_b32 v5, v4
	s_waitcnt lgkmcnt(0)
	v_add_f32_e32 v2, v2, v5
.LBB136_50:
	s_or_b64 exec, exec, s[2:3]
	s_and_saveexec_b64 s[2:3], vcc
	s_cbranch_execz .LBB136_52
; %bb.51:
	ds_read_b32 v4, v4 offset:128
	s_waitcnt lgkmcnt(0)
	v_add_f32_e32 v3, v3, v4
.LBB136_52:
	s_or_b64 exec, exec, s[2:3]
.LBB136_53:
	s_or_b64 exec, exec, s[0:1]
	v_cmp_eq_u32_e32 vcc, 0, v1
	s_barrier
	s_and_saveexec_b64 s[0:1], vcc
	s_cbranch_execz .LBB136_55
; %bb.54:
	s_mul_i32 s0, s10, s11
	s_mul_i32 s0, s0, s5
	s_lshl_b32 s0, s0, 6
	s_ashr_i32 s1, s0, 31
	s_lshl_b64 s[0:1], s[0:1], 1
	s_add_u32 s2, s18, s0
	s_mul_i32 s0, s11, s16
	s_addc_u32 s3, s19, s1
	s_ashr_i32 s1, s0, 31
	s_lshl_b64 s[0:1], s[0:1], 1
	s_add_u32 s2, s2, s0
	s_addc_u32 s3, s3, s1
	s_lshl_b32 s0, s4, 6
	s_ashr_i32 s1, s0, 31
	s_lshl_b64 s[0:1], s[0:1], 1
	s_add_u32 s0, s2, s0
	s_addc_u32 s1, s3, s1
	v_cvt_pk_bf16_f32 v1, v2, s0
	v_lshlrev_b32_e32 v0, 1, v0
	global_store_short v0, v1, s[0:1]
	v_cvt_pk_bf16_f32 v1, v3, s0
	global_store_short v0, v1, s[0:1] offset:64
.LBB136_55:
	s_endpgm
	.section	.rodata,"a",@progbits
	.p2align	6, 0x0
	.amdhsa_kernel _ZN4vllm25paged_attention_v1_kernelI14__hip_bfloat16S1_Li64ELi16ELi128ELNS_18Fp8KVCacheDataTypeE0ELb0EEEvPT_PKS3_PKT0_S9_ifPKiSB_iPKfiiiSD_SD_iiiii
		.amdhsa_group_segment_fixed_size 144
		.amdhsa_private_segment_fixed_size 0
		.amdhsa_kernarg_size 384
		.amdhsa_user_sgpr_count 2
		.amdhsa_user_sgpr_dispatch_ptr 0
		.amdhsa_user_sgpr_queue_ptr 0
		.amdhsa_user_sgpr_kernarg_segment_ptr 1
		.amdhsa_user_sgpr_dispatch_id 0
		.amdhsa_user_sgpr_kernarg_preload_length 0
		.amdhsa_user_sgpr_kernarg_preload_offset 0
		.amdhsa_user_sgpr_private_segment_size 0
		.amdhsa_uses_dynamic_stack 0
		.amdhsa_enable_private_segment 0
		.amdhsa_system_sgpr_workgroup_id_x 1
		.amdhsa_system_sgpr_workgroup_id_y 1
		.amdhsa_system_sgpr_workgroup_id_z 1
		.amdhsa_system_sgpr_workgroup_info 0
		.amdhsa_system_vgpr_workitem_id 0
		.amdhsa_next_free_vgpr 48
		.amdhsa_next_free_sgpr 34
		.amdhsa_accum_offset 48
		.amdhsa_reserve_vcc 1
		.amdhsa_float_round_mode_32 0
		.amdhsa_float_round_mode_16_64 0
		.amdhsa_float_denorm_mode_32 3
		.amdhsa_float_denorm_mode_16_64 3
		.amdhsa_dx10_clamp 1
		.amdhsa_ieee_mode 1
		.amdhsa_fp16_overflow 0
		.amdhsa_tg_split 0
		.amdhsa_exception_fp_ieee_invalid_op 0
		.amdhsa_exception_fp_denorm_src 0
		.amdhsa_exception_fp_ieee_div_zero 0
		.amdhsa_exception_fp_ieee_overflow 0
		.amdhsa_exception_fp_ieee_underflow 0
		.amdhsa_exception_fp_ieee_inexact 0
		.amdhsa_exception_int_div_zero 0
	.end_amdhsa_kernel
	.section	.text._ZN4vllm25paged_attention_v1_kernelI14__hip_bfloat16S1_Li64ELi16ELi128ELNS_18Fp8KVCacheDataTypeE0ELb0EEEvPT_PKS3_PKT0_S9_ifPKiSB_iPKfiiiSD_SD_iiiii,"axG",@progbits,_ZN4vllm25paged_attention_v1_kernelI14__hip_bfloat16S1_Li64ELi16ELi128ELNS_18Fp8KVCacheDataTypeE0ELb0EEEvPT_PKS3_PKT0_S9_ifPKiSB_iPKfiiiSD_SD_iiiii,comdat
.Lfunc_end136:
	.size	_ZN4vllm25paged_attention_v1_kernelI14__hip_bfloat16S1_Li64ELi16ELi128ELNS_18Fp8KVCacheDataTypeE0ELb0EEEvPT_PKS3_PKT0_S9_ifPKiSB_iPKfiiiSD_SD_iiiii, .Lfunc_end136-_ZN4vllm25paged_attention_v1_kernelI14__hip_bfloat16S1_Li64ELi16ELi128ELNS_18Fp8KVCacheDataTypeE0ELb0EEEvPT_PKS3_PKT0_S9_ifPKiSB_iPKfiiiSD_SD_iiiii
                                        ; -- End function
	.set _ZN4vllm25paged_attention_v1_kernelI14__hip_bfloat16S1_Li64ELi16ELi128ELNS_18Fp8KVCacheDataTypeE0ELb0EEEvPT_PKS3_PKT0_S9_ifPKiSB_iPKfiiiSD_SD_iiiii.num_vgpr, 48
	.set _ZN4vllm25paged_attention_v1_kernelI14__hip_bfloat16S1_Li64ELi16ELi128ELNS_18Fp8KVCacheDataTypeE0ELb0EEEvPT_PKS3_PKT0_S9_ifPKiSB_iPKfiiiSD_SD_iiiii.num_agpr, 0
	.set _ZN4vllm25paged_attention_v1_kernelI14__hip_bfloat16S1_Li64ELi16ELi128ELNS_18Fp8KVCacheDataTypeE0ELb0EEEvPT_PKS3_PKT0_S9_ifPKiSB_iPKfiiiSD_SD_iiiii.numbered_sgpr, 34
	.set _ZN4vllm25paged_attention_v1_kernelI14__hip_bfloat16S1_Li64ELi16ELi128ELNS_18Fp8KVCacheDataTypeE0ELb0EEEvPT_PKS3_PKT0_S9_ifPKiSB_iPKfiiiSD_SD_iiiii.num_named_barrier, 0
	.set _ZN4vllm25paged_attention_v1_kernelI14__hip_bfloat16S1_Li64ELi16ELi128ELNS_18Fp8KVCacheDataTypeE0ELb0EEEvPT_PKS3_PKT0_S9_ifPKiSB_iPKfiiiSD_SD_iiiii.private_seg_size, 0
	.set _ZN4vllm25paged_attention_v1_kernelI14__hip_bfloat16S1_Li64ELi16ELi128ELNS_18Fp8KVCacheDataTypeE0ELb0EEEvPT_PKS3_PKT0_S9_ifPKiSB_iPKfiiiSD_SD_iiiii.uses_vcc, 1
	.set _ZN4vllm25paged_attention_v1_kernelI14__hip_bfloat16S1_Li64ELi16ELi128ELNS_18Fp8KVCacheDataTypeE0ELb0EEEvPT_PKS3_PKT0_S9_ifPKiSB_iPKfiiiSD_SD_iiiii.uses_flat_scratch, 0
	.set _ZN4vllm25paged_attention_v1_kernelI14__hip_bfloat16S1_Li64ELi16ELi128ELNS_18Fp8KVCacheDataTypeE0ELb0EEEvPT_PKS3_PKT0_S9_ifPKiSB_iPKfiiiSD_SD_iiiii.has_dyn_sized_stack, 0
	.set _ZN4vllm25paged_attention_v1_kernelI14__hip_bfloat16S1_Li64ELi16ELi128ELNS_18Fp8KVCacheDataTypeE0ELb0EEEvPT_PKS3_PKT0_S9_ifPKiSB_iPKfiiiSD_SD_iiiii.has_recursion, 0
	.set _ZN4vllm25paged_attention_v1_kernelI14__hip_bfloat16S1_Li64ELi16ELi128ELNS_18Fp8KVCacheDataTypeE0ELb0EEEvPT_PKS3_PKT0_S9_ifPKiSB_iPKfiiiSD_SD_iiiii.has_indirect_call, 0
	.section	.AMDGPU.csdata,"",@progbits
; Kernel info:
; codeLenInByte = 4180
; TotalNumSgprs: 40
; NumVgprs: 48
; NumAgprs: 0
; TotalNumVgprs: 48
; ScratchSize: 0
; MemoryBound: 0
; FloatMode: 240
; IeeeMode: 1
; LDSByteSize: 144 bytes/workgroup (compile time only)
; SGPRBlocks: 4
; VGPRBlocks: 5
; NumSGPRsForWavesPerEU: 40
; NumVGPRsForWavesPerEU: 48
; AccumOffset: 48
; Occupancy: 8
; WaveLimiterHint : 1
; COMPUTE_PGM_RSRC2:SCRATCH_EN: 0
; COMPUTE_PGM_RSRC2:USER_SGPR: 2
; COMPUTE_PGM_RSRC2:TRAP_HANDLER: 0
; COMPUTE_PGM_RSRC2:TGID_X_EN: 1
; COMPUTE_PGM_RSRC2:TGID_Y_EN: 1
; COMPUTE_PGM_RSRC2:TGID_Z_EN: 1
; COMPUTE_PGM_RSRC2:TIDIG_COMP_CNT: 0
; COMPUTE_PGM_RSRC3_GFX90A:ACCUM_OFFSET: 11
; COMPUTE_PGM_RSRC3_GFX90A:TG_SPLIT: 0
	.section	.text._ZN4vllm25paged_attention_v1_kernelI14__hip_bfloat16S1_Li80ELi16ELi128ELNS_18Fp8KVCacheDataTypeE0ELb0EEEvPT_PKS3_PKT0_S9_ifPKiSB_iPKfiiiSD_SD_iiiii,"axG",@progbits,_ZN4vllm25paged_attention_v1_kernelI14__hip_bfloat16S1_Li80ELi16ELi128ELNS_18Fp8KVCacheDataTypeE0ELb0EEEvPT_PKS3_PKT0_S9_ifPKiSB_iPKfiiiSD_SD_iiiii,comdat
	.protected	_ZN4vllm25paged_attention_v1_kernelI14__hip_bfloat16S1_Li80ELi16ELi128ELNS_18Fp8KVCacheDataTypeE0ELb0EEEvPT_PKS3_PKT0_S9_ifPKiSB_iPKfiiiSD_SD_iiiii ; -- Begin function _ZN4vllm25paged_attention_v1_kernelI14__hip_bfloat16S1_Li80ELi16ELi128ELNS_18Fp8KVCacheDataTypeE0ELb0EEEvPT_PKS3_PKT0_S9_ifPKiSB_iPKfiiiSD_SD_iiiii
	.globl	_ZN4vllm25paged_attention_v1_kernelI14__hip_bfloat16S1_Li80ELi16ELi128ELNS_18Fp8KVCacheDataTypeE0ELb0EEEvPT_PKS3_PKT0_S9_ifPKiSB_iPKfiiiSD_SD_iiiii
	.p2align	8
	.type	_ZN4vllm25paged_attention_v1_kernelI14__hip_bfloat16S1_Li80ELi16ELi128ELNS_18Fp8KVCacheDataTypeE0ELb0EEEvPT_PKS3_PKT0_S9_ifPKiSB_iPKfiiiSD_SD_iiiii,@function
_ZN4vllm25paged_attention_v1_kernelI14__hip_bfloat16S1_Li80ELi16ELi128ELNS_18Fp8KVCacheDataTypeE0ELb0EEEvPT_PKS3_PKT0_S9_ifPKiSB_iPKfiiiSD_SD_iiiii: ; @_ZN4vllm25paged_attention_v1_kernelI14__hip_bfloat16S1_Li80ELi16ELi128ELNS_18Fp8KVCacheDataTypeE0ELb0EEEvPT_PKS3_PKT0_S9_ifPKiSB_iPKfiiiSD_SD_iiiii
; %bb.0:
	s_load_dword s5, s[0:1], 0x80
	s_load_dwordx2 s[6:7], s[0:1], 0x30
	s_load_dwordx2 s[8:9], s[0:1], 0x20
	s_mov_b32 s10, s3
	s_ashr_i32 s11, s3, 31
	s_lshl_b64 s[12:13], s[10:11], 2
	s_waitcnt lgkmcnt(0)
	s_add_u32 s6, s6, s12
	s_addc_u32 s7, s7, s13
	s_abs_i32 s3, s8
	v_cvt_f32_u32_e32 v1, s3
	s_sub_i32 s12, 0, s3
	s_abs_i32 s11, s5
	s_xor_b32 s8, s5, s8
	v_rcp_iflag_f32_e32 v1, v1
	s_ashr_i32 s8, s8, 31
	v_mul_f32_e32 v1, 0x4f7ffffe, v1
	v_cvt_u32_f32_e32 v1, v1
	s_nop 0
	v_readfirstlane_b32 s13, v1
	s_mul_i32 s12, s12, s13
	s_mul_hi_u32 s12, s13, s12
	s_add_i32 s13, s13, s12
	s_mul_hi_u32 s12, s11, s13
	s_mul_i32 s13, s12, s3
	s_sub_i32 s11, s11, s13
	s_add_i32 s13, s12, 1
	s_sub_i32 s14, s11, s3
	s_cmp_ge_u32 s11, s3
	s_cselect_b32 s12, s13, s12
	s_cselect_b32 s11, s14, s11
	s_add_i32 s13, s12, 1
	s_cmp_ge_u32 s11, s3
	s_cselect_b32 s3, s13, s12
	s_xor_b32 s3, s3, s8
	s_sub_i32 s16, s3, s8
	s_abs_i32 s11, s16
	v_cvt_f32_u32_e32 v1, s11
	s_load_dwordx2 s[12:13], s[0:1], 0x40
	s_sub_i32 s3, 0, s11
	s_abs_i32 s18, s2
	v_rcp_iflag_f32_e32 v1, v1
	s_mov_b32 s8, 0
	v_mul_f32_e32 v1, 0x4f7ffffe, v1
	v_cvt_u32_f32_e32 v1, v1
	s_nop 0
	v_readfirstlane_b32 s14, v1
	s_mul_i32 s3, s3, s14
	s_mul_hi_u32 s3, s14, s3
	s_add_i32 s14, s14, s3
	s_waitcnt lgkmcnt(0)
	s_cmp_eq_u64 s[12:13], 0
	s_mul_hi_u32 s19, s18, s14
	s_cbranch_scc1 .LBB137_2
; %bb.1:
	s_ashr_i32 s3, s2, 31
	s_lshl_b64 s[14:15], s[2:3], 2
	s_add_u32 s12, s12, s14
	s_addc_u32 s13, s13, s15
	s_load_dword s8, s[12:13], 0x0
.LBB137_2:
	s_load_dword s33, s[6:7], 0x0
	s_nop 0
	s_load_dwordx4 s[12:15], s[0:1], 0x48
	s_ashr_i32 s6, s2, 31
	s_ashr_i32 s7, s16, 31
	v_and_b32_e32 v4, 3, v0
	s_mul_i32 s16, s2, 0x50
	v_cmp_gt_u32_e32 vcc, 40, v0
	s_and_saveexec_b64 s[2:3], vcc
	s_cbranch_execz .LBB137_4
; %bb.3:
	s_load_dwordx2 s[20:21], s[0:1], 0x8
	s_waitcnt lgkmcnt(0)
	s_mul_i32 s22, s12, s10
	s_ashr_i32 s23, s22, 31
	s_lshl_b64 s[22:23], s[22:23], 1
	v_lshlrev_b32_e32 v1, 2, v0
	s_add_u32 s12, s20, s22
	s_addc_u32 s15, s21, s23
	s_ashr_i32 s17, s16, 31
	s_lshl_b64 s[20:21], s[16:17], 1
	s_add_u32 s20, s12, s20
	s_addc_u32 s21, s15, s21
	global_load_dword v1, v1, s[20:21]
	v_and_b32_e32 v2, 0x3fc, v0
	v_mad_u32_u24 v2, v4, 40, v2
	s_waitcnt vmcnt(0)
	ds_write_b32 v2, v1
.LBB137_4:
	s_or_b64 exec, exec, s[2:3]
	s_waitcnt lgkmcnt(0)
	s_add_i32 s3, s33, 15
	s_ashr_i32 s12, s3, 31
	s_lshr_b32 s12, s12, 28
	s_add_i32 s3, s3, s12
	s_ashr_i32 s17, s3, 4
	s_xor_b32 s3, s6, s7
	s_mul_i32 s6, s19, s11
	s_sub_i32 s6, s18, s6
	s_add_i32 s7, s19, 1
	s_sub_i32 s12, s6, s11
	s_load_dwordx2 s[20:21], s[0:1], 0x28
	s_load_dword s2, s[0:1], 0x38
	s_cmp_ge_u32 s6, s11
	s_cselect_b32 s7, s7, s19
	s_cselect_b32 s6, s12, s6
	s_add_i32 s12, s7, 1
	s_cmp_ge_u32 s6, s11
	s_cselect_b32 s6, s12, s7
	v_lshrrev_b32_e32 v1, 6, v0
	s_xor_b32 s6, s6, s3
	s_waitcnt lgkmcnt(0)
	s_mul_i32 s22, s2, s10
	s_sub_i32 s12, s6, s3
	s_ashr_i32 s23, s22, 31
	v_cmp_le_i32_e64 s[2:3], s17, v1
	v_mbcnt_lo_u32_b32 v5, -1, 0
	s_barrier
                                        ; implicit-def: $vgpr7
                                        ; implicit-def: $vgpr9
                                        ; implicit-def: $vgpr8
	s_and_saveexec_b64 s[6:7], s[2:3]
	s_xor_b64 s[6:7], exec, s[6:7]
; %bb.5:
	v_mbcnt_hi_u32_b32 v7, -1, v5
	v_and_b32_e32 v9, 64, v7
	v_add_u32_e32 v8, 64, v9
                                        ; implicit-def: $vgpr4
                                        ; implicit-def: $vgpr5
; %bb.6:
	s_or_saveexec_b64 s[26:27], s[6:7]
	s_load_dwordx2 s[18:19], s[0:1], 0x0
	s_load_dwordx2 s[24:25], s[0:1], 0x18
	s_load_dword s11, s[0:1], 0x88
	v_mov_b32_e32 v23, 0xff7fffff
	s_mul_i32 s14, s12, s14
	v_lshrrev_b32_e32 v6, 4, v0
	s_xor_b64 exec, exec, s[26:27]
	s_cbranch_execz .LBB137_12
; %bb.7:
	s_load_dwordx2 s[0:1], s[0:1], 0x10
	s_ashr_i32 s15, s14, 31
	s_lshl_b64 s[6:7], s[14:15], 1
	v_bfe_u32 v23, v0, 2, 4
	v_lshlrev_b32_e32 v36, 4, v23
	s_waitcnt lgkmcnt(0)
	s_add_u32 s0, s0, s6
	s_addc_u32 s1, s1, s7
	v_mov_b32_e32 v37, 0
	v_mul_u32_u24_e32 v7, 40, v4
	v_lshlrev_b32_e32 v8, 2, v0
	v_lshl_add_u64 v[2:3], s[0:1], 0, v[36:37]
	v_and_b32_e32 v36, 12, v8
	ds_read_b64 v[8:9], v7 offset:32
	ds_read2_b64 v[14:17], v7 offset1:1
	ds_read2_b64 v[24:27], v7 offset0:2 offset1:3
	v_mbcnt_hi_u32_b32 v7, -1, v5
	v_xor_b32_e32 v5, 2, v7
	s_waitcnt lgkmcnt(2)
	v_lshlrev_b32_e32 v29, 16, v9
	v_and_b32_e32 v30, 0xffff0000, v9
	v_and_b32_e32 v9, 64, v7
	s_waitcnt lgkmcnt(0)
	v_lshlrev_b32_e32 v18, 16, v24
	v_and_b32_e32 v19, 0xffff0000, v24
	v_lshlrev_b32_e32 v20, 16, v25
	v_and_b32_e32 v21, 0xffff0000, v25
	;; [unrolled: 2-line block ×5, first 2 shown]
	v_add_u32_e32 v8, 64, v9
	v_cmp_lt_i32_e32 vcc, v5, v8
	s_sub_i32 s15, 1, s33
	s_lshl_b64 s[6:7], s[22:23], 2
	v_cndmask_b32_e32 v5, v7, v5, vcc
	v_lshlrev_b32_e32 v31, 2, v5
	v_xor_b32_e32 v5, 1, v7
	v_cmp_lt_i32_e32 vcc, v5, v8
	s_add_u32 s6, s20, s6
	v_lshl_add_u64 v[2:3], v[2:3], 0, v[36:37]
	v_cndmask_b32_e32 v5, v7, v5, vcc
	v_cmp_eq_u32_e32 vcc, 0, v4
	v_lshlrev_b32_e32 v4, 2, v23
	v_lshl_or_b32 v4, v1, 6, v4
	v_and_b32_e32 v36, 60, v6
	s_addc_u32 s7, s21, s7
	s_mov_b32 s12, s13
	v_lshlrev_b32_e32 v10, 16, v14
	v_and_b32_e32 v11, 0xffff0000, v14
	v_lshlrev_b32_e32 v12, 16, v15
	v_and_b32_e32 v13, 0xffff0000, v15
	;; [unrolled: 2-line block ×4, first 2 shown]
	v_lshlrev_b32_e32 v32, 2, v5
	v_cmp_neq_f32_e64 s[0:1], s8, 0
	v_lshl_or_b32 v33, v1, 4, v23
	v_add_u32_e32 v34, 0xb0, v4
	v_lshl_add_u64 v[4:5], s[6:7], 0, v[36:37]
	v_mov_b32_e32 v23, 0xff7fffff
	s_mov_b64 s[28:29], 0
	v_mov_b32_e32 v35, v1
	s_branch .LBB137_9
.LBB137_8:                              ;   in Loop: Header=BB137_9 Depth=1
	s_or_b64 exec, exec, s[30:31]
	v_add_u32_e32 v35, 2, v35
	v_cmp_le_i32_e64 s[6:7], s17, v35
	v_add_u32_e32 v33, 32, v33
	v_add_u32_e32 v34, 0x80, v34
	s_or_b64 s[28:29], s[6:7], s[28:29]
	v_lshl_add_u64 v[4:5], v[4:5], 0, 8
	s_andn2_b64 exec, exec, s[28:29]
	s_cbranch_execz .LBB137_11
.LBB137_9:                              ; =>This Inner Loop Header: Depth=1
	global_load_dword v36, v[4:5], off
	s_waitcnt vmcnt(0) lgkmcnt(0)
	v_mad_i64_i32 v[36:37], s[6:7], v36, s12, 0
	v_lshl_add_u64 v[36:37], v[36:37], 1, v[2:3]
	global_load_dword v38, v[36:37], off
	global_load_dword v39, v[36:37], off offset:256
	global_load_dword v40, v[36:37], off offset:512
	;; [unrolled: 1-line block ×9, first 2 shown]
	s_waitcnt vmcnt(9)
	v_lshlrev_b32_e32 v36, 16, v38
	v_and_b32_e32 v37, 0xffff0000, v38
	s_waitcnt vmcnt(8)
	v_lshlrev_b32_e32 v38, 16, v39
	v_and_b32_e32 v39, 0xffff0000, v39
	v_mul_f32_e32 v38, v12, v38
	v_mul_f32_e32 v39, v13, v39
	s_waitcnt vmcnt(7)
	v_lshlrev_b32_e32 v48, 16, v40
	v_and_b32_e32 v40, 0xffff0000, v40
	v_fmac_f32_e32 v38, v10, v36
	v_fmac_f32_e32 v39, v11, v37
	s_waitcnt vmcnt(6)
	v_lshlrev_b32_e32 v49, 16, v41
	v_and_b32_e32 v41, 0xffff0000, v41
	v_fmac_f32_e32 v38, v14, v48
	v_fmac_f32_e32 v39, v15, v40
	s_waitcnt vmcnt(5)
	v_lshlrev_b32_e32 v50, 16, v42
	v_and_b32_e32 v42, 0xffff0000, v42
	v_fmac_f32_e32 v38, v16, v49
	v_fmac_f32_e32 v39, v17, v41
	s_waitcnt vmcnt(4)
	v_lshlrev_b32_e32 v51, 16, v43
	v_and_b32_e32 v43, 0xffff0000, v43
	v_fmac_f32_e32 v38, v18, v50
	v_fmac_f32_e32 v39, v19, v42
	s_waitcnt vmcnt(3)
	v_lshlrev_b32_e32 v52, 16, v44
	v_and_b32_e32 v44, 0xffff0000, v44
	v_fmac_f32_e32 v38, v20, v51
	v_fmac_f32_e32 v39, v21, v43
	s_waitcnt vmcnt(2)
	v_lshlrev_b32_e32 v53, 16, v45
	v_and_b32_e32 v45, 0xffff0000, v45
	v_fmac_f32_e32 v38, v22, v52
	v_fmac_f32_e32 v39, v24, v44
	s_waitcnt vmcnt(1)
	v_lshlrev_b32_e32 v54, 16, v46
	v_and_b32_e32 v46, 0xffff0000, v46
	v_fmac_f32_e32 v38, v25, v53
	v_fmac_f32_e32 v39, v26, v45
	s_waitcnt vmcnt(0)
	v_lshlrev_b32_e32 v55, 16, v47
	v_and_b32_e32 v47, 0xffff0000, v47
	v_fmac_f32_e32 v38, v27, v54
	v_fmac_f32_e32 v39, v28, v46
	v_fmac_f32_e32 v38, v29, v55
	v_fmac_f32_e32 v39, v30, v47
	v_add_f32_e32 v36, v38, v39
	ds_bpermute_b32 v37, v31, v36
	s_waitcnt lgkmcnt(0)
	v_add_f32_e32 v36, v36, v37
	ds_bpermute_b32 v37, v32, v36
	s_and_saveexec_b64 s[30:31], vcc
	s_cbranch_execz .LBB137_8
; %bb.10:                               ;   in Loop: Header=BB137_9 Depth=1
	v_add_u32_e32 v38, s15, v33
	v_cvt_f32_i32_e32 v38, v38
	s_waitcnt lgkmcnt(0)
	v_add_f32_e32 v36, v36, v37
	v_cmp_gt_i32_e64 s[6:7], s33, v33
	v_max_f32_e32 v37, v23, v23
	v_mul_f32_e32 v38, s8, v38
	v_cndmask_b32_e64 v38, 0, v38, s[0:1]
	v_fmac_f32_e32 v38, s9, v36
	v_cndmask_b32_e64 v36, 0, v38, s[6:7]
	ds_write_b32 v34, v36
	v_max_f32_e32 v36, v37, v38
	v_cndmask_b32_e64 v23, v23, v36, s[6:7]
	s_branch .LBB137_8
.LBB137_11:
	s_or_b64 exec, exec, s[28:29]
.LBB137_12:
	s_or_b64 exec, exec, s[26:27]
	v_xor_b32_e32 v2, 32, v7
	v_cmp_lt_i32_e32 vcc, v2, v8
	v_xor_b32_e32 v5, 16, v7
	v_max_f32_e32 v4, v23, v23
	v_cndmask_b32_e32 v2, v7, v2, vcc
	v_lshlrev_b32_e32 v2, 2, v2
	ds_bpermute_b32 v3, v2, v23
	v_cmp_lt_i32_e32 vcc, v5, v8
	v_xor_b32_e32 v10, 8, v7
	v_xor_b32_e32 v12, 4, v7
	s_waitcnt lgkmcnt(0)
	v_max_f32_e32 v3, v3, v3
	v_max_f32_e32 v4, v4, v3
	v_cndmask_b32_e32 v3, v7, v5, vcc
	v_lshlrev_b32_e32 v3, 2, v3
	ds_bpermute_b32 v5, v3, v4
	v_cmp_lt_i32_e32 vcc, v10, v8
	s_waitcnt lgkmcnt(0)
	v_max_f32_e32 v5, v5, v5
	v_max_f32_e32 v4, v4, v5
	v_cndmask_b32_e32 v5, v7, v10, vcc
	v_lshlrev_b32_e32 v11, 2, v5
	ds_bpermute_b32 v5, v11, v4
	v_cmp_lt_i32_e32 vcc, v12, v8
	s_waitcnt lgkmcnt(0)
	v_max_f32_e32 v5, v5, v5
	v_max_f32_e32 v10, v4, v5
	v_cndmask_b32_e32 v4, v7, v12, vcc
	v_lshlrev_b32_e32 v12, 2, v4
	ds_bpermute_b32 v13, v12, v10
	v_and_b32_e32 v4, 63, v0
	v_cmp_eq_u32_e32 vcc, 0, v4
	v_lshlrev_b32_e32 v5, 2, v1
	s_and_saveexec_b64 s[0:1], vcc
	s_cbranch_execz .LBB137_14
; %bb.13:
	s_waitcnt lgkmcnt(0)
	v_max_f32_e32 v13, v13, v13
	v_max_f32_e32 v10, v10, v10
	;; [unrolled: 1-line block ×3, first 2 shown]
	ds_write_b32 v5, v10 offset:160
.LBB137_14:
	s_or_b64 exec, exec, s[0:1]
	v_cmp_gt_u32_e64 s[0:1], 2, v4
	s_waitcnt lgkmcnt(0)
	v_mov_b32_e32 v13, 0xff7fffff
	v_lshlrev_b32_e32 v10, 2, v4
	s_barrier
	s_and_saveexec_b64 s[6:7], s[0:1]
; %bb.15:
	ds_read_b32 v13, v10 offset:160
; %bb.16:
	s_or_b64 exec, exec, s[6:7]
	v_xor_b32_e32 v14, 1, v7
	v_cmp_lt_i32_e64 s[6:7], v14, v8
	v_lshlrev_b32_e32 v9, 2, v9
	s_nop 0
	v_cndmask_b32_e64 v14, v7, v14, s[6:7]
	v_lshlrev_b32_e32 v28, 2, v14
	s_waitcnt lgkmcnt(0)
	ds_bpermute_b32 v14, v28, v13
	v_max_f32_e32 v13, v13, v13
	s_lshl_b32 s6, s17, 4
	s_min_i32 s12, s6, s33
	v_cmp_gt_i32_e64 s[6:7], s12, v0
	s_waitcnt lgkmcnt(0)
	v_max_f32_e32 v14, v14, v14
	v_max_f32_e32 v13, v13, v14
	ds_bpermute_b32 v13, v9, v13
	v_mov_b32_e32 v9, 0
	s_and_saveexec_b64 s[26:27], s[6:7]
	s_cbranch_execz .LBB137_20
; %bb.17:
	v_mov_b32_e32 v9, 0xb0
	v_lshl_add_u32 v14, v0, 2, v9
	v_mov_b32_e32 v9, 0
	s_mov_b64 s[28:29], 0
	v_mov_b32_e32 v15, v0
.LBB137_18:                             ; =>This Inner Loop Header: Depth=1
	ds_read_b32 v16, v14
	v_add_u32_e32 v15, 0x80, v15
	v_cmp_le_i32_e64 s[8:9], s12, v15
	s_or_b64 s[28:29], s[8:9], s[28:29]
	s_waitcnt lgkmcnt(0)
	v_sub_f32_e32 v16, v16, v13
	v_mul_f32_e32 v16, 0x3fb8aa3b, v16
	v_exp_f32_e32 v16, v16
	ds_write_b32 v14, v16
	v_add_f32_e32 v9, v9, v16
	v_add_u32_e32 v14, 0x200, v14
	s_andn2_b64 exec, exec, s[28:29]
	s_cbranch_execnz .LBB137_18
; %bb.19:
	s_or_b64 exec, exec, s[28:29]
.LBB137_20:
	s_or_b64 exec, exec, s[26:27]
	ds_bpermute_b32 v2, v2, v9
	s_waitcnt lgkmcnt(0)
	v_add_f32_e32 v2, v9, v2
	ds_bpermute_b32 v3, v3, v2
	v_xor_b32_e32 v9, 2, v7
	v_cmp_lt_i32_e64 s[8:9], v9, v8
	s_waitcnt lgkmcnt(0)
	v_add_f32_e32 v2, v2, v3
	ds_bpermute_b32 v3, v11, v2
	v_cndmask_b32_e64 v8, v7, v9, s[8:9]
	s_waitcnt lgkmcnt(0)
	v_add_f32_e32 v2, v2, v3
	ds_bpermute_b32 v3, v12, v2
	s_waitcnt lgkmcnt(0)
	v_add_f32_e32 v2, v2, v3
	v_lshlrev_b32_e32 v3, 2, v8
	ds_bpermute_b32 v3, v3, v2
	s_waitcnt lgkmcnt(0)
	v_add_f32_e32 v2, v2, v3
	ds_bpermute_b32 v3, v28, v2
	s_waitcnt lgkmcnt(0)
	v_add_f32_e32 v2, v2, v3
	s_and_saveexec_b64 s[8:9], vcc
; %bb.21:
	ds_write_b32 v5, v2 offset:168
; %bb.22:
	s_or_b64 exec, exec, s[8:9]
	s_waitcnt lgkmcnt(0)
	s_barrier
	s_and_saveexec_b64 s[8:9], s[0:1]
; %bb.23:
	ds_read_b32 v2, v10 offset:168
; %bb.24:
	s_or_b64 exec, exec, s[8:9]
	s_waitcnt lgkmcnt(0)
	ds_bpermute_b32 v3, v28, v2
	v_lshlrev_b32_e32 v5, 2, v7
	s_waitcnt lgkmcnt(0)
	v_add_f32_e32 v2, v2, v3
	v_and_b32_e32 v3, 0xffffff00, v5
	ds_bpermute_b32 v2, v3, v2
	s_and_saveexec_b64 s[0:1], s[6:7]
	s_cbranch_execz .LBB137_37
; %bb.25:
	s_waitcnt lgkmcnt(0)
	v_add_f32_e32 v2, 0x358637bd, v2
	v_div_scale_f32 v3, s[6:7], v2, v2, 1.0
	v_rcp_f32_e32 v5, v3
	v_div_scale_f32 v7, vcc, 1.0, v2, 1.0
	s_movk_i32 s6, 0x7f
	v_fma_f32 v8, -v3, v5, 1.0
	v_fmac_f32_e32 v5, v8, v5
	v_mul_f32_e32 v8, v7, v5
	v_fma_f32 v9, -v3, v8, v7
	v_fmac_f32_e32 v8, v9, v5
	v_fma_f32 v3, -v3, v8, v7
	v_div_fmas_f32 v3, v3, v5, v8
	v_xad_u32 v5, v0, -1, s12
	v_div_fixup_f32 v2, v3, v2, 1.0
	v_cmp_lt_u32_e32 vcc, s6, v5
	s_mov_b64 s[8:9], -1
	v_mov_b32_e32 v3, v0
	s_and_saveexec_b64 s[6:7], vcc
	s_cbranch_execz .LBB137_34
; %bb.26:
	v_lshrrev_b32_e32 v5, 7, v5
	v_add_u32_e32 v8, -1, v5
	v_lshrrev_b32_e32 v7, 1, v8
	v_mov_b32_e32 v3, v2
	v_add_u32_e32 v7, 1, v7
	v_cmp_lt_u32_e32 vcc, 13, v8
	v_mov_b32_e32 v10, 0
	s_and_saveexec_b64 s[8:9], vcc
	s_cbranch_execz .LBB137_30
; %bb.27:
	v_mov_b32_e32 v9, 0xb0
	v_and_b32_e32 v8, -8, v7
	v_lshl_add_u32 v9, v0, 2, v9
	s_mov_b32 s15, 0
	s_mov_b64 s[26:27], 0
.LBB137_28:                             ; =>This Inner Loop Header: Depth=1
	ds_read2st64_b32 v[10:11], v9 offset1:2
	ds_read2st64_b32 v[12:13], v9 offset0:4 offset1:6
	ds_read2st64_b32 v[14:15], v9 offset0:8 offset1:10
	;; [unrolled: 1-line block ×3, first 2 shown]
	v_add_u32_e32 v8, -8, v8
	s_waitcnt lgkmcnt(3)
	v_pk_mul_f32 v[10:11], v[2:3], v[10:11]
	s_waitcnt lgkmcnt(2)
	v_pk_mul_f32 v[12:13], v[2:3], v[12:13]
	ds_write2st64_b32 v9, v10, v11 offset1:2
	ds_write2st64_b32 v9, v12, v13 offset0:4 offset1:6
	ds_read2st64_b32 v[12:13], v9 offset0:16 offset1:18
	s_waitcnt lgkmcnt(4)
	v_pk_mul_f32 v[10:11], v[2:3], v[14:15]
	ds_write2st64_b32 v9, v10, v11 offset0:8 offset1:10
	s_waitcnt lgkmcnt(4)
	v_pk_mul_f32 v[10:11], v[2:3], v[16:17]
	ds_write2st64_b32 v9, v10, v11 offset0:12 offset1:14
	ds_read2st64_b32 v[10:11], v9 offset0:20 offset1:22
	s_waitcnt lgkmcnt(3)
	v_pk_mul_f32 v[12:13], v[2:3], v[12:13]
	ds_read2st64_b32 v[14:15], v9 offset0:24 offset1:26
	ds_write2st64_b32 v9, v12, v13 offset0:16 offset1:18
	ds_read2st64_b32 v[12:13], v9 offset0:28 offset1:30
	s_waitcnt lgkmcnt(3)
	v_pk_mul_f32 v[10:11], v[2:3], v[10:11]
	ds_write2st64_b32 v9, v10, v11 offset0:20 offset1:22
	s_waitcnt lgkmcnt(3)
	v_pk_mul_f32 v[10:11], v[2:3], v[14:15]
	ds_write2st64_b32 v9, v10, v11 offset0:24 offset1:26
	s_waitcnt lgkmcnt(2)
	v_pk_mul_f32 v[10:11], v[2:3], v[12:13]
	s_add_i32 s15, s15, 16
	v_cmp_eq_u32_e32 vcc, 0, v8
	ds_write2st64_b32 v9, v10, v11 offset0:28 offset1:30
	v_add_u32_e32 v9, 0x2000, v9
	s_or_b64 s[26:27], vcc, s[26:27]
	v_mov_b32_e32 v10, s15
	s_andn2_b64 exec, exec, s[26:27]
	s_cbranch_execnz .LBB137_28
; %bb.29:
	s_or_b64 exec, exec, s[26:27]
.LBB137_30:
	s_or_b64 exec, exec, s[8:9]
	v_and_b32_e32 v7, 7, v7
	v_cmp_ne_u32_e32 vcc, 0, v7
	s_and_saveexec_b64 s[8:9], vcc
	s_cbranch_execz .LBB137_33
; %bb.31:
	v_lshlrev_b32_e32 v8, 9, v10
	v_lshlrev_b32_e32 v9, 2, v0
	s_movk_i32 s15, 0xb0
	v_add3_u32 v8, v8, v9, s15
	s_mov_b64 s[26:27], 0
.LBB137_32:                             ; =>This Inner Loop Header: Depth=1
	ds_read2st64_b32 v[10:11], v8 offset1:2
	v_add_u32_e32 v7, -1, v7
	v_cmp_eq_u32_e32 vcc, 0, v7
	s_or_b64 s[26:27], vcc, s[26:27]
	s_waitcnt lgkmcnt(0)
	v_pk_mul_f32 v[10:11], v[2:3], v[10:11]
	ds_write2st64_b32 v8, v10, v11 offset1:2
	v_add_u32_e32 v8, 0x400, v8
	s_andn2_b64 exec, exec, s[26:27]
	s_cbranch_execnz .LBB137_32
.LBB137_33:
	s_or_b64 exec, exec, s[8:9]
	v_add_u32_e32 v5, 1, v5
	v_and_b32_e32 v7, 0x3fffffe, v5
	v_cmp_ne_u32_e32 vcc, v5, v7
	v_lshl_add_u32 v3, v7, 7, v0
	s_orn2_b64 s[8:9], vcc, exec
.LBB137_34:
	s_or_b64 exec, exec, s[6:7]
	s_and_b64 exec, exec, s[8:9]
	s_cbranch_execz .LBB137_37
; %bb.35:
	v_mov_b32_e32 v5, 0xb0
	v_lshl_add_u32 v5, v3, 2, v5
	s_mov_b64 s[6:7], 0
.LBB137_36:                             ; =>This Inner Loop Header: Depth=1
	ds_read_b32 v7, v5
	v_add_u32_e32 v3, 0x80, v3
	v_cmp_le_i32_e32 vcc, s12, v3
	s_or_b64 s[6:7], vcc, s[6:7]
	s_waitcnt lgkmcnt(0)
	v_mul_f32_e32 v7, v2, v7
	ds_write_b32 v5, v7
	v_add_u32_e32 v5, 0x200, v5
	s_andn2_b64 exec, exec, s[6:7]
	s_cbranch_execnz .LBB137_36
.LBB137_37:
	s_or_b64 exec, exec, s[0:1]
	v_lshrrev_b32_e32 v29, 1, v4
	s_waitcnt lgkmcnt(0)
	s_barrier
	s_and_saveexec_b64 s[0:1], s[2:3]
	s_xor_b64 s[0:1], exec, s[0:1]
; %bb.38:
	v_lshrrev_b32_e32 v29, 1, v4
                                        ; implicit-def: $vgpr1
                                        ; implicit-def: $vgpr6
; %bb.39:
	s_or_saveexec_b64 s[8:9], s[0:1]
	v_mov_b32_e32 v19, 0
	v_and_b32_e32 v30, 1, v0
	v_mov_b32_e32 v18, 0
	v_mov_b32_e32 v31, 0
	s_xor_b64 exec, exec, s[8:9]
	s_cbranch_execz .LBB137_51
; %bb.40:
	s_ashr_i32 s15, s14, 31
	s_lshl_b64 s[0:1], s[14:15], 1
	v_lshlrev_b32_e32 v2, 3, v0
	s_add_u32 s12, s24, s0
	v_and_b32_e32 v3, 8, v2
	s_mov_b32 s26, s13
	s_addc_u32 s13, s25, s1
	s_add_i32 s24, s17, -1
	v_or_b32_e32 v4, 64, v29
	s_movk_i32 s0, 0x50
	s_lshl_b64 s[2:3], s[22:23], 2
	v_lshl_or_b32 v2, v29, 4, v3
	v_cmp_gt_u32_e64 s[0:1], s0, v4
	v_lshl_or_b32 v4, v4, 4, v3
	v_lshl_or_b32 v32, v1, 4, v3
	v_lshlrev_b32_e32 v3, 5, v30
	s_add_u32 s2, s20, s2
	v_mov_b32_e32 v21, 0
	v_lshl_or_b32 v3, v1, 6, v3
	v_and_b32_e32 v20, 60, v6
	s_addc_u32 s3, s21, s3
	s_mov_b32 s25, s33
	v_add_u32_e32 v33, 0xb0, v3
	v_lshl_add_u64 v[22:23], s[2:3], 0, v[20:21]
	s_mov_b64 s[14:15], 0
	v_lshlrev_b32_e32 v24, 1, v2
	v_mov_b32_e32 v25, v21
	s_mov_b32 s22, 0x5040100
	v_lshlrev_b32_e32 v20, 1, v4
	v_mov_b32_e32 v31, v21
	v_mov_b32_e32 v19, v21
	;; [unrolled: 1-line block ×3, first 2 shown]
	s_branch .LBB137_43
.LBB137_41:                             ;   in Loop: Header=BB137_43 Depth=1
	s_or_b64 exec, exec, s[20:21]
	s_waitcnt vmcnt(0)
	v_and_b32_e32 v17, 0xffff0000, v10
	v_and_b32_e32 v26, 0xffff0000, v34
	v_mul_f32_e32 v17, v26, v17
	v_lshlrev_b32_e32 v10, 16, v10
	v_lshlrev_b32_e32 v26, 16, v34
	v_mul_f32_e32 v10, v26, v10
	v_and_b32_e32 v26, 0xffff0000, v11
	v_and_b32_e32 v27, 0xffff0000, v16
	v_mul_f32_e32 v26, v27, v26
	v_lshlrev_b32_e32 v11, 16, v11
	v_lshlrev_b32_e32 v27, 16, v16
	v_mul_f32_e32 v11, v27, v11
	;; [unrolled: 6-line block ×3, first 2 shown]
	v_and_b32_e32 v35, 0xffff0000, v13
	v_and_b32_e32 v36, 0xffff0000, v14
	v_cvt_pk_bf16_f32 v17, v17, s0
	v_cvt_pk_bf16_f32 v10, v10, s0
	v_cvt_pk_bf16_f32 v26, v26, s0
	v_cvt_pk_bf16_f32 v11, v11, s0
	v_mul_f32_e32 v35, v36, v35
	v_lshlrev_b32_e32 v13, 16, v13
	v_lshlrev_b32_e32 v36, 16, v14
	v_cvt_pk_bf16_f32 v27, v27, s0
	v_cvt_pk_bf16_f32 v12, v12, s0
	v_mul_f32_e32 v13, v36, v13
	v_lshlrev_b32_e32 v10, 16, v10
	v_lshlrev_b32_e32 v17, 16, v17
	;; [unrolled: 1-line block ×4, first 2 shown]
	v_cvt_pk_bf16_f32 v35, v35, s0
	v_cvt_pk_bf16_f32 v13, v13, s0
	v_lshlrev_b32_e32 v12, 16, v12
	v_lshlrev_b32_e32 v27, 16, v27
	v_add_f32_e32 v10, v17, v10
	v_add_f32_e32 v11, v26, v11
	v_lshlrev_b32_e32 v13, 16, v13
	v_lshlrev_b32_e32 v35, 16, v35
	v_add_f32_e32 v10, v11, v10
	v_add_f32_e32 v11, v27, v12
	v_add_f32_e32 v10, v11, v10
	v_add_f32_e32 v11, v35, v13
	v_add_f32_e32 v10, v11, v10
	v_add_f32_e32 v31, v31, v10
.LBB137_42:                             ;   in Loop: Header=BB137_43 Depth=1
	s_or_b64 exec, exec, s[6:7]
	s_waitcnt vmcnt(0)
	v_and_b32_e32 v10, 0xffff0000, v6
	v_and_b32_e32 v11, 0xffff0000, v34
	v_lshlrev_b32_e32 v6, 16, v6
	v_lshlrev_b32_e32 v12, 16, v34
	v_mul_f32_e32 v10, v11, v10
	v_mul_f32_e32 v6, v12, v6
	v_and_b32_e32 v13, 0xffff0000, v7
	v_and_b32_e32 v17, 0xffff0000, v16
	v_lshlrev_b32_e32 v7, 16, v7
	v_lshlrev_b32_e32 v16, 16, v16
	v_cvt_pk_bf16_f32 v10, v10, s0
	v_cvt_pk_bf16_f32 v6, v6, s0
	v_mul_f32_e32 v13, v17, v13
	v_mul_f32_e32 v7, v16, v7
	v_cvt_pk_bf16_f32 v13, v13, s0
	v_cvt_pk_bf16_f32 v7, v7, s0
	v_and_b32_e32 v26, 0xffff0000, v8
	v_and_b32_e32 v27, 0xffff0000, v15
	v_lshlrev_b32_e32 v8, 16, v8
	v_lshlrev_b32_e32 v15, 16, v15
	;; [unrolled: 1-line block ×4, first 2 shown]
	v_mul_f32_e32 v26, v27, v26
	v_mul_f32_e32 v8, v15, v8
	v_add_f32_e32 v6, v6, v10
	v_lshlrev_b32_e32 v7, 16, v7
	v_lshlrev_b32_e32 v10, 16, v13
	v_cvt_pk_bf16_f32 v26, v26, s0
	v_cvt_pk_bf16_f32 v8, v8, s0
	v_and_b32_e32 v34, 0xffff0000, v9
	v_and_b32_e32 v35, 0xffff0000, v14
	v_lshlrev_b32_e32 v9, 16, v9
	v_lshlrev_b32_e32 v14, 16, v14
	v_add_f32_e32 v7, v7, v10
	v_mul_f32_e32 v34, v35, v34
	v_mul_f32_e32 v9, v14, v9
	v_add_f32_e32 v6, v7, v6
	v_lshlrev_b32_e32 v7, 16, v8
	v_lshlrev_b32_e32 v8, 16, v26
	v_cvt_pk_bf16_f32 v34, v34, s0
	v_cvt_pk_bf16_f32 v9, v9, s0
	v_add_f32_e32 v7, v7, v8
	v_add_f32_e32 v6, v7, v6
	v_lshlrev_b32_e32 v7, 16, v9
	v_lshlrev_b32_e32 v8, 16, v34
	v_add_f32_e32 v7, v7, v8
	v_add_f32_e32 v6, v7, v6
	;; [unrolled: 1-line block ×3, first 2 shown]
	v_and_b32_e32 v6, 0xffff0000, v2
	v_lshlrev_b32_e32 v2, 16, v2
	v_mul_f32_e32 v6, v11, v6
	v_mul_f32_e32 v2, v12, v2
	v_and_b32_e32 v7, 0xffff0000, v3
	v_lshlrev_b32_e32 v3, 16, v3
	v_cvt_pk_bf16_f32 v6, v6, s0
	v_cvt_pk_bf16_f32 v2, v2, s0
	v_mul_f32_e32 v7, v17, v7
	v_mul_f32_e32 v3, v16, v3
	v_cvt_pk_bf16_f32 v7, v7, s0
	v_cvt_pk_bf16_f32 v3, v3, s0
	v_and_b32_e32 v8, 0xffff0000, v4
	v_lshlrev_b32_e32 v4, 16, v4
	v_lshlrev_b32_e32 v2, 16, v2
	;; [unrolled: 1-line block ×3, first 2 shown]
	v_mul_f32_e32 v8, v27, v8
	v_mul_f32_e32 v4, v15, v4
	v_add_f32_e32 v2, v2, v6
	v_lshlrev_b32_e32 v3, 16, v3
	v_lshlrev_b32_e32 v6, 16, v7
	v_cvt_pk_bf16_f32 v8, v8, s0
	v_cvt_pk_bf16_f32 v4, v4, s0
	v_and_b32_e32 v9, 0xffff0000, v5
	v_lshlrev_b32_e32 v5, 16, v5
	v_add_f32_e32 v3, v3, v6
	v_mul_f32_e32 v9, v35, v9
	v_mul_f32_e32 v5, v14, v5
	v_add_f32_e32 v2, v3, v2
	v_lshlrev_b32_e32 v3, 16, v4
	v_lshlrev_b32_e32 v4, 16, v8
	v_cvt_pk_bf16_f32 v9, v9, s0
	v_cvt_pk_bf16_f32 v5, v5, s0
	v_add_f32_e32 v3, v3, v4
	v_add_f32_e32 v2, v3, v2
	v_lshlrev_b32_e32 v3, 16, v5
	v_lshlrev_b32_e32 v4, 16, v9
	v_add_f32_e32 v3, v3, v4
	v_add_u32_e32 v1, 2, v1
	v_add_f32_e32 v2, v3, v2
	v_cmp_le_i32_e32 vcc, s17, v1
	v_add_f32_e32 v18, v18, v2
	v_add_u32_e32 v32, 32, v32
	v_add_u32_e32 v33, 0x80, v33
	s_or_b64 s[14:15], vcc, s[14:15]
	v_lshl_add_u64 v[22:23], v[22:23], 0, 8
	s_andn2_b64 exec, exec, s[14:15]
	s_cbranch_execz .LBB137_50
.LBB137_43:                             ; =>This Inner Loop Header: Depth=1
	global_load_dword v2, v[22:23], off
	s_waitcnt vmcnt(0)
	v_mad_i64_i32 v[2:3], s[2:3], v2, s26, 0
	v_lshl_add_u64 v[26:27], v[2:3], 1, s[12:13]
	v_lshl_add_u64 v[6:7], v[26:27], 0, v[24:25]
	global_load_dwordx4 v[2:5], v[6:7], off
	ds_read2_b64 v[14:17], v33 offset1:1
	ds_read2_b64 v[10:13], v33 offset0:2 offset1:3
	v_cmp_eq_u32_e64 s[2:3], s24, v1
	s_and_saveexec_b64 s[20:21], s[2:3]
	s_cbranch_execz .LBB137_45
; %bb.44:                               ;   in Loop: Header=BB137_43 Depth=1
	v_add_u32_e32 v8, 1, v32
	v_cmp_gt_i32_e32 vcc, s25, v8
	v_or_b32_e32 v9, 2, v32
	v_cmp_gt_i32_e64 s[6:7], s33, v9
	s_waitcnt vmcnt(0)
	v_cndmask_b32_sdwa v8, v21, v2, vcc dst_sel:DWORD dst_unused:UNUSED_PAD src0_sel:DWORD src1_sel:WORD_1
	v_cmp_gt_i32_e32 vcc, s33, v32
	v_or_b32_e32 v9, 4, v32
	s_nop 0
	v_cndmask_b32_e32 v2, 0, v2, vcc
	v_perm_b32 v2, v8, v2, s22
	v_or_b32_e32 v8, 3, v32
	v_cmp_gt_i32_e32 vcc, s25, v8
	v_cndmask_b32_e64 v8, 0, v3, s[6:7]
	v_cmp_gt_i32_e64 s[6:7], s33, v9
	v_cndmask_b32_sdwa v3, v21, v3, vcc dst_sel:DWORD dst_unused:UNUSED_PAD src0_sel:DWORD src1_sel:WORD_1
	v_perm_b32 v3, v3, v8, s22
	v_or_b32_e32 v8, 5, v32
	v_cmp_gt_i32_e32 vcc, s25, v8
	v_cndmask_b32_e64 v8, 0, v4, s[6:7]
	v_or_b32_e32 v9, 6, v32
	v_cndmask_b32_sdwa v4, v21, v4, vcc dst_sel:DWORD dst_unused:UNUSED_PAD src0_sel:DWORD src1_sel:WORD_1
	v_perm_b32 v4, v4, v8, s22
	v_or_b32_e32 v8, 7, v32
	v_cmp_gt_i32_e32 vcc, s25, v8
	v_cmp_gt_i32_e64 s[6:7], s33, v9
	s_nop 1
	v_cndmask_b32_e64 v8, 0, v5, s[6:7]
	v_cndmask_b32_sdwa v5, v21, v5, vcc dst_sel:DWORD dst_unused:UNUSED_PAD src0_sel:DWORD src1_sel:WORD_1
	v_perm_b32 v5, v5, v8, s22
.LBB137_45:                             ;   in Loop: Header=BB137_43 Depth=1
	s_or_b64 exec, exec, s[20:21]
	global_load_dwordx4 v[6:9], v[6:7], off offset:1024
	s_and_saveexec_b64 s[20:21], s[2:3]
	s_cbranch_execz .LBB137_47
; %bb.46:                               ;   in Loop: Header=BB137_43 Depth=1
	v_add_u32_e32 v34, 1, v32
	v_cmp_gt_i32_e32 vcc, s25, v34
	v_or_b32_e32 v35, 2, v32
	v_cmp_gt_i32_e64 s[6:7], s33, v35
	s_waitcnt vmcnt(0)
	v_cndmask_b32_sdwa v34, v21, v6, vcc dst_sel:DWORD dst_unused:UNUSED_PAD src0_sel:DWORD src1_sel:WORD_1
	v_cmp_gt_i32_e32 vcc, s33, v32
	v_or_b32_e32 v35, 4, v32
	s_nop 0
	v_cndmask_b32_e32 v6, 0, v6, vcc
	v_perm_b32 v6, v34, v6, s22
	v_or_b32_e32 v34, 3, v32
	v_cmp_gt_i32_e32 vcc, s25, v34
	v_cndmask_b32_e64 v34, 0, v7, s[6:7]
	v_cmp_gt_i32_e64 s[6:7], s33, v35
	v_cndmask_b32_sdwa v7, v21, v7, vcc dst_sel:DWORD dst_unused:UNUSED_PAD src0_sel:DWORD src1_sel:WORD_1
	v_perm_b32 v7, v7, v34, s22
	v_or_b32_e32 v34, 5, v32
	v_cmp_gt_i32_e32 vcc, s25, v34
	v_cndmask_b32_e64 v34, 0, v8, s[6:7]
	v_or_b32_e32 v35, 6, v32
	v_cndmask_b32_sdwa v8, v21, v8, vcc dst_sel:DWORD dst_unused:UNUSED_PAD src0_sel:DWORD src1_sel:WORD_1
	v_perm_b32 v8, v8, v34, s22
	v_or_b32_e32 v34, 7, v32
	v_cmp_gt_i32_e32 vcc, s25, v34
	v_cmp_gt_i32_e64 s[6:7], s33, v35
	s_nop 1
	v_cndmask_b32_e64 v34, 0, v9, s[6:7]
	v_cndmask_b32_sdwa v9, v21, v9, vcc dst_sel:DWORD dst_unused:UNUSED_PAD src0_sel:DWORD src1_sel:WORD_1
	v_perm_b32 v9, v9, v34, s22
.LBB137_47:                             ;   in Loop: Header=BB137_43 Depth=1
	s_or_b64 exec, exec, s[20:21]
	s_waitcnt lgkmcnt(1)
	v_cvt_pk_bf16_f32 v34, v14, v15
	v_cvt_pk_bf16_f32 v16, v16, v17
	s_waitcnt lgkmcnt(0)
	v_cvt_pk_bf16_f32 v15, v10, v11
	v_cvt_pk_bf16_f32 v14, v12, v13
	s_and_saveexec_b64 s[6:7], s[0:1]
	s_cbranch_execz .LBB137_42
; %bb.48:                               ;   in Loop: Header=BB137_43 Depth=1
	v_lshl_add_u64 v[10:11], v[26:27], 0, v[20:21]
	global_load_dwordx4 v[10:13], v[10:11], off
	s_and_saveexec_b64 s[20:21], s[2:3]
	s_cbranch_execz .LBB137_41
; %bb.49:                               ;   in Loop: Header=BB137_43 Depth=1
	v_add_u32_e32 v17, 1, v32
	v_cmp_gt_i32_e32 vcc, s25, v17
	v_or_b32_e32 v26, 2, v32
	v_cmp_gt_i32_e64 s[2:3], s33, v26
	s_waitcnt vmcnt(0)
	v_cndmask_b32_sdwa v17, v21, v10, vcc dst_sel:DWORD dst_unused:UNUSED_PAD src0_sel:DWORD src1_sel:WORD_1
	v_cmp_gt_i32_e32 vcc, s33, v32
	v_or_b32_e32 v26, 4, v32
	s_nop 0
	v_cndmask_b32_e32 v10, 0, v10, vcc
	v_perm_b32 v10, v17, v10, s22
	v_or_b32_e32 v17, 3, v32
	v_cmp_gt_i32_e32 vcc, s25, v17
	v_cndmask_b32_e64 v17, 0, v11, s[2:3]
	v_cmp_gt_i32_e64 s[2:3], s33, v26
	v_cndmask_b32_sdwa v11, v21, v11, vcc dst_sel:DWORD dst_unused:UNUSED_PAD src0_sel:DWORD src1_sel:WORD_1
	v_perm_b32 v11, v11, v17, s22
	v_or_b32_e32 v17, 5, v32
	v_cmp_gt_i32_e32 vcc, s25, v17
	v_cndmask_b32_e64 v17, 0, v12, s[2:3]
	v_or_b32_e32 v26, 6, v32
	v_cndmask_b32_sdwa v12, v21, v12, vcc dst_sel:DWORD dst_unused:UNUSED_PAD src0_sel:DWORD src1_sel:WORD_1
	v_perm_b32 v12, v12, v17, s22
	v_or_b32_e32 v17, 7, v32
	v_cmp_gt_i32_e32 vcc, s25, v17
	v_cmp_gt_i32_e64 s[2:3], s33, v26
	s_nop 1
	v_cndmask_b32_e64 v17, 0, v13, s[2:3]
	v_cndmask_b32_sdwa v13, v21, v13, vcc dst_sel:DWORD dst_unused:UNUSED_PAD src0_sel:DWORD src1_sel:WORD_1
	v_perm_b32 v13, v13, v17, s22
	s_branch .LBB137_41
.LBB137_50:
	s_or_b64 exec, exec, s[14:15]
.LBB137_51:
	s_or_b64 exec, exec, s[8:9]
	ds_bpermute_b32 v2, v28, v18
	ds_bpermute_b32 v3, v28, v19
	;; [unrolled: 1-line block ×3, first 2 shown]
	v_and_b32_e32 v4, 0x3c0, v0
	v_cmp_eq_u32_e64 s[0:1], 64, v4
	v_cmp_eq_u32_e32 vcc, 0, v30
	s_waitcnt lgkmcnt(1)
	v_pk_add_f32 v[2:3], v[18:19], v[2:3]
	s_waitcnt lgkmcnt(0)
	v_add_f32_e32 v1, v31, v1
	s_barrier
	s_and_saveexec_b64 s[2:3], s[0:1]
	s_cbranch_execz .LBB137_56
; %bb.52:
	s_and_saveexec_b64 s[0:1], vcc
; %bb.53:
	v_mov_b32_e32 v4, 0xb0
	v_lshl_add_u32 v4, v29, 2, v4
	ds_write2_b32 v4, v2, v3 offset1:32
; %bb.54:
	s_or_b64 exec, exec, s[0:1]
	v_or_b32_e32 v4, 64, v29
	s_movk_i32 s0, 0x50
	v_cmp_gt_u32_e64 s[0:1], s0, v4
	s_and_b64 s[0:1], vcc, s[0:1]
	s_and_b64 exec, exec, s[0:1]
; %bb.55:
	v_mov_b32_e32 v4, 0xb0
	v_lshl_add_u32 v4, v29, 2, v4
	ds_write_b32 v4, v1 offset:256
.LBB137_56:
	s_or_b64 exec, exec, s[2:3]
	v_cmp_gt_u32_e64 s[0:1], 64, v0
	v_lshrrev_b32_e32 v0, 1, v0
	s_waitcnt lgkmcnt(0)
	s_barrier
	s_and_saveexec_b64 s[6:7], s[0:1]
	s_cbranch_execz .LBB137_64
; %bb.57:
	s_and_saveexec_b64 s[2:3], vcc
	s_cbranch_execz .LBB137_59
; %bb.58:
	v_mov_b32_e32 v4, 0xb0
	v_lshl_add_u32 v4, v0, 2, v4
	ds_read_b32 v4, v4
	s_waitcnt lgkmcnt(0)
	v_add_f32_e32 v2, v2, v4
.LBB137_59:
	s_or_b64 exec, exec, s[2:3]
	v_or_b32_e32 v4, 32, v0
	s_movk_i32 s8, 0x50
	v_cmp_gt_u32_e64 s[2:3], s8, v4
	s_and_b64 s[12:13], vcc, s[2:3]
	s_and_saveexec_b64 s[2:3], s[12:13]
	s_cbranch_execz .LBB137_61
; %bb.60:
	v_mov_b32_e32 v4, 0xb0
	v_lshl_add_u32 v4, v0, 2, v4
	ds_read_b32 v4, v4 offset:128
	s_waitcnt lgkmcnt(0)
	v_add_f32_e32 v3, v3, v4
.LBB137_61:
	s_or_b64 exec, exec, s[2:3]
	v_or_b32_e32 v4, 64, v0
	v_cmp_gt_u32_e64 s[2:3], s8, v4
	s_and_b64 s[8:9], vcc, s[2:3]
	s_and_saveexec_b64 s[2:3], s[8:9]
	s_cbranch_execz .LBB137_63
; %bb.62:
	v_mov_b32_e32 v4, 0xb0
	v_lshl_add_u32 v4, v0, 2, v4
	ds_read_b32 v4, v4 offset:256
	s_waitcnt lgkmcnt(0)
	v_add_f32_e32 v1, v1, v4
.LBB137_63:
	s_or_b64 exec, exec, s[2:3]
.LBB137_64:
	s_or_b64 exec, exec, s[6:7]
	s_barrier
	s_and_saveexec_b64 s[2:3], s[0:1]
	s_cbranch_execz .LBB137_71
; %bb.65:
	s_mul_i32 s0, s10, s11
	s_mul_i32 s0, s0, s5
	s_mulk_i32 s0, 0x50
	s_ashr_i32 s1, s0, 31
	s_lshl_b64 s[0:1], s[0:1], 1
	s_add_u32 s2, s18, s0
	s_mul_i32 s0, s11, s16
	s_addc_u32 s3, s19, s1
	s_ashr_i32 s1, s0, 31
	s_lshl_b64 s[0:1], s[0:1], 1
	s_add_u32 s2, s2, s0
	s_mul_i32 s0, s4, 0x50
	s_addc_u32 s3, s3, s1
	s_ashr_i32 s1, s0, 31
	s_lshl_b64 s[0:1], s[0:1], 1
	s_add_u32 s2, s2, s0
	s_movk_i32 s5, 0x50
	s_addc_u32 s3, s3, s1
	v_lshlrev_b32_e32 v4, 1, v0
	s_and_saveexec_b64 s[0:1], vcc
	s_cbranch_execz .LBB137_67
; %bb.66:
	v_cvt_pk_bf16_f32 v2, v2, s0
	global_store_short v4, v2, s[2:3]
.LBB137_67:
	s_or_b64 exec, exec, s[0:1]
	v_or_b32_e32 v2, 32, v0
	v_cmp_gt_u32_e64 s[0:1], s5, v2
	s_and_b64 s[4:5], vcc, s[0:1]
	s_and_saveexec_b64 s[0:1], s[4:5]
	s_cbranch_execz .LBB137_69
; %bb.68:
	v_cvt_pk_bf16_f32 v2, v3, s0
	global_store_short v4, v2, s[2:3] offset:64
.LBB137_69:
	s_or_b64 exec, exec, s[0:1]
	v_or_b32_e32 v0, 64, v0
	s_movk_i32 s0, 0x50
	v_cmp_gt_u32_e64 s[0:1], s0, v0
	s_and_b64 s[0:1], vcc, s[0:1]
	s_and_b64 exec, exec, s[0:1]
	s_cbranch_execz .LBB137_71
; %bb.70:
	v_cvt_pk_bf16_f32 v0, v1, s0
	global_store_short v4, v0, s[2:3] offset:128
.LBB137_71:
	s_endpgm
	.section	.rodata,"a",@progbits
	.p2align	6, 0x0
	.amdhsa_kernel _ZN4vllm25paged_attention_v1_kernelI14__hip_bfloat16S1_Li80ELi16ELi128ELNS_18Fp8KVCacheDataTypeE0ELb0EEEvPT_PKS3_PKT0_S9_ifPKiSB_iPKfiiiSD_SD_iiiii
		.amdhsa_group_segment_fixed_size 176
		.amdhsa_private_segment_fixed_size 0
		.amdhsa_kernarg_size 384
		.amdhsa_user_sgpr_count 2
		.amdhsa_user_sgpr_dispatch_ptr 0
		.amdhsa_user_sgpr_queue_ptr 0
		.amdhsa_user_sgpr_kernarg_segment_ptr 1
		.amdhsa_user_sgpr_dispatch_id 0
		.amdhsa_user_sgpr_kernarg_preload_length 0
		.amdhsa_user_sgpr_kernarg_preload_offset 0
		.amdhsa_user_sgpr_private_segment_size 0
		.amdhsa_uses_dynamic_stack 0
		.amdhsa_enable_private_segment 0
		.amdhsa_system_sgpr_workgroup_id_x 1
		.amdhsa_system_sgpr_workgroup_id_y 1
		.amdhsa_system_sgpr_workgroup_id_z 1
		.amdhsa_system_sgpr_workgroup_info 0
		.amdhsa_system_vgpr_workitem_id 0
		.amdhsa_next_free_vgpr 56
		.amdhsa_next_free_sgpr 34
		.amdhsa_accum_offset 56
		.amdhsa_reserve_vcc 1
		.amdhsa_float_round_mode_32 0
		.amdhsa_float_round_mode_16_64 0
		.amdhsa_float_denorm_mode_32 3
		.amdhsa_float_denorm_mode_16_64 3
		.amdhsa_dx10_clamp 1
		.amdhsa_ieee_mode 1
		.amdhsa_fp16_overflow 0
		.amdhsa_tg_split 0
		.amdhsa_exception_fp_ieee_invalid_op 0
		.amdhsa_exception_fp_denorm_src 0
		.amdhsa_exception_fp_ieee_div_zero 0
		.amdhsa_exception_fp_ieee_overflow 0
		.amdhsa_exception_fp_ieee_underflow 0
		.amdhsa_exception_fp_ieee_inexact 0
		.amdhsa_exception_int_div_zero 0
	.end_amdhsa_kernel
	.section	.text._ZN4vllm25paged_attention_v1_kernelI14__hip_bfloat16S1_Li80ELi16ELi128ELNS_18Fp8KVCacheDataTypeE0ELb0EEEvPT_PKS3_PKT0_S9_ifPKiSB_iPKfiiiSD_SD_iiiii,"axG",@progbits,_ZN4vllm25paged_attention_v1_kernelI14__hip_bfloat16S1_Li80ELi16ELi128ELNS_18Fp8KVCacheDataTypeE0ELb0EEEvPT_PKS3_PKT0_S9_ifPKiSB_iPKfiiiSD_SD_iiiii,comdat
.Lfunc_end137:
	.size	_ZN4vllm25paged_attention_v1_kernelI14__hip_bfloat16S1_Li80ELi16ELi128ELNS_18Fp8KVCacheDataTypeE0ELb0EEEvPT_PKS3_PKT0_S9_ifPKiSB_iPKfiiiSD_SD_iiiii, .Lfunc_end137-_ZN4vllm25paged_attention_v1_kernelI14__hip_bfloat16S1_Li80ELi16ELi128ELNS_18Fp8KVCacheDataTypeE0ELb0EEEvPT_PKS3_PKT0_S9_ifPKiSB_iPKfiiiSD_SD_iiiii
                                        ; -- End function
	.set _ZN4vllm25paged_attention_v1_kernelI14__hip_bfloat16S1_Li80ELi16ELi128ELNS_18Fp8KVCacheDataTypeE0ELb0EEEvPT_PKS3_PKT0_S9_ifPKiSB_iPKfiiiSD_SD_iiiii.num_vgpr, 56
	.set _ZN4vllm25paged_attention_v1_kernelI14__hip_bfloat16S1_Li80ELi16ELi128ELNS_18Fp8KVCacheDataTypeE0ELb0EEEvPT_PKS3_PKT0_S9_ifPKiSB_iPKfiiiSD_SD_iiiii.num_agpr, 0
	.set _ZN4vllm25paged_attention_v1_kernelI14__hip_bfloat16S1_Li80ELi16ELi128ELNS_18Fp8KVCacheDataTypeE0ELb0EEEvPT_PKS3_PKT0_S9_ifPKiSB_iPKfiiiSD_SD_iiiii.numbered_sgpr, 34
	.set _ZN4vllm25paged_attention_v1_kernelI14__hip_bfloat16S1_Li80ELi16ELi128ELNS_18Fp8KVCacheDataTypeE0ELb0EEEvPT_PKS3_PKT0_S9_ifPKiSB_iPKfiiiSD_SD_iiiii.num_named_barrier, 0
	.set _ZN4vllm25paged_attention_v1_kernelI14__hip_bfloat16S1_Li80ELi16ELi128ELNS_18Fp8KVCacheDataTypeE0ELb0EEEvPT_PKS3_PKT0_S9_ifPKiSB_iPKfiiiSD_SD_iiiii.private_seg_size, 0
	.set _ZN4vllm25paged_attention_v1_kernelI14__hip_bfloat16S1_Li80ELi16ELi128ELNS_18Fp8KVCacheDataTypeE0ELb0EEEvPT_PKS3_PKT0_S9_ifPKiSB_iPKfiiiSD_SD_iiiii.uses_vcc, 1
	.set _ZN4vllm25paged_attention_v1_kernelI14__hip_bfloat16S1_Li80ELi16ELi128ELNS_18Fp8KVCacheDataTypeE0ELb0EEEvPT_PKS3_PKT0_S9_ifPKiSB_iPKfiiiSD_SD_iiiii.uses_flat_scratch, 0
	.set _ZN4vllm25paged_attention_v1_kernelI14__hip_bfloat16S1_Li80ELi16ELi128ELNS_18Fp8KVCacheDataTypeE0ELb0EEEvPT_PKS3_PKT0_S9_ifPKiSB_iPKfiiiSD_SD_iiiii.has_dyn_sized_stack, 0
	.set _ZN4vllm25paged_attention_v1_kernelI14__hip_bfloat16S1_Li80ELi16ELi128ELNS_18Fp8KVCacheDataTypeE0ELb0EEEvPT_PKS3_PKT0_S9_ifPKiSB_iPKfiiiSD_SD_iiiii.has_recursion, 0
	.set _ZN4vllm25paged_attention_v1_kernelI14__hip_bfloat16S1_Li80ELi16ELi128ELNS_18Fp8KVCacheDataTypeE0ELb0EEEvPT_PKS3_PKT0_S9_ifPKiSB_iPKfiiiSD_SD_iiiii.has_indirect_call, 0
	.section	.AMDGPU.csdata,"",@progbits
; Kernel info:
; codeLenInByte = 5080
; TotalNumSgprs: 40
; NumVgprs: 56
; NumAgprs: 0
; TotalNumVgprs: 56
; ScratchSize: 0
; MemoryBound: 0
; FloatMode: 240
; IeeeMode: 1
; LDSByteSize: 176 bytes/workgroup (compile time only)
; SGPRBlocks: 4
; VGPRBlocks: 6
; NumSGPRsForWavesPerEU: 40
; NumVGPRsForWavesPerEU: 56
; AccumOffset: 56
; Occupancy: 8
; WaveLimiterHint : 1
; COMPUTE_PGM_RSRC2:SCRATCH_EN: 0
; COMPUTE_PGM_RSRC2:USER_SGPR: 2
; COMPUTE_PGM_RSRC2:TRAP_HANDLER: 0
; COMPUTE_PGM_RSRC2:TGID_X_EN: 1
; COMPUTE_PGM_RSRC2:TGID_Y_EN: 1
; COMPUTE_PGM_RSRC2:TGID_Z_EN: 1
; COMPUTE_PGM_RSRC2:TIDIG_COMP_CNT: 0
; COMPUTE_PGM_RSRC3_GFX90A:ACCUM_OFFSET: 13
; COMPUTE_PGM_RSRC3_GFX90A:TG_SPLIT: 0
	.section	.text._ZN4vllm25paged_attention_v1_kernelI14__hip_bfloat16S1_Li96ELi16ELi128ELNS_18Fp8KVCacheDataTypeE0ELb0EEEvPT_PKS3_PKT0_S9_ifPKiSB_iPKfiiiSD_SD_iiiii,"axG",@progbits,_ZN4vllm25paged_attention_v1_kernelI14__hip_bfloat16S1_Li96ELi16ELi128ELNS_18Fp8KVCacheDataTypeE0ELb0EEEvPT_PKS3_PKT0_S9_ifPKiSB_iPKfiiiSD_SD_iiiii,comdat
	.protected	_ZN4vllm25paged_attention_v1_kernelI14__hip_bfloat16S1_Li96ELi16ELi128ELNS_18Fp8KVCacheDataTypeE0ELb0EEEvPT_PKS3_PKT0_S9_ifPKiSB_iPKfiiiSD_SD_iiiii ; -- Begin function _ZN4vllm25paged_attention_v1_kernelI14__hip_bfloat16S1_Li96ELi16ELi128ELNS_18Fp8KVCacheDataTypeE0ELb0EEEvPT_PKS3_PKT0_S9_ifPKiSB_iPKfiiiSD_SD_iiiii
	.globl	_ZN4vllm25paged_attention_v1_kernelI14__hip_bfloat16S1_Li96ELi16ELi128ELNS_18Fp8KVCacheDataTypeE0ELb0EEEvPT_PKS3_PKT0_S9_ifPKiSB_iPKfiiiSD_SD_iiiii
	.p2align	8
	.type	_ZN4vllm25paged_attention_v1_kernelI14__hip_bfloat16S1_Li96ELi16ELi128ELNS_18Fp8KVCacheDataTypeE0ELb0EEEvPT_PKS3_PKT0_S9_ifPKiSB_iPKfiiiSD_SD_iiiii,@function
_ZN4vllm25paged_attention_v1_kernelI14__hip_bfloat16S1_Li96ELi16ELi128ELNS_18Fp8KVCacheDataTypeE0ELb0EEEvPT_PKS3_PKT0_S9_ifPKiSB_iPKfiiiSD_SD_iiiii: ; @_ZN4vllm25paged_attention_v1_kernelI14__hip_bfloat16S1_Li96ELi16ELi128ELNS_18Fp8KVCacheDataTypeE0ELb0EEEvPT_PKS3_PKT0_S9_ifPKiSB_iPKfiiiSD_SD_iiiii
; %bb.0:
	s_load_dword s5, s[0:1], 0x80
	s_load_dwordx2 s[6:7], s[0:1], 0x30
	s_load_dwordx2 s[8:9], s[0:1], 0x20
	s_mov_b32 s10, s3
	s_ashr_i32 s11, s3, 31
	s_lshl_b64 s[12:13], s[10:11], 2
	s_waitcnt lgkmcnt(0)
	s_add_u32 s6, s6, s12
	s_addc_u32 s7, s7, s13
	s_abs_i32 s3, s8
	v_cvt_f32_u32_e32 v1, s3
	s_sub_i32 s12, 0, s3
	s_abs_i32 s11, s5
	s_xor_b32 s8, s5, s8
	v_rcp_iflag_f32_e32 v1, v1
	s_ashr_i32 s8, s8, 31
	v_mul_f32_e32 v1, 0x4f7ffffe, v1
	v_cvt_u32_f32_e32 v1, v1
	s_nop 0
	v_readfirstlane_b32 s13, v1
	s_mul_i32 s12, s12, s13
	s_mul_hi_u32 s12, s13, s12
	s_add_i32 s13, s13, s12
	s_mul_hi_u32 s12, s11, s13
	s_mul_i32 s13, s12, s3
	s_sub_i32 s11, s11, s13
	s_add_i32 s13, s12, 1
	s_sub_i32 s14, s11, s3
	s_cmp_ge_u32 s11, s3
	s_cselect_b32 s12, s13, s12
	s_cselect_b32 s11, s14, s11
	s_add_i32 s13, s12, 1
	s_cmp_ge_u32 s11, s3
	s_cselect_b32 s3, s13, s12
	s_xor_b32 s3, s3, s8
	s_sub_i32 s16, s3, s8
	s_abs_i32 s11, s16
	v_cvt_f32_u32_e32 v1, s11
	s_load_dwordx2 s[12:13], s[0:1], 0x40
	s_sub_i32 s3, 0, s11
	s_abs_i32 s18, s2
	v_rcp_iflag_f32_e32 v1, v1
	s_mov_b32 s8, 0
	v_mul_f32_e32 v1, 0x4f7ffffe, v1
	v_cvt_u32_f32_e32 v1, v1
	s_nop 0
	v_readfirstlane_b32 s14, v1
	s_mul_i32 s3, s3, s14
	s_mul_hi_u32 s3, s14, s3
	s_add_i32 s14, s14, s3
	s_waitcnt lgkmcnt(0)
	s_cmp_eq_u64 s[12:13], 0
	s_mul_hi_u32 s19, s18, s14
	s_cbranch_scc1 .LBB138_2
; %bb.1:
	s_ashr_i32 s3, s2, 31
	s_lshl_b64 s[14:15], s[2:3], 2
	s_add_u32 s12, s12, s14
	s_addc_u32 s13, s13, s15
	s_load_dword s8, s[12:13], 0x0
.LBB138_2:
	s_load_dword s33, s[6:7], 0x0
	s_nop 0
	s_load_dwordx4 s[12:15], s[0:1], 0x48
	s_ashr_i32 s6, s2, 31
	s_ashr_i32 s7, s16, 31
	v_and_b32_e32 v4, 3, v0
	s_mul_i32 s16, s2, 0x60
	v_cmp_gt_u32_e32 vcc, 48, v0
	s_and_saveexec_b64 s[2:3], vcc
	s_cbranch_execz .LBB138_4
; %bb.3:
	s_load_dwordx2 s[20:21], s[0:1], 0x8
	s_waitcnt lgkmcnt(0)
	s_mul_i32 s22, s12, s10
	s_ashr_i32 s23, s22, 31
	s_lshl_b64 s[22:23], s[22:23], 1
	v_lshlrev_b32_e32 v1, 2, v0
	s_add_u32 s12, s20, s22
	s_addc_u32 s15, s21, s23
	s_ashr_i32 s17, s16, 31
	s_lshl_b64 s[20:21], s[16:17], 1
	s_add_u32 s20, s12, s20
	s_addc_u32 s21, s15, s21
	global_load_dword v1, v1, s[20:21]
	v_and_b32_e32 v2, 0x3fc, v0
	v_mad_u32_u24 v2, v4, 48, v2
	s_waitcnt vmcnt(0)
	ds_write_b32 v2, v1
.LBB138_4:
	s_or_b64 exec, exec, s[2:3]
	s_waitcnt lgkmcnt(0)
	s_add_i32 s3, s33, 15
	s_ashr_i32 s12, s3, 31
	s_lshr_b32 s12, s12, 28
	s_add_i32 s3, s3, s12
	s_ashr_i32 s17, s3, 4
	s_xor_b32 s3, s6, s7
	s_mul_i32 s6, s19, s11
	s_sub_i32 s6, s18, s6
	s_add_i32 s7, s19, 1
	s_sub_i32 s12, s6, s11
	s_load_dwordx2 s[20:21], s[0:1], 0x28
	s_load_dword s2, s[0:1], 0x38
	s_cmp_ge_u32 s6, s11
	s_cselect_b32 s7, s7, s19
	s_cselect_b32 s6, s12, s6
	s_add_i32 s12, s7, 1
	s_cmp_ge_u32 s6, s11
	s_cselect_b32 s6, s12, s7
	v_lshrrev_b32_e32 v1, 6, v0
	s_xor_b32 s6, s6, s3
	s_waitcnt lgkmcnt(0)
	s_mul_i32 s22, s2, s10
	s_sub_i32 s12, s6, s3
	s_ashr_i32 s23, s22, 31
	v_cmp_gt_i32_e64 s[2:3], s17, v1
	v_cmp_le_i32_e32 vcc, s17, v1
	v_mbcnt_lo_u32_b32 v5, -1, 0
	s_barrier
                                        ; implicit-def: $vgpr7
                                        ; implicit-def: $vgpr9
                                        ; implicit-def: $vgpr8
	s_and_saveexec_b64 s[6:7], vcc
	s_xor_b64 s[6:7], exec, s[6:7]
; %bb.5:
	v_mbcnt_hi_u32_b32 v7, -1, v5
	v_and_b32_e32 v9, 64, v7
	v_add_u32_e32 v8, 64, v9
                                        ; implicit-def: $vgpr4
                                        ; implicit-def: $vgpr5
; %bb.6:
	s_or_saveexec_b64 s[26:27], s[6:7]
	s_load_dwordx2 s[18:19], s[0:1], 0x0
	s_load_dwordx2 s[24:25], s[0:1], 0x18
	s_load_dword s11, s[0:1], 0x88
	v_mov_b32_e32 v27, 0xff7fffff
	s_mul_i32 s14, s12, s14
	v_lshrrev_b32_e32 v6, 4, v0
	s_xor_b64 exec, exec, s[26:27]
	s_cbranch_execz .LBB138_12
; %bb.7:
	s_load_dwordx2 s[0:1], s[0:1], 0x10
	s_ashr_i32 s15, s14, 31
	s_lshl_b64 s[6:7], s[14:15], 1
	v_bfe_u32 v27, v0, 2, 4
	v_lshlrev_b32_e32 v40, 4, v27
	s_waitcnt lgkmcnt(0)
	s_add_u32 s0, s0, s6
	s_addc_u32 s1, s1, s7
	v_mov_b32_e32 v41, 0
	v_lshlrev_b32_e32 v7, 2, v0
	v_mul_u32_u24_e32 v8, 48, v4
	v_lshl_add_u64 v[2:3], s[0:1], 0, v[40:41]
	ds_read_b128 v[14:17], v8
	v_and_b32_e32 v40, 12, v7
	ds_read_b128 v[22:25], v8 offset:16
	ds_read_b128 v[32:35], v8 offset:32
	v_mbcnt_hi_u32_b32 v7, -1, v5
	v_and_b32_e32 v9, 64, v7
	v_add_u32_e32 v8, 64, v9
	v_xor_b32_e32 v5, 2, v7
	v_cmp_lt_i32_e32 vcc, v5, v8
	s_waitcnt lgkmcnt(0)
	v_lshlrev_b32_e32 v26, 16, v32
	v_and_b32_e32 v28, 0xffff0000, v32
	v_cndmask_b32_e32 v5, v7, v5, vcc
	v_lshlrev_b32_e32 v29, 16, v33
	v_and_b32_e32 v30, 0xffff0000, v33
	v_lshlrev_b32_e32 v31, 16, v34
	v_and_b32_e32 v32, 0xffff0000, v34
	;; [unrolled: 2-line block ×3, first 2 shown]
	v_lshlrev_b32_e32 v35, 2, v5
	v_xor_b32_e32 v5, 1, v7
	v_cmp_lt_i32_e32 vcc, v5, v8
	s_sub_i32 s15, 1, s33
	s_lshl_b64 s[6:7], s[22:23], 2
	v_cndmask_b32_e32 v5, v7, v5, vcc
	v_cmp_eq_u32_e32 vcc, 0, v4
	v_lshlrev_b32_e32 v4, 2, v27
	s_add_u32 s6, s20, s6
	v_lshl_add_u64 v[2:3], v[2:3], 0, v[40:41]
	v_lshl_or_b32 v4, v1, 6, v4
	v_and_b32_e32 v40, 60, v6
	s_addc_u32 s7, s21, s7
	s_mov_b32 s12, s13
	v_lshlrev_b32_e32 v10, 16, v14
	v_and_b32_e32 v11, 0xffff0000, v14
	v_lshlrev_b32_e32 v12, 16, v15
	v_and_b32_e32 v13, 0xffff0000, v15
	;; [unrolled: 2-line block ×8, first 2 shown]
	v_lshlrev_b32_e32 v36, 2, v5
	v_cmp_neq_f32_e64 s[0:1], s8, 0
	v_lshl_or_b32 v37, v1, 4, v27
	v_add_u32_e32 v38, 0xd0, v4
	v_lshl_add_u64 v[4:5], s[6:7], 0, v[40:41]
	v_mov_b32_e32 v27, 0xff7fffff
	s_mov_b64 s[28:29], 0
	v_mov_b32_e32 v39, v1
	s_branch .LBB138_9
.LBB138_8:                              ;   in Loop: Header=BB138_9 Depth=1
	s_or_b64 exec, exec, s[30:31]
	v_add_u32_e32 v39, 2, v39
	v_cmp_le_i32_e64 s[6:7], s17, v39
	v_add_u32_e32 v37, 32, v37
	v_add_u32_e32 v38, 0x80, v38
	s_or_b64 s[28:29], s[6:7], s[28:29]
	v_lshl_add_u64 v[4:5], v[4:5], 0, 8
	s_andn2_b64 exec, exec, s[28:29]
	s_cbranch_execz .LBB138_11
.LBB138_9:                              ; =>This Inner Loop Header: Depth=1
	global_load_dword v40, v[4:5], off
	s_waitcnt vmcnt(0) lgkmcnt(0)
	v_mad_i64_i32 v[40:41], s[6:7], v40, s12, 0
	v_lshl_add_u64 v[40:41], v[40:41], 1, v[2:3]
	global_load_dword v42, v[40:41], off
	global_load_dword v43, v[40:41], off offset:256
	global_load_dword v44, v[40:41], off offset:512
	;; [unrolled: 1-line block ×11, first 2 shown]
	s_waitcnt vmcnt(11)
	v_lshlrev_b32_e32 v40, 16, v42
	v_and_b32_e32 v41, 0xffff0000, v42
	s_waitcnt vmcnt(10)
	v_lshlrev_b32_e32 v42, 16, v43
	v_and_b32_e32 v43, 0xffff0000, v43
	v_mul_f32_e32 v42, v12, v42
	v_mul_f32_e32 v43, v13, v43
	s_waitcnt vmcnt(9)
	v_lshlrev_b32_e32 v54, 16, v44
	v_and_b32_e32 v44, 0xffff0000, v44
	v_fmac_f32_e32 v42, v10, v40
	v_fmac_f32_e32 v43, v11, v41
	s_waitcnt vmcnt(8)
	v_lshlrev_b32_e32 v55, 16, v45
	v_and_b32_e32 v45, 0xffff0000, v45
	v_fmac_f32_e32 v42, v14, v54
	v_fmac_f32_e32 v43, v15, v44
	;; [unrolled: 5-line block ×10, first 2 shown]
	v_fmac_f32_e32 v42, v33, v63
	v_fmac_f32_e32 v43, v34, v53
	v_add_f32_e32 v40, v42, v43
	ds_bpermute_b32 v41, v35, v40
	s_waitcnt lgkmcnt(0)
	v_add_f32_e32 v40, v40, v41
	ds_bpermute_b32 v41, v36, v40
	s_and_saveexec_b64 s[30:31], vcc
	s_cbranch_execz .LBB138_8
; %bb.10:                               ;   in Loop: Header=BB138_9 Depth=1
	v_add_u32_e32 v42, s15, v37
	v_cvt_f32_i32_e32 v42, v42
	s_waitcnt lgkmcnt(0)
	v_add_f32_e32 v40, v40, v41
	v_cmp_gt_i32_e64 s[6:7], s33, v37
	v_max_f32_e32 v41, v27, v27
	v_mul_f32_e32 v42, s8, v42
	v_cndmask_b32_e64 v42, 0, v42, s[0:1]
	v_fmac_f32_e32 v42, s9, v40
	v_cndmask_b32_e64 v40, 0, v42, s[6:7]
	ds_write_b32 v38, v40
	v_max_f32_e32 v40, v41, v42
	v_cndmask_b32_e64 v27, v27, v40, s[6:7]
	s_branch .LBB138_8
.LBB138_11:
	s_or_b64 exec, exec, s[28:29]
.LBB138_12:
	s_or_b64 exec, exec, s[26:27]
	v_xor_b32_e32 v2, 32, v7
	v_cmp_lt_i32_e32 vcc, v2, v8
	v_xor_b32_e32 v5, 16, v7
	v_max_f32_e32 v4, v27, v27
	v_cndmask_b32_e32 v2, v7, v2, vcc
	v_lshlrev_b32_e32 v2, 2, v2
	ds_bpermute_b32 v3, v2, v27
	v_cmp_lt_i32_e32 vcc, v5, v8
	v_xor_b32_e32 v10, 8, v7
	v_xor_b32_e32 v11, 4, v7
	v_and_b32_e32 v30, 63, v0
	s_waitcnt lgkmcnt(0)
	v_max_f32_e32 v3, v3, v3
	v_max_f32_e32 v4, v4, v3
	v_cndmask_b32_e32 v3, v7, v5, vcc
	v_lshlrev_b32_e32 v3, 2, v3
	ds_bpermute_b32 v5, v3, v4
	v_cmp_lt_i32_e32 vcc, v10, v8
	s_waitcnt lgkmcnt(0)
	v_max_f32_e32 v5, v5, v5
	v_max_f32_e32 v4, v4, v5
	v_cndmask_b32_e32 v5, v7, v10, vcc
	v_lshlrev_b32_e32 v10, 2, v5
	ds_bpermute_b32 v5, v10, v4
	v_cmp_lt_i32_e32 vcc, v11, v8
	s_waitcnt lgkmcnt(0)
	v_max_f32_e32 v5, v5, v5
	v_max_f32_e32 v5, v4, v5
	v_cndmask_b32_e32 v4, v7, v11, vcc
	v_lshlrev_b32_e32 v11, 2, v4
	ds_bpermute_b32 v12, v11, v5
	v_cmp_eq_u32_e32 vcc, 0, v30
	v_lshlrev_b32_e32 v4, 2, v1
	s_and_saveexec_b64 s[0:1], vcc
	s_cbranch_execz .LBB138_14
; %bb.13:
	s_waitcnt lgkmcnt(0)
	v_max_f32_e32 v12, v12, v12
	v_max_f32_e32 v5, v5, v5
	;; [unrolled: 1-line block ×3, first 2 shown]
	ds_write_b32 v4, v5 offset:192
.LBB138_14:
	s_or_b64 exec, exec, s[0:1]
	v_cmp_gt_u32_e64 s[0:1], 2, v30
	s_waitcnt lgkmcnt(0)
	v_mov_b32_e32 v12, 0xff7fffff
	v_lshlrev_b32_e32 v5, 2, v30
	s_barrier
	s_and_saveexec_b64 s[6:7], s[0:1]
; %bb.15:
	ds_read_b32 v12, v5 offset:192
; %bb.16:
	s_or_b64 exec, exec, s[6:7]
	v_xor_b32_e32 v13, 1, v7
	v_cmp_lt_i32_e64 s[6:7], v13, v8
	v_lshlrev_b32_e32 v9, 2, v9
	s_nop 0
	v_cndmask_b32_e64 v13, v7, v13, s[6:7]
	v_lshlrev_b32_e32 v31, 2, v13
	s_waitcnt lgkmcnt(0)
	ds_bpermute_b32 v13, v31, v12
	v_max_f32_e32 v12, v12, v12
	s_lshl_b32 s6, s17, 4
	s_min_i32 s12, s6, s33
	v_cmp_gt_i32_e64 s[6:7], s12, v0
	s_waitcnt lgkmcnt(0)
	v_max_f32_e32 v13, v13, v13
	v_max_f32_e32 v12, v12, v13
	ds_bpermute_b32 v12, v9, v12
	v_mov_b32_e32 v9, 0
	s_and_saveexec_b64 s[26:27], s[6:7]
	s_cbranch_execz .LBB138_20
; %bb.17:
	v_mov_b32_e32 v9, 0xd0
	v_lshl_add_u32 v13, v0, 2, v9
	v_mov_b32_e32 v9, 0
	s_mov_b64 s[28:29], 0
	v_mov_b32_e32 v14, v0
.LBB138_18:                             ; =>This Inner Loop Header: Depth=1
	ds_read_b32 v15, v13
	v_add_u32_e32 v14, 0x80, v14
	v_cmp_le_i32_e64 s[8:9], s12, v14
	s_or_b64 s[28:29], s[8:9], s[28:29]
	s_waitcnt lgkmcnt(0)
	v_sub_f32_e32 v15, v15, v12
	v_mul_f32_e32 v15, 0x3fb8aa3b, v15
	v_exp_f32_e32 v15, v15
	ds_write_b32 v13, v15
	v_add_f32_e32 v9, v9, v15
	v_add_u32_e32 v13, 0x200, v13
	s_andn2_b64 exec, exec, s[28:29]
	s_cbranch_execnz .LBB138_18
; %bb.19:
	s_or_b64 exec, exec, s[28:29]
.LBB138_20:
	s_or_b64 exec, exec, s[26:27]
	ds_bpermute_b32 v2, v2, v9
	s_waitcnt lgkmcnt(0)
	v_add_f32_e32 v2, v9, v2
	ds_bpermute_b32 v3, v3, v2
	v_xor_b32_e32 v9, 2, v7
	v_cmp_lt_i32_e64 s[8:9], v9, v8
	s_waitcnt lgkmcnt(0)
	v_add_f32_e32 v2, v2, v3
	ds_bpermute_b32 v3, v10, v2
	v_cndmask_b32_e64 v8, v7, v9, s[8:9]
	s_waitcnt lgkmcnt(0)
	v_add_f32_e32 v2, v2, v3
	ds_bpermute_b32 v3, v11, v2
	s_waitcnt lgkmcnt(0)
	v_add_f32_e32 v2, v2, v3
	v_lshlrev_b32_e32 v3, 2, v8
	ds_bpermute_b32 v3, v3, v2
	s_waitcnt lgkmcnt(0)
	v_add_f32_e32 v2, v2, v3
	ds_bpermute_b32 v3, v31, v2
	s_waitcnt lgkmcnt(0)
	v_add_f32_e32 v2, v2, v3
	s_and_saveexec_b64 s[8:9], vcc
; %bb.21:
	ds_write_b32 v4, v2 offset:200
; %bb.22:
	s_or_b64 exec, exec, s[8:9]
	s_waitcnt lgkmcnt(0)
	s_barrier
	s_and_saveexec_b64 s[8:9], s[0:1]
; %bb.23:
	ds_read_b32 v2, v5 offset:200
; %bb.24:
	s_or_b64 exec, exec, s[8:9]
	s_waitcnt lgkmcnt(0)
	ds_bpermute_b32 v3, v31, v2
	v_lshlrev_b32_e32 v4, 2, v7
	s_waitcnt lgkmcnt(0)
	v_add_f32_e32 v2, v2, v3
	v_and_b32_e32 v3, 0xffffff00, v4
	ds_bpermute_b32 v2, v3, v2
	s_and_saveexec_b64 s[0:1], s[6:7]
	s_cbranch_execz .LBB138_37
; %bb.25:
	s_waitcnt lgkmcnt(0)
	v_add_f32_e32 v2, 0x358637bd, v2
	v_div_scale_f32 v3, s[6:7], v2, v2, 1.0
	v_rcp_f32_e32 v4, v3
	v_div_scale_f32 v5, vcc, 1.0, v2, 1.0
	s_movk_i32 s6, 0x7f
	v_fma_f32 v7, -v3, v4, 1.0
	v_fmac_f32_e32 v4, v7, v4
	v_mul_f32_e32 v7, v5, v4
	v_fma_f32 v8, -v3, v7, v5
	v_fmac_f32_e32 v7, v8, v4
	v_fma_f32 v3, -v3, v7, v5
	v_div_fmas_f32 v3, v3, v4, v7
	v_xad_u32 v4, v0, -1, s12
	v_div_fixup_f32 v2, v3, v2, 1.0
	v_cmp_lt_u32_e32 vcc, s6, v4
	s_mov_b64 s[8:9], -1
	v_mov_b32_e32 v3, v0
	s_and_saveexec_b64 s[6:7], vcc
	s_cbranch_execz .LBB138_34
; %bb.26:
	v_lshrrev_b32_e32 v4, 7, v4
	v_add_u32_e32 v7, -1, v4
	v_lshrrev_b32_e32 v5, 1, v7
	v_mov_b32_e32 v3, v2
	v_add_u32_e32 v5, 1, v5
	v_cmp_lt_u32_e32 vcc, 13, v7
	v_mov_b32_e32 v9, 0
	s_and_saveexec_b64 s[8:9], vcc
	s_cbranch_execz .LBB138_30
; %bb.27:
	v_mov_b32_e32 v8, 0xd0
	v_and_b32_e32 v7, -8, v5
	v_lshl_add_u32 v8, v0, 2, v8
	s_mov_b32 s15, 0
	s_mov_b64 s[26:27], 0
.LBB138_28:                             ; =>This Inner Loop Header: Depth=1
	ds_read2st64_b32 v[10:11], v8 offset1:2
	ds_read2st64_b32 v[12:13], v8 offset0:4 offset1:6
	ds_read2st64_b32 v[14:15], v8 offset0:8 offset1:10
	;; [unrolled: 1-line block ×3, first 2 shown]
	v_add_u32_e32 v7, -8, v7
	s_waitcnt lgkmcnt(3)
	v_pk_mul_f32 v[10:11], v[2:3], v[10:11]
	s_waitcnt lgkmcnt(2)
	v_pk_mul_f32 v[12:13], v[2:3], v[12:13]
	ds_write2st64_b32 v8, v10, v11 offset1:2
	ds_write2st64_b32 v8, v12, v13 offset0:4 offset1:6
	ds_read2st64_b32 v[12:13], v8 offset0:16 offset1:18
	s_waitcnt lgkmcnt(4)
	v_pk_mul_f32 v[10:11], v[2:3], v[14:15]
	ds_write2st64_b32 v8, v10, v11 offset0:8 offset1:10
	s_waitcnt lgkmcnt(4)
	v_pk_mul_f32 v[10:11], v[2:3], v[16:17]
	ds_write2st64_b32 v8, v10, v11 offset0:12 offset1:14
	ds_read2st64_b32 v[10:11], v8 offset0:20 offset1:22
	s_waitcnt lgkmcnt(3)
	v_pk_mul_f32 v[12:13], v[2:3], v[12:13]
	ds_read2st64_b32 v[14:15], v8 offset0:24 offset1:26
	ds_write2st64_b32 v8, v12, v13 offset0:16 offset1:18
	ds_read2st64_b32 v[12:13], v8 offset0:28 offset1:30
	s_waitcnt lgkmcnt(3)
	v_pk_mul_f32 v[10:11], v[2:3], v[10:11]
	ds_write2st64_b32 v8, v10, v11 offset0:20 offset1:22
	s_waitcnt lgkmcnt(3)
	v_pk_mul_f32 v[10:11], v[2:3], v[14:15]
	ds_write2st64_b32 v8, v10, v11 offset0:24 offset1:26
	s_waitcnt lgkmcnt(2)
	v_pk_mul_f32 v[10:11], v[2:3], v[12:13]
	s_add_i32 s15, s15, 16
	v_cmp_eq_u32_e32 vcc, 0, v7
	ds_write2st64_b32 v8, v10, v11 offset0:28 offset1:30
	v_add_u32_e32 v8, 0x2000, v8
	s_or_b64 s[26:27], vcc, s[26:27]
	v_mov_b32_e32 v9, s15
	s_andn2_b64 exec, exec, s[26:27]
	s_cbranch_execnz .LBB138_28
; %bb.29:
	s_or_b64 exec, exec, s[26:27]
.LBB138_30:
	s_or_b64 exec, exec, s[8:9]
	v_and_b32_e32 v5, 7, v5
	v_cmp_ne_u32_e32 vcc, 0, v5
	s_and_saveexec_b64 s[8:9], vcc
	s_cbranch_execz .LBB138_33
; %bb.31:
	v_lshlrev_b32_e32 v7, 9, v9
	v_lshlrev_b32_e32 v8, 2, v0
	s_movk_i32 s15, 0xd0
	v_add3_u32 v7, v7, v8, s15
	s_mov_b64 s[26:27], 0
.LBB138_32:                             ; =>This Inner Loop Header: Depth=1
	ds_read2st64_b32 v[8:9], v7 offset1:2
	v_add_u32_e32 v5, -1, v5
	v_cmp_eq_u32_e32 vcc, 0, v5
	s_or_b64 s[26:27], vcc, s[26:27]
	s_waitcnt lgkmcnt(0)
	v_pk_mul_f32 v[8:9], v[2:3], v[8:9]
	ds_write2st64_b32 v7, v8, v9 offset1:2
	v_add_u32_e32 v7, 0x400, v7
	s_andn2_b64 exec, exec, s[26:27]
	s_cbranch_execnz .LBB138_32
.LBB138_33:
	s_or_b64 exec, exec, s[8:9]
	v_add_u32_e32 v4, 1, v4
	v_and_b32_e32 v5, 0x3fffffe, v4
	v_cmp_ne_u32_e32 vcc, v4, v5
	v_lshl_add_u32 v3, v5, 7, v0
	s_orn2_b64 s[8:9], vcc, exec
.LBB138_34:
	s_or_b64 exec, exec, s[6:7]
	s_and_b64 exec, exec, s[8:9]
	s_cbranch_execz .LBB138_37
; %bb.35:
	v_mov_b32_e32 v4, 0xd0
	v_lshl_add_u32 v4, v3, 2, v4
	s_mov_b64 s[6:7], 0
.LBB138_36:                             ; =>This Inner Loop Header: Depth=1
	ds_read_b32 v5, v4
	v_add_u32_e32 v3, 0x80, v3
	v_cmp_le_i32_e32 vcc, s12, v3
	s_or_b64 s[6:7], vcc, s[6:7]
	s_waitcnt lgkmcnt(0)
	v_mul_f32_e32 v5, v2, v5
	ds_write_b32 v4, v5
	v_add_u32_e32 v4, 0x200, v4
	s_andn2_b64 exec, exec, s[6:7]
	s_cbranch_execnz .LBB138_36
.LBB138_37:
	s_or_b64 exec, exec, s[0:1]
	v_mov_b32_e32 v23, 0
	v_and_b32_e32 v32, 1, v0
	v_mov_b32_e32 v22, 0
	v_mov_b32_e32 v24, 0
	s_waitcnt lgkmcnt(0)
	s_barrier
	s_and_saveexec_b64 s[6:7], s[2:3]
	s_cbranch_execz .LBB138_47
; %bb.38:
	s_ashr_i32 s15, s14, 31
	s_lshl_b64 s[0:1], s[14:15], 1
	s_add_u32 s0, s24, s0
	v_lshlrev_b32_e32 v3, 4, v0
	v_lshlrev_b32_e32 v2, 3, v0
	s_addc_u32 s1, s25, s1
	v_and_b32_e32 v24, 0x3f0, v3
	v_mov_b32_e32 v25, 0
	v_and_b32_e32 v2, 8, v2
	s_add_i32 s14, s17, -1
	v_lshl_add_u64 v[26:27], s[0:1], 0, v[24:25]
	s_lshl_b64 s[0:1], s[22:23], 2
	v_lshl_or_b32 v33, v1, 4, v2
	v_lshlrev_b32_e32 v2, 5, v32
	s_add_u32 s0, s20, s0
	v_lshl_or_b32 v2, v1, 6, v2
	v_and_b32_e32 v24, 60, v6
	s_addc_u32 s1, s21, s1
	s_mov_b32 s26, s13
	s_mov_b32 s15, s33
	v_add_u32_e32 v34, 0xd0, v2
	v_lshl_add_u64 v[28:29], s[0:1], 0, v[24:25]
	s_mov_b64 s[8:9], 0
	s_mov_b32 s20, 0x5040100
	v_mov_b32_e32 v24, 0
	v_mov_b32_e32 v23, 0
	;; [unrolled: 1-line block ×3, first 2 shown]
	s_branch .LBB138_40
.LBB138_39:                             ;   in Loop: Header=BB138_40 Depth=1
	s_or_b64 exec, exec, s[2:3]
	s_waitcnt lgkmcnt(1)
	v_cvt_pk_bf16_f32 v14, v14, s0
	v_cvt_pk_bf16_f32 v15, v15, s0
	;; [unrolled: 1-line block ×4, first 2 shown]
	s_waitcnt vmcnt(1)
	v_and_b32_e32 v35, 0xffff0000, v18
	v_lshlrev_b32_e32 v15, 16, v15
	v_lshlrev_b32_e32 v18, 16, v18
	v_lshlrev_b32_e32 v14, 16, v14
	v_mul_f32_e32 v35, v15, v35
	v_mul_f32_e32 v18, v14, v18
	v_and_b32_e32 v36, 0xffff0000, v19
	v_lshlrev_b32_e32 v17, 16, v17
	v_lshlrev_b32_e32 v19, 16, v19
	;; [unrolled: 1-line block ×3, first 2 shown]
	s_waitcnt lgkmcnt(0)
	v_cvt_pk_bf16_f32 v10, v10, s0
	v_cvt_pk_bf16_f32 v11, v11, s0
	;; [unrolled: 1-line block ×4, first 2 shown]
	v_mul_f32_e32 v36, v17, v36
	v_mul_f32_e32 v19, v16, v19
	v_cvt_pk_bf16_f32 v36, v36, s0
	v_cvt_pk_bf16_f32 v19, v19, s0
	v_and_b32_e32 v37, 0xffff0000, v20
	v_lshlrev_b32_e32 v11, 16, v11
	v_lshlrev_b32_e32 v20, 16, v20
	;; [unrolled: 1-line block ×5, first 2 shown]
	v_cvt_pk_bf16_f32 v12, v12, s0
	v_cvt_pk_bf16_f32 v13, v13, s0
	v_mul_f32_e32 v37, v11, v37
	v_mul_f32_e32 v20, v10, v20
	v_add_f32_e32 v18, v18, v35
	v_lshlrev_b32_e32 v19, 16, v19
	v_lshlrev_b32_e32 v35, 16, v36
	v_cvt_pk_bf16_f32 v37, v37, s0
	v_cvt_pk_bf16_f32 v20, v20, s0
	v_and_b32_e32 v38, 0xffff0000, v21
	v_lshlrev_b32_e32 v13, 16, v13
	v_lshlrev_b32_e32 v21, 16, v21
	v_lshlrev_b32_e32 v12, 16, v12
	v_add_f32_e32 v19, v19, v35
	v_mul_f32_e32 v38, v13, v38
	v_mul_f32_e32 v21, v12, v21
	v_add_f32_e32 v18, v19, v18
	v_lshlrev_b32_e32 v19, 16, v20
	v_lshlrev_b32_e32 v20, 16, v37
	v_cvt_pk_bf16_f32 v38, v38, s0
	v_cvt_pk_bf16_f32 v21, v21, s0
	v_add_f32_e32 v19, v19, v20
	v_add_f32_e32 v18, v19, v18
	v_lshlrev_b32_e32 v19, 16, v21
	v_lshlrev_b32_e32 v20, 16, v38
	v_add_f32_e32 v19, v19, v20
	v_add_f32_e32 v18, v19, v18
	;; [unrolled: 1-line block ×3, first 2 shown]
	v_and_b32_e32 v18, 0xffff0000, v2
	v_lshlrev_b32_e32 v2, 16, v2
	v_mul_f32_e32 v18, v15, v18
	v_mul_f32_e32 v2, v14, v2
	v_and_b32_e32 v19, 0xffff0000, v3
	v_lshlrev_b32_e32 v3, 16, v3
	v_cvt_pk_bf16_f32 v18, v18, s0
	v_cvt_pk_bf16_f32 v2, v2, s0
	v_mul_f32_e32 v19, v17, v19
	v_mul_f32_e32 v3, v16, v3
	v_cvt_pk_bf16_f32 v19, v19, s0
	v_cvt_pk_bf16_f32 v3, v3, s0
	v_and_b32_e32 v20, 0xffff0000, v4
	v_lshlrev_b32_e32 v4, 16, v4
	v_lshlrev_b32_e32 v2, 16, v2
	;; [unrolled: 1-line block ×3, first 2 shown]
	v_mul_f32_e32 v20, v11, v20
	v_mul_f32_e32 v4, v10, v4
	v_add_f32_e32 v2, v2, v18
	v_lshlrev_b32_e32 v3, 16, v3
	v_lshlrev_b32_e32 v18, 16, v19
	v_cvt_pk_bf16_f32 v20, v20, s0
	v_cvt_pk_bf16_f32 v4, v4, s0
	v_and_b32_e32 v21, 0xffff0000, v5
	v_lshlrev_b32_e32 v5, 16, v5
	v_add_f32_e32 v3, v3, v18
	v_mul_f32_e32 v21, v13, v21
	v_mul_f32_e32 v5, v12, v5
	v_add_f32_e32 v2, v3, v2
	v_lshlrev_b32_e32 v3, 16, v4
	v_lshlrev_b32_e32 v4, 16, v20
	v_cvt_pk_bf16_f32 v21, v21, s0
	v_cvt_pk_bf16_f32 v5, v5, s0
	v_add_f32_e32 v3, v3, v4
	v_add_f32_e32 v2, v3, v2
	v_lshlrev_b32_e32 v3, 16, v5
	v_lshlrev_b32_e32 v4, 16, v21
	v_add_f32_e32 v3, v3, v4
	s_waitcnt vmcnt(0)
	v_and_b32_e32 v5, 0xffff0000, v7
	v_add_f32_e32 v2, v3, v2
	v_mul_f32_e32 v5, v17, v5
	v_add_f32_e32 v22, v22, v2
	v_lshlrev_b32_e32 v2, 16, v6
	v_and_b32_e32 v3, 0xffff0000, v6
	v_cvt_pk_bf16_f32 v6, v5, s0
	v_lshlrev_b32_e32 v5, 16, v8
	v_mul_f32_e32 v5, v10, v5
	v_lshlrev_b32_e32 v4, 16, v7
	v_cvt_pk_bf16_f32 v7, v5, s0
	v_and_b32_e32 v5, 0xffff0000, v8
	v_mul_f32_e32 v5, v11, v5
	v_cvt_pk_bf16_f32 v8, v5, s0
	v_lshlrev_b32_e32 v5, 16, v9
	v_mul_f32_e32 v5, v12, v5
	v_mul_f32_e32 v2, v14, v2
	;; [unrolled: 1-line block ×4, first 2 shown]
	v_cvt_pk_bf16_f32 v10, v5, s0
	v_and_b32_e32 v5, 0xffff0000, v9
	v_cvt_pk_bf16_f32 v2, v2, s0
	v_cvt_pk_bf16_f32 v3, v3, s0
	;; [unrolled: 1-line block ×3, first 2 shown]
	v_mul_f32_e32 v5, v13, v5
	v_cvt_pk_bf16_f32 v9, v5, s0
	v_lshlrev_b32_e32 v3, 16, v3
	v_lshlrev_b32_e32 v5, 16, v2
	;; [unrolled: 1-line block ×4, first 2 shown]
	v_pk_add_f32 v[2:3], v[4:5], v[2:3]
	v_lshlrev_b32_e32 v5, 16, v8
	v_lshlrev_b32_e32 v7, 16, v7
	;; [unrolled: 1-line block ×4, first 2 shown]
	v_pk_add_f32 v[4:5], v[6:7], v[4:5]
	v_add_f32_e32 v2, v2, v3
	v_add_f32_e32 v2, v5, v2
	v_add_u32_e32 v1, 2, v1
	v_add_f32_e32 v2, v4, v2
	v_cmp_le_i32_e32 vcc, s17, v1
	v_add_f32_e32 v24, v24, v2
	v_add_u32_e32 v33, 32, v33
	v_add_u32_e32 v34, 0x80, v34
	s_or_b64 s[8:9], vcc, s[8:9]
	v_lshl_add_u64 v[28:29], v[28:29], 0, 8
	s_andn2_b64 exec, exec, s[8:9]
	s_cbranch_execz .LBB138_46
.LBB138_40:                             ; =>This Inner Loop Header: Depth=1
	global_load_dword v2, v[28:29], off
	v_add_u32_e32 v41, 1, v33
	v_or_b32_e32 v39, 3, v33
	v_or_b32_e32 v40, 2, v33
	;; [unrolled: 1-line block ×6, first 2 shown]
	s_waitcnt vmcnt(0)
	v_mad_i64_i32 v[2:3], s[0:1], v2, s26, 0
	v_lshl_add_u64 v[6:7], v[2:3], 1, v[26:27]
	global_load_dwordx4 v[2:5], v[6:7], off
	ds_read2_b64 v[14:17], v34 offset1:1
	ds_read2_b64 v[10:13], v34 offset0:2 offset1:3
	v_cmp_eq_u32_e64 s[0:1], s14, v1
	s_and_saveexec_b64 s[12:13], s[0:1]
	s_cbranch_execnz .LBB138_43
; %bb.41:                               ;   in Loop: Header=BB138_40 Depth=1
	s_or_b64 exec, exec, s[12:13]
	global_load_dwordx4 v[18:21], v[6:7], off offset:1024
	s_and_saveexec_b64 s[12:13], s[0:1]
	s_cbranch_execnz .LBB138_44
.LBB138_42:                             ;   in Loop: Header=BB138_40 Depth=1
	s_or_b64 exec, exec, s[12:13]
	global_load_dwordx4 v[6:9], v[6:7], off offset:2048
	s_and_saveexec_b64 s[2:3], s[0:1]
	s_cbranch_execz .LBB138_39
	s_branch .LBB138_45
.LBB138_43:                             ;   in Loop: Header=BB138_40 Depth=1
	v_cmp_gt_i32_e32 vcc, s15, v41
	v_cmp_gt_i32_e64 s[2:3], s33, v40
	s_waitcnt vmcnt(0)
	v_cndmask_b32_sdwa v8, v25, v2, vcc dst_sel:DWORD dst_unused:UNUSED_PAD src0_sel:DWORD src1_sel:WORD_1
	v_cmp_gt_i32_e32 vcc, s33, v33
	s_nop 1
	v_cndmask_b32_e32 v2, 0, v2, vcc
	v_cmp_gt_i32_e32 vcc, s15, v39
	v_perm_b32 v2, v8, v2, s20
	v_cndmask_b32_e64 v8, 0, v3, s[2:3]
	v_cndmask_b32_sdwa v3, v25, v3, vcc dst_sel:DWORD dst_unused:UNUSED_PAD src0_sel:DWORD src1_sel:WORD_1
	v_cmp_gt_i32_e32 vcc, s15, v37
	v_cmp_gt_i32_e64 s[2:3], s33, v38
	v_perm_b32 v3, v3, v8, s20
	s_nop 0
	v_cndmask_b32_e64 v8, 0, v4, s[2:3]
	v_cndmask_b32_sdwa v4, v25, v4, vcc dst_sel:DWORD dst_unused:UNUSED_PAD src0_sel:DWORD src1_sel:WORD_1
	v_cmp_gt_i32_e32 vcc, s15, v35
	v_cmp_gt_i32_e64 s[2:3], s33, v36
	v_perm_b32 v4, v4, v8, s20
	s_nop 0
	v_cndmask_b32_e64 v8, 0, v5, s[2:3]
	v_cndmask_b32_sdwa v5, v25, v5, vcc dst_sel:DWORD dst_unused:UNUSED_PAD src0_sel:DWORD src1_sel:WORD_1
	v_perm_b32 v5, v5, v8, s20
	s_or_b64 exec, exec, s[12:13]
	global_load_dwordx4 v[18:21], v[6:7], off offset:1024
	s_and_saveexec_b64 s[12:13], s[0:1]
	s_cbranch_execz .LBB138_42
.LBB138_44:                             ;   in Loop: Header=BB138_40 Depth=1
	v_cmp_gt_i32_e32 vcc, s15, v41
	v_cmp_gt_i32_e64 s[2:3], s33, v40
	s_waitcnt vmcnt(0)
	v_cndmask_b32_sdwa v8, v25, v18, vcc dst_sel:DWORD dst_unused:UNUSED_PAD src0_sel:DWORD src1_sel:WORD_1
	v_cmp_gt_i32_e32 vcc, s33, v33
	s_nop 1
	v_cndmask_b32_e32 v9, 0, v18, vcc
	v_cmp_gt_i32_e32 vcc, s15, v39
	v_perm_b32 v18, v8, v9, s20
	v_cndmask_b32_e64 v8, 0, v19, s[2:3]
	v_cndmask_b32_sdwa v9, v25, v19, vcc dst_sel:DWORD dst_unused:UNUSED_PAD src0_sel:DWORD src1_sel:WORD_1
	v_cmp_gt_i32_e32 vcc, s15, v37
	v_cmp_gt_i32_e64 s[2:3], s33, v38
	v_perm_b32 v19, v9, v8, s20
	v_cndmask_b32_sdwa v9, v25, v20, vcc dst_sel:DWORD dst_unused:UNUSED_PAD src0_sel:DWORD src1_sel:WORD_1
	v_cndmask_b32_e64 v8, 0, v20, s[2:3]
	v_cmp_gt_i32_e32 vcc, s15, v35
	v_cmp_gt_i32_e64 s[2:3], s33, v36
	v_perm_b32 v20, v9, v8, s20
	v_cndmask_b32_sdwa v9, v25, v21, vcc dst_sel:DWORD dst_unused:UNUSED_PAD src0_sel:DWORD src1_sel:WORD_1
	v_cndmask_b32_e64 v8, 0, v21, s[2:3]
	v_perm_b32 v21, v9, v8, s20
	s_or_b64 exec, exec, s[12:13]
	global_load_dwordx4 v[6:9], v[6:7], off offset:2048
	s_and_saveexec_b64 s[2:3], s[0:1]
	s_cbranch_execz .LBB138_39
.LBB138_45:                             ;   in Loop: Header=BB138_40 Depth=1
	v_cmp_gt_i32_e32 vcc, s15, v41
	v_cmp_gt_i32_e64 s[0:1], s33, v40
	s_waitcnt vmcnt(0)
	v_cndmask_b32_sdwa v41, v25, v6, vcc dst_sel:DWORD dst_unused:UNUSED_PAD src0_sel:DWORD src1_sel:WORD_1
	v_cmp_gt_i32_e32 vcc, s33, v33
	s_nop 1
	v_cndmask_b32_e32 v6, 0, v6, vcc
	v_cmp_gt_i32_e32 vcc, s15, v39
	v_cndmask_b32_e64 v39, 0, v7, s[0:1]
	v_cmp_gt_i32_e64 s[0:1], s33, v38
	v_cndmask_b32_sdwa v7, v25, v7, vcc dst_sel:DWORD dst_unused:UNUSED_PAD src0_sel:DWORD src1_sel:WORD_1
	v_cmp_gt_i32_e32 vcc, s15, v37
	v_cndmask_b32_e64 v37, 0, v8, s[0:1]
	v_cmp_gt_i32_e64 s[0:1], s33, v36
	v_cndmask_b32_sdwa v8, v25, v8, vcc dst_sel:DWORD dst_unused:UNUSED_PAD src0_sel:DWORD src1_sel:WORD_1
	v_cmp_gt_i32_e32 vcc, s15, v35
	v_cndmask_b32_e64 v35, 0, v9, s[0:1]
	v_perm_b32 v6, v41, v6, s20
	v_cndmask_b32_sdwa v9, v25, v9, vcc dst_sel:DWORD dst_unused:UNUSED_PAD src0_sel:DWORD src1_sel:WORD_1
	v_perm_b32 v7, v7, v39, s20
	v_perm_b32 v8, v8, v37, s20
	;; [unrolled: 1-line block ×3, first 2 shown]
	s_branch .LBB138_39
.LBB138_46:
	s_or_b64 exec, exec, s[8:9]
.LBB138_47:
	s_or_b64 exec, exec, s[6:7]
	ds_bpermute_b32 v2, v31, v22
	ds_bpermute_b32 v3, v31, v23
	;; [unrolled: 1-line block ×3, first 2 shown]
	v_and_b32_e32 v4, 0x3c1, v0
	v_cmp_ne_u32_e32 vcc, 64, v4
	s_waitcnt lgkmcnt(0)
	v_pk_add_f32 v[2:3], v[22:23], v[2:3]
	s_barrier
	s_and_saveexec_b64 s[0:1], vcc
	s_xor_b64 s[0:1], exec, s[0:1]
; %bb.48:
                                        ; implicit-def: $vgpr30
; %bb.49:
	s_or_saveexec_b64 s[0:1], s[0:1]
	v_add_f32_e32 v1, v24, v1
	s_xor_b64 exec, exec, s[0:1]
	s_cbranch_execz .LBB138_51
; %bb.50:
	v_mov_b32_e32 v5, 0xd0
	v_lshl_add_u32 v5, v30, 1, v5
	ds_write2_b32 v5, v2, v3 offset1:32
	ds_write_b32 v5, v1 offset:256
.LBB138_51:
	s_or_b64 exec, exec, s[0:1]
	v_cmp_gt_u32_e32 vcc, 64, v0
	v_lshrrev_b32_e32 v0, 1, v0
	s_waitcnt lgkmcnt(0)
	s_barrier
	s_and_saveexec_b64 s[0:1], vcc
	s_cbranch_execz .LBB138_57
; %bb.52:
	v_mov_b32_e32 v5, 0xd0
	v_cmp_eq_u32_e32 vcc, 0, v32
	v_lshl_add_u32 v5, v0, 2, v5
	s_and_saveexec_b64 s[2:3], vcc
	s_cbranch_execnz .LBB138_60
; %bb.53:
	s_or_b64 exec, exec, s[2:3]
	s_and_saveexec_b64 s[2:3], vcc
	s_cbranch_execnz .LBB138_61
.LBB138_54:
	s_or_b64 exec, exec, s[2:3]
	s_and_saveexec_b64 s[2:3], vcc
	s_cbranch_execz .LBB138_56
.LBB138_55:
	ds_read_b32 v5, v5 offset:256
	s_waitcnt lgkmcnt(0)
	v_add_f32_e32 v1, v1, v5
.LBB138_56:
	s_or_b64 exec, exec, s[2:3]
.LBB138_57:
	s_or_b64 exec, exec, s[0:1]
	v_cmp_eq_u32_e32 vcc, 0, v4
	s_barrier
	s_and_saveexec_b64 s[0:1], vcc
	s_cbranch_execz .LBB138_59
; %bb.58:
	s_mul_i32 s0, s10, s11
	s_mul_i32 s0, s0, s5
	s_mulk_i32 s0, 0x60
	s_ashr_i32 s1, s0, 31
	s_lshl_b64 s[0:1], s[0:1], 1
	s_add_u32 s2, s18, s0
	s_mul_i32 s0, s11, s16
	s_addc_u32 s3, s19, s1
	s_ashr_i32 s1, s0, 31
	s_lshl_b64 s[0:1], s[0:1], 1
	s_add_u32 s2, s2, s0
	s_mul_i32 s0, s4, 0x60
	s_addc_u32 s3, s3, s1
	s_ashr_i32 s1, s0, 31
	s_lshl_b64 s[0:1], s[0:1], 1
	s_add_u32 s0, s2, s0
	s_addc_u32 s1, s3, s1
	v_lshlrev_b32_e32 v0, 1, v0
	v_cvt_pk_bf16_f32 v2, v2, s0
	global_store_short v0, v2, s[0:1]
	v_cvt_pk_bf16_f32 v2, v3, s0
	v_cvt_pk_bf16_f32 v1, v1, s0
	global_store_short v0, v2, s[0:1] offset:64
	global_store_short v0, v1, s[0:1] offset:128
.LBB138_59:
	s_endpgm
.LBB138_60:
	ds_read_b32 v6, v5
	s_waitcnt lgkmcnt(0)
	v_add_f32_e32 v2, v2, v6
	s_or_b64 exec, exec, s[2:3]
	s_and_saveexec_b64 s[2:3], vcc
	s_cbranch_execz .LBB138_54
.LBB138_61:
	ds_read_b32 v6, v5 offset:128
	s_waitcnt lgkmcnt(0)
	v_add_f32_e32 v3, v3, v6
	s_or_b64 exec, exec, s[2:3]
	s_and_saveexec_b64 s[2:3], vcc
	s_cbranch_execnz .LBB138_55
	s_branch .LBB138_56
	.section	.rodata,"a",@progbits
	.p2align	6, 0x0
	.amdhsa_kernel _ZN4vllm25paged_attention_v1_kernelI14__hip_bfloat16S1_Li96ELi16ELi128ELNS_18Fp8KVCacheDataTypeE0ELb0EEEvPT_PKS3_PKT0_S9_ifPKiSB_iPKfiiiSD_SD_iiiii
		.amdhsa_group_segment_fixed_size 208
		.amdhsa_private_segment_fixed_size 0
		.amdhsa_kernarg_size 384
		.amdhsa_user_sgpr_count 2
		.amdhsa_user_sgpr_dispatch_ptr 0
		.amdhsa_user_sgpr_queue_ptr 0
		.amdhsa_user_sgpr_kernarg_segment_ptr 1
		.amdhsa_user_sgpr_dispatch_id 0
		.amdhsa_user_sgpr_kernarg_preload_length 0
		.amdhsa_user_sgpr_kernarg_preload_offset 0
		.amdhsa_user_sgpr_private_segment_size 0
		.amdhsa_uses_dynamic_stack 0
		.amdhsa_enable_private_segment 0
		.amdhsa_system_sgpr_workgroup_id_x 1
		.amdhsa_system_sgpr_workgroup_id_y 1
		.amdhsa_system_sgpr_workgroup_id_z 1
		.amdhsa_system_sgpr_workgroup_info 0
		.amdhsa_system_vgpr_workitem_id 0
		.amdhsa_next_free_vgpr 64
		.amdhsa_next_free_sgpr 34
		.amdhsa_accum_offset 64
		.amdhsa_reserve_vcc 1
		.amdhsa_float_round_mode_32 0
		.amdhsa_float_round_mode_16_64 0
		.amdhsa_float_denorm_mode_32 3
		.amdhsa_float_denorm_mode_16_64 3
		.amdhsa_dx10_clamp 1
		.amdhsa_ieee_mode 1
		.amdhsa_fp16_overflow 0
		.amdhsa_tg_split 0
		.amdhsa_exception_fp_ieee_invalid_op 0
		.amdhsa_exception_fp_denorm_src 0
		.amdhsa_exception_fp_ieee_div_zero 0
		.amdhsa_exception_fp_ieee_overflow 0
		.amdhsa_exception_fp_ieee_underflow 0
		.amdhsa_exception_fp_ieee_inexact 0
		.amdhsa_exception_int_div_zero 0
	.end_amdhsa_kernel
	.section	.text._ZN4vllm25paged_attention_v1_kernelI14__hip_bfloat16S1_Li96ELi16ELi128ELNS_18Fp8KVCacheDataTypeE0ELb0EEEvPT_PKS3_PKT0_S9_ifPKiSB_iPKfiiiSD_SD_iiiii,"axG",@progbits,_ZN4vllm25paged_attention_v1_kernelI14__hip_bfloat16S1_Li96ELi16ELi128ELNS_18Fp8KVCacheDataTypeE0ELb0EEEvPT_PKS3_PKT0_S9_ifPKiSB_iPKfiiiSD_SD_iiiii,comdat
.Lfunc_end138:
	.size	_ZN4vllm25paged_attention_v1_kernelI14__hip_bfloat16S1_Li96ELi16ELi128ELNS_18Fp8KVCacheDataTypeE0ELb0EEEvPT_PKS3_PKT0_S9_ifPKiSB_iPKfiiiSD_SD_iiiii, .Lfunc_end138-_ZN4vllm25paged_attention_v1_kernelI14__hip_bfloat16S1_Li96ELi16ELi128ELNS_18Fp8KVCacheDataTypeE0ELb0EEEvPT_PKS3_PKT0_S9_ifPKiSB_iPKfiiiSD_SD_iiiii
                                        ; -- End function
	.set _ZN4vllm25paged_attention_v1_kernelI14__hip_bfloat16S1_Li96ELi16ELi128ELNS_18Fp8KVCacheDataTypeE0ELb0EEEvPT_PKS3_PKT0_S9_ifPKiSB_iPKfiiiSD_SD_iiiii.num_vgpr, 64
	.set _ZN4vllm25paged_attention_v1_kernelI14__hip_bfloat16S1_Li96ELi16ELi128ELNS_18Fp8KVCacheDataTypeE0ELb0EEEvPT_PKS3_PKT0_S9_ifPKiSB_iPKfiiiSD_SD_iiiii.num_agpr, 0
	.set _ZN4vllm25paged_attention_v1_kernelI14__hip_bfloat16S1_Li96ELi16ELi128ELNS_18Fp8KVCacheDataTypeE0ELb0EEEvPT_PKS3_PKT0_S9_ifPKiSB_iPKfiiiSD_SD_iiiii.numbered_sgpr, 34
	.set _ZN4vllm25paged_attention_v1_kernelI14__hip_bfloat16S1_Li96ELi16ELi128ELNS_18Fp8KVCacheDataTypeE0ELb0EEEvPT_PKS3_PKT0_S9_ifPKiSB_iPKfiiiSD_SD_iiiii.num_named_barrier, 0
	.set _ZN4vllm25paged_attention_v1_kernelI14__hip_bfloat16S1_Li96ELi16ELi128ELNS_18Fp8KVCacheDataTypeE0ELb0EEEvPT_PKS3_PKT0_S9_ifPKiSB_iPKfiiiSD_SD_iiiii.private_seg_size, 0
	.set _ZN4vllm25paged_attention_v1_kernelI14__hip_bfloat16S1_Li96ELi16ELi128ELNS_18Fp8KVCacheDataTypeE0ELb0EEEvPT_PKS3_PKT0_S9_ifPKiSB_iPKfiiiSD_SD_iiiii.uses_vcc, 1
	.set _ZN4vllm25paged_attention_v1_kernelI14__hip_bfloat16S1_Li96ELi16ELi128ELNS_18Fp8KVCacheDataTypeE0ELb0EEEvPT_PKS3_PKT0_S9_ifPKiSB_iPKfiiiSD_SD_iiiii.uses_flat_scratch, 0
	.set _ZN4vllm25paged_attention_v1_kernelI14__hip_bfloat16S1_Li96ELi16ELi128ELNS_18Fp8KVCacheDataTypeE0ELb0EEEvPT_PKS3_PKT0_S9_ifPKiSB_iPKfiiiSD_SD_iiiii.has_dyn_sized_stack, 0
	.set _ZN4vllm25paged_attention_v1_kernelI14__hip_bfloat16S1_Li96ELi16ELi128ELNS_18Fp8KVCacheDataTypeE0ELb0EEEvPT_PKS3_PKT0_S9_ifPKiSB_iPKfiiiSD_SD_iiiii.has_recursion, 0
	.set _ZN4vllm25paged_attention_v1_kernelI14__hip_bfloat16S1_Li96ELi16ELi128ELNS_18Fp8KVCacheDataTypeE0ELb0EEEvPT_PKS3_PKT0_S9_ifPKiSB_iPKfiiiSD_SD_iiiii.has_indirect_call, 0
	.section	.AMDGPU.csdata,"",@progbits
; Kernel info:
; codeLenInByte = 4892
; TotalNumSgprs: 40
; NumVgprs: 64
; NumAgprs: 0
; TotalNumVgprs: 64
; ScratchSize: 0
; MemoryBound: 0
; FloatMode: 240
; IeeeMode: 1
; LDSByteSize: 208 bytes/workgroup (compile time only)
; SGPRBlocks: 4
; VGPRBlocks: 7
; NumSGPRsForWavesPerEU: 40
; NumVGPRsForWavesPerEU: 64
; AccumOffset: 64
; Occupancy: 8
; WaveLimiterHint : 1
; COMPUTE_PGM_RSRC2:SCRATCH_EN: 0
; COMPUTE_PGM_RSRC2:USER_SGPR: 2
; COMPUTE_PGM_RSRC2:TRAP_HANDLER: 0
; COMPUTE_PGM_RSRC2:TGID_X_EN: 1
; COMPUTE_PGM_RSRC2:TGID_Y_EN: 1
; COMPUTE_PGM_RSRC2:TGID_Z_EN: 1
; COMPUTE_PGM_RSRC2:TIDIG_COMP_CNT: 0
; COMPUTE_PGM_RSRC3_GFX90A:ACCUM_OFFSET: 15
; COMPUTE_PGM_RSRC3_GFX90A:TG_SPLIT: 0
	.section	.text._ZN4vllm25paged_attention_v1_kernelI14__hip_bfloat16S1_Li112ELi16ELi128ELNS_18Fp8KVCacheDataTypeE0ELb0EEEvPT_PKS3_PKT0_S9_ifPKiSB_iPKfiiiSD_SD_iiiii,"axG",@progbits,_ZN4vllm25paged_attention_v1_kernelI14__hip_bfloat16S1_Li112ELi16ELi128ELNS_18Fp8KVCacheDataTypeE0ELb0EEEvPT_PKS3_PKT0_S9_ifPKiSB_iPKfiiiSD_SD_iiiii,comdat
	.protected	_ZN4vllm25paged_attention_v1_kernelI14__hip_bfloat16S1_Li112ELi16ELi128ELNS_18Fp8KVCacheDataTypeE0ELb0EEEvPT_PKS3_PKT0_S9_ifPKiSB_iPKfiiiSD_SD_iiiii ; -- Begin function _ZN4vllm25paged_attention_v1_kernelI14__hip_bfloat16S1_Li112ELi16ELi128ELNS_18Fp8KVCacheDataTypeE0ELb0EEEvPT_PKS3_PKT0_S9_ifPKiSB_iPKfiiiSD_SD_iiiii
	.globl	_ZN4vllm25paged_attention_v1_kernelI14__hip_bfloat16S1_Li112ELi16ELi128ELNS_18Fp8KVCacheDataTypeE0ELb0EEEvPT_PKS3_PKT0_S9_ifPKiSB_iPKfiiiSD_SD_iiiii
	.p2align	8
	.type	_ZN4vllm25paged_attention_v1_kernelI14__hip_bfloat16S1_Li112ELi16ELi128ELNS_18Fp8KVCacheDataTypeE0ELb0EEEvPT_PKS3_PKT0_S9_ifPKiSB_iPKfiiiSD_SD_iiiii,@function
_ZN4vllm25paged_attention_v1_kernelI14__hip_bfloat16S1_Li112ELi16ELi128ELNS_18Fp8KVCacheDataTypeE0ELb0EEEvPT_PKS3_PKT0_S9_ifPKiSB_iPKfiiiSD_SD_iiiii: ; @_ZN4vllm25paged_attention_v1_kernelI14__hip_bfloat16S1_Li112ELi16ELi128ELNS_18Fp8KVCacheDataTypeE0ELb0EEEvPT_PKS3_PKT0_S9_ifPKiSB_iPKfiiiSD_SD_iiiii
; %bb.0:
	s_load_dword s5, s[0:1], 0x80
	s_load_dwordx2 s[6:7], s[0:1], 0x30
	s_load_dwordx2 s[8:9], s[0:1], 0x20
	s_mov_b32 s10, s3
	s_ashr_i32 s11, s3, 31
	s_lshl_b64 s[12:13], s[10:11], 2
	s_waitcnt lgkmcnt(0)
	s_add_u32 s6, s6, s12
	s_addc_u32 s7, s7, s13
	s_abs_i32 s3, s8
	v_cvt_f32_u32_e32 v1, s3
	s_sub_i32 s12, 0, s3
	s_abs_i32 s11, s5
	s_xor_b32 s8, s5, s8
	v_rcp_iflag_f32_e32 v1, v1
	s_ashr_i32 s8, s8, 31
	v_mul_f32_e32 v1, 0x4f7ffffe, v1
	v_cvt_u32_f32_e32 v1, v1
	s_nop 0
	v_readfirstlane_b32 s13, v1
	s_mul_i32 s12, s12, s13
	s_mul_hi_u32 s12, s13, s12
	s_add_i32 s13, s13, s12
	s_mul_hi_u32 s12, s11, s13
	s_mul_i32 s13, s12, s3
	s_sub_i32 s11, s11, s13
	s_add_i32 s13, s12, 1
	s_sub_i32 s14, s11, s3
	s_cmp_ge_u32 s11, s3
	s_cselect_b32 s12, s13, s12
	s_cselect_b32 s11, s14, s11
	s_add_i32 s13, s12, 1
	s_cmp_ge_u32 s11, s3
	s_cselect_b32 s3, s13, s12
	s_xor_b32 s3, s3, s8
	s_sub_i32 s16, s3, s8
	s_abs_i32 s11, s16
	v_cvt_f32_u32_e32 v1, s11
	s_load_dwordx2 s[12:13], s[0:1], 0x40
	s_sub_i32 s3, 0, s11
	s_abs_i32 s18, s2
	v_rcp_iflag_f32_e32 v1, v1
	s_mov_b32 s8, 0
	v_mul_f32_e32 v1, 0x4f7ffffe, v1
	v_cvt_u32_f32_e32 v1, v1
	s_nop 0
	v_readfirstlane_b32 s14, v1
	s_mul_i32 s3, s3, s14
	s_mul_hi_u32 s3, s14, s3
	s_add_i32 s14, s14, s3
	s_waitcnt lgkmcnt(0)
	s_cmp_eq_u64 s[12:13], 0
	s_mul_hi_u32 s19, s18, s14
	s_cbranch_scc1 .LBB139_2
; %bb.1:
	s_ashr_i32 s3, s2, 31
	s_lshl_b64 s[14:15], s[2:3], 2
	s_add_u32 s12, s12, s14
	s_addc_u32 s13, s13, s15
	s_load_dword s8, s[12:13], 0x0
.LBB139_2:
	s_load_dword s33, s[6:7], 0x0
	s_nop 0
	s_load_dwordx4 s[12:15], s[0:1], 0x48
	s_ashr_i32 s6, s2, 31
	s_ashr_i32 s7, s16, 31
	v_and_b32_e32 v4, 3, v0
	s_mul_i32 s16, s2, 0x70
	v_cmp_gt_u32_e32 vcc, 56, v0
	s_and_saveexec_b64 s[2:3], vcc
	s_cbranch_execz .LBB139_4
; %bb.3:
	s_load_dwordx2 s[20:21], s[0:1], 0x8
	s_waitcnt lgkmcnt(0)
	s_mul_i32 s22, s12, s10
	s_ashr_i32 s23, s22, 31
	s_lshl_b64 s[22:23], s[22:23], 1
	v_lshlrev_b32_e32 v1, 2, v0
	s_add_u32 s12, s20, s22
	s_addc_u32 s15, s21, s23
	s_ashr_i32 s17, s16, 31
	s_lshl_b64 s[20:21], s[16:17], 1
	s_add_u32 s20, s12, s20
	s_addc_u32 s21, s15, s21
	global_load_dword v1, v1, s[20:21]
	v_and_b32_e32 v2, 0x3fc, v0
	v_mad_u32_u24 v2, v4, 56, v2
	s_waitcnt vmcnt(0)
	ds_write_b32 v2, v1
.LBB139_4:
	s_or_b64 exec, exec, s[2:3]
	s_waitcnt lgkmcnt(0)
	s_add_i32 s3, s33, 15
	s_ashr_i32 s12, s3, 31
	s_lshr_b32 s12, s12, 28
	s_add_i32 s3, s3, s12
	s_ashr_i32 s17, s3, 4
	s_xor_b32 s3, s6, s7
	s_mul_i32 s6, s19, s11
	s_sub_i32 s6, s18, s6
	s_add_i32 s7, s19, 1
	s_sub_i32 s12, s6, s11
	s_load_dwordx2 s[20:21], s[0:1], 0x28
	s_load_dword s2, s[0:1], 0x38
	s_cmp_ge_u32 s6, s11
	s_cselect_b32 s7, s7, s19
	s_cselect_b32 s6, s12, s6
	s_add_i32 s12, s7, 1
	s_cmp_ge_u32 s6, s11
	s_cselect_b32 s6, s12, s7
	v_lshrrev_b32_e32 v1, 6, v0
	s_xor_b32 s6, s6, s3
	s_waitcnt lgkmcnt(0)
	s_mul_i32 s22, s2, s10
	s_sub_i32 s12, s6, s3
	s_ashr_i32 s23, s22, 31
	v_cmp_le_i32_e64 s[6:7], s17, v1
	v_mbcnt_lo_u32_b32 v5, -1, 0
	s_barrier
                                        ; implicit-def: $vgpr7
                                        ; implicit-def: $vgpr9
                                        ; implicit-def: $vgpr8
	s_and_saveexec_b64 s[2:3], s[6:7]
	s_xor_b64 s[2:3], exec, s[2:3]
; %bb.5:
	v_mbcnt_hi_u32_b32 v7, -1, v5
	v_and_b32_e32 v9, 64, v7
	v_add_u32_e32 v8, 64, v9
                                        ; implicit-def: $vgpr4
                                        ; implicit-def: $vgpr5
; %bb.6:
	s_or_saveexec_b64 s[26:27], s[2:3]
	s_load_dwordx2 s[18:19], s[0:1], 0x0
	s_load_dwordx2 s[24:25], s[0:1], 0x18
	s_load_dword s11, s[0:1], 0x88
	v_mov_b32_e32 v31, 0xff7fffff
	s_mul_i32 s14, s12, s14
	v_lshrrev_b32_e32 v6, 4, v0
	s_xor_b64 exec, exec, s[26:27]
	s_cbranch_execz .LBB139_12
; %bb.7:
	s_load_dwordx2 s[0:1], s[0:1], 0x10
	s_ashr_i32 s15, s14, 31
	s_lshl_b64 s[2:3], s[14:15], 1
	v_bfe_u32 v31, v0, 2, 4
	v_lshlrev_b32_e32 v44, 4, v31
	s_waitcnt lgkmcnt(0)
	s_add_u32 s0, s0, s2
	s_addc_u32 s1, s1, s3
	v_mov_b32_e32 v45, 0
	v_mul_u32_u24_e32 v7, 56, v4
	v_lshlrev_b32_e32 v8, 2, v0
	v_lshl_add_u64 v[2:3], s[0:1], 0, v[44:45]
	v_and_b32_e32 v44, 12, v8
	ds_read2_b64 v[32:35], v7 offset0:4 offset1:5
	ds_read_b64 v[8:9], v7 offset:48
	ds_read2_b64 v[14:17], v7 offset1:1
	ds_read2_b64 v[22:25], v7 offset0:2 offset1:3
	v_mbcnt_hi_u32_b32 v7, -1, v5
	s_waitcnt lgkmcnt(3)
	v_lshlrev_b32_e32 v26, 16, v32
	s_waitcnt lgkmcnt(2)
	v_lshlrev_b32_e32 v37, 16, v9
	v_and_b32_e32 v38, 0xffff0000, v9
	v_and_b32_e32 v9, 64, v7
	;; [unrolled: 1-line block ×3, first 2 shown]
	v_lshlrev_b32_e32 v28, 16, v33
	v_and_b32_e32 v29, 0xffff0000, v33
	v_lshlrev_b32_e32 v30, 16, v34
	v_and_b32_e32 v32, 0xffff0000, v34
	;; [unrolled: 2-line block ×4, first 2 shown]
	v_add_u32_e32 v8, 64, v9
	v_xor_b32_e32 v5, 2, v7
	v_cmp_lt_i32_e32 vcc, v5, v8
	s_sub_i32 s15, 1, s33
	s_lshl_b64 s[0:1], s[22:23], 2
	v_cndmask_b32_e32 v5, v7, v5, vcc
	v_lshlrev_b32_e32 v39, 2, v5
	v_xor_b32_e32 v5, 1, v7
	v_cmp_lt_i32_e32 vcc, v5, v8
	s_add_u32 s0, s20, s0
	v_lshl_add_u64 v[2:3], v[2:3], 0, v[44:45]
	v_cndmask_b32_e32 v5, v7, v5, vcc
	v_cmp_eq_u32_e32 vcc, 0, v4
	v_lshlrev_b32_e32 v4, 2, v31
	v_lshl_or_b32 v4, v1, 6, v4
	v_and_b32_e32 v44, 60, v6
	s_addc_u32 s1, s21, s1
	s_mov_b32 s12, s13
	s_waitcnt lgkmcnt(1)
	v_lshlrev_b32_e32 v10, 16, v14
	v_and_b32_e32 v11, 0xffff0000, v14
	v_lshlrev_b32_e32 v12, 16, v15
	v_and_b32_e32 v13, 0xffff0000, v15
	;; [unrolled: 2-line block ×4, first 2 shown]
	s_waitcnt lgkmcnt(0)
	v_lshlrev_b32_e32 v18, 16, v22
	v_and_b32_e32 v19, 0xffff0000, v22
	v_lshlrev_b32_e32 v20, 16, v23
	v_and_b32_e32 v21, 0xffff0000, v23
	;; [unrolled: 2-line block ×4, first 2 shown]
	v_lshlrev_b32_e32 v40, 2, v5
	v_cmp_neq_f32_e64 s[2:3], s8, 0
	v_lshl_or_b32 v41, v1, 4, v31
	v_add_u32_e32 v42, 0xf0, v4
	v_lshl_add_u64 v[4:5], s[0:1], 0, v[44:45]
	v_mov_b32_e32 v31, 0xff7fffff
	s_mov_b64 s[28:29], 0
	v_mov_b32_e32 v43, v1
	s_branch .LBB139_9
.LBB139_8:                              ;   in Loop: Header=BB139_9 Depth=1
	s_or_b64 exec, exec, s[30:31]
	v_add_u32_e32 v43, 2, v43
	v_cmp_le_i32_e64 s[0:1], s17, v43
	v_add_u32_e32 v41, 32, v41
	v_add_u32_e32 v42, 0x80, v42
	s_or_b64 s[28:29], s[0:1], s[28:29]
	v_lshl_add_u64 v[4:5], v[4:5], 0, 8
	s_andn2_b64 exec, exec, s[28:29]
	s_cbranch_execz .LBB139_11
.LBB139_9:                              ; =>This Inner Loop Header: Depth=1
	global_load_dword v44, v[4:5], off
	s_waitcnt vmcnt(0) lgkmcnt(0)
	v_mad_i64_i32 v[44:45], s[0:1], v44, s12, 0
	v_lshl_add_u64 v[44:45], v[44:45], 1, v[2:3]
	global_load_dword v46, v[44:45], off
	global_load_dword v47, v[44:45], off offset:256
	global_load_dword v48, v[44:45], off offset:512
	;; [unrolled: 1-line block ×13, first 2 shown]
	s_waitcnt vmcnt(13)
	v_lshlrev_b32_e32 v44, 16, v46
	v_and_b32_e32 v45, 0xffff0000, v46
	s_waitcnt vmcnt(12)
	v_lshlrev_b32_e32 v46, 16, v47
	v_and_b32_e32 v47, 0xffff0000, v47
	v_mul_f32_e32 v46, v12, v46
	v_mul_f32_e32 v47, v13, v47
	s_waitcnt vmcnt(11)
	v_lshlrev_b32_e32 v60, 16, v48
	v_and_b32_e32 v48, 0xffff0000, v48
	v_fmac_f32_e32 v46, v10, v44
	v_fmac_f32_e32 v47, v11, v45
	s_waitcnt vmcnt(10)
	v_lshlrev_b32_e32 v61, 16, v49
	v_and_b32_e32 v49, 0xffff0000, v49
	v_fmac_f32_e32 v46, v14, v60
	v_fmac_f32_e32 v47, v15, v48
	s_waitcnt vmcnt(9)
	v_lshlrev_b32_e32 v62, 16, v50
	v_and_b32_e32 v50, 0xffff0000, v50
	v_fmac_f32_e32 v46, v16, v61
	v_fmac_f32_e32 v47, v17, v49
	s_waitcnt vmcnt(8)
	v_lshlrev_b32_e32 v44, 16, v51
	v_and_b32_e32 v51, 0xffff0000, v51
	v_fmac_f32_e32 v46, v18, v62
	v_fmac_f32_e32 v47, v19, v50
	s_waitcnt vmcnt(7)
	v_lshlrev_b32_e32 v45, 16, v52
	v_and_b32_e32 v52, 0xffff0000, v52
	v_fmac_f32_e32 v46, v20, v44
	v_fmac_f32_e32 v47, v21, v51
	s_waitcnt vmcnt(6)
	v_lshlrev_b32_e32 v60, 16, v53
	v_and_b32_e32 v53, 0xffff0000, v53
	v_fmac_f32_e32 v46, v22, v45
	v_fmac_f32_e32 v47, v23, v52
	s_waitcnt vmcnt(5)
	v_lshlrev_b32_e32 v48, 16, v54
	v_and_b32_e32 v54, 0xffff0000, v54
	v_fmac_f32_e32 v46, v24, v60
	v_fmac_f32_e32 v47, v25, v53
	s_waitcnt vmcnt(4)
	v_lshlrev_b32_e32 v61, 16, v55
	v_and_b32_e32 v55, 0xffff0000, v55
	v_fmac_f32_e32 v46, v26, v48
	v_fmac_f32_e32 v47, v27, v54
	s_waitcnt vmcnt(3)
	v_lshlrev_b32_e32 v49, 16, v56
	v_and_b32_e32 v56, 0xffff0000, v56
	v_fmac_f32_e32 v46, v28, v61
	v_fmac_f32_e32 v47, v29, v55
	s_waitcnt vmcnt(2)
	v_lshlrev_b32_e32 v62, 16, v57
	v_and_b32_e32 v57, 0xffff0000, v57
	v_fmac_f32_e32 v46, v30, v49
	v_fmac_f32_e32 v47, v32, v56
	s_waitcnt vmcnt(1)
	v_lshlrev_b32_e32 v50, 16, v58
	v_and_b32_e32 v58, 0xffff0000, v58
	v_fmac_f32_e32 v46, v33, v62
	v_fmac_f32_e32 v47, v34, v57
	s_waitcnt vmcnt(0)
	v_lshlrev_b32_e32 v44, 16, v59
	v_and_b32_e32 v59, 0xffff0000, v59
	v_fmac_f32_e32 v46, v35, v50
	v_fmac_f32_e32 v47, v36, v58
	v_fmac_f32_e32 v46, v37, v44
	v_fmac_f32_e32 v47, v38, v59
	v_add_f32_e32 v44, v46, v47
	ds_bpermute_b32 v45, v39, v44
	s_waitcnt lgkmcnt(0)
	v_add_f32_e32 v44, v44, v45
	ds_bpermute_b32 v45, v40, v44
	s_and_saveexec_b64 s[30:31], vcc
	s_cbranch_execz .LBB139_8
; %bb.10:                               ;   in Loop: Header=BB139_9 Depth=1
	v_add_u32_e32 v46, s15, v41
	v_cvt_f32_i32_e32 v46, v46
	s_waitcnt lgkmcnt(0)
	v_add_f32_e32 v44, v44, v45
	v_cmp_gt_i32_e64 s[0:1], s33, v41
	v_max_f32_e32 v45, v31, v31
	v_mul_f32_e32 v46, s8, v46
	v_cndmask_b32_e64 v46, 0, v46, s[2:3]
	v_fmac_f32_e32 v46, s9, v44
	v_cndmask_b32_e64 v44, 0, v46, s[0:1]
	ds_write_b32 v42, v44
	v_max_f32_e32 v44, v45, v46
	v_cndmask_b32_e64 v31, v31, v44, s[0:1]
	s_branch .LBB139_8
.LBB139_11:
	s_or_b64 exec, exec, s[28:29]
.LBB139_12:
	s_or_b64 exec, exec, s[26:27]
	v_xor_b32_e32 v2, 32, v7
	v_cmp_lt_i32_e32 vcc, v2, v8
	v_xor_b32_e32 v5, 16, v7
	v_max_f32_e32 v4, v31, v31
	v_cndmask_b32_e32 v2, v7, v2, vcc
	v_lshlrev_b32_e32 v2, 2, v2
	ds_bpermute_b32 v3, v2, v31
	v_cmp_lt_i32_e32 vcc, v5, v8
	v_xor_b32_e32 v10, 8, v7
	v_xor_b32_e32 v12, 4, v7
	s_waitcnt lgkmcnt(0)
	v_max_f32_e32 v3, v3, v3
	v_max_f32_e32 v4, v4, v3
	v_cndmask_b32_e32 v3, v7, v5, vcc
	v_lshlrev_b32_e32 v3, 2, v3
	ds_bpermute_b32 v5, v3, v4
	v_cmp_lt_i32_e32 vcc, v10, v8
	s_waitcnt lgkmcnt(0)
	v_max_f32_e32 v5, v5, v5
	v_max_f32_e32 v4, v4, v5
	v_cndmask_b32_e32 v5, v7, v10, vcc
	v_lshlrev_b32_e32 v11, 2, v5
	ds_bpermute_b32 v5, v11, v4
	v_cmp_lt_i32_e32 vcc, v12, v8
	s_waitcnt lgkmcnt(0)
	v_max_f32_e32 v5, v5, v5
	v_max_f32_e32 v10, v4, v5
	v_cndmask_b32_e32 v4, v7, v12, vcc
	v_lshlrev_b32_e32 v12, 2, v4
	ds_bpermute_b32 v13, v12, v10
	v_and_b32_e32 v4, 63, v0
	v_cmp_eq_u32_e32 vcc, 0, v4
	v_lshlrev_b32_e32 v5, 2, v1
	s_and_saveexec_b64 s[0:1], vcc
	s_cbranch_execz .LBB139_14
; %bb.13:
	s_waitcnt lgkmcnt(0)
	v_max_f32_e32 v13, v13, v13
	v_max_f32_e32 v10, v10, v10
	;; [unrolled: 1-line block ×3, first 2 shown]
	ds_write_b32 v5, v10 offset:224
.LBB139_14:
	s_or_b64 exec, exec, s[0:1]
	v_cmp_gt_u32_e64 s[0:1], 2, v4
	s_waitcnt lgkmcnt(0)
	v_mov_b32_e32 v13, 0xff7fffff
	v_lshlrev_b32_e32 v10, 2, v4
	s_barrier
	s_and_saveexec_b64 s[2:3], s[0:1]
; %bb.15:
	ds_read_b32 v13, v10 offset:224
; %bb.16:
	s_or_b64 exec, exec, s[2:3]
	v_xor_b32_e32 v14, 1, v7
	v_cmp_lt_i32_e64 s[2:3], v14, v8
	v_lshlrev_b32_e32 v9, 2, v9
	s_nop 0
	v_cndmask_b32_e64 v14, v7, v14, s[2:3]
	v_lshlrev_b32_e32 v34, 2, v14
	s_waitcnt lgkmcnt(0)
	ds_bpermute_b32 v14, v34, v13
	v_max_f32_e32 v13, v13, v13
	s_lshl_b32 s2, s17, 4
	s_min_i32 s12, s2, s33
	v_cmp_gt_i32_e64 s[2:3], s12, v0
	s_waitcnt lgkmcnt(0)
	v_max_f32_e32 v14, v14, v14
	v_max_f32_e32 v13, v13, v14
	ds_bpermute_b32 v13, v9, v13
	v_mov_b32_e32 v9, 0
	s_and_saveexec_b64 s[26:27], s[2:3]
	s_cbranch_execz .LBB139_20
; %bb.17:
	v_mov_b32_e32 v9, 0xf0
	v_lshl_add_u32 v14, v0, 2, v9
	v_mov_b32_e32 v9, 0
	s_mov_b64 s[28:29], 0
	v_mov_b32_e32 v15, v0
.LBB139_18:                             ; =>This Inner Loop Header: Depth=1
	ds_read_b32 v16, v14
	v_add_u32_e32 v15, 0x80, v15
	v_cmp_le_i32_e64 s[8:9], s12, v15
	s_or_b64 s[28:29], s[8:9], s[28:29]
	s_waitcnt lgkmcnt(0)
	v_sub_f32_e32 v16, v16, v13
	v_mul_f32_e32 v16, 0x3fb8aa3b, v16
	v_exp_f32_e32 v16, v16
	ds_write_b32 v14, v16
	v_add_f32_e32 v9, v9, v16
	v_add_u32_e32 v14, 0x200, v14
	s_andn2_b64 exec, exec, s[28:29]
	s_cbranch_execnz .LBB139_18
; %bb.19:
	s_or_b64 exec, exec, s[28:29]
.LBB139_20:
	s_or_b64 exec, exec, s[26:27]
	ds_bpermute_b32 v2, v2, v9
	s_waitcnt lgkmcnt(0)
	v_add_f32_e32 v2, v9, v2
	ds_bpermute_b32 v3, v3, v2
	v_xor_b32_e32 v9, 2, v7
	v_cmp_lt_i32_e64 s[8:9], v9, v8
	s_waitcnt lgkmcnt(0)
	v_add_f32_e32 v2, v2, v3
	ds_bpermute_b32 v3, v11, v2
	v_cndmask_b32_e64 v8, v7, v9, s[8:9]
	s_waitcnt lgkmcnt(0)
	v_add_f32_e32 v2, v2, v3
	ds_bpermute_b32 v3, v12, v2
	s_waitcnt lgkmcnt(0)
	v_add_f32_e32 v2, v2, v3
	v_lshlrev_b32_e32 v3, 2, v8
	ds_bpermute_b32 v3, v3, v2
	s_waitcnt lgkmcnt(0)
	v_add_f32_e32 v2, v2, v3
	ds_bpermute_b32 v3, v34, v2
	s_waitcnt lgkmcnt(0)
	v_add_f32_e32 v2, v2, v3
	s_and_saveexec_b64 s[8:9], vcc
; %bb.21:
	ds_write_b32 v5, v2 offset:232
; %bb.22:
	s_or_b64 exec, exec, s[8:9]
	s_waitcnt lgkmcnt(0)
	s_barrier
	s_and_saveexec_b64 s[8:9], s[0:1]
; %bb.23:
	ds_read_b32 v2, v10 offset:232
; %bb.24:
	s_or_b64 exec, exec, s[8:9]
	s_waitcnt lgkmcnt(0)
	ds_bpermute_b32 v3, v34, v2
	v_lshlrev_b32_e32 v5, 2, v7
	s_waitcnt lgkmcnt(0)
	v_add_f32_e32 v2, v2, v3
	v_and_b32_e32 v3, 0xffffff00, v5
	ds_bpermute_b32 v2, v3, v2
	s_and_saveexec_b64 s[0:1], s[2:3]
	s_cbranch_execz .LBB139_37
; %bb.25:
	s_waitcnt lgkmcnt(0)
	v_add_f32_e32 v2, 0x358637bd, v2
	v_div_scale_f32 v3, s[2:3], v2, v2, 1.0
	v_rcp_f32_e32 v5, v3
	v_div_scale_f32 v7, vcc, 1.0, v2, 1.0
	s_movk_i32 s2, 0x7f
	v_fma_f32 v8, -v3, v5, 1.0
	v_fmac_f32_e32 v5, v8, v5
	v_mul_f32_e32 v8, v7, v5
	v_fma_f32 v9, -v3, v8, v7
	v_fmac_f32_e32 v8, v9, v5
	v_fma_f32 v3, -v3, v8, v7
	v_div_fmas_f32 v3, v3, v5, v8
	v_xad_u32 v5, v0, -1, s12
	v_div_fixup_f32 v2, v3, v2, 1.0
	v_cmp_lt_u32_e32 vcc, s2, v5
	s_mov_b64 s[8:9], -1
	v_mov_b32_e32 v3, v0
	s_and_saveexec_b64 s[2:3], vcc
	s_cbranch_execz .LBB139_34
; %bb.26:
	v_lshrrev_b32_e32 v5, 7, v5
	v_add_u32_e32 v8, -1, v5
	v_lshrrev_b32_e32 v7, 1, v8
	v_mov_b32_e32 v3, v2
	v_add_u32_e32 v7, 1, v7
	v_cmp_lt_u32_e32 vcc, 13, v8
	v_mov_b32_e32 v10, 0
	s_and_saveexec_b64 s[8:9], vcc
	s_cbranch_execz .LBB139_30
; %bb.27:
	v_mov_b32_e32 v9, 0xf0
	v_and_b32_e32 v8, -8, v7
	v_lshl_add_u32 v9, v0, 2, v9
	s_mov_b32 s15, 0
	s_mov_b64 s[26:27], 0
.LBB139_28:                             ; =>This Inner Loop Header: Depth=1
	ds_read2st64_b32 v[10:11], v9 offset1:2
	ds_read2st64_b32 v[12:13], v9 offset0:4 offset1:6
	ds_read2st64_b32 v[14:15], v9 offset0:8 offset1:10
	ds_read2st64_b32 v[16:17], v9 offset0:12 offset1:14
	v_add_u32_e32 v8, -8, v8
	s_waitcnt lgkmcnt(3)
	v_pk_mul_f32 v[10:11], v[2:3], v[10:11]
	s_waitcnt lgkmcnt(2)
	v_pk_mul_f32 v[12:13], v[2:3], v[12:13]
	ds_write2st64_b32 v9, v10, v11 offset1:2
	ds_write2st64_b32 v9, v12, v13 offset0:4 offset1:6
	ds_read2st64_b32 v[12:13], v9 offset0:16 offset1:18
	s_waitcnt lgkmcnt(4)
	v_pk_mul_f32 v[10:11], v[2:3], v[14:15]
	ds_write2st64_b32 v9, v10, v11 offset0:8 offset1:10
	s_waitcnt lgkmcnt(4)
	v_pk_mul_f32 v[10:11], v[2:3], v[16:17]
	ds_write2st64_b32 v9, v10, v11 offset0:12 offset1:14
	ds_read2st64_b32 v[10:11], v9 offset0:20 offset1:22
	s_waitcnt lgkmcnt(3)
	v_pk_mul_f32 v[12:13], v[2:3], v[12:13]
	ds_read2st64_b32 v[14:15], v9 offset0:24 offset1:26
	ds_write2st64_b32 v9, v12, v13 offset0:16 offset1:18
	ds_read2st64_b32 v[12:13], v9 offset0:28 offset1:30
	s_waitcnt lgkmcnt(3)
	v_pk_mul_f32 v[10:11], v[2:3], v[10:11]
	ds_write2st64_b32 v9, v10, v11 offset0:20 offset1:22
	s_waitcnt lgkmcnt(3)
	v_pk_mul_f32 v[10:11], v[2:3], v[14:15]
	ds_write2st64_b32 v9, v10, v11 offset0:24 offset1:26
	s_waitcnt lgkmcnt(2)
	v_pk_mul_f32 v[10:11], v[2:3], v[12:13]
	s_add_i32 s15, s15, 16
	v_cmp_eq_u32_e32 vcc, 0, v8
	ds_write2st64_b32 v9, v10, v11 offset0:28 offset1:30
	v_add_u32_e32 v9, 0x2000, v9
	s_or_b64 s[26:27], vcc, s[26:27]
	v_mov_b32_e32 v10, s15
	s_andn2_b64 exec, exec, s[26:27]
	s_cbranch_execnz .LBB139_28
; %bb.29:
	s_or_b64 exec, exec, s[26:27]
.LBB139_30:
	s_or_b64 exec, exec, s[8:9]
	v_and_b32_e32 v7, 7, v7
	v_cmp_ne_u32_e32 vcc, 0, v7
	s_and_saveexec_b64 s[8:9], vcc
	s_cbranch_execz .LBB139_33
; %bb.31:
	v_lshlrev_b32_e32 v8, 9, v10
	v_lshlrev_b32_e32 v9, 2, v0
	s_movk_i32 s15, 0xf0
	v_add3_u32 v8, v8, v9, s15
	s_mov_b64 s[26:27], 0
.LBB139_32:                             ; =>This Inner Loop Header: Depth=1
	ds_read2st64_b32 v[10:11], v8 offset1:2
	v_add_u32_e32 v7, -1, v7
	v_cmp_eq_u32_e32 vcc, 0, v7
	s_or_b64 s[26:27], vcc, s[26:27]
	s_waitcnt lgkmcnt(0)
	v_pk_mul_f32 v[10:11], v[2:3], v[10:11]
	ds_write2st64_b32 v8, v10, v11 offset1:2
	v_add_u32_e32 v8, 0x400, v8
	s_andn2_b64 exec, exec, s[26:27]
	s_cbranch_execnz .LBB139_32
.LBB139_33:
	s_or_b64 exec, exec, s[8:9]
	v_add_u32_e32 v5, 1, v5
	v_and_b32_e32 v7, 0x3fffffe, v5
	v_cmp_ne_u32_e32 vcc, v5, v7
	v_lshl_add_u32 v3, v7, 7, v0
	s_orn2_b64 s[8:9], vcc, exec
.LBB139_34:
	s_or_b64 exec, exec, s[2:3]
	s_and_b64 exec, exec, s[8:9]
	s_cbranch_execz .LBB139_37
; %bb.35:
	v_mov_b32_e32 v5, 0xf0
	v_lshl_add_u32 v5, v3, 2, v5
	s_mov_b64 s[2:3], 0
.LBB139_36:                             ; =>This Inner Loop Header: Depth=1
	ds_read_b32 v7, v5
	v_add_u32_e32 v3, 0x80, v3
	v_cmp_le_i32_e32 vcc, s12, v3
	s_or_b64 s[2:3], vcc, s[2:3]
	s_waitcnt lgkmcnt(0)
	v_mul_f32_e32 v7, v2, v7
	ds_write_b32 v5, v7
	v_add_u32_e32 v5, 0x200, v5
	s_andn2_b64 exec, exec, s[2:3]
	s_cbranch_execnz .LBB139_36
.LBB139_37:
	s_or_b64 exec, exec, s[0:1]
	v_lshrrev_b32_e32 v35, 1, v4
	s_waitcnt lgkmcnt(0)
	s_barrier
	s_and_saveexec_b64 s[0:1], s[6:7]
	s_xor_b64 s[0:1], exec, s[0:1]
; %bb.38:
	v_lshrrev_b32_e32 v35, 1, v4
                                        ; implicit-def: $vgpr1
                                        ; implicit-def: $vgpr6
; %bb.39:
	s_or_saveexec_b64 s[8:9], s[0:1]
	v_mov_b32_e32 v23, 0
	v_and_b32_e32 v36, 1, v0
	v_mov_b32_e32 v22, 0
	v_mov_b32_e32 v25, 0
	;; [unrolled: 1-line block ×3, first 2 shown]
	s_xor_b64 exec, exec, s[8:9]
	s_cbranch_execz .LBB139_53
; %bb.40:
	s_ashr_i32 s15, s14, 31
	s_lshl_b64 s[0:1], s[14:15], 1
	v_lshlrev_b32_e32 v2, 3, v0
	s_add_u32 s12, s24, s0
	v_and_b32_e32 v3, 8, v2
	s_mov_b32 s26, s13
	s_addc_u32 s13, s25, s1
	s_add_i32 s24, s17, -1
	v_or_b32_e32 v4, 0x60, v35
	s_movk_i32 s0, 0x70
	s_lshl_b64 s[2:3], s[22:23], 2
	v_lshl_or_b32 v2, v35, 4, v3
	v_cmp_gt_u32_e64 s[0:1], s0, v4
	v_lshl_or_b32 v4, v4, 4, v3
	v_lshl_or_b32 v37, v1, 4, v3
	v_lshlrev_b32_e32 v3, 5, v36
	s_add_u32 s2, s20, s2
	v_mov_b32_e32 v27, 0
	v_lshl_or_b32 v3, v1, 6, v3
	v_and_b32_e32 v26, 60, v6
	s_addc_u32 s3, s21, s3
	s_mov_b32 s25, s33
	v_add_u32_e32 v38, 0xf0, v3
	v_lshl_add_u64 v[28:29], s[2:3], 0, v[26:27]
	s_mov_b64 s[14:15], 0
	v_lshlrev_b32_e32 v30, 1, v2
	v_mov_b32_e32 v31, v27
	s_mov_b32 s22, 0x5040100
	v_lshlrev_b32_e32 v26, 1, v4
	v_mov_b32_e32 v23, v27
	v_mov_b32_e32 v22, v27
	;; [unrolled: 1-line block ×4, first 2 shown]
	s_branch .LBB139_43
.LBB139_41:                             ;   in Loop: Header=BB139_43 Depth=1
	s_or_b64 exec, exec, s[20:21]
	s_waitcnt vmcnt(0)
	v_and_b32_e32 v21, 0xffff0000, v14
	v_and_b32_e32 v32, 0xffff0000, v39
	v_mul_f32_e32 v21, v32, v21
	v_lshlrev_b32_e32 v14, 16, v14
	v_lshlrev_b32_e32 v32, 16, v39
	v_mul_f32_e32 v14, v32, v14
	v_and_b32_e32 v32, 0xffff0000, v15
	v_and_b32_e32 v33, 0xffff0000, v20
	v_mul_f32_e32 v32, v33, v32
	v_lshlrev_b32_e32 v15, 16, v15
	v_lshlrev_b32_e32 v33, 16, v20
	v_mul_f32_e32 v15, v33, v15
	;; [unrolled: 6-line block ×3, first 2 shown]
	v_and_b32_e32 v40, 0xffff0000, v17
	v_and_b32_e32 v41, 0xffff0000, v18
	v_cvt_pk_bf16_f32 v21, v21, s0
	v_cvt_pk_bf16_f32 v14, v14, s0
	;; [unrolled: 1-line block ×4, first 2 shown]
	v_mul_f32_e32 v40, v41, v40
	v_lshlrev_b32_e32 v17, 16, v17
	v_lshlrev_b32_e32 v41, 16, v18
	v_cvt_pk_bf16_f32 v33, v33, s0
	v_cvt_pk_bf16_f32 v16, v16, s0
	v_mul_f32_e32 v17, v41, v17
	v_lshlrev_b32_e32 v14, 16, v14
	v_lshlrev_b32_e32 v21, 16, v21
	;; [unrolled: 1-line block ×4, first 2 shown]
	v_cvt_pk_bf16_f32 v40, v40, s0
	v_cvt_pk_bf16_f32 v17, v17, s0
	v_lshlrev_b32_e32 v16, 16, v16
	v_lshlrev_b32_e32 v33, 16, v33
	v_add_f32_e32 v14, v21, v14
	v_add_f32_e32 v15, v32, v15
	v_lshlrev_b32_e32 v17, 16, v17
	v_lshlrev_b32_e32 v40, 16, v40
	v_add_f32_e32 v14, v15, v14
	v_add_f32_e32 v15, v33, v16
	;; [unrolled: 1-line block ×6, first 2 shown]
.LBB139_42:                             ;   in Loop: Header=BB139_43 Depth=1
	s_or_b64 exec, exec, s[6:7]
	s_waitcnt vmcnt(0)
	v_and_b32_e32 v14, 0xffff0000, v10
	v_and_b32_e32 v15, 0xffff0000, v39
	v_lshlrev_b32_e32 v10, 16, v10
	v_lshlrev_b32_e32 v16, 16, v39
	v_mul_f32_e32 v14, v15, v14
	v_mul_f32_e32 v10, v16, v10
	v_and_b32_e32 v17, 0xffff0000, v11
	v_and_b32_e32 v21, 0xffff0000, v20
	v_lshlrev_b32_e32 v11, 16, v11
	v_lshlrev_b32_e32 v20, 16, v20
	v_cvt_pk_bf16_f32 v14, v14, s0
	v_cvt_pk_bf16_f32 v10, v10, s0
	v_mul_f32_e32 v17, v21, v17
	v_mul_f32_e32 v11, v20, v11
	v_cvt_pk_bf16_f32 v17, v17, s0
	v_cvt_pk_bf16_f32 v11, v11, s0
	v_and_b32_e32 v32, 0xffff0000, v12
	v_and_b32_e32 v33, 0xffff0000, v19
	v_lshlrev_b32_e32 v12, 16, v12
	v_lshlrev_b32_e32 v19, 16, v19
	v_lshlrev_b32_e32 v10, 16, v10
	v_lshlrev_b32_e32 v14, 16, v14
	v_mul_f32_e32 v32, v33, v32
	v_mul_f32_e32 v12, v19, v12
	v_add_f32_e32 v10, v10, v14
	v_lshlrev_b32_e32 v11, 16, v11
	v_lshlrev_b32_e32 v14, 16, v17
	v_cvt_pk_bf16_f32 v32, v32, s0
	v_cvt_pk_bf16_f32 v12, v12, s0
	v_and_b32_e32 v39, 0xffff0000, v13
	v_and_b32_e32 v40, 0xffff0000, v18
	v_lshlrev_b32_e32 v13, 16, v13
	v_lshlrev_b32_e32 v18, 16, v18
	v_add_f32_e32 v11, v11, v14
	v_mul_f32_e32 v39, v40, v39
	v_mul_f32_e32 v13, v18, v13
	v_add_f32_e32 v10, v11, v10
	v_lshlrev_b32_e32 v11, 16, v12
	v_lshlrev_b32_e32 v12, 16, v32
	v_cvt_pk_bf16_f32 v39, v39, s0
	v_cvt_pk_bf16_f32 v13, v13, s0
	v_add_f32_e32 v11, v11, v12
	v_add_f32_e32 v10, v11, v10
	v_lshlrev_b32_e32 v11, 16, v13
	v_lshlrev_b32_e32 v12, 16, v39
	v_add_f32_e32 v11, v11, v12
	v_add_f32_e32 v10, v11, v10
	;; [unrolled: 1-line block ×3, first 2 shown]
	v_and_b32_e32 v10, 0xffff0000, v6
	v_lshlrev_b32_e32 v6, 16, v6
	v_mul_f32_e32 v10, v15, v10
	v_mul_f32_e32 v6, v16, v6
	v_and_b32_e32 v11, 0xffff0000, v7
	v_lshlrev_b32_e32 v7, 16, v7
	v_cvt_pk_bf16_f32 v10, v10, s0
	v_cvt_pk_bf16_f32 v6, v6, s0
	v_mul_f32_e32 v11, v21, v11
	v_mul_f32_e32 v7, v20, v7
	v_cvt_pk_bf16_f32 v11, v11, s0
	v_cvt_pk_bf16_f32 v7, v7, s0
	v_and_b32_e32 v12, 0xffff0000, v8
	v_lshlrev_b32_e32 v8, 16, v8
	v_lshlrev_b32_e32 v6, 16, v6
	;; [unrolled: 1-line block ×3, first 2 shown]
	v_mul_f32_e32 v12, v33, v12
	v_mul_f32_e32 v8, v19, v8
	v_add_f32_e32 v6, v6, v10
	v_lshlrev_b32_e32 v7, 16, v7
	v_lshlrev_b32_e32 v10, 16, v11
	v_cvt_pk_bf16_f32 v12, v12, s0
	v_cvt_pk_bf16_f32 v8, v8, s0
	v_and_b32_e32 v13, 0xffff0000, v9
	v_lshlrev_b32_e32 v9, 16, v9
	v_add_f32_e32 v7, v7, v10
	v_mul_f32_e32 v13, v40, v13
	v_mul_f32_e32 v9, v18, v9
	v_add_f32_e32 v6, v7, v6
	v_lshlrev_b32_e32 v7, 16, v8
	v_lshlrev_b32_e32 v8, 16, v12
	v_cvt_pk_bf16_f32 v13, v13, s0
	v_cvt_pk_bf16_f32 v9, v9, s0
	v_add_f32_e32 v7, v7, v8
	v_add_f32_e32 v6, v7, v6
	v_lshlrev_b32_e32 v7, 16, v9
	v_lshlrev_b32_e32 v8, 16, v13
	v_add_f32_e32 v7, v7, v8
	v_add_f32_e32 v6, v7, v6
	;; [unrolled: 1-line block ×3, first 2 shown]
	v_and_b32_e32 v6, 0xffff0000, v2
	v_lshlrev_b32_e32 v2, 16, v2
	v_mul_f32_e32 v6, v15, v6
	v_mul_f32_e32 v2, v16, v2
	v_and_b32_e32 v7, 0xffff0000, v3
	v_lshlrev_b32_e32 v3, 16, v3
	v_cvt_pk_bf16_f32 v6, v6, s0
	v_cvt_pk_bf16_f32 v2, v2, s0
	v_mul_f32_e32 v7, v21, v7
	v_mul_f32_e32 v3, v20, v3
	v_cvt_pk_bf16_f32 v7, v7, s0
	v_cvt_pk_bf16_f32 v3, v3, s0
	v_and_b32_e32 v8, 0xffff0000, v4
	v_lshlrev_b32_e32 v4, 16, v4
	v_lshlrev_b32_e32 v2, 16, v2
	;; [unrolled: 1-line block ×3, first 2 shown]
	v_mul_f32_e32 v8, v33, v8
	v_mul_f32_e32 v4, v19, v4
	v_add_f32_e32 v2, v2, v6
	v_lshlrev_b32_e32 v3, 16, v3
	v_lshlrev_b32_e32 v6, 16, v7
	v_cvt_pk_bf16_f32 v8, v8, s0
	v_cvt_pk_bf16_f32 v4, v4, s0
	v_and_b32_e32 v9, 0xffff0000, v5
	v_lshlrev_b32_e32 v5, 16, v5
	v_add_f32_e32 v3, v3, v6
	v_mul_f32_e32 v9, v40, v9
	v_mul_f32_e32 v5, v18, v5
	v_add_f32_e32 v2, v3, v2
	v_lshlrev_b32_e32 v3, 16, v4
	v_lshlrev_b32_e32 v4, 16, v8
	v_cvt_pk_bf16_f32 v9, v9, s0
	v_cvt_pk_bf16_f32 v5, v5, s0
	v_add_f32_e32 v3, v3, v4
	v_add_f32_e32 v2, v3, v2
	v_lshlrev_b32_e32 v3, 16, v5
	v_lshlrev_b32_e32 v4, 16, v9
	v_add_f32_e32 v3, v3, v4
	v_add_u32_e32 v1, 2, v1
	v_add_f32_e32 v2, v3, v2
	v_cmp_le_i32_e32 vcc, s17, v1
	v_add_f32_e32 v24, v24, v2
	v_add_u32_e32 v37, 32, v37
	v_add_u32_e32 v38, 0x80, v38
	s_or_b64 s[14:15], vcc, s[14:15]
	v_lshl_add_u64 v[28:29], v[28:29], 0, 8
	s_andn2_b64 exec, exec, s[14:15]
	s_cbranch_execz .LBB139_52
.LBB139_43:                             ; =>This Inner Loop Header: Depth=1
	global_load_dword v2, v[28:29], off
	s_waitcnt vmcnt(0)
	v_mad_i64_i32 v[2:3], s[2:3], v2, s26, 0
	v_lshl_add_u64 v[32:33], v[2:3], 1, s[12:13]
	v_lshl_add_u64 v[10:11], v[32:33], 0, v[30:31]
	global_load_dwordx4 v[2:5], v[10:11], off
	ds_read2_b64 v[18:21], v38 offset1:1
	ds_read2_b64 v[14:17], v38 offset0:2 offset1:3
	v_cmp_eq_u32_e64 s[2:3], s24, v1
	s_and_saveexec_b64 s[20:21], s[2:3]
	s_cbranch_execnz .LBB139_50
; %bb.44:                               ;   in Loop: Header=BB139_43 Depth=1
	s_or_b64 exec, exec, s[20:21]
	global_load_dwordx4 v[6:9], v[10:11], off offset:1024
	s_and_saveexec_b64 s[20:21], s[2:3]
	s_cbranch_execnz .LBB139_51
.LBB139_45:                             ;   in Loop: Header=BB139_43 Depth=1
	s_or_b64 exec, exec, s[20:21]
	global_load_dwordx4 v[10:13], v[10:11], off offset:2048
	s_and_saveexec_b64 s[20:21], s[2:3]
	s_cbranch_execz .LBB139_47
.LBB139_46:                             ;   in Loop: Header=BB139_43 Depth=1
	v_add_u32_e32 v39, 1, v37
	v_cmp_gt_i32_e32 vcc, s25, v39
	v_or_b32_e32 v40, 2, v37
	v_cmp_gt_i32_e64 s[6:7], s33, v40
	s_waitcnt vmcnt(0)
	v_cndmask_b32_sdwa v39, v27, v10, vcc dst_sel:DWORD dst_unused:UNUSED_PAD src0_sel:DWORD src1_sel:WORD_1
	v_cmp_gt_i32_e32 vcc, s33, v37
	v_or_b32_e32 v40, 4, v37
	s_nop 0
	v_cndmask_b32_e32 v10, 0, v10, vcc
	v_perm_b32 v10, v39, v10, s22
	v_or_b32_e32 v39, 3, v37
	v_cmp_gt_i32_e32 vcc, s25, v39
	v_cndmask_b32_e64 v39, 0, v11, s[6:7]
	v_cmp_gt_i32_e64 s[6:7], s33, v40
	v_cndmask_b32_sdwa v11, v27, v11, vcc dst_sel:DWORD dst_unused:UNUSED_PAD src0_sel:DWORD src1_sel:WORD_1
	v_perm_b32 v11, v11, v39, s22
	v_or_b32_e32 v39, 5, v37
	v_cmp_gt_i32_e32 vcc, s25, v39
	v_cndmask_b32_e64 v39, 0, v12, s[6:7]
	v_or_b32_e32 v40, 6, v37
	v_cndmask_b32_sdwa v12, v27, v12, vcc dst_sel:DWORD dst_unused:UNUSED_PAD src0_sel:DWORD src1_sel:WORD_1
	v_perm_b32 v12, v12, v39, s22
	v_or_b32_e32 v39, 7, v37
	v_cmp_gt_i32_e32 vcc, s25, v39
	v_cmp_gt_i32_e64 s[6:7], s33, v40
	s_nop 1
	v_cndmask_b32_e64 v39, 0, v13, s[6:7]
	v_cndmask_b32_sdwa v13, v27, v13, vcc dst_sel:DWORD dst_unused:UNUSED_PAD src0_sel:DWORD src1_sel:WORD_1
	v_perm_b32 v13, v13, v39, s22
.LBB139_47:                             ;   in Loop: Header=BB139_43 Depth=1
	s_or_b64 exec, exec, s[20:21]
	s_waitcnt lgkmcnt(1)
	v_cvt_pk_bf16_f32 v39, v18, v19
	v_cvt_pk_bf16_f32 v20, v20, v21
	s_waitcnt lgkmcnt(0)
	v_cvt_pk_bf16_f32 v19, v14, v15
	v_cvt_pk_bf16_f32 v18, v16, v17
	s_and_saveexec_b64 s[6:7], s[0:1]
	s_cbranch_execz .LBB139_42
; %bb.48:                               ;   in Loop: Header=BB139_43 Depth=1
	v_lshl_add_u64 v[14:15], v[32:33], 0, v[26:27]
	global_load_dwordx4 v[14:17], v[14:15], off
	s_and_saveexec_b64 s[20:21], s[2:3]
	s_cbranch_execz .LBB139_41
; %bb.49:                               ;   in Loop: Header=BB139_43 Depth=1
	v_add_u32_e32 v21, 1, v37
	v_cmp_gt_i32_e32 vcc, s25, v21
	v_or_b32_e32 v32, 2, v37
	v_cmp_gt_i32_e64 s[2:3], s33, v32
	s_waitcnt vmcnt(0)
	v_cndmask_b32_sdwa v21, v27, v14, vcc dst_sel:DWORD dst_unused:UNUSED_PAD src0_sel:DWORD src1_sel:WORD_1
	v_cmp_gt_i32_e32 vcc, s33, v37
	v_or_b32_e32 v32, 4, v37
	s_nop 0
	v_cndmask_b32_e32 v14, 0, v14, vcc
	v_perm_b32 v14, v21, v14, s22
	v_or_b32_e32 v21, 3, v37
	v_cmp_gt_i32_e32 vcc, s25, v21
	v_cndmask_b32_e64 v21, 0, v15, s[2:3]
	v_cmp_gt_i32_e64 s[2:3], s33, v32
	v_cndmask_b32_sdwa v15, v27, v15, vcc dst_sel:DWORD dst_unused:UNUSED_PAD src0_sel:DWORD src1_sel:WORD_1
	v_perm_b32 v15, v15, v21, s22
	v_or_b32_e32 v21, 5, v37
	v_cmp_gt_i32_e32 vcc, s25, v21
	v_cndmask_b32_e64 v21, 0, v16, s[2:3]
	v_or_b32_e32 v32, 6, v37
	v_cndmask_b32_sdwa v16, v27, v16, vcc dst_sel:DWORD dst_unused:UNUSED_PAD src0_sel:DWORD src1_sel:WORD_1
	v_perm_b32 v16, v16, v21, s22
	v_or_b32_e32 v21, 7, v37
	v_cmp_gt_i32_e32 vcc, s25, v21
	v_cmp_gt_i32_e64 s[2:3], s33, v32
	s_nop 1
	v_cndmask_b32_e64 v21, 0, v17, s[2:3]
	v_cndmask_b32_sdwa v17, v27, v17, vcc dst_sel:DWORD dst_unused:UNUSED_PAD src0_sel:DWORD src1_sel:WORD_1
	v_perm_b32 v17, v17, v21, s22
	s_branch .LBB139_41
.LBB139_50:                             ;   in Loop: Header=BB139_43 Depth=1
	v_add_u32_e32 v6, 1, v37
	v_cmp_gt_i32_e32 vcc, s25, v6
	v_or_b32_e32 v7, 2, v37
	v_cmp_gt_i32_e64 s[6:7], s33, v7
	s_waitcnt vmcnt(0)
	v_cndmask_b32_sdwa v6, v27, v2, vcc dst_sel:DWORD dst_unused:UNUSED_PAD src0_sel:DWORD src1_sel:WORD_1
	v_cmp_gt_i32_e32 vcc, s33, v37
	v_or_b32_e32 v7, 4, v37
	s_nop 0
	v_cndmask_b32_e32 v2, 0, v2, vcc
	v_perm_b32 v2, v6, v2, s22
	v_or_b32_e32 v6, 3, v37
	v_cmp_gt_i32_e32 vcc, s25, v6
	v_cndmask_b32_e64 v6, 0, v3, s[6:7]
	v_cmp_gt_i32_e64 s[6:7], s33, v7
	v_cndmask_b32_sdwa v3, v27, v3, vcc dst_sel:DWORD dst_unused:UNUSED_PAD src0_sel:DWORD src1_sel:WORD_1
	v_perm_b32 v3, v3, v6, s22
	v_or_b32_e32 v6, 5, v37
	v_cmp_gt_i32_e32 vcc, s25, v6
	v_cndmask_b32_e64 v6, 0, v4, s[6:7]
	v_or_b32_e32 v7, 6, v37
	v_cndmask_b32_sdwa v4, v27, v4, vcc dst_sel:DWORD dst_unused:UNUSED_PAD src0_sel:DWORD src1_sel:WORD_1
	v_perm_b32 v4, v4, v6, s22
	v_or_b32_e32 v6, 7, v37
	v_cmp_gt_i32_e32 vcc, s25, v6
	v_cmp_gt_i32_e64 s[6:7], s33, v7
	s_nop 1
	v_cndmask_b32_e64 v6, 0, v5, s[6:7]
	v_cndmask_b32_sdwa v5, v27, v5, vcc dst_sel:DWORD dst_unused:UNUSED_PAD src0_sel:DWORD src1_sel:WORD_1
	v_perm_b32 v5, v5, v6, s22
	s_or_b64 exec, exec, s[20:21]
	global_load_dwordx4 v[6:9], v[10:11], off offset:1024
	s_and_saveexec_b64 s[20:21], s[2:3]
	s_cbranch_execz .LBB139_45
.LBB139_51:                             ;   in Loop: Header=BB139_43 Depth=1
	v_add_u32_e32 v12, 1, v37
	v_cmp_gt_i32_e32 vcc, s25, v12
	v_or_b32_e32 v13, 2, v37
	v_cmp_gt_i32_e64 s[6:7], s33, v13
	s_waitcnt vmcnt(0)
	v_cndmask_b32_sdwa v12, v27, v6, vcc dst_sel:DWORD dst_unused:UNUSED_PAD src0_sel:DWORD src1_sel:WORD_1
	v_cmp_gt_i32_e32 vcc, s33, v37
	v_or_b32_e32 v13, 4, v37
	s_nop 0
	v_cndmask_b32_e32 v6, 0, v6, vcc
	v_perm_b32 v6, v12, v6, s22
	v_or_b32_e32 v12, 3, v37
	v_cmp_gt_i32_e32 vcc, s25, v12
	v_cndmask_b32_e64 v12, 0, v7, s[6:7]
	v_cmp_gt_i32_e64 s[6:7], s33, v13
	v_cndmask_b32_sdwa v7, v27, v7, vcc dst_sel:DWORD dst_unused:UNUSED_PAD src0_sel:DWORD src1_sel:WORD_1
	v_perm_b32 v7, v7, v12, s22
	v_or_b32_e32 v12, 5, v37
	v_cmp_gt_i32_e32 vcc, s25, v12
	v_cndmask_b32_e64 v12, 0, v8, s[6:7]
	v_or_b32_e32 v13, 6, v37
	v_cndmask_b32_sdwa v8, v27, v8, vcc dst_sel:DWORD dst_unused:UNUSED_PAD src0_sel:DWORD src1_sel:WORD_1
	v_perm_b32 v8, v8, v12, s22
	v_or_b32_e32 v12, 7, v37
	v_cmp_gt_i32_e32 vcc, s25, v12
	v_cmp_gt_i32_e64 s[6:7], s33, v13
	s_nop 1
	v_cndmask_b32_e64 v12, 0, v9, s[6:7]
	v_cndmask_b32_sdwa v9, v27, v9, vcc dst_sel:DWORD dst_unused:UNUSED_PAD src0_sel:DWORD src1_sel:WORD_1
	v_perm_b32 v9, v9, v12, s22
	s_or_b64 exec, exec, s[20:21]
	global_load_dwordx4 v[10:13], v[10:11], off offset:2048
	s_and_saveexec_b64 s[20:21], s[2:3]
	s_cbranch_execnz .LBB139_46
	s_branch .LBB139_47
.LBB139_52:
	s_or_b64 exec, exec, s[14:15]
.LBB139_53:
	s_or_b64 exec, exec, s[8:9]
	ds_bpermute_b32 v2, v34, v24
	ds_bpermute_b32 v3, v34, v25
	;; [unrolled: 1-line block ×4, first 2 shown]
	v_and_b32_e32 v1, 0x3c0, v0
	v_cmp_eq_u32_e64 s[0:1], 64, v1
	s_waitcnt lgkmcnt(2)
	v_pk_add_f32 v[4:5], v[24:25], v[2:3]
	v_cmp_eq_u32_e32 vcc, 0, v36
	s_waitcnt lgkmcnt(0)
	v_pk_add_f32 v[2:3], v[22:23], v[6:7]
	s_barrier
	s_and_saveexec_b64 s[2:3], s[0:1]
	s_cbranch_execz .LBB139_58
; %bb.54:
	s_and_saveexec_b64 s[0:1], vcc
	s_cbranch_execz .LBB139_56
; %bb.55:
	v_mov_b32_e32 v1, 0xf0
	v_lshl_add_u32 v1, v35, 2, v1
	ds_write2_b32 v1, v4, v5 offset1:32
	ds_write_b32 v1, v2 offset:256
.LBB139_56:
	s_or_b64 exec, exec, s[0:1]
	v_or_b32_e32 v1, 0x60, v35
	s_movk_i32 s0, 0x70
	v_cmp_gt_u32_e64 s[0:1], s0, v1
	s_and_b64 s[0:1], vcc, s[0:1]
	s_and_b64 exec, exec, s[0:1]
; %bb.57:
	v_mov_b32_e32 v1, 0xf0
	v_lshl_add_u32 v1, v35, 2, v1
	ds_write_b32 v1, v3 offset:384
.LBB139_58:
	s_or_b64 exec, exec, s[2:3]
	v_cmp_gt_u32_e64 s[0:1], 64, v0
	v_lshrrev_b32_e32 v0, 1, v0
	s_waitcnt lgkmcnt(0)
	s_barrier
	s_and_saveexec_b64 s[6:7], s[0:1]
	s_cbranch_execz .LBB139_68
; %bb.59:
	s_and_saveexec_b64 s[2:3], vcc
	s_cbranch_execz .LBB139_61
; %bb.60:
	v_mov_b32_e32 v1, 0xf0
	v_lshl_add_u32 v1, v0, 2, v1
	ds_read_b32 v1, v1
	s_waitcnt lgkmcnt(0)
	v_add_f32_e32 v4, v4, v1
.LBB139_61:
	s_or_b64 exec, exec, s[2:3]
	v_or_b32_e32 v1, 32, v0
	s_movk_i32 s8, 0x70
	v_cmp_gt_u32_e64 s[2:3], s8, v1
	s_and_b64 s[12:13], vcc, s[2:3]
	s_and_saveexec_b64 s[2:3], s[12:13]
	s_cbranch_execz .LBB139_63
; %bb.62:
	v_mov_b32_e32 v1, 0xf0
	v_lshl_add_u32 v1, v0, 2, v1
	ds_read_b32 v1, v1 offset:128
	s_waitcnt lgkmcnt(0)
	v_add_f32_e32 v5, v5, v1
.LBB139_63:
	s_or_b64 exec, exec, s[2:3]
	v_or_b32_e32 v1, 64, v0
	v_cmp_gt_u32_e64 s[2:3], s8, v1
	s_and_b64 s[8:9], vcc, s[2:3]
	s_and_saveexec_b64 s[2:3], s[8:9]
	s_cbranch_execz .LBB139_65
; %bb.64:
	v_mov_b32_e32 v1, 0xf0
	v_lshl_add_u32 v1, v0, 2, v1
	ds_read_b32 v1, v1 offset:256
	s_waitcnt lgkmcnt(0)
	v_add_f32_e32 v2, v2, v1
.LBB139_65:
	s_or_b64 exec, exec, s[2:3]
	v_or_b32_e32 v1, 0x60, v0
	s_movk_i32 s2, 0x70
	v_cmp_gt_u32_e64 s[2:3], s2, v1
	s_and_b64 s[8:9], vcc, s[2:3]
	s_and_saveexec_b64 s[2:3], s[8:9]
	s_cbranch_execz .LBB139_67
; %bb.66:
	v_mov_b32_e32 v1, 0xf0
	v_lshl_add_u32 v1, v0, 2, v1
	ds_read_b32 v1, v1 offset:384
	s_waitcnt lgkmcnt(0)
	v_add_f32_e32 v3, v3, v1
.LBB139_67:
	s_or_b64 exec, exec, s[2:3]
.LBB139_68:
	s_or_b64 exec, exec, s[6:7]
	s_barrier
	s_and_saveexec_b64 s[2:3], s[0:1]
	s_cbranch_execz .LBB139_77
; %bb.69:
	s_mul_i32 s0, s10, s11
	s_mul_i32 s0, s0, s5
	s_mulk_i32 s0, 0x70
	s_ashr_i32 s1, s0, 31
	s_lshl_b64 s[0:1], s[0:1], 1
	s_add_u32 s2, s18, s0
	s_mul_i32 s0, s11, s16
	s_addc_u32 s3, s19, s1
	s_ashr_i32 s1, s0, 31
	s_lshl_b64 s[0:1], s[0:1], 1
	s_add_u32 s2, s2, s0
	s_mul_i32 s0, s4, 0x70
	s_addc_u32 s3, s3, s1
	s_ashr_i32 s1, s0, 31
	s_lshl_b64 s[0:1], s[0:1], 1
	s_add_u32 s2, s2, s0
	s_movk_i32 s5, 0x70
	s_addc_u32 s3, s3, s1
	v_lshlrev_b32_e32 v1, 1, v0
	s_and_saveexec_b64 s[0:1], vcc
	s_cbranch_execz .LBB139_71
; %bb.70:
	v_cvt_pk_bf16_f32 v4, v4, s0
	global_store_short v1, v4, s[2:3]
.LBB139_71:
	s_or_b64 exec, exec, s[0:1]
	v_or_b32_e32 v4, 32, v0
	v_cmp_gt_u32_e64 s[0:1], s5, v4
	s_and_b64 s[4:5], vcc, s[0:1]
	s_and_saveexec_b64 s[0:1], s[4:5]
	s_cbranch_execz .LBB139_73
; %bb.72:
	v_cvt_pk_bf16_f32 v4, v5, s0
	global_store_short v1, v4, s[2:3] offset:64
.LBB139_73:
	s_or_b64 exec, exec, s[0:1]
	v_or_b32_e32 v4, 64, v0
	s_movk_i32 s4, 0x70
	v_cmp_gt_u32_e64 s[0:1], s4, v4
	s_and_b64 s[6:7], vcc, s[0:1]
	s_and_saveexec_b64 s[0:1], s[6:7]
	s_cbranch_execz .LBB139_75
; %bb.74:
	v_cvt_pk_bf16_f32 v2, v2, s0
	global_store_short v1, v2, s[2:3] offset:128
.LBB139_75:
	s_or_b64 exec, exec, s[0:1]
	v_or_b32_e32 v0, 0x60, v0
	v_cmp_gt_u32_e64 s[0:1], s4, v0
	s_and_b64 s[0:1], vcc, s[0:1]
	s_and_b64 exec, exec, s[0:1]
	s_cbranch_execz .LBB139_77
; %bb.76:
	v_cvt_pk_bf16_f32 v0, v3, s0
	global_store_short v1, v0, s[2:3] offset:192
.LBB139_77:
	s_endpgm
	.section	.rodata,"a",@progbits
	.p2align	6, 0x0
	.amdhsa_kernel _ZN4vllm25paged_attention_v1_kernelI14__hip_bfloat16S1_Li112ELi16ELi128ELNS_18Fp8KVCacheDataTypeE0ELb0EEEvPT_PKS3_PKT0_S9_ifPKiSB_iPKfiiiSD_SD_iiiii
		.amdhsa_group_segment_fixed_size 240
		.amdhsa_private_segment_fixed_size 0
		.amdhsa_kernarg_size 384
		.amdhsa_user_sgpr_count 2
		.amdhsa_user_sgpr_dispatch_ptr 0
		.amdhsa_user_sgpr_queue_ptr 0
		.amdhsa_user_sgpr_kernarg_segment_ptr 1
		.amdhsa_user_sgpr_dispatch_id 0
		.amdhsa_user_sgpr_kernarg_preload_length 0
		.amdhsa_user_sgpr_kernarg_preload_offset 0
		.amdhsa_user_sgpr_private_segment_size 0
		.amdhsa_uses_dynamic_stack 0
		.amdhsa_enable_private_segment 0
		.amdhsa_system_sgpr_workgroup_id_x 1
		.amdhsa_system_sgpr_workgroup_id_y 1
		.amdhsa_system_sgpr_workgroup_id_z 1
		.amdhsa_system_sgpr_workgroup_info 0
		.amdhsa_system_vgpr_workitem_id 0
		.amdhsa_next_free_vgpr 63
		.amdhsa_next_free_sgpr 34
		.amdhsa_accum_offset 64
		.amdhsa_reserve_vcc 1
		.amdhsa_float_round_mode_32 0
		.amdhsa_float_round_mode_16_64 0
		.amdhsa_float_denorm_mode_32 3
		.amdhsa_float_denorm_mode_16_64 3
		.amdhsa_dx10_clamp 1
		.amdhsa_ieee_mode 1
		.amdhsa_fp16_overflow 0
		.amdhsa_tg_split 0
		.amdhsa_exception_fp_ieee_invalid_op 0
		.amdhsa_exception_fp_denorm_src 0
		.amdhsa_exception_fp_ieee_div_zero 0
		.amdhsa_exception_fp_ieee_overflow 0
		.amdhsa_exception_fp_ieee_underflow 0
		.amdhsa_exception_fp_ieee_inexact 0
		.amdhsa_exception_int_div_zero 0
	.end_amdhsa_kernel
	.section	.text._ZN4vllm25paged_attention_v1_kernelI14__hip_bfloat16S1_Li112ELi16ELi128ELNS_18Fp8KVCacheDataTypeE0ELb0EEEvPT_PKS3_PKT0_S9_ifPKiSB_iPKfiiiSD_SD_iiiii,"axG",@progbits,_ZN4vllm25paged_attention_v1_kernelI14__hip_bfloat16S1_Li112ELi16ELi128ELNS_18Fp8KVCacheDataTypeE0ELb0EEEvPT_PKS3_PKT0_S9_ifPKiSB_iPKfiiiSD_SD_iiiii,comdat
.Lfunc_end139:
	.size	_ZN4vllm25paged_attention_v1_kernelI14__hip_bfloat16S1_Li112ELi16ELi128ELNS_18Fp8KVCacheDataTypeE0ELb0EEEvPT_PKS3_PKT0_S9_ifPKiSB_iPKfiiiSD_SD_iiiii, .Lfunc_end139-_ZN4vllm25paged_attention_v1_kernelI14__hip_bfloat16S1_Li112ELi16ELi128ELNS_18Fp8KVCacheDataTypeE0ELb0EEEvPT_PKS3_PKT0_S9_ifPKiSB_iPKfiiiSD_SD_iiiii
                                        ; -- End function
	.set _ZN4vllm25paged_attention_v1_kernelI14__hip_bfloat16S1_Li112ELi16ELi128ELNS_18Fp8KVCacheDataTypeE0ELb0EEEvPT_PKS3_PKT0_S9_ifPKiSB_iPKfiiiSD_SD_iiiii.num_vgpr, 63
	.set _ZN4vllm25paged_attention_v1_kernelI14__hip_bfloat16S1_Li112ELi16ELi128ELNS_18Fp8KVCacheDataTypeE0ELb0EEEvPT_PKS3_PKT0_S9_ifPKiSB_iPKfiiiSD_SD_iiiii.num_agpr, 0
	.set _ZN4vllm25paged_attention_v1_kernelI14__hip_bfloat16S1_Li112ELi16ELi128ELNS_18Fp8KVCacheDataTypeE0ELb0EEEvPT_PKS3_PKT0_S9_ifPKiSB_iPKfiiiSD_SD_iiiii.numbered_sgpr, 34
	.set _ZN4vllm25paged_attention_v1_kernelI14__hip_bfloat16S1_Li112ELi16ELi128ELNS_18Fp8KVCacheDataTypeE0ELb0EEEvPT_PKS3_PKT0_S9_ifPKiSB_iPKfiiiSD_SD_iiiii.num_named_barrier, 0
	.set _ZN4vllm25paged_attention_v1_kernelI14__hip_bfloat16S1_Li112ELi16ELi128ELNS_18Fp8KVCacheDataTypeE0ELb0EEEvPT_PKS3_PKT0_S9_ifPKiSB_iPKfiiiSD_SD_iiiii.private_seg_size, 0
	.set _ZN4vllm25paged_attention_v1_kernelI14__hip_bfloat16S1_Li112ELi16ELi128ELNS_18Fp8KVCacheDataTypeE0ELb0EEEvPT_PKS3_PKT0_S9_ifPKiSB_iPKfiiiSD_SD_iiiii.uses_vcc, 1
	.set _ZN4vllm25paged_attention_v1_kernelI14__hip_bfloat16S1_Li112ELi16ELi128ELNS_18Fp8KVCacheDataTypeE0ELb0EEEvPT_PKS3_PKT0_S9_ifPKiSB_iPKfiiiSD_SD_iiiii.uses_flat_scratch, 0
	.set _ZN4vllm25paged_attention_v1_kernelI14__hip_bfloat16S1_Li112ELi16ELi128ELNS_18Fp8KVCacheDataTypeE0ELb0EEEvPT_PKS3_PKT0_S9_ifPKiSB_iPKfiiiSD_SD_iiiii.has_dyn_sized_stack, 0
	.set _ZN4vllm25paged_attention_v1_kernelI14__hip_bfloat16S1_Li112ELi16ELi128ELNS_18Fp8KVCacheDataTypeE0ELb0EEEvPT_PKS3_PKT0_S9_ifPKiSB_iPKfiiiSD_SD_iiiii.has_recursion, 0
	.set _ZN4vllm25paged_attention_v1_kernelI14__hip_bfloat16S1_Li112ELi16ELi128ELNS_18Fp8KVCacheDataTypeE0ELb0EEEvPT_PKS3_PKT0_S9_ifPKiSB_iPKfiiiSD_SD_iiiii.has_indirect_call, 0
	.section	.AMDGPU.csdata,"",@progbits
; Kernel info:
; codeLenInByte = 5876
; TotalNumSgprs: 40
; NumVgprs: 63
; NumAgprs: 0
; TotalNumVgprs: 63
; ScratchSize: 0
; MemoryBound: 0
; FloatMode: 240
; IeeeMode: 1
; LDSByteSize: 240 bytes/workgroup (compile time only)
; SGPRBlocks: 4
; VGPRBlocks: 7
; NumSGPRsForWavesPerEU: 40
; NumVGPRsForWavesPerEU: 63
; AccumOffset: 64
; Occupancy: 8
; WaveLimiterHint : 1
; COMPUTE_PGM_RSRC2:SCRATCH_EN: 0
; COMPUTE_PGM_RSRC2:USER_SGPR: 2
; COMPUTE_PGM_RSRC2:TRAP_HANDLER: 0
; COMPUTE_PGM_RSRC2:TGID_X_EN: 1
; COMPUTE_PGM_RSRC2:TGID_Y_EN: 1
; COMPUTE_PGM_RSRC2:TGID_Z_EN: 1
; COMPUTE_PGM_RSRC2:TIDIG_COMP_CNT: 0
; COMPUTE_PGM_RSRC3_GFX90A:ACCUM_OFFSET: 15
; COMPUTE_PGM_RSRC3_GFX90A:TG_SPLIT: 0
	.section	.text._ZN4vllm25paged_attention_v1_kernelI14__hip_bfloat16S1_Li120ELi16ELi128ELNS_18Fp8KVCacheDataTypeE0ELb0EEEvPT_PKS3_PKT0_S9_ifPKiSB_iPKfiiiSD_SD_iiiii,"axG",@progbits,_ZN4vllm25paged_attention_v1_kernelI14__hip_bfloat16S1_Li120ELi16ELi128ELNS_18Fp8KVCacheDataTypeE0ELb0EEEvPT_PKS3_PKT0_S9_ifPKiSB_iPKfiiiSD_SD_iiiii,comdat
	.protected	_ZN4vllm25paged_attention_v1_kernelI14__hip_bfloat16S1_Li120ELi16ELi128ELNS_18Fp8KVCacheDataTypeE0ELb0EEEvPT_PKS3_PKT0_S9_ifPKiSB_iPKfiiiSD_SD_iiiii ; -- Begin function _ZN4vllm25paged_attention_v1_kernelI14__hip_bfloat16S1_Li120ELi16ELi128ELNS_18Fp8KVCacheDataTypeE0ELb0EEEvPT_PKS3_PKT0_S9_ifPKiSB_iPKfiiiSD_SD_iiiii
	.globl	_ZN4vllm25paged_attention_v1_kernelI14__hip_bfloat16S1_Li120ELi16ELi128ELNS_18Fp8KVCacheDataTypeE0ELb0EEEvPT_PKS3_PKT0_S9_ifPKiSB_iPKfiiiSD_SD_iiiii
	.p2align	8
	.type	_ZN4vllm25paged_attention_v1_kernelI14__hip_bfloat16S1_Li120ELi16ELi128ELNS_18Fp8KVCacheDataTypeE0ELb0EEEvPT_PKS3_PKT0_S9_ifPKiSB_iPKfiiiSD_SD_iiiii,@function
_ZN4vllm25paged_attention_v1_kernelI14__hip_bfloat16S1_Li120ELi16ELi128ELNS_18Fp8KVCacheDataTypeE0ELb0EEEvPT_PKS3_PKT0_S9_ifPKiSB_iPKfiiiSD_SD_iiiii: ; @_ZN4vllm25paged_attention_v1_kernelI14__hip_bfloat16S1_Li120ELi16ELi128ELNS_18Fp8KVCacheDataTypeE0ELb0EEEvPT_PKS3_PKT0_S9_ifPKiSB_iPKfiiiSD_SD_iiiii
; %bb.0:
	s_load_dword s5, s[0:1], 0x80
	s_load_dwordx2 s[6:7], s[0:1], 0x30
	s_load_dwordx2 s[8:9], s[0:1], 0x20
	s_mov_b32 s10, s3
	s_ashr_i32 s11, s3, 31
	s_lshl_b64 s[12:13], s[10:11], 2
	s_waitcnt lgkmcnt(0)
	s_add_u32 s6, s6, s12
	s_addc_u32 s7, s7, s13
	s_abs_i32 s3, s8
	v_cvt_f32_u32_e32 v1, s3
	s_sub_i32 s12, 0, s3
	s_abs_i32 s11, s5
	s_xor_b32 s8, s5, s8
	v_rcp_iflag_f32_e32 v1, v1
	s_ashr_i32 s8, s8, 31
	v_mul_f32_e32 v1, 0x4f7ffffe, v1
	v_cvt_u32_f32_e32 v1, v1
	s_nop 0
	v_readfirstlane_b32 s13, v1
	s_mul_i32 s12, s12, s13
	s_mul_hi_u32 s12, s13, s12
	s_add_i32 s13, s13, s12
	s_mul_hi_u32 s12, s11, s13
	s_mul_i32 s13, s12, s3
	s_sub_i32 s11, s11, s13
	s_add_i32 s13, s12, 1
	s_sub_i32 s14, s11, s3
	s_cmp_ge_u32 s11, s3
	s_cselect_b32 s12, s13, s12
	s_cselect_b32 s11, s14, s11
	s_add_i32 s13, s12, 1
	s_cmp_ge_u32 s11, s3
	s_cselect_b32 s3, s13, s12
	s_xor_b32 s3, s3, s8
	s_sub_i32 s16, s3, s8
	s_abs_i32 s11, s16
	v_cvt_f32_u32_e32 v1, s11
	s_load_dwordx2 s[12:13], s[0:1], 0x40
	s_sub_i32 s3, 0, s11
	s_abs_i32 s18, s2
	v_rcp_iflag_f32_e32 v1, v1
	s_mov_b32 s8, 0
	v_mul_f32_e32 v1, 0x4f7ffffe, v1
	v_cvt_u32_f32_e32 v1, v1
	s_nop 0
	v_readfirstlane_b32 s14, v1
	s_mul_i32 s3, s3, s14
	s_mul_hi_u32 s3, s14, s3
	s_add_i32 s14, s14, s3
	s_waitcnt lgkmcnt(0)
	s_cmp_eq_u64 s[12:13], 0
	s_mul_hi_u32 s19, s18, s14
	s_cbranch_scc1 .LBB140_2
; %bb.1:
	s_ashr_i32 s3, s2, 31
	s_lshl_b64 s[14:15], s[2:3], 2
	s_add_u32 s12, s12, s14
	s_addc_u32 s13, s13, s15
	s_load_dword s8, s[12:13], 0x0
.LBB140_2:
	s_load_dword s33, s[6:7], 0x0
	s_nop 0
	s_load_dwordx4 s[12:15], s[0:1], 0x48
	s_ashr_i32 s6, s2, 31
	s_ashr_i32 s7, s16, 31
	v_and_b32_e32 v4, 3, v0
	s_mul_i32 s16, s2, 0x78
	v_cmp_gt_u32_e32 vcc, 60, v0
	s_and_saveexec_b64 s[2:3], vcc
	s_cbranch_execz .LBB140_4
; %bb.3:
	s_load_dwordx2 s[20:21], s[0:1], 0x8
	s_waitcnt lgkmcnt(0)
	s_mul_i32 s22, s12, s10
	s_ashr_i32 s23, s22, 31
	s_lshl_b64 s[22:23], s[22:23], 1
	v_lshlrev_b32_e32 v1, 2, v0
	s_add_u32 s12, s20, s22
	s_addc_u32 s15, s21, s23
	s_ashr_i32 s17, s16, 31
	s_lshl_b64 s[20:21], s[16:17], 1
	s_add_u32 s20, s12, s20
	s_addc_u32 s21, s15, s21
	global_load_dword v1, v1, s[20:21]
	v_and_b32_e32 v2, 0x3fc, v0
	v_mad_u32_u24 v2, v4, 60, v2
	s_waitcnt vmcnt(0)
	ds_write_b32 v2, v1
.LBB140_4:
	s_or_b64 exec, exec, s[2:3]
	s_waitcnt lgkmcnt(0)
	s_add_i32 s3, s33, 15
	s_ashr_i32 s12, s3, 31
	s_lshr_b32 s12, s12, 28
	s_add_i32 s3, s3, s12
	s_ashr_i32 s17, s3, 4
	s_xor_b32 s3, s6, s7
	s_mul_i32 s6, s19, s11
	s_sub_i32 s6, s18, s6
	s_add_i32 s7, s19, 1
	s_sub_i32 s12, s6, s11
	s_load_dwordx2 s[20:21], s[0:1], 0x28
	s_load_dword s2, s[0:1], 0x38
	s_cmp_ge_u32 s6, s11
	s_cselect_b32 s7, s7, s19
	s_cselect_b32 s6, s12, s6
	s_add_i32 s12, s7, 1
	s_cmp_ge_u32 s6, s11
	s_cselect_b32 s6, s12, s7
	v_lshrrev_b32_e32 v1, 6, v0
	s_xor_b32 s6, s6, s3
	s_waitcnt lgkmcnt(0)
	s_mul_i32 s22, s2, s10
	s_sub_i32 s12, s6, s3
	s_ashr_i32 s23, s22, 31
	v_cmp_le_i32_e64 s[6:7], s17, v1
	v_mbcnt_lo_u32_b32 v5, -1, 0
	s_barrier
                                        ; implicit-def: $vgpr7
                                        ; implicit-def: $vgpr9
                                        ; implicit-def: $vgpr8
	s_and_saveexec_b64 s[2:3], s[6:7]
	s_xor_b64 s[2:3], exec, s[2:3]
; %bb.5:
	v_mbcnt_hi_u32_b32 v7, -1, v5
	v_and_b32_e32 v9, 64, v7
	v_add_u32_e32 v8, 64, v9
                                        ; implicit-def: $vgpr4
                                        ; implicit-def: $vgpr5
; %bb.6:
	s_or_saveexec_b64 s[26:27], s[2:3]
	s_load_dwordx2 s[18:19], s[0:1], 0x0
	s_load_dwordx2 s[24:25], s[0:1], 0x18
	s_load_dword s11, s[0:1], 0x88
	v_mov_b32_e32 v33, 0xff7fffff
	s_mul_i32 s14, s12, s14
	v_lshrrev_b32_e32 v6, 4, v0
	s_xor_b64 exec, exec, s[26:27]
	s_cbranch_execz .LBB140_12
; %bb.7:
	s_load_dwordx2 s[0:1], s[0:1], 0x10
	s_ashr_i32 s15, s14, 31
	s_lshl_b64 s[2:3], s[14:15], 1
	v_bfe_u32 v44, v0, 2, 4
	v_lshlrev_b32_e32 v46, 4, v44
	s_waitcnt lgkmcnt(0)
	s_add_u32 s0, s0, s2
	s_addc_u32 s1, s1, s3
	v_mov_b32_e32 v47, 0
	v_lshlrev_b32_e32 v7, 2, v0
	v_lshl_add_u64 v[2:3], s[0:1], 0, v[46:47]
	v_and_b32_e32 v46, 12, v7
	v_mul_u32_u24_e32 v7, 60, v4
	ds_read2_b32 v[8:9], v7 offset1:1
	ds_read2_b32 v[16:17], v7 offset0:2 offset1:3
	ds_read2_b32 v[20:21], v7 offset0:4 offset1:5
	;; [unrolled: 1-line block ×3, first 2 shown]
	s_sub_i32 s15, 1, s33
	s_lshl_b64 s[0:1], s[22:23], 2
	s_add_u32 s0, s20, s0
	s_waitcnt lgkmcnt(3)
	v_lshlrev_b32_e32 v10, 16, v8
	v_and_b32_e32 v11, 0xffff0000, v8
	v_lshlrev_b32_e32 v12, 16, v9
	v_and_b32_e32 v13, 0xffff0000, v9
	ds_read2_b32 v[8:9], v7 offset0:8 offset1:9
	ds_read2_b32 v[32:33], v7 offset0:10 offset1:11
	;; [unrolled: 1-line block ×3, first 2 shown]
	ds_read_b32 v7, v7 offset:56
	v_lshl_add_u64 v[2:3], v[2:3], 0, v[46:47]
	v_and_b32_e32 v46, 60, v6
	s_addc_u32 s1, s21, s1
	s_waitcnt lgkmcnt(1)
	v_lshlrev_b32_e32 v35, 16, v38
	v_and_b32_e32 v36, 0xffff0000, v38
	v_lshlrev_b32_e32 v37, 16, v39
	v_and_b32_e32 v38, 0xffff0000, v39
	s_waitcnt lgkmcnt(0)
	v_lshlrev_b32_e32 v39, 16, v7
	v_and_b32_e32 v40, 0xffff0000, v7
	v_mbcnt_hi_u32_b32 v7, -1, v5
	v_lshlrev_b32_e32 v28, 16, v9
	v_and_b32_e32 v29, 0xffff0000, v9
	v_and_b32_e32 v9, 64, v7
	v_lshlrev_b32_e32 v26, 16, v8
	v_and_b32_e32 v27, 0xffff0000, v8
	v_add_u32_e32 v8, 64, v9
	v_xor_b32_e32 v5, 2, v7
	v_cmp_lt_i32_e32 vcc, v5, v8
	s_mov_b32 s12, s13
	v_lshlrev_b32_e32 v14, 16, v16
	v_cndmask_b32_e32 v5, v7, v5, vcc
	v_lshlrev_b32_e32 v41, 2, v5
	v_xor_b32_e32 v5, 1, v7
	v_cmp_lt_i32_e32 vcc, v5, v8
	v_and_b32_e32 v15, 0xffff0000, v16
	v_lshlrev_b32_e32 v16, 16, v17
	v_cndmask_b32_e32 v5, v7, v5, vcc
	v_cmp_eq_u32_e32 vcc, 0, v4
	v_lshlrev_b32_e32 v4, 2, v44
	v_lshl_or_b32 v4, v1, 6, v4
	v_and_b32_e32 v17, 0xffff0000, v17
	v_lshlrev_b32_e32 v18, 16, v20
	v_and_b32_e32 v19, 0xffff0000, v20
	v_lshlrev_b32_e32 v20, 16, v21
	v_and_b32_e32 v21, 0xffff0000, v21
	v_lshlrev_b32_e32 v22, 16, v24
	v_and_b32_e32 v23, 0xffff0000, v24
	v_lshlrev_b32_e32 v24, 16, v25
	v_and_b32_e32 v25, 0xffff0000, v25
	v_lshlrev_b32_e32 v30, 16, v32
	v_and_b32_e32 v31, 0xffff0000, v32
	v_lshlrev_b32_e32 v32, 16, v33
	v_and_b32_e32 v34, 0xffff0000, v33
	v_lshlrev_b32_e32 v42, 2, v5
	v_cmp_neq_f32_e64 s[2:3], s8, 0
	v_lshl_or_b32 v43, v1, 4, v44
	v_add_u32_e32 v44, 0x100, v4
	v_lshl_add_u64 v[4:5], s[0:1], 0, v[46:47]
	v_mov_b32_e32 v33, 0xff7fffff
	s_mov_b64 s[28:29], 0
	v_mov_b32_e32 v45, v1
	s_branch .LBB140_9
.LBB140_8:                              ;   in Loop: Header=BB140_9 Depth=1
	s_or_b64 exec, exec, s[30:31]
	v_add_u32_e32 v45, 2, v45
	v_cmp_le_i32_e64 s[0:1], s17, v45
	v_add_u32_e32 v43, 32, v43
	v_add_u32_e32 v44, 0x80, v44
	s_or_b64 s[28:29], s[0:1], s[28:29]
	v_lshl_add_u64 v[4:5], v[4:5], 0, 8
	s_andn2_b64 exec, exec, s[28:29]
	s_cbranch_execz .LBB140_11
.LBB140_9:                              ; =>This Inner Loop Header: Depth=1
	global_load_dword v46, v[4:5], off
	s_waitcnt vmcnt(0) lgkmcnt(0)
	v_mad_i64_i32 v[46:47], s[0:1], v46, s12, 0
	v_lshl_add_u64 v[46:47], v[46:47], 1, v[2:3]
	global_load_dword v48, v[46:47], off
	global_load_dword v49, v[46:47], off offset:256
	global_load_dword v50, v[46:47], off offset:512
	;; [unrolled: 1-line block ×14, first 2 shown]
	s_waitcnt vmcnt(14)
	v_lshlrev_b32_e32 v46, 16, v48
	v_and_b32_e32 v47, 0xffff0000, v48
	s_waitcnt vmcnt(13)
	v_lshlrev_b32_e32 v48, 16, v49
	v_and_b32_e32 v49, 0xffff0000, v49
	v_mul_f32_e32 v48, v12, v48
	v_mul_f32_e32 v49, v13, v49
	v_fmac_f32_e32 v48, v10, v46
	s_waitcnt vmcnt(12)
	v_lshlrev_b32_e32 v46, 16, v50
	v_and_b32_e32 v50, 0xffff0000, v50
	v_fmac_f32_e32 v49, v11, v47
	s_waitcnt vmcnt(11)
	v_lshlrev_b32_e32 v47, 16, v51
	v_and_b32_e32 v51, 0xffff0000, v51
	v_fmac_f32_e32 v48, v14, v46
	v_fmac_f32_e32 v49, v15, v50
	s_waitcnt vmcnt(10)
	v_lshlrev_b32_e32 v46, 16, v52
	v_and_b32_e32 v52, 0xffff0000, v52
	v_fmac_f32_e32 v48, v16, v47
	;; [unrolled: 5-line block ×12, first 2 shown]
	v_fmac_f32_e32 v49, v38, v61
	v_fmac_f32_e32 v48, v39, v51
	;; [unrolled: 1-line block ×3, first 2 shown]
	v_add_f32_e32 v46, v48, v49
	ds_bpermute_b32 v47, v41, v46
	s_waitcnt lgkmcnt(0)
	v_add_f32_e32 v46, v46, v47
	ds_bpermute_b32 v47, v42, v46
	s_and_saveexec_b64 s[30:31], vcc
	s_cbranch_execz .LBB140_8
; %bb.10:                               ;   in Loop: Header=BB140_9 Depth=1
	v_add_u32_e32 v48, s15, v43
	v_cvt_f32_i32_e32 v48, v48
	s_waitcnt lgkmcnt(0)
	v_add_f32_e32 v46, v46, v47
	v_cmp_gt_i32_e64 s[0:1], s33, v43
	v_max_f32_e32 v47, v33, v33
	v_mul_f32_e32 v48, s8, v48
	v_cndmask_b32_e64 v48, 0, v48, s[2:3]
	v_fmac_f32_e32 v48, s9, v46
	v_cndmask_b32_e64 v46, 0, v48, s[0:1]
	ds_write_b32 v44, v46
	v_max_f32_e32 v46, v47, v48
	v_cndmask_b32_e64 v33, v33, v46, s[0:1]
	s_branch .LBB140_8
.LBB140_11:
	s_or_b64 exec, exec, s[28:29]
.LBB140_12:
	s_or_b64 exec, exec, s[26:27]
	v_xor_b32_e32 v2, 32, v7
	v_cmp_lt_i32_e32 vcc, v2, v8
	v_xor_b32_e32 v5, 16, v7
	v_max_f32_e32 v4, v33, v33
	v_cndmask_b32_e32 v2, v7, v2, vcc
	v_lshlrev_b32_e32 v2, 2, v2
	ds_bpermute_b32 v3, v2, v33
	v_cmp_lt_i32_e32 vcc, v5, v8
	v_xor_b32_e32 v10, 8, v7
	v_xor_b32_e32 v12, 4, v7
	s_waitcnt lgkmcnt(0)
	v_max_f32_e32 v3, v3, v3
	v_max_f32_e32 v4, v4, v3
	v_cndmask_b32_e32 v3, v7, v5, vcc
	v_lshlrev_b32_e32 v3, 2, v3
	ds_bpermute_b32 v5, v3, v4
	v_cmp_lt_i32_e32 vcc, v10, v8
	s_waitcnt lgkmcnt(0)
	v_max_f32_e32 v5, v5, v5
	v_max_f32_e32 v4, v4, v5
	v_cndmask_b32_e32 v5, v7, v10, vcc
	v_lshlrev_b32_e32 v11, 2, v5
	ds_bpermute_b32 v5, v11, v4
	v_cmp_lt_i32_e32 vcc, v12, v8
	s_waitcnt lgkmcnt(0)
	v_max_f32_e32 v5, v5, v5
	v_max_f32_e32 v10, v4, v5
	v_cndmask_b32_e32 v4, v7, v12, vcc
	v_lshlrev_b32_e32 v12, 2, v4
	ds_bpermute_b32 v13, v12, v10
	v_and_b32_e32 v4, 63, v0
	v_cmp_eq_u32_e32 vcc, 0, v4
	v_lshlrev_b32_e32 v5, 2, v1
	s_and_saveexec_b64 s[0:1], vcc
	s_cbranch_execz .LBB140_14
; %bb.13:
	s_waitcnt lgkmcnt(0)
	v_max_f32_e32 v13, v13, v13
	v_max_f32_e32 v10, v10, v10
	;; [unrolled: 1-line block ×3, first 2 shown]
	ds_write_b32 v5, v10 offset:240
.LBB140_14:
	s_or_b64 exec, exec, s[0:1]
	v_cmp_gt_u32_e64 s[0:1], 2, v4
	s_waitcnt lgkmcnt(0)
	v_mov_b32_e32 v13, 0xff7fffff
	v_lshlrev_b32_e32 v10, 2, v4
	s_barrier
	s_and_saveexec_b64 s[2:3], s[0:1]
; %bb.15:
	ds_read_b32 v13, v10 offset:240
; %bb.16:
	s_or_b64 exec, exec, s[2:3]
	v_xor_b32_e32 v14, 1, v7
	v_cmp_lt_i32_e64 s[2:3], v14, v8
	v_lshlrev_b32_e32 v9, 2, v9
	s_nop 0
	v_cndmask_b32_e64 v14, v7, v14, s[2:3]
	v_lshlrev_b32_e32 v34, 2, v14
	s_waitcnt lgkmcnt(0)
	ds_bpermute_b32 v14, v34, v13
	v_max_f32_e32 v13, v13, v13
	s_lshl_b32 s2, s17, 4
	s_min_i32 s12, s2, s33
	v_cmp_gt_i32_e64 s[2:3], s12, v0
	s_waitcnt lgkmcnt(0)
	v_max_f32_e32 v14, v14, v14
	v_max_f32_e32 v13, v13, v14
	ds_bpermute_b32 v13, v9, v13
	v_mov_b32_e32 v9, 0
	s_and_saveexec_b64 s[26:27], s[2:3]
	s_cbranch_execz .LBB140_20
; %bb.17:
	v_mov_b32_e32 v9, 0x100
	v_lshl_add_u32 v14, v0, 2, v9
	v_mov_b32_e32 v9, 0
	s_mov_b64 s[28:29], 0
	v_mov_b32_e32 v15, v0
.LBB140_18:                             ; =>This Inner Loop Header: Depth=1
	ds_read_b32 v16, v14
	v_add_u32_e32 v15, 0x80, v15
	v_cmp_le_i32_e64 s[8:9], s12, v15
	s_or_b64 s[28:29], s[8:9], s[28:29]
	s_waitcnt lgkmcnt(0)
	v_sub_f32_e32 v16, v16, v13
	v_mul_f32_e32 v16, 0x3fb8aa3b, v16
	v_exp_f32_e32 v16, v16
	ds_write_b32 v14, v16
	v_add_f32_e32 v9, v9, v16
	v_add_u32_e32 v14, 0x200, v14
	s_andn2_b64 exec, exec, s[28:29]
	s_cbranch_execnz .LBB140_18
; %bb.19:
	s_or_b64 exec, exec, s[28:29]
.LBB140_20:
	s_or_b64 exec, exec, s[26:27]
	ds_bpermute_b32 v2, v2, v9
	s_waitcnt lgkmcnt(0)
	v_add_f32_e32 v2, v9, v2
	ds_bpermute_b32 v3, v3, v2
	v_xor_b32_e32 v9, 2, v7
	v_cmp_lt_i32_e64 s[8:9], v9, v8
	s_waitcnt lgkmcnt(0)
	v_add_f32_e32 v2, v2, v3
	ds_bpermute_b32 v3, v11, v2
	v_cndmask_b32_e64 v8, v7, v9, s[8:9]
	s_waitcnt lgkmcnt(0)
	v_add_f32_e32 v2, v2, v3
	ds_bpermute_b32 v3, v12, v2
	s_waitcnt lgkmcnt(0)
	v_add_f32_e32 v2, v2, v3
	v_lshlrev_b32_e32 v3, 2, v8
	ds_bpermute_b32 v3, v3, v2
	s_waitcnt lgkmcnt(0)
	v_add_f32_e32 v2, v2, v3
	ds_bpermute_b32 v3, v34, v2
	s_waitcnt lgkmcnt(0)
	v_add_f32_e32 v2, v2, v3
	s_and_saveexec_b64 s[8:9], vcc
; %bb.21:
	ds_write_b32 v5, v2 offset:248
; %bb.22:
	s_or_b64 exec, exec, s[8:9]
	s_waitcnt lgkmcnt(0)
	s_barrier
	s_and_saveexec_b64 s[8:9], s[0:1]
; %bb.23:
	ds_read_b32 v2, v10 offset:248
; %bb.24:
	s_or_b64 exec, exec, s[8:9]
	s_waitcnt lgkmcnt(0)
	ds_bpermute_b32 v3, v34, v2
	v_lshlrev_b32_e32 v5, 2, v7
	s_waitcnt lgkmcnt(0)
	v_add_f32_e32 v2, v2, v3
	v_and_b32_e32 v3, 0xffffff00, v5
	ds_bpermute_b32 v2, v3, v2
	s_and_saveexec_b64 s[0:1], s[2:3]
	s_cbranch_execz .LBB140_37
; %bb.25:
	s_waitcnt lgkmcnt(0)
	v_add_f32_e32 v2, 0x358637bd, v2
	v_div_scale_f32 v3, s[2:3], v2, v2, 1.0
	v_rcp_f32_e32 v5, v3
	v_div_scale_f32 v7, vcc, 1.0, v2, 1.0
	s_movk_i32 s2, 0x7f
	v_fma_f32 v8, -v3, v5, 1.0
	v_fmac_f32_e32 v5, v8, v5
	v_mul_f32_e32 v8, v7, v5
	v_fma_f32 v9, -v3, v8, v7
	v_fmac_f32_e32 v8, v9, v5
	v_fma_f32 v3, -v3, v8, v7
	v_div_fmas_f32 v3, v3, v5, v8
	v_xad_u32 v5, v0, -1, s12
	v_div_fixup_f32 v2, v3, v2, 1.0
	v_cmp_lt_u32_e32 vcc, s2, v5
	s_mov_b64 s[8:9], -1
	v_mov_b32_e32 v3, v0
	s_and_saveexec_b64 s[2:3], vcc
	s_cbranch_execz .LBB140_34
; %bb.26:
	v_lshrrev_b32_e32 v5, 7, v5
	v_add_u32_e32 v8, -1, v5
	v_lshrrev_b32_e32 v7, 1, v8
	v_mov_b32_e32 v3, v2
	v_add_u32_e32 v7, 1, v7
	v_cmp_lt_u32_e32 vcc, 13, v8
	v_mov_b32_e32 v10, 0
	s_and_saveexec_b64 s[8:9], vcc
	s_cbranch_execz .LBB140_30
; %bb.27:
	v_mov_b32_e32 v9, 0x100
	v_and_b32_e32 v8, -8, v7
	v_lshl_add_u32 v9, v0, 2, v9
	s_mov_b32 s15, 0
	s_mov_b64 s[26:27], 0
.LBB140_28:                             ; =>This Inner Loop Header: Depth=1
	ds_read2st64_b32 v[10:11], v9 offset1:2
	ds_read2st64_b32 v[12:13], v9 offset0:4 offset1:6
	ds_read2st64_b32 v[14:15], v9 offset0:8 offset1:10
	;; [unrolled: 1-line block ×3, first 2 shown]
	v_add_u32_e32 v8, -8, v8
	s_waitcnt lgkmcnt(3)
	v_pk_mul_f32 v[10:11], v[2:3], v[10:11]
	s_waitcnt lgkmcnt(2)
	v_pk_mul_f32 v[12:13], v[2:3], v[12:13]
	ds_write2st64_b32 v9, v10, v11 offset1:2
	ds_write2st64_b32 v9, v12, v13 offset0:4 offset1:6
	ds_read2st64_b32 v[12:13], v9 offset0:16 offset1:18
	s_waitcnt lgkmcnt(4)
	v_pk_mul_f32 v[10:11], v[2:3], v[14:15]
	ds_write2st64_b32 v9, v10, v11 offset0:8 offset1:10
	s_waitcnt lgkmcnt(4)
	v_pk_mul_f32 v[10:11], v[2:3], v[16:17]
	ds_write2st64_b32 v9, v10, v11 offset0:12 offset1:14
	ds_read2st64_b32 v[10:11], v9 offset0:20 offset1:22
	s_waitcnt lgkmcnt(3)
	v_pk_mul_f32 v[12:13], v[2:3], v[12:13]
	ds_read2st64_b32 v[14:15], v9 offset0:24 offset1:26
	ds_write2st64_b32 v9, v12, v13 offset0:16 offset1:18
	ds_read2st64_b32 v[12:13], v9 offset0:28 offset1:30
	s_waitcnt lgkmcnt(3)
	v_pk_mul_f32 v[10:11], v[2:3], v[10:11]
	ds_write2st64_b32 v9, v10, v11 offset0:20 offset1:22
	s_waitcnt lgkmcnt(3)
	v_pk_mul_f32 v[10:11], v[2:3], v[14:15]
	ds_write2st64_b32 v9, v10, v11 offset0:24 offset1:26
	s_waitcnt lgkmcnt(2)
	v_pk_mul_f32 v[10:11], v[2:3], v[12:13]
	s_add_i32 s15, s15, 16
	v_cmp_eq_u32_e32 vcc, 0, v8
	ds_write2st64_b32 v9, v10, v11 offset0:28 offset1:30
	v_add_u32_e32 v9, 0x2000, v9
	s_or_b64 s[26:27], vcc, s[26:27]
	v_mov_b32_e32 v10, s15
	s_andn2_b64 exec, exec, s[26:27]
	s_cbranch_execnz .LBB140_28
; %bb.29:
	s_or_b64 exec, exec, s[26:27]
.LBB140_30:
	s_or_b64 exec, exec, s[8:9]
	v_and_b32_e32 v7, 7, v7
	v_cmp_ne_u32_e32 vcc, 0, v7
	s_and_saveexec_b64 s[8:9], vcc
	s_cbranch_execz .LBB140_33
; %bb.31:
	v_lshlrev_b32_e32 v8, 9, v10
	v_lshlrev_b32_e32 v9, 2, v0
	s_movk_i32 s15, 0x100
	v_add3_u32 v8, v8, v9, s15
	s_mov_b64 s[26:27], 0
.LBB140_32:                             ; =>This Inner Loop Header: Depth=1
	ds_read2st64_b32 v[10:11], v8 offset1:2
	v_add_u32_e32 v7, -1, v7
	v_cmp_eq_u32_e32 vcc, 0, v7
	s_or_b64 s[26:27], vcc, s[26:27]
	s_waitcnt lgkmcnt(0)
	v_pk_mul_f32 v[10:11], v[2:3], v[10:11]
	ds_write2st64_b32 v8, v10, v11 offset1:2
	v_add_u32_e32 v8, 0x400, v8
	s_andn2_b64 exec, exec, s[26:27]
	s_cbranch_execnz .LBB140_32
.LBB140_33:
	s_or_b64 exec, exec, s[8:9]
	v_add_u32_e32 v5, 1, v5
	v_and_b32_e32 v7, 0x3fffffe, v5
	v_cmp_ne_u32_e32 vcc, v5, v7
	v_lshl_add_u32 v3, v7, 7, v0
	s_orn2_b64 s[8:9], vcc, exec
.LBB140_34:
	s_or_b64 exec, exec, s[2:3]
	s_and_b64 exec, exec, s[8:9]
	s_cbranch_execz .LBB140_37
; %bb.35:
	v_mov_b32_e32 v5, 0x100
	v_lshl_add_u32 v5, v3, 2, v5
	s_mov_b64 s[2:3], 0
.LBB140_36:                             ; =>This Inner Loop Header: Depth=1
	ds_read_b32 v7, v5
	v_add_u32_e32 v3, 0x80, v3
	v_cmp_le_i32_e32 vcc, s12, v3
	s_or_b64 s[2:3], vcc, s[2:3]
	s_waitcnt lgkmcnt(0)
	v_mul_f32_e32 v7, v2, v7
	ds_write_b32 v5, v7
	v_add_u32_e32 v5, 0x200, v5
	s_andn2_b64 exec, exec, s[2:3]
	s_cbranch_execnz .LBB140_36
.LBB140_37:
	s_or_b64 exec, exec, s[0:1]
	v_lshrrev_b32_e32 v35, 1, v4
	s_waitcnt lgkmcnt(0)
	s_barrier
	s_and_saveexec_b64 s[0:1], s[6:7]
	s_xor_b64 s[0:1], exec, s[0:1]
; %bb.38:
	v_lshrrev_b32_e32 v35, 1, v4
                                        ; implicit-def: $vgpr1
                                        ; implicit-def: $vgpr6
; %bb.39:
	s_or_saveexec_b64 s[8:9], s[0:1]
	v_mov_b32_e32 v23, 0
	v_and_b32_e32 v36, 1, v0
	v_mov_b32_e32 v22, 0
	v_mov_b32_e32 v25, 0
	;; [unrolled: 1-line block ×3, first 2 shown]
	s_xor_b64 exec, exec, s[8:9]
	s_cbranch_execz .LBB140_53
; %bb.40:
	s_ashr_i32 s15, s14, 31
	s_lshl_b64 s[0:1], s[14:15], 1
	v_lshlrev_b32_e32 v2, 3, v0
	s_add_u32 s12, s24, s0
	v_and_b32_e32 v3, 8, v2
	s_mov_b32 s26, s13
	s_addc_u32 s13, s25, s1
	s_add_i32 s24, s17, -1
	v_or_b32_e32 v4, 0x60, v35
	s_movk_i32 s0, 0x78
	s_lshl_b64 s[2:3], s[22:23], 2
	v_lshl_or_b32 v2, v35, 4, v3
	v_cmp_gt_u32_e64 s[0:1], s0, v4
	v_lshl_or_b32 v4, v4, 4, v3
	v_lshl_or_b32 v37, v1, 4, v3
	v_lshlrev_b32_e32 v3, 5, v36
	s_add_u32 s2, s20, s2
	v_mov_b32_e32 v27, 0
	v_lshl_or_b32 v3, v1, 6, v3
	v_and_b32_e32 v26, 60, v6
	s_addc_u32 s3, s21, s3
	s_mov_b32 s25, s33
	v_add_u32_e32 v38, 0x100, v3
	v_lshl_add_u64 v[28:29], s[2:3], 0, v[26:27]
	s_mov_b64 s[14:15], 0
	v_lshlrev_b32_e32 v30, 1, v2
	v_mov_b32_e32 v31, v27
	s_mov_b32 s22, 0x5040100
	v_lshlrev_b32_e32 v26, 1, v4
	v_mov_b32_e32 v23, v27
	v_mov_b32_e32 v22, v27
	;; [unrolled: 1-line block ×4, first 2 shown]
	s_branch .LBB140_43
.LBB140_41:                             ;   in Loop: Header=BB140_43 Depth=1
	s_or_b64 exec, exec, s[20:21]
	s_waitcnt vmcnt(0)
	v_and_b32_e32 v21, 0xffff0000, v14
	v_and_b32_e32 v32, 0xffff0000, v39
	v_mul_f32_e32 v21, v32, v21
	v_lshlrev_b32_e32 v14, 16, v14
	v_lshlrev_b32_e32 v32, 16, v39
	v_mul_f32_e32 v14, v32, v14
	v_and_b32_e32 v32, 0xffff0000, v15
	v_and_b32_e32 v33, 0xffff0000, v20
	v_mul_f32_e32 v32, v33, v32
	v_lshlrev_b32_e32 v15, 16, v15
	v_lshlrev_b32_e32 v33, 16, v20
	v_mul_f32_e32 v15, v33, v15
	v_and_b32_e32 v33, 0xffff0000, v16
	v_and_b32_e32 v40, 0xffff0000, v19
	v_mul_f32_e32 v33, v40, v33
	v_lshlrev_b32_e32 v16, 16, v16
	v_lshlrev_b32_e32 v40, 16, v19
	v_mul_f32_e32 v16, v40, v16
	v_and_b32_e32 v40, 0xffff0000, v17
	v_and_b32_e32 v41, 0xffff0000, v18
	v_cvt_pk_bf16_f32 v21, v21, s0
	v_cvt_pk_bf16_f32 v14, v14, s0
	;; [unrolled: 1-line block ×4, first 2 shown]
	v_mul_f32_e32 v40, v41, v40
	v_lshlrev_b32_e32 v17, 16, v17
	v_lshlrev_b32_e32 v41, 16, v18
	v_cvt_pk_bf16_f32 v33, v33, s0
	v_cvt_pk_bf16_f32 v16, v16, s0
	v_mul_f32_e32 v17, v41, v17
	v_lshlrev_b32_e32 v14, 16, v14
	v_lshlrev_b32_e32 v21, 16, v21
	;; [unrolled: 1-line block ×4, first 2 shown]
	v_cvt_pk_bf16_f32 v40, v40, s0
	v_cvt_pk_bf16_f32 v17, v17, s0
	v_lshlrev_b32_e32 v16, 16, v16
	v_lshlrev_b32_e32 v33, 16, v33
	v_add_f32_e32 v14, v21, v14
	v_add_f32_e32 v15, v32, v15
	v_lshlrev_b32_e32 v17, 16, v17
	v_lshlrev_b32_e32 v40, 16, v40
	v_add_f32_e32 v14, v15, v14
	v_add_f32_e32 v15, v33, v16
	;; [unrolled: 1-line block ×6, first 2 shown]
.LBB140_42:                             ;   in Loop: Header=BB140_43 Depth=1
	s_or_b64 exec, exec, s[6:7]
	s_waitcnt vmcnt(0)
	v_and_b32_e32 v14, 0xffff0000, v10
	v_and_b32_e32 v15, 0xffff0000, v39
	v_lshlrev_b32_e32 v10, 16, v10
	v_lshlrev_b32_e32 v16, 16, v39
	v_mul_f32_e32 v14, v15, v14
	v_mul_f32_e32 v10, v16, v10
	v_and_b32_e32 v17, 0xffff0000, v11
	v_and_b32_e32 v21, 0xffff0000, v20
	v_lshlrev_b32_e32 v11, 16, v11
	v_lshlrev_b32_e32 v20, 16, v20
	v_cvt_pk_bf16_f32 v14, v14, s0
	v_cvt_pk_bf16_f32 v10, v10, s0
	v_mul_f32_e32 v17, v21, v17
	v_mul_f32_e32 v11, v20, v11
	v_cvt_pk_bf16_f32 v17, v17, s0
	v_cvt_pk_bf16_f32 v11, v11, s0
	v_and_b32_e32 v32, 0xffff0000, v12
	v_and_b32_e32 v33, 0xffff0000, v19
	v_lshlrev_b32_e32 v12, 16, v12
	v_lshlrev_b32_e32 v19, 16, v19
	;; [unrolled: 1-line block ×4, first 2 shown]
	v_mul_f32_e32 v32, v33, v32
	v_mul_f32_e32 v12, v19, v12
	v_add_f32_e32 v10, v10, v14
	v_lshlrev_b32_e32 v11, 16, v11
	v_lshlrev_b32_e32 v14, 16, v17
	v_cvt_pk_bf16_f32 v32, v32, s0
	v_cvt_pk_bf16_f32 v12, v12, s0
	v_and_b32_e32 v39, 0xffff0000, v13
	v_and_b32_e32 v40, 0xffff0000, v18
	v_lshlrev_b32_e32 v13, 16, v13
	v_lshlrev_b32_e32 v18, 16, v18
	v_add_f32_e32 v11, v11, v14
	v_mul_f32_e32 v39, v40, v39
	v_mul_f32_e32 v13, v18, v13
	v_add_f32_e32 v10, v11, v10
	v_lshlrev_b32_e32 v11, 16, v12
	v_lshlrev_b32_e32 v12, 16, v32
	v_cvt_pk_bf16_f32 v39, v39, s0
	v_cvt_pk_bf16_f32 v13, v13, s0
	v_add_f32_e32 v11, v11, v12
	v_add_f32_e32 v10, v11, v10
	v_lshlrev_b32_e32 v11, 16, v13
	v_lshlrev_b32_e32 v12, 16, v39
	v_add_f32_e32 v11, v11, v12
	v_add_f32_e32 v10, v11, v10
	;; [unrolled: 1-line block ×3, first 2 shown]
	v_and_b32_e32 v10, 0xffff0000, v6
	v_lshlrev_b32_e32 v6, 16, v6
	v_mul_f32_e32 v10, v15, v10
	v_mul_f32_e32 v6, v16, v6
	v_and_b32_e32 v11, 0xffff0000, v7
	v_lshlrev_b32_e32 v7, 16, v7
	v_cvt_pk_bf16_f32 v10, v10, s0
	v_cvt_pk_bf16_f32 v6, v6, s0
	v_mul_f32_e32 v11, v21, v11
	v_mul_f32_e32 v7, v20, v7
	v_cvt_pk_bf16_f32 v11, v11, s0
	v_cvt_pk_bf16_f32 v7, v7, s0
	v_and_b32_e32 v12, 0xffff0000, v8
	v_lshlrev_b32_e32 v8, 16, v8
	v_lshlrev_b32_e32 v6, 16, v6
	;; [unrolled: 1-line block ×3, first 2 shown]
	v_mul_f32_e32 v12, v33, v12
	v_mul_f32_e32 v8, v19, v8
	v_add_f32_e32 v6, v6, v10
	v_lshlrev_b32_e32 v7, 16, v7
	v_lshlrev_b32_e32 v10, 16, v11
	v_cvt_pk_bf16_f32 v12, v12, s0
	v_cvt_pk_bf16_f32 v8, v8, s0
	v_and_b32_e32 v13, 0xffff0000, v9
	v_lshlrev_b32_e32 v9, 16, v9
	v_add_f32_e32 v7, v7, v10
	v_mul_f32_e32 v13, v40, v13
	v_mul_f32_e32 v9, v18, v9
	v_add_f32_e32 v6, v7, v6
	v_lshlrev_b32_e32 v7, 16, v8
	v_lshlrev_b32_e32 v8, 16, v12
	v_cvt_pk_bf16_f32 v13, v13, s0
	v_cvt_pk_bf16_f32 v9, v9, s0
	v_add_f32_e32 v7, v7, v8
	v_add_f32_e32 v6, v7, v6
	v_lshlrev_b32_e32 v7, 16, v9
	v_lshlrev_b32_e32 v8, 16, v13
	v_add_f32_e32 v7, v7, v8
	v_add_f32_e32 v6, v7, v6
	;; [unrolled: 1-line block ×3, first 2 shown]
	v_and_b32_e32 v6, 0xffff0000, v2
	v_lshlrev_b32_e32 v2, 16, v2
	v_mul_f32_e32 v6, v15, v6
	v_mul_f32_e32 v2, v16, v2
	v_and_b32_e32 v7, 0xffff0000, v3
	v_lshlrev_b32_e32 v3, 16, v3
	v_cvt_pk_bf16_f32 v6, v6, s0
	v_cvt_pk_bf16_f32 v2, v2, s0
	v_mul_f32_e32 v7, v21, v7
	v_mul_f32_e32 v3, v20, v3
	v_cvt_pk_bf16_f32 v7, v7, s0
	v_cvt_pk_bf16_f32 v3, v3, s0
	v_and_b32_e32 v8, 0xffff0000, v4
	v_lshlrev_b32_e32 v4, 16, v4
	v_lshlrev_b32_e32 v2, 16, v2
	;; [unrolled: 1-line block ×3, first 2 shown]
	v_mul_f32_e32 v8, v33, v8
	v_mul_f32_e32 v4, v19, v4
	v_add_f32_e32 v2, v2, v6
	v_lshlrev_b32_e32 v3, 16, v3
	v_lshlrev_b32_e32 v6, 16, v7
	v_cvt_pk_bf16_f32 v8, v8, s0
	v_cvt_pk_bf16_f32 v4, v4, s0
	v_and_b32_e32 v9, 0xffff0000, v5
	v_lshlrev_b32_e32 v5, 16, v5
	v_add_f32_e32 v3, v3, v6
	v_mul_f32_e32 v9, v40, v9
	v_mul_f32_e32 v5, v18, v5
	v_add_f32_e32 v2, v3, v2
	v_lshlrev_b32_e32 v3, 16, v4
	v_lshlrev_b32_e32 v4, 16, v8
	v_cvt_pk_bf16_f32 v9, v9, s0
	v_cvt_pk_bf16_f32 v5, v5, s0
	v_add_f32_e32 v3, v3, v4
	v_add_f32_e32 v2, v3, v2
	v_lshlrev_b32_e32 v3, 16, v5
	v_lshlrev_b32_e32 v4, 16, v9
	v_add_f32_e32 v3, v3, v4
	v_add_u32_e32 v1, 2, v1
	v_add_f32_e32 v2, v3, v2
	v_cmp_le_i32_e32 vcc, s17, v1
	v_add_f32_e32 v24, v24, v2
	v_add_u32_e32 v37, 32, v37
	v_add_u32_e32 v38, 0x80, v38
	s_or_b64 s[14:15], vcc, s[14:15]
	v_lshl_add_u64 v[28:29], v[28:29], 0, 8
	s_andn2_b64 exec, exec, s[14:15]
	s_cbranch_execz .LBB140_52
.LBB140_43:                             ; =>This Inner Loop Header: Depth=1
	global_load_dword v2, v[28:29], off
	s_waitcnt vmcnt(0)
	v_mad_i64_i32 v[2:3], s[2:3], v2, s26, 0
	v_lshl_add_u64 v[32:33], v[2:3], 1, s[12:13]
	v_lshl_add_u64 v[10:11], v[32:33], 0, v[30:31]
	global_load_dwordx4 v[2:5], v[10:11], off
	ds_read2_b64 v[18:21], v38 offset1:1
	ds_read2_b64 v[14:17], v38 offset0:2 offset1:3
	v_cmp_eq_u32_e64 s[2:3], s24, v1
	s_and_saveexec_b64 s[20:21], s[2:3]
	s_cbranch_execnz .LBB140_50
; %bb.44:                               ;   in Loop: Header=BB140_43 Depth=1
	s_or_b64 exec, exec, s[20:21]
	global_load_dwordx4 v[6:9], v[10:11], off offset:1024
	s_and_saveexec_b64 s[20:21], s[2:3]
	s_cbranch_execnz .LBB140_51
.LBB140_45:                             ;   in Loop: Header=BB140_43 Depth=1
	s_or_b64 exec, exec, s[20:21]
	global_load_dwordx4 v[10:13], v[10:11], off offset:2048
	s_and_saveexec_b64 s[20:21], s[2:3]
	s_cbranch_execz .LBB140_47
.LBB140_46:                             ;   in Loop: Header=BB140_43 Depth=1
	v_add_u32_e32 v39, 1, v37
	v_cmp_gt_i32_e32 vcc, s25, v39
	v_or_b32_e32 v40, 2, v37
	v_cmp_gt_i32_e64 s[6:7], s33, v40
	s_waitcnt vmcnt(0)
	v_cndmask_b32_sdwa v39, v27, v10, vcc dst_sel:DWORD dst_unused:UNUSED_PAD src0_sel:DWORD src1_sel:WORD_1
	v_cmp_gt_i32_e32 vcc, s33, v37
	v_or_b32_e32 v40, 4, v37
	s_nop 0
	v_cndmask_b32_e32 v10, 0, v10, vcc
	v_perm_b32 v10, v39, v10, s22
	v_or_b32_e32 v39, 3, v37
	v_cmp_gt_i32_e32 vcc, s25, v39
	v_cndmask_b32_e64 v39, 0, v11, s[6:7]
	v_cmp_gt_i32_e64 s[6:7], s33, v40
	v_cndmask_b32_sdwa v11, v27, v11, vcc dst_sel:DWORD dst_unused:UNUSED_PAD src0_sel:DWORD src1_sel:WORD_1
	v_perm_b32 v11, v11, v39, s22
	v_or_b32_e32 v39, 5, v37
	v_cmp_gt_i32_e32 vcc, s25, v39
	v_cndmask_b32_e64 v39, 0, v12, s[6:7]
	v_or_b32_e32 v40, 6, v37
	v_cndmask_b32_sdwa v12, v27, v12, vcc dst_sel:DWORD dst_unused:UNUSED_PAD src0_sel:DWORD src1_sel:WORD_1
	v_perm_b32 v12, v12, v39, s22
	v_or_b32_e32 v39, 7, v37
	v_cmp_gt_i32_e32 vcc, s25, v39
	v_cmp_gt_i32_e64 s[6:7], s33, v40
	s_nop 1
	v_cndmask_b32_e64 v39, 0, v13, s[6:7]
	v_cndmask_b32_sdwa v13, v27, v13, vcc dst_sel:DWORD dst_unused:UNUSED_PAD src0_sel:DWORD src1_sel:WORD_1
	v_perm_b32 v13, v13, v39, s22
.LBB140_47:                             ;   in Loop: Header=BB140_43 Depth=1
	s_or_b64 exec, exec, s[20:21]
	s_waitcnt lgkmcnt(1)
	v_cvt_pk_bf16_f32 v39, v18, v19
	v_cvt_pk_bf16_f32 v20, v20, v21
	s_waitcnt lgkmcnt(0)
	v_cvt_pk_bf16_f32 v19, v14, v15
	v_cvt_pk_bf16_f32 v18, v16, v17
	s_and_saveexec_b64 s[6:7], s[0:1]
	s_cbranch_execz .LBB140_42
; %bb.48:                               ;   in Loop: Header=BB140_43 Depth=1
	v_lshl_add_u64 v[14:15], v[32:33], 0, v[26:27]
	global_load_dwordx4 v[14:17], v[14:15], off
	s_and_saveexec_b64 s[20:21], s[2:3]
	s_cbranch_execz .LBB140_41
; %bb.49:                               ;   in Loop: Header=BB140_43 Depth=1
	v_add_u32_e32 v21, 1, v37
	v_cmp_gt_i32_e32 vcc, s25, v21
	v_or_b32_e32 v32, 2, v37
	v_cmp_gt_i32_e64 s[2:3], s33, v32
	s_waitcnt vmcnt(0)
	v_cndmask_b32_sdwa v21, v27, v14, vcc dst_sel:DWORD dst_unused:UNUSED_PAD src0_sel:DWORD src1_sel:WORD_1
	v_cmp_gt_i32_e32 vcc, s33, v37
	v_or_b32_e32 v32, 4, v37
	s_nop 0
	v_cndmask_b32_e32 v14, 0, v14, vcc
	v_perm_b32 v14, v21, v14, s22
	v_or_b32_e32 v21, 3, v37
	v_cmp_gt_i32_e32 vcc, s25, v21
	v_cndmask_b32_e64 v21, 0, v15, s[2:3]
	v_cmp_gt_i32_e64 s[2:3], s33, v32
	v_cndmask_b32_sdwa v15, v27, v15, vcc dst_sel:DWORD dst_unused:UNUSED_PAD src0_sel:DWORD src1_sel:WORD_1
	v_perm_b32 v15, v15, v21, s22
	v_or_b32_e32 v21, 5, v37
	v_cmp_gt_i32_e32 vcc, s25, v21
	v_cndmask_b32_e64 v21, 0, v16, s[2:3]
	v_or_b32_e32 v32, 6, v37
	v_cndmask_b32_sdwa v16, v27, v16, vcc dst_sel:DWORD dst_unused:UNUSED_PAD src0_sel:DWORD src1_sel:WORD_1
	v_perm_b32 v16, v16, v21, s22
	v_or_b32_e32 v21, 7, v37
	v_cmp_gt_i32_e32 vcc, s25, v21
	v_cmp_gt_i32_e64 s[2:3], s33, v32
	s_nop 1
	v_cndmask_b32_e64 v21, 0, v17, s[2:3]
	v_cndmask_b32_sdwa v17, v27, v17, vcc dst_sel:DWORD dst_unused:UNUSED_PAD src0_sel:DWORD src1_sel:WORD_1
	v_perm_b32 v17, v17, v21, s22
	s_branch .LBB140_41
.LBB140_50:                             ;   in Loop: Header=BB140_43 Depth=1
	v_add_u32_e32 v6, 1, v37
	v_cmp_gt_i32_e32 vcc, s25, v6
	v_or_b32_e32 v7, 2, v37
	v_cmp_gt_i32_e64 s[6:7], s33, v7
	s_waitcnt vmcnt(0)
	v_cndmask_b32_sdwa v6, v27, v2, vcc dst_sel:DWORD dst_unused:UNUSED_PAD src0_sel:DWORD src1_sel:WORD_1
	v_cmp_gt_i32_e32 vcc, s33, v37
	v_or_b32_e32 v7, 4, v37
	s_nop 0
	v_cndmask_b32_e32 v2, 0, v2, vcc
	v_perm_b32 v2, v6, v2, s22
	v_or_b32_e32 v6, 3, v37
	v_cmp_gt_i32_e32 vcc, s25, v6
	v_cndmask_b32_e64 v6, 0, v3, s[6:7]
	v_cmp_gt_i32_e64 s[6:7], s33, v7
	v_cndmask_b32_sdwa v3, v27, v3, vcc dst_sel:DWORD dst_unused:UNUSED_PAD src0_sel:DWORD src1_sel:WORD_1
	v_perm_b32 v3, v3, v6, s22
	v_or_b32_e32 v6, 5, v37
	v_cmp_gt_i32_e32 vcc, s25, v6
	v_cndmask_b32_e64 v6, 0, v4, s[6:7]
	v_or_b32_e32 v7, 6, v37
	v_cndmask_b32_sdwa v4, v27, v4, vcc dst_sel:DWORD dst_unused:UNUSED_PAD src0_sel:DWORD src1_sel:WORD_1
	v_perm_b32 v4, v4, v6, s22
	v_or_b32_e32 v6, 7, v37
	v_cmp_gt_i32_e32 vcc, s25, v6
	v_cmp_gt_i32_e64 s[6:7], s33, v7
	s_nop 1
	v_cndmask_b32_e64 v6, 0, v5, s[6:7]
	v_cndmask_b32_sdwa v5, v27, v5, vcc dst_sel:DWORD dst_unused:UNUSED_PAD src0_sel:DWORD src1_sel:WORD_1
	v_perm_b32 v5, v5, v6, s22
	s_or_b64 exec, exec, s[20:21]
	global_load_dwordx4 v[6:9], v[10:11], off offset:1024
	s_and_saveexec_b64 s[20:21], s[2:3]
	s_cbranch_execz .LBB140_45
.LBB140_51:                             ;   in Loop: Header=BB140_43 Depth=1
	v_add_u32_e32 v12, 1, v37
	v_cmp_gt_i32_e32 vcc, s25, v12
	v_or_b32_e32 v13, 2, v37
	v_cmp_gt_i32_e64 s[6:7], s33, v13
	s_waitcnt vmcnt(0)
	v_cndmask_b32_sdwa v12, v27, v6, vcc dst_sel:DWORD dst_unused:UNUSED_PAD src0_sel:DWORD src1_sel:WORD_1
	v_cmp_gt_i32_e32 vcc, s33, v37
	v_or_b32_e32 v13, 4, v37
	s_nop 0
	v_cndmask_b32_e32 v6, 0, v6, vcc
	v_perm_b32 v6, v12, v6, s22
	v_or_b32_e32 v12, 3, v37
	v_cmp_gt_i32_e32 vcc, s25, v12
	v_cndmask_b32_e64 v12, 0, v7, s[6:7]
	v_cmp_gt_i32_e64 s[6:7], s33, v13
	v_cndmask_b32_sdwa v7, v27, v7, vcc dst_sel:DWORD dst_unused:UNUSED_PAD src0_sel:DWORD src1_sel:WORD_1
	v_perm_b32 v7, v7, v12, s22
	v_or_b32_e32 v12, 5, v37
	v_cmp_gt_i32_e32 vcc, s25, v12
	v_cndmask_b32_e64 v12, 0, v8, s[6:7]
	v_or_b32_e32 v13, 6, v37
	v_cndmask_b32_sdwa v8, v27, v8, vcc dst_sel:DWORD dst_unused:UNUSED_PAD src0_sel:DWORD src1_sel:WORD_1
	v_perm_b32 v8, v8, v12, s22
	v_or_b32_e32 v12, 7, v37
	v_cmp_gt_i32_e32 vcc, s25, v12
	v_cmp_gt_i32_e64 s[6:7], s33, v13
	s_nop 1
	v_cndmask_b32_e64 v12, 0, v9, s[6:7]
	v_cndmask_b32_sdwa v9, v27, v9, vcc dst_sel:DWORD dst_unused:UNUSED_PAD src0_sel:DWORD src1_sel:WORD_1
	v_perm_b32 v9, v9, v12, s22
	s_or_b64 exec, exec, s[20:21]
	global_load_dwordx4 v[10:13], v[10:11], off offset:2048
	s_and_saveexec_b64 s[20:21], s[2:3]
	s_cbranch_execnz .LBB140_46
	s_branch .LBB140_47
.LBB140_52:
	s_or_b64 exec, exec, s[14:15]
.LBB140_53:
	s_or_b64 exec, exec, s[8:9]
	ds_bpermute_b32 v2, v34, v24
	ds_bpermute_b32 v3, v34, v25
	;; [unrolled: 1-line block ×4, first 2 shown]
	v_and_b32_e32 v1, 0x3c0, v0
	v_cmp_eq_u32_e64 s[0:1], 64, v1
	s_waitcnt lgkmcnt(2)
	v_pk_add_f32 v[4:5], v[24:25], v[2:3]
	v_cmp_eq_u32_e32 vcc, 0, v36
	s_waitcnt lgkmcnt(0)
	v_pk_add_f32 v[2:3], v[22:23], v[6:7]
	s_barrier
	s_and_saveexec_b64 s[2:3], s[0:1]
	s_cbranch_execz .LBB140_58
; %bb.54:
	s_and_saveexec_b64 s[0:1], vcc
	s_cbranch_execz .LBB140_56
; %bb.55:
	v_mov_b32_e32 v1, 0x100
	v_lshl_add_u32 v1, v35, 2, v1
	ds_write2_b32 v1, v4, v5 offset1:32
	ds_write_b32 v1, v2 offset:256
.LBB140_56:
	s_or_b64 exec, exec, s[0:1]
	v_or_b32_e32 v1, 0x60, v35
	s_movk_i32 s0, 0x78
	v_cmp_gt_u32_e64 s[0:1], s0, v1
	s_and_b64 s[0:1], vcc, s[0:1]
	s_and_b64 exec, exec, s[0:1]
; %bb.57:
	v_mov_b32_e32 v1, 0x100
	v_lshl_add_u32 v1, v35, 2, v1
	ds_write_b32 v1, v3 offset:384
.LBB140_58:
	s_or_b64 exec, exec, s[2:3]
	v_cmp_gt_u32_e64 s[0:1], 64, v0
	v_lshrrev_b32_e32 v0, 1, v0
	s_waitcnt lgkmcnt(0)
	s_barrier
	s_and_saveexec_b64 s[6:7], s[0:1]
	s_cbranch_execz .LBB140_68
; %bb.59:
	s_and_saveexec_b64 s[2:3], vcc
	s_cbranch_execz .LBB140_61
; %bb.60:
	v_mov_b32_e32 v1, 0x100
	v_lshl_add_u32 v1, v0, 2, v1
	ds_read_b32 v1, v1
	s_waitcnt lgkmcnt(0)
	v_add_f32_e32 v4, v4, v1
.LBB140_61:
	s_or_b64 exec, exec, s[2:3]
	v_or_b32_e32 v1, 32, v0
	s_movk_i32 s8, 0x78
	v_cmp_gt_u32_e64 s[2:3], s8, v1
	s_and_b64 s[12:13], vcc, s[2:3]
	s_and_saveexec_b64 s[2:3], s[12:13]
	s_cbranch_execz .LBB140_63
; %bb.62:
	v_mov_b32_e32 v1, 0x100
	v_lshl_add_u32 v1, v0, 2, v1
	ds_read_b32 v1, v1 offset:128
	s_waitcnt lgkmcnt(0)
	v_add_f32_e32 v5, v5, v1
.LBB140_63:
	s_or_b64 exec, exec, s[2:3]
	v_or_b32_e32 v1, 64, v0
	v_cmp_gt_u32_e64 s[2:3], s8, v1
	s_and_b64 s[8:9], vcc, s[2:3]
	s_and_saveexec_b64 s[2:3], s[8:9]
	s_cbranch_execz .LBB140_65
; %bb.64:
	v_mov_b32_e32 v1, 0x100
	v_lshl_add_u32 v1, v0, 2, v1
	ds_read_b32 v1, v1 offset:256
	s_waitcnt lgkmcnt(0)
	v_add_f32_e32 v2, v2, v1
.LBB140_65:
	s_or_b64 exec, exec, s[2:3]
	v_or_b32_e32 v1, 0x60, v0
	s_movk_i32 s2, 0x78
	v_cmp_gt_u32_e64 s[2:3], s2, v1
	s_and_b64 s[8:9], vcc, s[2:3]
	s_and_saveexec_b64 s[2:3], s[8:9]
	s_cbranch_execz .LBB140_67
; %bb.66:
	v_mov_b32_e32 v1, 0x100
	v_lshl_add_u32 v1, v0, 2, v1
	ds_read_b32 v1, v1 offset:384
	s_waitcnt lgkmcnt(0)
	v_add_f32_e32 v3, v3, v1
.LBB140_67:
	s_or_b64 exec, exec, s[2:3]
.LBB140_68:
	s_or_b64 exec, exec, s[6:7]
	s_barrier
	s_and_saveexec_b64 s[2:3], s[0:1]
	s_cbranch_execz .LBB140_77
; %bb.69:
	s_mul_i32 s0, s10, s11
	s_mul_i32 s0, s0, s5
	s_mulk_i32 s0, 0x78
	s_ashr_i32 s1, s0, 31
	s_lshl_b64 s[0:1], s[0:1], 1
	s_add_u32 s2, s18, s0
	s_mul_i32 s0, s11, s16
	s_addc_u32 s3, s19, s1
	s_ashr_i32 s1, s0, 31
	s_lshl_b64 s[0:1], s[0:1], 1
	s_add_u32 s2, s2, s0
	s_mul_i32 s0, s4, 0x78
	s_addc_u32 s3, s3, s1
	s_ashr_i32 s1, s0, 31
	s_lshl_b64 s[0:1], s[0:1], 1
	s_add_u32 s2, s2, s0
	s_movk_i32 s5, 0x78
	s_addc_u32 s3, s3, s1
	v_lshlrev_b32_e32 v1, 1, v0
	s_and_saveexec_b64 s[0:1], vcc
	s_cbranch_execz .LBB140_71
; %bb.70:
	v_cvt_pk_bf16_f32 v4, v4, s0
	global_store_short v1, v4, s[2:3]
.LBB140_71:
	s_or_b64 exec, exec, s[0:1]
	v_or_b32_e32 v4, 32, v0
	v_cmp_gt_u32_e64 s[0:1], s5, v4
	s_and_b64 s[4:5], vcc, s[0:1]
	s_and_saveexec_b64 s[0:1], s[4:5]
	s_cbranch_execz .LBB140_73
; %bb.72:
	v_cvt_pk_bf16_f32 v4, v5, s0
	global_store_short v1, v4, s[2:3] offset:64
.LBB140_73:
	s_or_b64 exec, exec, s[0:1]
	v_or_b32_e32 v4, 64, v0
	s_movk_i32 s4, 0x78
	v_cmp_gt_u32_e64 s[0:1], s4, v4
	s_and_b64 s[6:7], vcc, s[0:1]
	s_and_saveexec_b64 s[0:1], s[6:7]
	s_cbranch_execz .LBB140_75
; %bb.74:
	v_cvt_pk_bf16_f32 v2, v2, s0
	global_store_short v1, v2, s[2:3] offset:128
.LBB140_75:
	s_or_b64 exec, exec, s[0:1]
	v_or_b32_e32 v0, 0x60, v0
	v_cmp_gt_u32_e64 s[0:1], s4, v0
	s_and_b64 s[0:1], vcc, s[0:1]
	s_and_b64 exec, exec, s[0:1]
	s_cbranch_execz .LBB140_77
; %bb.76:
	v_cvt_pk_bf16_f32 v0, v3, s0
	global_store_short v1, v0, s[2:3] offset:192
.LBB140_77:
	s_endpgm
	.section	.rodata,"a",@progbits
	.p2align	6, 0x0
	.amdhsa_kernel _ZN4vllm25paged_attention_v1_kernelI14__hip_bfloat16S1_Li120ELi16ELi128ELNS_18Fp8KVCacheDataTypeE0ELb0EEEvPT_PKS3_PKT0_S9_ifPKiSB_iPKfiiiSD_SD_iiiii
		.amdhsa_group_segment_fixed_size 256
		.amdhsa_private_segment_fixed_size 0
		.amdhsa_kernarg_size 384
		.amdhsa_user_sgpr_count 2
		.amdhsa_user_sgpr_dispatch_ptr 0
		.amdhsa_user_sgpr_queue_ptr 0
		.amdhsa_user_sgpr_kernarg_segment_ptr 1
		.amdhsa_user_sgpr_dispatch_id 0
		.amdhsa_user_sgpr_kernarg_preload_length 0
		.amdhsa_user_sgpr_kernarg_preload_offset 0
		.amdhsa_user_sgpr_private_segment_size 0
		.amdhsa_uses_dynamic_stack 0
		.amdhsa_enable_private_segment 0
		.amdhsa_system_sgpr_workgroup_id_x 1
		.amdhsa_system_sgpr_workgroup_id_y 1
		.amdhsa_system_sgpr_workgroup_id_z 1
		.amdhsa_system_sgpr_workgroup_info 0
		.amdhsa_system_vgpr_workitem_id 0
		.amdhsa_next_free_vgpr 63
		.amdhsa_next_free_sgpr 34
		.amdhsa_accum_offset 64
		.amdhsa_reserve_vcc 1
		.amdhsa_float_round_mode_32 0
		.amdhsa_float_round_mode_16_64 0
		.amdhsa_float_denorm_mode_32 3
		.amdhsa_float_denorm_mode_16_64 3
		.amdhsa_dx10_clamp 1
		.amdhsa_ieee_mode 1
		.amdhsa_fp16_overflow 0
		.amdhsa_tg_split 0
		.amdhsa_exception_fp_ieee_invalid_op 0
		.amdhsa_exception_fp_denorm_src 0
		.amdhsa_exception_fp_ieee_div_zero 0
		.amdhsa_exception_fp_ieee_overflow 0
		.amdhsa_exception_fp_ieee_underflow 0
		.amdhsa_exception_fp_ieee_inexact 0
		.amdhsa_exception_int_div_zero 0
	.end_amdhsa_kernel
	.section	.text._ZN4vllm25paged_attention_v1_kernelI14__hip_bfloat16S1_Li120ELi16ELi128ELNS_18Fp8KVCacheDataTypeE0ELb0EEEvPT_PKS3_PKT0_S9_ifPKiSB_iPKfiiiSD_SD_iiiii,"axG",@progbits,_ZN4vllm25paged_attention_v1_kernelI14__hip_bfloat16S1_Li120ELi16ELi128ELNS_18Fp8KVCacheDataTypeE0ELb0EEEvPT_PKS3_PKT0_S9_ifPKiSB_iPKfiiiSD_SD_iiiii,comdat
.Lfunc_end140:
	.size	_ZN4vllm25paged_attention_v1_kernelI14__hip_bfloat16S1_Li120ELi16ELi128ELNS_18Fp8KVCacheDataTypeE0ELb0EEEvPT_PKS3_PKT0_S9_ifPKiSB_iPKfiiiSD_SD_iiiii, .Lfunc_end140-_ZN4vllm25paged_attention_v1_kernelI14__hip_bfloat16S1_Li120ELi16ELi128ELNS_18Fp8KVCacheDataTypeE0ELb0EEEvPT_PKS3_PKT0_S9_ifPKiSB_iPKfiiiSD_SD_iiiii
                                        ; -- End function
	.set _ZN4vllm25paged_attention_v1_kernelI14__hip_bfloat16S1_Li120ELi16ELi128ELNS_18Fp8KVCacheDataTypeE0ELb0EEEvPT_PKS3_PKT0_S9_ifPKiSB_iPKfiiiSD_SD_iiiii.num_vgpr, 63
	.set _ZN4vllm25paged_attention_v1_kernelI14__hip_bfloat16S1_Li120ELi16ELi128ELNS_18Fp8KVCacheDataTypeE0ELb0EEEvPT_PKS3_PKT0_S9_ifPKiSB_iPKfiiiSD_SD_iiiii.num_agpr, 0
	.set _ZN4vllm25paged_attention_v1_kernelI14__hip_bfloat16S1_Li120ELi16ELi128ELNS_18Fp8KVCacheDataTypeE0ELb0EEEvPT_PKS3_PKT0_S9_ifPKiSB_iPKfiiiSD_SD_iiiii.numbered_sgpr, 34
	.set _ZN4vllm25paged_attention_v1_kernelI14__hip_bfloat16S1_Li120ELi16ELi128ELNS_18Fp8KVCacheDataTypeE0ELb0EEEvPT_PKS3_PKT0_S9_ifPKiSB_iPKfiiiSD_SD_iiiii.num_named_barrier, 0
	.set _ZN4vllm25paged_attention_v1_kernelI14__hip_bfloat16S1_Li120ELi16ELi128ELNS_18Fp8KVCacheDataTypeE0ELb0EEEvPT_PKS3_PKT0_S9_ifPKiSB_iPKfiiiSD_SD_iiiii.private_seg_size, 0
	.set _ZN4vllm25paged_attention_v1_kernelI14__hip_bfloat16S1_Li120ELi16ELi128ELNS_18Fp8KVCacheDataTypeE0ELb0EEEvPT_PKS3_PKT0_S9_ifPKiSB_iPKfiiiSD_SD_iiiii.uses_vcc, 1
	.set _ZN4vllm25paged_attention_v1_kernelI14__hip_bfloat16S1_Li120ELi16ELi128ELNS_18Fp8KVCacheDataTypeE0ELb0EEEvPT_PKS3_PKT0_S9_ifPKiSB_iPKfiiiSD_SD_iiiii.uses_flat_scratch, 0
	.set _ZN4vllm25paged_attention_v1_kernelI14__hip_bfloat16S1_Li120ELi16ELi128ELNS_18Fp8KVCacheDataTypeE0ELb0EEEvPT_PKS3_PKT0_S9_ifPKiSB_iPKfiiiSD_SD_iiiii.has_dyn_sized_stack, 0
	.set _ZN4vllm25paged_attention_v1_kernelI14__hip_bfloat16S1_Li120ELi16ELi128ELNS_18Fp8KVCacheDataTypeE0ELb0EEEvPT_PKS3_PKT0_S9_ifPKiSB_iPKfiiiSD_SD_iiiii.has_recursion, 0
	.set _ZN4vllm25paged_attention_v1_kernelI14__hip_bfloat16S1_Li120ELi16ELi128ELNS_18Fp8KVCacheDataTypeE0ELb0EEEvPT_PKS3_PKT0_S9_ifPKiSB_iPKfiiiSD_SD_iiiii.has_indirect_call, 0
	.section	.AMDGPU.csdata,"",@progbits
; Kernel info:
; codeLenInByte = 5948
; TotalNumSgprs: 40
; NumVgprs: 63
; NumAgprs: 0
; TotalNumVgprs: 63
; ScratchSize: 0
; MemoryBound: 0
; FloatMode: 240
; IeeeMode: 1
; LDSByteSize: 256 bytes/workgroup (compile time only)
; SGPRBlocks: 4
; VGPRBlocks: 7
; NumSGPRsForWavesPerEU: 40
; NumVGPRsForWavesPerEU: 63
; AccumOffset: 64
; Occupancy: 8
; WaveLimiterHint : 1
; COMPUTE_PGM_RSRC2:SCRATCH_EN: 0
; COMPUTE_PGM_RSRC2:USER_SGPR: 2
; COMPUTE_PGM_RSRC2:TRAP_HANDLER: 0
; COMPUTE_PGM_RSRC2:TGID_X_EN: 1
; COMPUTE_PGM_RSRC2:TGID_Y_EN: 1
; COMPUTE_PGM_RSRC2:TGID_Z_EN: 1
; COMPUTE_PGM_RSRC2:TIDIG_COMP_CNT: 0
; COMPUTE_PGM_RSRC3_GFX90A:ACCUM_OFFSET: 15
; COMPUTE_PGM_RSRC3_GFX90A:TG_SPLIT: 0
	.section	.text._ZN4vllm25paged_attention_v1_kernelI14__hip_bfloat16S1_Li128ELi16ELi128ELNS_18Fp8KVCacheDataTypeE0ELb0EEEvPT_PKS3_PKT0_S9_ifPKiSB_iPKfiiiSD_SD_iiiii,"axG",@progbits,_ZN4vllm25paged_attention_v1_kernelI14__hip_bfloat16S1_Li128ELi16ELi128ELNS_18Fp8KVCacheDataTypeE0ELb0EEEvPT_PKS3_PKT0_S9_ifPKiSB_iPKfiiiSD_SD_iiiii,comdat
	.protected	_ZN4vllm25paged_attention_v1_kernelI14__hip_bfloat16S1_Li128ELi16ELi128ELNS_18Fp8KVCacheDataTypeE0ELb0EEEvPT_PKS3_PKT0_S9_ifPKiSB_iPKfiiiSD_SD_iiiii ; -- Begin function _ZN4vllm25paged_attention_v1_kernelI14__hip_bfloat16S1_Li128ELi16ELi128ELNS_18Fp8KVCacheDataTypeE0ELb0EEEvPT_PKS3_PKT0_S9_ifPKiSB_iPKfiiiSD_SD_iiiii
	.globl	_ZN4vllm25paged_attention_v1_kernelI14__hip_bfloat16S1_Li128ELi16ELi128ELNS_18Fp8KVCacheDataTypeE0ELb0EEEvPT_PKS3_PKT0_S9_ifPKiSB_iPKfiiiSD_SD_iiiii
	.p2align	8
	.type	_ZN4vllm25paged_attention_v1_kernelI14__hip_bfloat16S1_Li128ELi16ELi128ELNS_18Fp8KVCacheDataTypeE0ELb0EEEvPT_PKS3_PKT0_S9_ifPKiSB_iPKfiiiSD_SD_iiiii,@function
_ZN4vllm25paged_attention_v1_kernelI14__hip_bfloat16S1_Li128ELi16ELi128ELNS_18Fp8KVCacheDataTypeE0ELb0EEEvPT_PKS3_PKT0_S9_ifPKiSB_iPKfiiiSD_SD_iiiii: ; @_ZN4vllm25paged_attention_v1_kernelI14__hip_bfloat16S1_Li128ELi16ELi128ELNS_18Fp8KVCacheDataTypeE0ELb0EEEvPT_PKS3_PKT0_S9_ifPKiSB_iPKfiiiSD_SD_iiiii
; %bb.0:
	s_load_dword s5, s[0:1], 0x80
	s_load_dwordx2 s[6:7], s[0:1], 0x30
	s_load_dwordx2 s[10:11], s[0:1], 0x20
	s_mov_b32 s16, s3
	s_ashr_i32 s17, s3, 31
	s_lshl_b64 s[8:9], s[16:17], 2
	s_waitcnt lgkmcnt(0)
	s_add_u32 s6, s6, s8
	s_addc_u32 s7, s7, s9
	s_abs_i32 s3, s10
	v_cvt_f32_u32_e32 v1, s3
	s_xor_b32 s8, s5, s10
	s_sub_i32 s10, 0, s3
	s_abs_i32 s9, s5
	v_rcp_iflag_f32_e32 v1, v1
	s_ashr_i32 s8, s8, 31
	v_mul_f32_e32 v1, 0x4f7ffffe, v1
	v_cvt_u32_f32_e32 v1, v1
	s_nop 0
	v_readfirstlane_b32 s12, v1
	s_mul_i32 s10, s10, s12
	s_mul_hi_u32 s10, s12, s10
	s_add_i32 s12, s12, s10
	s_mul_hi_u32 s10, s9, s12
	s_mul_i32 s12, s10, s3
	s_sub_i32 s9, s9, s12
	s_add_i32 s12, s10, 1
	s_sub_i32 s13, s9, s3
	s_cmp_ge_u32 s9, s3
	s_cselect_b32 s10, s12, s10
	s_cselect_b32 s9, s13, s9
	s_add_i32 s12, s10, 1
	s_cmp_ge_u32 s9, s3
	s_cselect_b32 s3, s12, s10
	s_xor_b32 s3, s3, s8
	s_sub_i32 s18, s3, s8
	s_abs_i32 s17, s18
	v_cvt_f32_u32_e32 v1, s17
	s_load_dwordx2 s[8:9], s[0:1], 0x40
	s_sub_i32 s3, 0, s17
	s_abs_i32 s20, s2
	v_rcp_iflag_f32_e32 v1, v1
	s_mov_b32 s10, 0
	v_mul_f32_e32 v1, 0x4f7ffffe, v1
	v_cvt_u32_f32_e32 v1, v1
	s_nop 0
	v_readfirstlane_b32 s12, v1
	s_mul_i32 s3, s3, s12
	s_mul_hi_u32 s3, s12, s3
	s_add_i32 s12, s12, s3
	s_waitcnt lgkmcnt(0)
	s_cmp_eq_u64 s[8:9], 0
	s_mul_hi_u32 s21, s20, s12
	s_cbranch_scc1 .LBB141_2
; %bb.1:
	s_ashr_i32 s3, s2, 31
	s_lshl_b64 s[12:13], s[2:3], 2
	s_add_u32 s8, s8, s12
	s_addc_u32 s9, s9, s13
	s_load_dword s10, s[8:9], 0x0
.LBB141_2:
	s_load_dword s33, s[6:7], 0x0
	s_load_dwordx4 s[12:15], s[0:1], 0x48
	s_ashr_i32 s8, s2, 31
	s_ashr_i32 s9, s18, 31
	v_and_b32_e32 v4, 3, v0
	s_lshl_b32 s18, s2, 7
	v_cmp_gt_u32_e64 s[6:7], 64, v0
	s_and_saveexec_b64 s[2:3], s[6:7]
	s_cbranch_execz .LBB141_4
; %bb.3:
	s_load_dwordx2 s[22:23], s[0:1], 0x8
	s_waitcnt lgkmcnt(0)
	s_mul_i32 s24, s12, s16
	s_ashr_i32 s25, s24, 31
	s_lshl_b64 s[24:25], s[24:25], 1
	v_lshlrev_b32_e32 v1, 2, v0
	s_add_u32 s12, s22, s24
	s_addc_u32 s15, s23, s25
	s_ashr_i32 s19, s18, 31
	s_lshl_b64 s[22:23], s[18:19], 1
	s_add_u32 s22, s12, s22
	s_addc_u32 s23, s15, s23
	global_load_dword v1, v1, s[22:23]
	v_and_b32_e32 v2, 0x3fc, v0
	v_lshl_add_u32 v2, v4, 6, v2
	s_waitcnt vmcnt(0)
	ds_write_b32 v2, v1
.LBB141_4:
	s_or_b64 exec, exec, s[2:3]
	s_waitcnt lgkmcnt(0)
	s_add_i32 s3, s33, 15
	s_ashr_i32 s12, s3, 31
	s_lshr_b32 s12, s12, 28
	s_add_i32 s3, s3, s12
	s_ashr_i32 s19, s3, 4
	s_xor_b32 s3, s8, s9
	s_mul_i32 s8, s21, s17
	s_sub_i32 s8, s20, s8
	s_add_i32 s9, s21, 1
	s_sub_i32 s12, s8, s17
	s_load_dwordx2 s[22:23], s[0:1], 0x28
	s_load_dword s2, s[0:1], 0x38
	s_cmp_ge_u32 s8, s17
	s_cselect_b32 s9, s9, s21
	s_cselect_b32 s8, s12, s8
	s_add_i32 s12, s9, 1
	s_cmp_ge_u32 s8, s17
	s_cselect_b32 s8, s12, s9
	v_lshrrev_b32_e32 v1, 6, v0
	s_xor_b32 s8, s8, s3
	s_waitcnt lgkmcnt(0)
	s_mul_i32 s24, s2, s16
	s_sub_i32 s12, s8, s3
	s_ashr_i32 s25, s24, 31
	v_cmp_gt_i32_e64 s[2:3], s19, v1
	v_cmp_le_i32_e32 vcc, s19, v1
	v_mbcnt_lo_u32_b32 v5, -1, 0
	s_barrier
                                        ; implicit-def: $vgpr7
                                        ; implicit-def: $vgpr9
                                        ; implicit-def: $vgpr8
	s_and_saveexec_b64 s[8:9], vcc
	s_xor_b64 s[8:9], exec, s[8:9]
; %bb.5:
	v_mbcnt_hi_u32_b32 v7, -1, v5
	v_and_b32_e32 v9, 64, v7
	v_add_u32_e32 v8, 64, v9
                                        ; implicit-def: $vgpr4
                                        ; implicit-def: $vgpr5
; %bb.6:
	s_or_saveexec_b64 s[28:29], s[8:9]
	s_load_dwordx2 s[20:21], s[0:1], 0x0
	s_load_dwordx2 s[26:27], s[0:1], 0x18
	s_load_dword s17, s[0:1], 0x88
	v_mov_b32_e32 v35, 0xff7fffff
	s_mul_i32 s14, s12, s14
	v_lshrrev_b32_e32 v6, 4, v0
	s_xor_b64 exec, exec, s[28:29]
	s_cbranch_execz .LBB141_12
; %bb.7:
	s_load_dwordx2 s[0:1], s[0:1], 0x10
	s_ashr_i32 s15, s14, 31
	s_lshl_b64 s[8:9], s[14:15], 1
	v_bfe_u32 v35, v0, 2, 4
	v_lshlrev_b32_e32 v48, 4, v35
	s_waitcnt lgkmcnt(0)
	s_add_u32 s0, s0, s8
	s_addc_u32 s1, s1, s9
	v_mov_b32_e32 v49, 0
	v_lshlrev_b32_e32 v7, 2, v0
	v_lshl_add_u64 v[2:3], s[0:1], 0, v[48:49]
	v_and_b32_e32 v48, 12, v7
	v_lshlrev_b32_e32 v7, 6, v4
	ds_read_b128 v[14:17], v7
	ds_read_b128 v[22:25], v7 offset:16
	ds_read_b128 v[30:33], v7 offset:32
	;; [unrolled: 1-line block ×3, first 2 shown]
	v_mbcnt_hi_u32_b32 v7, -1, v5
	v_and_b32_e32 v9, 64, v7
	v_add_u32_e32 v8, 64, v9
	v_xor_b32_e32 v5, 2, v7
	v_cmp_lt_i32_e32 vcc, v5, v8
	s_waitcnt lgkmcnt(0)
	v_lshlrev_b32_e32 v34, 16, v40
	v_and_b32_e32 v36, 0xffff0000, v40
	v_cndmask_b32_e32 v5, v7, v5, vcc
	v_lshlrev_b32_e32 v37, 16, v41
	v_and_b32_e32 v38, 0xffff0000, v41
	v_lshlrev_b32_e32 v39, 16, v42
	v_and_b32_e32 v40, 0xffff0000, v42
	;; [unrolled: 2-line block ×3, first 2 shown]
	v_lshlrev_b32_e32 v43, 2, v5
	v_xor_b32_e32 v5, 1, v7
	v_cmp_lt_i32_e32 vcc, v5, v8
	s_sub_i32 s15, 1, s33
	s_lshl_b64 s[8:9], s[24:25], 2
	v_cndmask_b32_e32 v5, v7, v5, vcc
	v_cmp_eq_u32_e32 vcc, 0, v4
	v_lshlrev_b32_e32 v4, 2, v35
	s_add_u32 s8, s22, s8
	v_lshl_add_u64 v[2:3], v[2:3], 0, v[48:49]
	v_lshl_or_b32 v4, v1, 6, v4
	v_and_b32_e32 v48, 60, v6
	s_addc_u32 s9, s23, s9
	s_mov_b32 s12, s13
	v_lshlrev_b32_e32 v10, 16, v14
	v_and_b32_e32 v11, 0xffff0000, v14
	v_lshlrev_b32_e32 v12, 16, v15
	v_and_b32_e32 v13, 0xffff0000, v15
	;; [unrolled: 2-line block ×12, first 2 shown]
	v_lshlrev_b32_e32 v44, 2, v5
	v_cmp_neq_f32_e64 s[0:1], s10, 0
	v_lshl_or_b32 v45, v1, 4, v35
	v_add_u32_e32 v46, 0x110, v4
	v_lshl_add_u64 v[4:5], s[8:9], 0, v[48:49]
	v_mov_b32_e32 v35, 0xff7fffff
	s_mov_b64 s[30:31], 0
	v_mov_b32_e32 v47, v1
	s_branch .LBB141_9
.LBB141_8:                              ;   in Loop: Header=BB141_9 Depth=1
	s_or_b64 exec, exec, s[34:35]
	v_add_u32_e32 v47, 2, v47
	v_cmp_le_i32_e64 s[8:9], s19, v47
	v_add_u32_e32 v45, 32, v45
	v_add_u32_e32 v46, 0x80, v46
	s_or_b64 s[30:31], s[8:9], s[30:31]
	v_lshl_add_u64 v[4:5], v[4:5], 0, 8
	s_andn2_b64 exec, exec, s[30:31]
	s_cbranch_execz .LBB141_11
.LBB141_9:                              ; =>This Inner Loop Header: Depth=1
	global_load_dword v48, v[4:5], off
	s_waitcnt vmcnt(0) lgkmcnt(0)
	v_mad_i64_i32 v[48:49], s[8:9], v48, s12, 0
	v_lshl_add_u64 v[48:49], v[48:49], 1, v[2:3]
	global_load_dword v50, v[48:49], off offset:256
	global_load_dword v51, v[48:49], off offset:512
	;; [unrolled: 1-line block ×7, first 2 shown]
	global_load_dword v57, v[48:49], off
	global_load_dword v58, v[48:49], off offset:2048
	global_load_dword v59, v[48:49], off offset:2304
	;; [unrolled: 1-line block ×7, first 2 shown]
	s_nop 0
	global_load_dword v48, v[48:49], off offset:3840
	s_waitcnt vmcnt(15)
	v_lshlrev_b32_e32 v49, 16, v50
	v_and_b32_e32 v50, 0xffff0000, v50
	v_mul_f32_e32 v49, v12, v49
	v_mul_f32_e32 v50, v13, v50
	s_waitcnt vmcnt(14)
	v_lshlrev_b32_e32 v66, 16, v51
	v_and_b32_e32 v51, 0xffff0000, v51
	s_waitcnt vmcnt(13)
	v_lshlrev_b32_e32 v67, 16, v52
	s_waitcnt vmcnt(8)
	v_lshlrev_b32_e32 v65, 16, v57
	v_and_b32_e32 v57, 0xffff0000, v57
	v_fmac_f32_e32 v49, v10, v65
	v_fmac_f32_e32 v50, v11, v57
	v_and_b32_e32 v52, 0xffff0000, v52
	v_fmac_f32_e32 v49, v14, v66
	v_fmac_f32_e32 v50, v15, v51
	v_lshlrev_b32_e32 v68, 16, v53
	v_and_b32_e32 v53, 0xffff0000, v53
	v_fmac_f32_e32 v49, v16, v67
	v_fmac_f32_e32 v50, v17, v52
	v_lshlrev_b32_e32 v69, 16, v54
	;; [unrolled: 4-line block ×4, first 2 shown]
	v_and_b32_e32 v56, 0xffff0000, v56
	v_fmac_f32_e32 v49, v22, v70
	v_fmac_f32_e32 v50, v23, v55
	s_waitcnt vmcnt(7)
	v_lshlrev_b32_e32 v72, 16, v58
	v_and_b32_e32 v58, 0xffff0000, v58
	v_fmac_f32_e32 v49, v24, v71
	v_fmac_f32_e32 v50, v25, v56
	s_waitcnt vmcnt(6)
	v_lshlrev_b32_e32 v73, 16, v59
	;; [unrolled: 5-line block ×8, first 2 shown]
	v_and_b32_e32 v48, 0xffff0000, v48
	v_fmac_f32_e32 v49, v39, v65
	v_fmac_f32_e32 v50, v40, v64
	;; [unrolled: 1-line block ×4, first 2 shown]
	v_add_f32_e32 v48, v49, v50
	ds_bpermute_b32 v49, v43, v48
	s_waitcnt lgkmcnt(0)
	v_add_f32_e32 v48, v48, v49
	ds_bpermute_b32 v49, v44, v48
	s_and_saveexec_b64 s[34:35], vcc
	s_cbranch_execz .LBB141_8
; %bb.10:                               ;   in Loop: Header=BB141_9 Depth=1
	v_add_u32_e32 v50, s15, v45
	v_cvt_f32_i32_e32 v50, v50
	s_waitcnt lgkmcnt(0)
	v_add_f32_e32 v48, v48, v49
	v_cmp_gt_i32_e64 s[8:9], s33, v45
	v_max_f32_e32 v49, v35, v35
	v_mul_f32_e32 v50, s10, v50
	v_cndmask_b32_e64 v50, 0, v50, s[0:1]
	v_fmac_f32_e32 v50, s11, v48
	v_cndmask_b32_e64 v48, 0, v50, s[8:9]
	ds_write_b32 v46, v48
	v_max_f32_e32 v48, v49, v50
	v_cndmask_b32_e64 v35, v35, v48, s[8:9]
	s_branch .LBB141_8
.LBB141_11:
	s_or_b64 exec, exec, s[30:31]
.LBB141_12:
	s_or_b64 exec, exec, s[28:29]
	v_xor_b32_e32 v2, 32, v7
	v_cmp_lt_i32_e32 vcc, v2, v8
	v_xor_b32_e32 v5, 16, v7
	v_max_f32_e32 v4, v35, v35
	v_cndmask_b32_e32 v2, v7, v2, vcc
	v_lshlrev_b32_e32 v2, 2, v2
	ds_bpermute_b32 v3, v2, v35
	v_cmp_lt_i32_e32 vcc, v5, v8
	v_xor_b32_e32 v10, 8, v7
	v_xor_b32_e32 v11, 4, v7
	v_and_b32_e32 v36, 63, v0
	s_waitcnt lgkmcnt(0)
	v_max_f32_e32 v3, v3, v3
	v_max_f32_e32 v4, v4, v3
	v_cndmask_b32_e32 v3, v7, v5, vcc
	v_lshlrev_b32_e32 v3, 2, v3
	ds_bpermute_b32 v5, v3, v4
	v_cmp_lt_i32_e32 vcc, v10, v8
	s_waitcnt lgkmcnt(0)
	v_max_f32_e32 v5, v5, v5
	v_max_f32_e32 v4, v4, v5
	v_cndmask_b32_e32 v5, v7, v10, vcc
	v_lshlrev_b32_e32 v10, 2, v5
	ds_bpermute_b32 v5, v10, v4
	v_cmp_lt_i32_e32 vcc, v11, v8
	s_waitcnt lgkmcnt(0)
	v_max_f32_e32 v5, v5, v5
	v_max_f32_e32 v5, v4, v5
	v_cndmask_b32_e32 v4, v7, v11, vcc
	v_lshlrev_b32_e32 v11, 2, v4
	ds_bpermute_b32 v12, v11, v5
	v_cmp_eq_u32_e32 vcc, 0, v36
	v_lshlrev_b32_e32 v4, 2, v1
	s_and_saveexec_b64 s[0:1], vcc
	s_cbranch_execz .LBB141_14
; %bb.13:
	s_waitcnt lgkmcnt(0)
	v_max_f32_e32 v12, v12, v12
	v_max_f32_e32 v5, v5, v5
	;; [unrolled: 1-line block ×3, first 2 shown]
	ds_write_b32 v4, v5 offset:256
.LBB141_14:
	s_or_b64 exec, exec, s[0:1]
	v_cmp_gt_u32_e64 s[0:1], 2, v36
	s_waitcnt lgkmcnt(0)
	v_mov_b32_e32 v12, 0xff7fffff
	v_lshlrev_b32_e32 v5, 2, v36
	s_barrier
	s_and_saveexec_b64 s[8:9], s[0:1]
; %bb.15:
	ds_read_b32 v12, v5 offset:256
; %bb.16:
	s_or_b64 exec, exec, s[8:9]
	v_xor_b32_e32 v13, 1, v7
	v_cmp_lt_i32_e64 s[8:9], v13, v8
	v_lshlrev_b32_e32 v9, 2, v9
	s_nop 0
	v_cndmask_b32_e64 v13, v7, v13, s[8:9]
	v_lshlrev_b32_e32 v37, 2, v13
	s_waitcnt lgkmcnt(0)
	ds_bpermute_b32 v13, v37, v12
	v_max_f32_e32 v12, v12, v12
	s_lshl_b32 s8, s19, 4
	s_min_i32 s12, s8, s33
	v_cmp_gt_i32_e64 s[8:9], s12, v0
	s_waitcnt lgkmcnt(0)
	v_max_f32_e32 v13, v13, v13
	v_max_f32_e32 v12, v12, v13
	ds_bpermute_b32 v12, v9, v12
	v_mov_b32_e32 v9, 0
	s_and_saveexec_b64 s[28:29], s[8:9]
	s_cbranch_execz .LBB141_20
; %bb.17:
	v_mov_b32_e32 v9, 0x110
	v_lshl_add_u32 v13, v0, 2, v9
	v_mov_b32_e32 v9, 0
	s_mov_b64 s[30:31], 0
	v_mov_b32_e32 v14, v0
.LBB141_18:                             ; =>This Inner Loop Header: Depth=1
	ds_read_b32 v15, v13
	v_add_u32_e32 v14, 0x80, v14
	v_cmp_le_i32_e64 s[10:11], s12, v14
	s_or_b64 s[30:31], s[10:11], s[30:31]
	s_waitcnt lgkmcnt(0)
	v_sub_f32_e32 v15, v15, v12
	v_mul_f32_e32 v15, 0x3fb8aa3b, v15
	v_exp_f32_e32 v15, v15
	ds_write_b32 v13, v15
	v_add_f32_e32 v9, v9, v15
	v_add_u32_e32 v13, 0x200, v13
	s_andn2_b64 exec, exec, s[30:31]
	s_cbranch_execnz .LBB141_18
; %bb.19:
	s_or_b64 exec, exec, s[30:31]
.LBB141_20:
	s_or_b64 exec, exec, s[28:29]
	ds_bpermute_b32 v2, v2, v9
	s_waitcnt lgkmcnt(0)
	v_add_f32_e32 v2, v9, v2
	ds_bpermute_b32 v3, v3, v2
	v_xor_b32_e32 v9, 2, v7
	v_cmp_lt_i32_e64 s[10:11], v9, v8
	s_waitcnt lgkmcnt(0)
	v_add_f32_e32 v2, v2, v3
	ds_bpermute_b32 v3, v10, v2
	v_cndmask_b32_e64 v8, v7, v9, s[10:11]
	s_waitcnt lgkmcnt(0)
	v_add_f32_e32 v2, v2, v3
	ds_bpermute_b32 v3, v11, v2
	s_waitcnt lgkmcnt(0)
	v_add_f32_e32 v2, v2, v3
	v_lshlrev_b32_e32 v3, 2, v8
	ds_bpermute_b32 v3, v3, v2
	s_waitcnt lgkmcnt(0)
	v_add_f32_e32 v2, v2, v3
	ds_bpermute_b32 v3, v37, v2
	s_waitcnt lgkmcnt(0)
	v_add_f32_e32 v2, v2, v3
	s_and_saveexec_b64 s[10:11], vcc
; %bb.21:
	ds_write_b32 v4, v2 offset:264
; %bb.22:
	s_or_b64 exec, exec, s[10:11]
	s_waitcnt lgkmcnt(0)
	s_barrier
	s_and_saveexec_b64 s[10:11], s[0:1]
; %bb.23:
	ds_read_b32 v2, v5 offset:264
; %bb.24:
	s_or_b64 exec, exec, s[10:11]
	s_waitcnt lgkmcnt(0)
	ds_bpermute_b32 v3, v37, v2
	v_lshlrev_b32_e32 v4, 2, v7
	s_waitcnt lgkmcnt(0)
	v_add_f32_e32 v2, v2, v3
	v_and_b32_e32 v3, 0xffffff00, v4
	ds_bpermute_b32 v2, v3, v2
	s_and_saveexec_b64 s[0:1], s[8:9]
	s_cbranch_execz .LBB141_37
; %bb.25:
	s_waitcnt lgkmcnt(0)
	v_add_f32_e32 v2, 0x358637bd, v2
	v_div_scale_f32 v3, s[8:9], v2, v2, 1.0
	v_rcp_f32_e32 v4, v3
	v_div_scale_f32 v5, vcc, 1.0, v2, 1.0
	s_movk_i32 s8, 0x7f
	v_fma_f32 v7, -v3, v4, 1.0
	v_fmac_f32_e32 v4, v7, v4
	v_mul_f32_e32 v7, v5, v4
	v_fma_f32 v8, -v3, v7, v5
	v_fmac_f32_e32 v7, v8, v4
	v_fma_f32 v3, -v3, v7, v5
	v_div_fmas_f32 v3, v3, v4, v7
	v_xad_u32 v4, v0, -1, s12
	v_div_fixup_f32 v2, v3, v2, 1.0
	v_cmp_lt_u32_e32 vcc, s8, v4
	s_mov_b64 s[10:11], -1
	v_mov_b32_e32 v3, v0
	s_and_saveexec_b64 s[8:9], vcc
	s_cbranch_execz .LBB141_34
; %bb.26:
	v_lshrrev_b32_e32 v4, 7, v4
	v_add_u32_e32 v7, -1, v4
	v_lshrrev_b32_e32 v5, 1, v7
	v_mov_b32_e32 v3, v2
	v_add_u32_e32 v5, 1, v5
	v_cmp_lt_u32_e32 vcc, 13, v7
	v_mov_b32_e32 v9, 0
	s_and_saveexec_b64 s[10:11], vcc
	s_cbranch_execz .LBB141_30
; %bb.27:
	v_mov_b32_e32 v8, 0x110
	v_and_b32_e32 v7, -8, v5
	v_lshl_add_u32 v8, v0, 2, v8
	s_mov_b32 s15, 0
	s_mov_b64 s[28:29], 0
.LBB141_28:                             ; =>This Inner Loop Header: Depth=1
	ds_read2st64_b32 v[10:11], v8 offset1:2
	ds_read2st64_b32 v[12:13], v8 offset0:4 offset1:6
	ds_read2st64_b32 v[14:15], v8 offset0:8 offset1:10
	ds_read2st64_b32 v[16:17], v8 offset0:12 offset1:14
	v_add_u32_e32 v7, -8, v7
	s_waitcnt lgkmcnt(3)
	v_pk_mul_f32 v[10:11], v[2:3], v[10:11]
	s_waitcnt lgkmcnt(2)
	v_pk_mul_f32 v[12:13], v[2:3], v[12:13]
	ds_write2st64_b32 v8, v10, v11 offset1:2
	ds_write2st64_b32 v8, v12, v13 offset0:4 offset1:6
	ds_read2st64_b32 v[12:13], v8 offset0:16 offset1:18
	s_waitcnt lgkmcnt(4)
	v_pk_mul_f32 v[10:11], v[2:3], v[14:15]
	ds_write2st64_b32 v8, v10, v11 offset0:8 offset1:10
	s_waitcnt lgkmcnt(4)
	v_pk_mul_f32 v[10:11], v[2:3], v[16:17]
	ds_write2st64_b32 v8, v10, v11 offset0:12 offset1:14
	ds_read2st64_b32 v[10:11], v8 offset0:20 offset1:22
	s_waitcnt lgkmcnt(3)
	v_pk_mul_f32 v[12:13], v[2:3], v[12:13]
	ds_read2st64_b32 v[14:15], v8 offset0:24 offset1:26
	ds_write2st64_b32 v8, v12, v13 offset0:16 offset1:18
	ds_read2st64_b32 v[12:13], v8 offset0:28 offset1:30
	s_waitcnt lgkmcnt(3)
	v_pk_mul_f32 v[10:11], v[2:3], v[10:11]
	ds_write2st64_b32 v8, v10, v11 offset0:20 offset1:22
	s_waitcnt lgkmcnt(3)
	v_pk_mul_f32 v[10:11], v[2:3], v[14:15]
	ds_write2st64_b32 v8, v10, v11 offset0:24 offset1:26
	s_waitcnt lgkmcnt(2)
	v_pk_mul_f32 v[10:11], v[2:3], v[12:13]
	s_add_i32 s15, s15, 16
	v_cmp_eq_u32_e32 vcc, 0, v7
	ds_write2st64_b32 v8, v10, v11 offset0:28 offset1:30
	v_add_u32_e32 v8, 0x2000, v8
	s_or_b64 s[28:29], vcc, s[28:29]
	v_mov_b32_e32 v9, s15
	s_andn2_b64 exec, exec, s[28:29]
	s_cbranch_execnz .LBB141_28
; %bb.29:
	s_or_b64 exec, exec, s[28:29]
.LBB141_30:
	s_or_b64 exec, exec, s[10:11]
	v_and_b32_e32 v5, 7, v5
	v_cmp_ne_u32_e32 vcc, 0, v5
	s_and_saveexec_b64 s[10:11], vcc
	s_cbranch_execz .LBB141_33
; %bb.31:
	v_lshlrev_b32_e32 v7, 9, v9
	v_lshlrev_b32_e32 v8, 2, v0
	s_movk_i32 s15, 0x110
	v_add3_u32 v7, v7, v8, s15
	s_mov_b64 s[28:29], 0
.LBB141_32:                             ; =>This Inner Loop Header: Depth=1
	ds_read2st64_b32 v[8:9], v7 offset1:2
	v_add_u32_e32 v5, -1, v5
	v_cmp_eq_u32_e32 vcc, 0, v5
	s_or_b64 s[28:29], vcc, s[28:29]
	s_waitcnt lgkmcnt(0)
	v_pk_mul_f32 v[8:9], v[2:3], v[8:9]
	ds_write2st64_b32 v7, v8, v9 offset1:2
	v_add_u32_e32 v7, 0x400, v7
	s_andn2_b64 exec, exec, s[28:29]
	s_cbranch_execnz .LBB141_32
.LBB141_33:
	s_or_b64 exec, exec, s[10:11]
	v_add_u32_e32 v4, 1, v4
	v_and_b32_e32 v5, 0x3fffffe, v4
	v_cmp_ne_u32_e32 vcc, v4, v5
	v_lshl_add_u32 v3, v5, 7, v0
	s_orn2_b64 s[10:11], vcc, exec
.LBB141_34:
	s_or_b64 exec, exec, s[8:9]
	s_and_b64 exec, exec, s[10:11]
	s_cbranch_execz .LBB141_37
; %bb.35:
	v_mov_b32_e32 v4, 0x110
	v_lshl_add_u32 v4, v3, 2, v4
	s_mov_b64 s[8:9], 0
.LBB141_36:                             ; =>This Inner Loop Header: Depth=1
	ds_read_b32 v5, v4
	v_add_u32_e32 v3, 0x80, v3
	v_cmp_le_i32_e32 vcc, s12, v3
	s_or_b64 s[8:9], vcc, s[8:9]
	s_waitcnt lgkmcnt(0)
	v_mul_f32_e32 v5, v2, v5
	ds_write_b32 v4, v5
	v_add_u32_e32 v4, 0x200, v4
	s_andn2_b64 exec, exec, s[8:9]
	s_cbranch_execnz .LBB141_36
.LBB141_37:
	s_or_b64 exec, exec, s[0:1]
	v_mov_b32_e32 v27, 0
	v_and_b32_e32 v38, 1, v0
	v_mov_b32_e32 v26, v27
	v_mov_b32_e32 v29, v27
	;; [unrolled: 1-line block ×3, first 2 shown]
	s_waitcnt lgkmcnt(0)
	s_barrier
	s_and_saveexec_b64 s[8:9], s[2:3]
	s_cbranch_execz .LBB141_49
; %bb.38:
	s_ashr_i32 s15, s14, 31
	s_lshl_b64 s[0:1], s[14:15], 1
	s_add_u32 s0, s26, s0
	v_lshlrev_b32_e32 v3, 4, v0
	v_lshlrev_b32_e32 v2, 3, v0
	s_addc_u32 s1, s27, s1
	v_and_b32_e32 v30, 0x3f0, v3
	v_mov_b32_e32 v31, 0
	v_and_b32_e32 v2, 8, v2
	s_add_i32 s14, s19, -1
	v_lshl_add_u64 v[32:33], s[0:1], 0, v[30:31]
	s_lshl_b64 s[0:1], s[24:25], 2
	v_lshl_or_b32 v39, v1, 4, v2
	v_lshlrev_b32_e32 v2, 5, v38
	s_add_u32 s0, s22, s0
	v_lshl_or_b32 v2, v1, 6, v2
	v_and_b32_e32 v30, 60, v6
	s_addc_u32 s1, s23, s1
	s_mov_b32 s28, s13
	s_mov_b32 s15, s33
	v_add_u32_e32 v40, 0x110, v2
	v_lshl_add_u64 v[34:35], s[0:1], 0, v[30:31]
	s_mov_b64 s[10:11], 0
	s_mov_b32 s22, 0x5040100
	v_mov_b32_e32 v27, 0
	v_mov_b32_e32 v26, 0
	;; [unrolled: 1-line block ×4, first 2 shown]
	s_branch .LBB141_40
.LBB141_39:                             ;   in Loop: Header=BB141_40 Depth=1
	s_or_b64 exec, exec, s[2:3]
	s_waitcnt lgkmcnt(1)
	v_cvt_pk_bf16_f32 v14, v14, s0
	v_cvt_pk_bf16_f32 v15, v15, s0
	;; [unrolled: 1-line block ×4, first 2 shown]
	s_waitcnt vmcnt(1)
	v_and_b32_e32 v30, 0xffff0000, v22
	v_lshlrev_b32_e32 v15, 16, v15
	v_lshlrev_b32_e32 v22, 16, v22
	;; [unrolled: 1-line block ×3, first 2 shown]
	v_mul_f32_e32 v30, v15, v30
	v_mul_f32_e32 v22, v14, v22
	v_and_b32_e32 v41, 0xffff0000, v23
	v_lshlrev_b32_e32 v17, 16, v17
	v_lshlrev_b32_e32 v23, 16, v23
	;; [unrolled: 1-line block ×3, first 2 shown]
	s_waitcnt lgkmcnt(0)
	v_cvt_pk_bf16_f32 v10, v10, s0
	v_cvt_pk_bf16_f32 v11, v11, s0
	;; [unrolled: 1-line block ×4, first 2 shown]
	v_mul_f32_e32 v41, v17, v41
	v_mul_f32_e32 v23, v16, v23
	v_cvt_pk_bf16_f32 v41, v41, s0
	v_cvt_pk_bf16_f32 v23, v23, s0
	v_and_b32_e32 v42, 0xffff0000, v24
	v_lshlrev_b32_e32 v11, 16, v11
	v_lshlrev_b32_e32 v24, 16, v24
	;; [unrolled: 1-line block ×5, first 2 shown]
	v_cvt_pk_bf16_f32 v12, v12, s0
	v_cvt_pk_bf16_f32 v13, v13, s0
	v_mul_f32_e32 v42, v11, v42
	v_mul_f32_e32 v24, v10, v24
	v_add_f32_e32 v22, v22, v30
	v_lshlrev_b32_e32 v23, 16, v23
	v_lshlrev_b32_e32 v30, 16, v41
	v_cvt_pk_bf16_f32 v42, v42, s0
	v_cvt_pk_bf16_f32 v24, v24, s0
	v_and_b32_e32 v43, 0xffff0000, v25
	v_lshlrev_b32_e32 v13, 16, v13
	v_lshlrev_b32_e32 v25, 16, v25
	;; [unrolled: 1-line block ×3, first 2 shown]
	v_add_f32_e32 v23, v23, v30
	v_mul_f32_e32 v43, v13, v43
	v_mul_f32_e32 v25, v12, v25
	v_add_f32_e32 v22, v23, v22
	v_lshlrev_b32_e32 v23, 16, v24
	v_lshlrev_b32_e32 v24, 16, v42
	v_cvt_pk_bf16_f32 v43, v43, s0
	v_cvt_pk_bf16_f32 v25, v25, s0
	v_add_f32_e32 v23, v23, v24
	v_add_f32_e32 v22, v23, v22
	v_lshlrev_b32_e32 v23, 16, v25
	v_lshlrev_b32_e32 v24, 16, v43
	v_add_f32_e32 v23, v23, v24
	v_add_f32_e32 v22, v23, v22
	;; [unrolled: 1-line block ×3, first 2 shown]
	v_and_b32_e32 v22, 0xffff0000, v6
	v_lshlrev_b32_e32 v6, 16, v6
	v_mul_f32_e32 v22, v15, v22
	v_mul_f32_e32 v6, v14, v6
	v_and_b32_e32 v23, 0xffff0000, v7
	v_lshlrev_b32_e32 v7, 16, v7
	v_cvt_pk_bf16_f32 v22, v22, s0
	v_cvt_pk_bf16_f32 v6, v6, s0
	v_mul_f32_e32 v23, v17, v23
	v_mul_f32_e32 v7, v16, v7
	v_cvt_pk_bf16_f32 v23, v23, s0
	v_cvt_pk_bf16_f32 v7, v7, s0
	v_and_b32_e32 v24, 0xffff0000, v8
	v_lshlrev_b32_e32 v8, 16, v8
	v_lshlrev_b32_e32 v6, 16, v6
	;; [unrolled: 1-line block ×3, first 2 shown]
	v_mul_f32_e32 v24, v11, v24
	v_mul_f32_e32 v8, v10, v8
	v_add_f32_e32 v6, v6, v22
	v_lshlrev_b32_e32 v7, 16, v7
	v_lshlrev_b32_e32 v22, 16, v23
	v_cvt_pk_bf16_f32 v24, v24, s0
	v_cvt_pk_bf16_f32 v8, v8, s0
	v_and_b32_e32 v25, 0xffff0000, v9
	v_lshlrev_b32_e32 v9, 16, v9
	v_add_f32_e32 v7, v7, v22
	v_mul_f32_e32 v25, v13, v25
	v_mul_f32_e32 v9, v12, v9
	v_add_f32_e32 v6, v7, v6
	v_lshlrev_b32_e32 v7, 16, v8
	v_lshlrev_b32_e32 v8, 16, v24
	v_cvt_pk_bf16_f32 v25, v25, s0
	v_cvt_pk_bf16_f32 v9, v9, s0
	v_add_f32_e32 v7, v7, v8
	v_add_f32_e32 v6, v7, v6
	v_lshlrev_b32_e32 v7, 16, v9
	v_lshlrev_b32_e32 v8, 16, v25
	v_add_f32_e32 v7, v7, v8
	v_add_f32_e32 v6, v7, v6
	;; [unrolled: 1-line block ×3, first 2 shown]
	v_and_b32_e32 v6, 0xffff0000, v2
	v_lshlrev_b32_e32 v2, 16, v2
	v_mul_f32_e32 v6, v15, v6
	v_mul_f32_e32 v2, v14, v2
	v_and_b32_e32 v7, 0xffff0000, v3
	v_lshlrev_b32_e32 v3, 16, v3
	v_cvt_pk_bf16_f32 v6, v6, s0
	v_cvt_pk_bf16_f32 v2, v2, s0
	v_mul_f32_e32 v7, v17, v7
	v_mul_f32_e32 v3, v16, v3
	v_cvt_pk_bf16_f32 v7, v7, s0
	v_cvt_pk_bf16_f32 v3, v3, s0
	v_and_b32_e32 v8, 0xffff0000, v4
	v_lshlrev_b32_e32 v4, 16, v4
	v_lshlrev_b32_e32 v2, 16, v2
	v_lshlrev_b32_e32 v6, 16, v6
	v_mul_f32_e32 v8, v11, v8
	v_mul_f32_e32 v4, v10, v4
	v_add_f32_e32 v2, v2, v6
	v_lshlrev_b32_e32 v3, 16, v3
	v_lshlrev_b32_e32 v6, 16, v7
	v_cvt_pk_bf16_f32 v8, v8, s0
	v_cvt_pk_bf16_f32 v4, v4, s0
	v_and_b32_e32 v9, 0xffff0000, v5
	v_lshlrev_b32_e32 v5, 16, v5
	v_add_f32_e32 v3, v3, v6
	v_mul_f32_e32 v5, v12, v5
	v_add_f32_e32 v2, v3, v2
	v_lshlrev_b32_e32 v3, 16, v4
	v_lshlrev_b32_e32 v4, 16, v8
	v_cvt_pk_bf16_f32 v5, v5, s0
	v_add_f32_e32 v3, v3, v4
	v_add_f32_e32 v2, v3, v2
	v_lshlrev_b32_e32 v3, 16, v5
	s_waitcnt vmcnt(0)
	v_and_b32_e32 v5, 0xffff0000, v19
	v_mul_f32_e32 v5, v17, v5
	v_mul_f32_e32 v9, v13, v9
	v_cvt_pk_bf16_f32 v6, v5, s0
	v_lshlrev_b32_e32 v5, 16, v20
	v_cvt_pk_bf16_f32 v9, v9, s0
	v_mul_f32_e32 v5, v10, v5
	v_lshlrev_b32_e32 v4, 16, v9
	v_cvt_pk_bf16_f32 v7, v5, s0
	v_and_b32_e32 v5, 0xffff0000, v20
	v_add_f32_e32 v3, v3, v4
	v_mul_f32_e32 v5, v11, v5
	v_add_f32_e32 v2, v3, v2
	v_cvt_pk_bf16_f32 v8, v5, s0
	v_lshlrev_b32_e32 v5, 16, v21
	v_add_f32_e32 v28, v28, v2
	v_lshlrev_b32_e32 v2, 16, v18
	v_and_b32_e32 v3, 0xffff0000, v18
	v_lshlrev_b32_e32 v4, 16, v19
	v_mul_f32_e32 v5, v12, v5
	v_mul_f32_e32 v2, v14, v2
	;; [unrolled: 1-line block ×4, first 2 shown]
	v_cvt_pk_bf16_f32 v9, v5, s0
	v_and_b32_e32 v5, 0xffff0000, v21
	v_cvt_pk_bf16_f32 v2, v2, s0
	v_cvt_pk_bf16_f32 v3, v3, s0
	;; [unrolled: 1-line block ×3, first 2 shown]
	v_mul_f32_e32 v5, v13, v5
	v_cvt_pk_bf16_f32 v10, v5, s0
	v_lshlrev_b32_e32 v3, 16, v3
	v_lshlrev_b32_e32 v5, 16, v2
	v_lshlrev_b32_e32 v2, 16, v6
	v_lshlrev_b32_e32 v4, 16, v4
	v_pk_add_f32 v[2:3], v[4:5], v[2:3]
	v_lshlrev_b32_e32 v5, 16, v8
	v_lshlrev_b32_e32 v7, 16, v7
	;; [unrolled: 1-line block ×4, first 2 shown]
	v_pk_add_f32 v[4:5], v[6:7], v[4:5]
	v_add_f32_e32 v2, v2, v3
	v_add_f32_e32 v2, v5, v2
	v_add_u32_e32 v1, 2, v1
	v_add_f32_e32 v2, v4, v2
	v_cmp_le_i32_e32 vcc, s19, v1
	v_add_f32_e32 v27, v27, v2
	v_add_u32_e32 v39, 32, v39
	v_add_u32_e32 v40, 0x80, v40
	s_or_b64 s[10:11], vcc, s[10:11]
	v_lshl_add_u64 v[34:35], v[34:35], 0, 8
	s_andn2_b64 exec, exec, s[10:11]
	s_cbranch_execz .LBB141_48
.LBB141_40:                             ; =>This Inner Loop Header: Depth=1
	global_load_dword v2, v[34:35], off
	v_add_u32_e32 v46, 1, v39
	v_or_b32_e32 v44, 3, v39
	v_or_b32_e32 v45, 2, v39
	;; [unrolled: 1-line block ×6, first 2 shown]
	s_waitcnt vmcnt(0)
	v_mad_i64_i32 v[2:3], s[0:1], v2, s28, 0
	v_lshl_add_u64 v[18:19], v[2:3], 1, v[32:33]
	global_load_dwordx4 v[2:5], v[18:19], off
	ds_read2_b64 v[14:17], v40 offset1:1
	ds_read2_b64 v[10:13], v40 offset0:2 offset1:3
	v_cmp_eq_u32_e64 s[0:1], s14, v1
	s_and_saveexec_b64 s[12:13], s[0:1]
	s_cbranch_execnz .LBB141_44
; %bb.41:                               ;   in Loop: Header=BB141_40 Depth=1
	s_or_b64 exec, exec, s[12:13]
	global_load_dwordx4 v[6:9], v[18:19], off offset:1024
	s_and_saveexec_b64 s[12:13], s[0:1]
	s_cbranch_execnz .LBB141_45
.LBB141_42:                             ;   in Loop: Header=BB141_40 Depth=1
	s_or_b64 exec, exec, s[12:13]
	global_load_dwordx4 v[22:25], v[18:19], off offset:2048
	s_and_saveexec_b64 s[12:13], s[0:1]
	s_cbranch_execnz .LBB141_46
.LBB141_43:                             ;   in Loop: Header=BB141_40 Depth=1
	s_or_b64 exec, exec, s[12:13]
	global_load_dwordx4 v[18:21], v[18:19], off offset:3072
	s_and_saveexec_b64 s[2:3], s[0:1]
	s_cbranch_execz .LBB141_39
	s_branch .LBB141_47
.LBB141_44:                             ;   in Loop: Header=BB141_40 Depth=1
	v_cmp_gt_i32_e32 vcc, s15, v46
	v_cmp_gt_i32_e64 s[2:3], s33, v45
	s_waitcnt vmcnt(0)
	v_cndmask_b32_sdwa v6, v31, v2, vcc dst_sel:DWORD dst_unused:UNUSED_PAD src0_sel:DWORD src1_sel:WORD_1
	v_cmp_gt_i32_e32 vcc, s33, v39
	s_nop 1
	v_cndmask_b32_e32 v2, 0, v2, vcc
	v_cmp_gt_i32_e32 vcc, s15, v44
	v_perm_b32 v2, v6, v2, s22
	v_cndmask_b32_e64 v6, 0, v3, s[2:3]
	v_cndmask_b32_sdwa v3, v31, v3, vcc dst_sel:DWORD dst_unused:UNUSED_PAD src0_sel:DWORD src1_sel:WORD_1
	v_cmp_gt_i32_e32 vcc, s15, v42
	v_cmp_gt_i32_e64 s[2:3], s33, v43
	v_perm_b32 v3, v3, v6, s22
	s_nop 0
	v_cndmask_b32_e64 v6, 0, v4, s[2:3]
	v_cndmask_b32_sdwa v4, v31, v4, vcc dst_sel:DWORD dst_unused:UNUSED_PAD src0_sel:DWORD src1_sel:WORD_1
	v_cmp_gt_i32_e32 vcc, s15, v30
	v_cmp_gt_i32_e64 s[2:3], s33, v41
	v_perm_b32 v4, v4, v6, s22
	s_nop 0
	v_cndmask_b32_e64 v6, 0, v5, s[2:3]
	v_cndmask_b32_sdwa v5, v31, v5, vcc dst_sel:DWORD dst_unused:UNUSED_PAD src0_sel:DWORD src1_sel:WORD_1
	v_perm_b32 v5, v5, v6, s22
	s_or_b64 exec, exec, s[12:13]
	global_load_dwordx4 v[6:9], v[18:19], off offset:1024
	s_and_saveexec_b64 s[12:13], s[0:1]
	s_cbranch_execz .LBB141_42
.LBB141_45:                             ;   in Loop: Header=BB141_40 Depth=1
	v_cmp_gt_i32_e32 vcc, s15, v46
	v_cmp_gt_i32_e64 s[2:3], s33, v45
	s_waitcnt vmcnt(0)
	v_cndmask_b32_sdwa v20, v31, v6, vcc dst_sel:DWORD dst_unused:UNUSED_PAD src0_sel:DWORD src1_sel:WORD_1
	v_cmp_gt_i32_e32 vcc, s33, v39
	s_nop 1
	v_cndmask_b32_e32 v6, 0, v6, vcc
	v_cmp_gt_i32_e32 vcc, s15, v44
	v_perm_b32 v6, v20, v6, s22
	v_cndmask_b32_e64 v20, 0, v7, s[2:3]
	v_cndmask_b32_sdwa v7, v31, v7, vcc dst_sel:DWORD dst_unused:UNUSED_PAD src0_sel:DWORD src1_sel:WORD_1
	v_cmp_gt_i32_e32 vcc, s15, v42
	v_cmp_gt_i32_e64 s[2:3], s33, v43
	v_perm_b32 v7, v7, v20, s22
	s_nop 0
	v_cndmask_b32_e64 v20, 0, v8, s[2:3]
	v_cndmask_b32_sdwa v8, v31, v8, vcc dst_sel:DWORD dst_unused:UNUSED_PAD src0_sel:DWORD src1_sel:WORD_1
	v_cmp_gt_i32_e32 vcc, s15, v30
	v_cmp_gt_i32_e64 s[2:3], s33, v41
	v_perm_b32 v8, v8, v20, s22
	s_nop 0
	v_cndmask_b32_e64 v20, 0, v9, s[2:3]
	v_cndmask_b32_sdwa v9, v31, v9, vcc dst_sel:DWORD dst_unused:UNUSED_PAD src0_sel:DWORD src1_sel:WORD_1
	v_perm_b32 v9, v9, v20, s22
	s_or_b64 exec, exec, s[12:13]
	global_load_dwordx4 v[22:25], v[18:19], off offset:2048
	s_and_saveexec_b64 s[12:13], s[0:1]
	s_cbranch_execz .LBB141_43
.LBB141_46:                             ;   in Loop: Header=BB141_40 Depth=1
	v_cmp_gt_i32_e32 vcc, s15, v46
	v_cmp_gt_i32_e64 s[2:3], s33, v45
	s_waitcnt vmcnt(0)
	v_cndmask_b32_sdwa v20, v31, v22, vcc dst_sel:DWORD dst_unused:UNUSED_PAD src0_sel:DWORD src1_sel:WORD_1
	v_cmp_gt_i32_e32 vcc, s33, v39
	s_nop 1
	v_cndmask_b32_e32 v21, 0, v22, vcc
	v_cmp_gt_i32_e32 vcc, s15, v44
	v_perm_b32 v22, v20, v21, s22
	v_cndmask_b32_e64 v20, 0, v23, s[2:3]
	v_cndmask_b32_sdwa v21, v31, v23, vcc dst_sel:DWORD dst_unused:UNUSED_PAD src0_sel:DWORD src1_sel:WORD_1
	v_cmp_gt_i32_e32 vcc, s15, v42
	v_cmp_gt_i32_e64 s[2:3], s33, v43
	v_perm_b32 v23, v21, v20, s22
	v_cndmask_b32_sdwa v21, v31, v24, vcc dst_sel:DWORD dst_unused:UNUSED_PAD src0_sel:DWORD src1_sel:WORD_1
	v_cndmask_b32_e64 v20, 0, v24, s[2:3]
	v_cmp_gt_i32_e32 vcc, s15, v30
	v_cmp_gt_i32_e64 s[2:3], s33, v41
	v_perm_b32 v24, v21, v20, s22
	v_cndmask_b32_sdwa v21, v31, v25, vcc dst_sel:DWORD dst_unused:UNUSED_PAD src0_sel:DWORD src1_sel:WORD_1
	v_cndmask_b32_e64 v20, 0, v25, s[2:3]
	v_perm_b32 v25, v21, v20, s22
	s_or_b64 exec, exec, s[12:13]
	global_load_dwordx4 v[18:21], v[18:19], off offset:3072
	s_and_saveexec_b64 s[2:3], s[0:1]
	s_cbranch_execz .LBB141_39
.LBB141_47:                             ;   in Loop: Header=BB141_40 Depth=1
	v_cmp_gt_i32_e32 vcc, s15, v46
	v_cmp_gt_i32_e64 s[0:1], s33, v45
	s_waitcnt vmcnt(0)
	v_cndmask_b32_sdwa v46, v31, v18, vcc dst_sel:DWORD dst_unused:UNUSED_PAD src0_sel:DWORD src1_sel:WORD_1
	v_cmp_gt_i32_e32 vcc, s33, v39
	s_nop 1
	v_cndmask_b32_e32 v18, 0, v18, vcc
	v_cmp_gt_i32_e32 vcc, s15, v44
	v_cndmask_b32_e64 v44, 0, v19, s[0:1]
	v_cmp_gt_i32_e64 s[0:1], s33, v43
	v_cndmask_b32_sdwa v19, v31, v19, vcc dst_sel:DWORD dst_unused:UNUSED_PAD src0_sel:DWORD src1_sel:WORD_1
	v_cmp_gt_i32_e32 vcc, s15, v42
	v_cndmask_b32_e64 v42, 0, v20, s[0:1]
	v_cmp_gt_i32_e64 s[0:1], s33, v41
	v_cndmask_b32_sdwa v20, v31, v20, vcc dst_sel:DWORD dst_unused:UNUSED_PAD src0_sel:DWORD src1_sel:WORD_1
	v_cmp_gt_i32_e32 vcc, s15, v30
	v_cndmask_b32_e64 v30, 0, v21, s[0:1]
	v_perm_b32 v18, v46, v18, s22
	v_cndmask_b32_sdwa v21, v31, v21, vcc dst_sel:DWORD dst_unused:UNUSED_PAD src0_sel:DWORD src1_sel:WORD_1
	v_perm_b32 v19, v19, v44, s22
	v_perm_b32 v20, v20, v42, s22
	;; [unrolled: 1-line block ×3, first 2 shown]
	s_branch .LBB141_39
.LBB141_48:
	s_or_b64 exec, exec, s[10:11]
.LBB141_49:
	s_or_b64 exec, exec, s[8:9]
	ds_bpermute_b32 v2, v37, v28
	ds_bpermute_b32 v3, v37, v29
	;; [unrolled: 1-line block ×4, first 2 shown]
	v_and_b32_e32 v1, 0x3c1, v0
	v_cmp_ne_u32_e32 vcc, 64, v1
	s_waitcnt lgkmcnt(2)
	v_pk_add_f32 v[2:3], v[28:29], v[2:3]
	s_waitcnt lgkmcnt(0)
	s_barrier
	s_and_saveexec_b64 s[0:1], vcc
	s_xor_b64 s[0:1], exec, s[0:1]
; %bb.50:
                                        ; implicit-def: $vgpr36
; %bb.51:
	s_or_saveexec_b64 s[0:1], s[0:1]
	v_pk_add_f32 v[4:5], v[26:27], v[4:5]
	s_xor_b64 exec, exec, s[0:1]
	s_cbranch_execz .LBB141_53
; %bb.52:
	v_mov_b32_e32 v6, 0x110
	v_lshl_add_u32 v6, v36, 1, v6
	ds_write2_b32 v6, v2, v3 offset1:32
	ds_write2_b32 v6, v4, v5 offset0:64 offset1:96
.LBB141_53:
	s_or_b64 exec, exec, s[0:1]
	v_lshrrev_b32_e32 v0, 1, v0
	s_waitcnt lgkmcnt(0)
	s_barrier
	s_and_saveexec_b64 s[0:1], s[6:7]
	s_cbranch_execz .LBB141_60
; %bb.54:
	v_mov_b32_e32 v6, 0x110
	v_cmp_eq_u32_e32 vcc, 0, v38
	v_lshl_add_u32 v6, v0, 2, v6
	s_and_saveexec_b64 s[2:3], vcc
	s_cbranch_execnz .LBB141_63
; %bb.55:
	s_or_b64 exec, exec, s[2:3]
	s_and_saveexec_b64 s[2:3], vcc
	s_cbranch_execnz .LBB141_64
.LBB141_56:
	s_or_b64 exec, exec, s[2:3]
	s_and_saveexec_b64 s[2:3], vcc
	s_cbranch_execnz .LBB141_65
.LBB141_57:
	s_or_b64 exec, exec, s[2:3]
	s_and_saveexec_b64 s[2:3], vcc
	s_cbranch_execz .LBB141_59
.LBB141_58:
	ds_read_b32 v6, v6 offset:384
	s_waitcnt lgkmcnt(0)
	v_add_f32_e32 v5, v5, v6
.LBB141_59:
	s_or_b64 exec, exec, s[2:3]
.LBB141_60:
	s_or_b64 exec, exec, s[0:1]
	v_cmp_eq_u32_e32 vcc, 0, v1
	s_barrier
	s_and_saveexec_b64 s[0:1], vcc
	s_cbranch_execz .LBB141_62
; %bb.61:
	s_mul_i32 s0, s16, s17
	s_mul_i32 s0, s0, s5
	s_lshl_b32 s0, s0, 7
	s_ashr_i32 s1, s0, 31
	s_lshl_b64 s[0:1], s[0:1], 1
	s_add_u32 s2, s20, s0
	s_mul_i32 s0, s17, s18
	s_addc_u32 s3, s21, s1
	s_ashr_i32 s1, s0, 31
	s_lshl_b64 s[0:1], s[0:1], 1
	s_add_u32 s2, s2, s0
	s_addc_u32 s3, s3, s1
	s_lshl_b32 s0, s4, 7
	s_ashr_i32 s1, s0, 31
	s_lshl_b64 s[0:1], s[0:1], 1
	s_add_u32 s0, s2, s0
	s_addc_u32 s1, s3, s1
	v_lshlrev_b32_e32 v0, 1, v0
	v_cvt_pk_bf16_f32 v1, v2, s0
	global_store_short v0, v1, s[0:1]
	v_cvt_pk_bf16_f32 v1, v3, s0
	global_store_short v0, v1, s[0:1] offset:64
	v_cvt_pk_bf16_f32 v1, v4, s0
	global_store_short v0, v1, s[0:1] offset:128
	;; [unrolled: 2-line block ×3, first 2 shown]
.LBB141_62:
	s_endpgm
.LBB141_63:
	ds_read_b32 v7, v6
	s_waitcnt lgkmcnt(0)
	v_add_f32_e32 v2, v2, v7
	s_or_b64 exec, exec, s[2:3]
	s_and_saveexec_b64 s[2:3], vcc
	s_cbranch_execz .LBB141_56
.LBB141_64:
	ds_read_b32 v7, v6 offset:128
	s_waitcnt lgkmcnt(0)
	v_add_f32_e32 v3, v3, v7
	s_or_b64 exec, exec, s[2:3]
	s_and_saveexec_b64 s[2:3], vcc
	s_cbranch_execz .LBB141_57
.LBB141_65:
	ds_read_b32 v7, v6 offset:256
	s_waitcnt lgkmcnt(0)
	v_add_f32_e32 v4, v4, v7
	s_or_b64 exec, exec, s[2:3]
	s_and_saveexec_b64 s[2:3], vcc
	s_cbranch_execnz .LBB141_58
	s_branch .LBB141_59
	.section	.rodata,"a",@progbits
	.p2align	6, 0x0
	.amdhsa_kernel _ZN4vllm25paged_attention_v1_kernelI14__hip_bfloat16S1_Li128ELi16ELi128ELNS_18Fp8KVCacheDataTypeE0ELb0EEEvPT_PKS3_PKT0_S9_ifPKiSB_iPKfiiiSD_SD_iiiii
		.amdhsa_group_segment_fixed_size 272
		.amdhsa_private_segment_fixed_size 0
		.amdhsa_kernarg_size 384
		.amdhsa_user_sgpr_count 2
		.amdhsa_user_sgpr_dispatch_ptr 0
		.amdhsa_user_sgpr_queue_ptr 0
		.amdhsa_user_sgpr_kernarg_segment_ptr 1
		.amdhsa_user_sgpr_dispatch_id 0
		.amdhsa_user_sgpr_kernarg_preload_length 0
		.amdhsa_user_sgpr_kernarg_preload_offset 0
		.amdhsa_user_sgpr_private_segment_size 0
		.amdhsa_uses_dynamic_stack 0
		.amdhsa_enable_private_segment 0
		.amdhsa_system_sgpr_workgroup_id_x 1
		.amdhsa_system_sgpr_workgroup_id_y 1
		.amdhsa_system_sgpr_workgroup_id_z 1
		.amdhsa_system_sgpr_workgroup_info 0
		.amdhsa_system_vgpr_workitem_id 0
		.amdhsa_next_free_vgpr 78
		.amdhsa_next_free_sgpr 36
		.amdhsa_accum_offset 80
		.amdhsa_reserve_vcc 1
		.amdhsa_float_round_mode_32 0
		.amdhsa_float_round_mode_16_64 0
		.amdhsa_float_denorm_mode_32 3
		.amdhsa_float_denorm_mode_16_64 3
		.amdhsa_dx10_clamp 1
		.amdhsa_ieee_mode 1
		.amdhsa_fp16_overflow 0
		.amdhsa_tg_split 0
		.amdhsa_exception_fp_ieee_invalid_op 0
		.amdhsa_exception_fp_denorm_src 0
		.amdhsa_exception_fp_ieee_div_zero 0
		.amdhsa_exception_fp_ieee_overflow 0
		.amdhsa_exception_fp_ieee_underflow 0
		.amdhsa_exception_fp_ieee_inexact 0
		.amdhsa_exception_int_div_zero 0
	.end_amdhsa_kernel
	.section	.text._ZN4vllm25paged_attention_v1_kernelI14__hip_bfloat16S1_Li128ELi16ELi128ELNS_18Fp8KVCacheDataTypeE0ELb0EEEvPT_PKS3_PKT0_S9_ifPKiSB_iPKfiiiSD_SD_iiiii,"axG",@progbits,_ZN4vllm25paged_attention_v1_kernelI14__hip_bfloat16S1_Li128ELi16ELi128ELNS_18Fp8KVCacheDataTypeE0ELb0EEEvPT_PKS3_PKT0_S9_ifPKiSB_iPKfiiiSD_SD_iiiii,comdat
.Lfunc_end141:
	.size	_ZN4vllm25paged_attention_v1_kernelI14__hip_bfloat16S1_Li128ELi16ELi128ELNS_18Fp8KVCacheDataTypeE0ELb0EEEvPT_PKS3_PKT0_S9_ifPKiSB_iPKfiiiSD_SD_iiiii, .Lfunc_end141-_ZN4vllm25paged_attention_v1_kernelI14__hip_bfloat16S1_Li128ELi16ELi128ELNS_18Fp8KVCacheDataTypeE0ELb0EEEvPT_PKS3_PKT0_S9_ifPKiSB_iPKfiiiSD_SD_iiiii
                                        ; -- End function
	.set _ZN4vllm25paged_attention_v1_kernelI14__hip_bfloat16S1_Li128ELi16ELi128ELNS_18Fp8KVCacheDataTypeE0ELb0EEEvPT_PKS3_PKT0_S9_ifPKiSB_iPKfiiiSD_SD_iiiii.num_vgpr, 78
	.set _ZN4vllm25paged_attention_v1_kernelI14__hip_bfloat16S1_Li128ELi16ELi128ELNS_18Fp8KVCacheDataTypeE0ELb0EEEvPT_PKS3_PKT0_S9_ifPKiSB_iPKfiiiSD_SD_iiiii.num_agpr, 0
	.set _ZN4vllm25paged_attention_v1_kernelI14__hip_bfloat16S1_Li128ELi16ELi128ELNS_18Fp8KVCacheDataTypeE0ELb0EEEvPT_PKS3_PKT0_S9_ifPKiSB_iPKfiiiSD_SD_iiiii.numbered_sgpr, 36
	.set _ZN4vllm25paged_attention_v1_kernelI14__hip_bfloat16S1_Li128ELi16ELi128ELNS_18Fp8KVCacheDataTypeE0ELb0EEEvPT_PKS3_PKT0_S9_ifPKiSB_iPKfiiiSD_SD_iiiii.num_named_barrier, 0
	.set _ZN4vllm25paged_attention_v1_kernelI14__hip_bfloat16S1_Li128ELi16ELi128ELNS_18Fp8KVCacheDataTypeE0ELb0EEEvPT_PKS3_PKT0_S9_ifPKiSB_iPKfiiiSD_SD_iiiii.private_seg_size, 0
	.set _ZN4vllm25paged_attention_v1_kernelI14__hip_bfloat16S1_Li128ELi16ELi128ELNS_18Fp8KVCacheDataTypeE0ELb0EEEvPT_PKS3_PKT0_S9_ifPKiSB_iPKfiiiSD_SD_iiiii.uses_vcc, 1
	.set _ZN4vllm25paged_attention_v1_kernelI14__hip_bfloat16S1_Li128ELi16ELi128ELNS_18Fp8KVCacheDataTypeE0ELb0EEEvPT_PKS3_PKT0_S9_ifPKiSB_iPKfiiiSD_SD_iiiii.uses_flat_scratch, 0
	.set _ZN4vllm25paged_attention_v1_kernelI14__hip_bfloat16S1_Li128ELi16ELi128ELNS_18Fp8KVCacheDataTypeE0ELb0EEEvPT_PKS3_PKT0_S9_ifPKiSB_iPKfiiiSD_SD_iiiii.has_dyn_sized_stack, 0
	.set _ZN4vllm25paged_attention_v1_kernelI14__hip_bfloat16S1_Li128ELi16ELi128ELNS_18Fp8KVCacheDataTypeE0ELb0EEEvPT_PKS3_PKT0_S9_ifPKiSB_iPKfiiiSD_SD_iiiii.has_recursion, 0
	.set _ZN4vllm25paged_attention_v1_kernelI14__hip_bfloat16S1_Li128ELi16ELi128ELNS_18Fp8KVCacheDataTypeE0ELb0EEEvPT_PKS3_PKT0_S9_ifPKiSB_iPKfiiiSD_SD_iiiii.has_indirect_call, 0
	.section	.AMDGPU.csdata,"",@progbits
; Kernel info:
; codeLenInByte = 5532
; TotalNumSgprs: 42
; NumVgprs: 78
; NumAgprs: 0
; TotalNumVgprs: 78
; ScratchSize: 0
; MemoryBound: 0
; FloatMode: 240
; IeeeMode: 1
; LDSByteSize: 272 bytes/workgroup (compile time only)
; SGPRBlocks: 5
; VGPRBlocks: 9
; NumSGPRsForWavesPerEU: 42
; NumVGPRsForWavesPerEU: 78
; AccumOffset: 80
; Occupancy: 6
; WaveLimiterHint : 1
; COMPUTE_PGM_RSRC2:SCRATCH_EN: 0
; COMPUTE_PGM_RSRC2:USER_SGPR: 2
; COMPUTE_PGM_RSRC2:TRAP_HANDLER: 0
; COMPUTE_PGM_RSRC2:TGID_X_EN: 1
; COMPUTE_PGM_RSRC2:TGID_Y_EN: 1
; COMPUTE_PGM_RSRC2:TGID_Z_EN: 1
; COMPUTE_PGM_RSRC2:TIDIG_COMP_CNT: 0
; COMPUTE_PGM_RSRC3_GFX90A:ACCUM_OFFSET: 19
; COMPUTE_PGM_RSRC3_GFX90A:TG_SPLIT: 0
	.section	.text._ZN4vllm25paged_attention_v1_kernelI14__hip_bfloat16S1_Li192ELi16ELi128ELNS_18Fp8KVCacheDataTypeE0ELb0EEEvPT_PKS3_PKT0_S9_ifPKiSB_iPKfiiiSD_SD_iiiii,"axG",@progbits,_ZN4vllm25paged_attention_v1_kernelI14__hip_bfloat16S1_Li192ELi16ELi128ELNS_18Fp8KVCacheDataTypeE0ELb0EEEvPT_PKS3_PKT0_S9_ifPKiSB_iPKfiiiSD_SD_iiiii,comdat
	.protected	_ZN4vllm25paged_attention_v1_kernelI14__hip_bfloat16S1_Li192ELi16ELi128ELNS_18Fp8KVCacheDataTypeE0ELb0EEEvPT_PKS3_PKT0_S9_ifPKiSB_iPKfiiiSD_SD_iiiii ; -- Begin function _ZN4vllm25paged_attention_v1_kernelI14__hip_bfloat16S1_Li192ELi16ELi128ELNS_18Fp8KVCacheDataTypeE0ELb0EEEvPT_PKS3_PKT0_S9_ifPKiSB_iPKfiiiSD_SD_iiiii
	.globl	_ZN4vllm25paged_attention_v1_kernelI14__hip_bfloat16S1_Li192ELi16ELi128ELNS_18Fp8KVCacheDataTypeE0ELb0EEEvPT_PKS3_PKT0_S9_ifPKiSB_iPKfiiiSD_SD_iiiii
	.p2align	8
	.type	_ZN4vllm25paged_attention_v1_kernelI14__hip_bfloat16S1_Li192ELi16ELi128ELNS_18Fp8KVCacheDataTypeE0ELb0EEEvPT_PKS3_PKT0_S9_ifPKiSB_iPKfiiiSD_SD_iiiii,@function
_ZN4vllm25paged_attention_v1_kernelI14__hip_bfloat16S1_Li192ELi16ELi128ELNS_18Fp8KVCacheDataTypeE0ELb0EEEvPT_PKS3_PKT0_S9_ifPKiSB_iPKfiiiSD_SD_iiiii: ; @_ZN4vllm25paged_attention_v1_kernelI14__hip_bfloat16S1_Li192ELi16ELi128ELNS_18Fp8KVCacheDataTypeE0ELb0EEEvPT_PKS3_PKT0_S9_ifPKiSB_iPKfiiiSD_SD_iiiii
; %bb.0:
	s_load_dword s5, s[0:1], 0x80
	s_load_dwordx2 s[6:7], s[0:1], 0x30
	s_load_dwordx2 s[8:9], s[0:1], 0x20
	s_mov_b32 s10, s3
	s_ashr_i32 s11, s3, 31
	s_lshl_b64 s[12:13], s[10:11], 2
	s_waitcnt lgkmcnt(0)
	s_add_u32 s6, s6, s12
	s_addc_u32 s7, s7, s13
	s_abs_i32 s3, s8
	v_cvt_f32_u32_e32 v1, s3
	s_sub_i32 s12, 0, s3
	s_abs_i32 s11, s5
	s_xor_b32 s8, s5, s8
	v_rcp_iflag_f32_e32 v1, v1
	s_ashr_i32 s8, s8, 31
	v_mul_f32_e32 v1, 0x4f7ffffe, v1
	v_cvt_u32_f32_e32 v1, v1
	s_nop 0
	v_readfirstlane_b32 s13, v1
	s_mul_i32 s12, s12, s13
	s_mul_hi_u32 s12, s13, s12
	s_add_i32 s13, s13, s12
	s_mul_hi_u32 s12, s11, s13
	s_mul_i32 s13, s12, s3
	s_sub_i32 s11, s11, s13
	s_add_i32 s13, s12, 1
	s_sub_i32 s14, s11, s3
	s_cmp_ge_u32 s11, s3
	s_cselect_b32 s12, s13, s12
	s_cselect_b32 s11, s14, s11
	s_add_i32 s13, s12, 1
	s_cmp_ge_u32 s11, s3
	s_cselect_b32 s3, s13, s12
	s_xor_b32 s3, s3, s8
	s_sub_i32 s14, s3, s8
	s_abs_i32 s11, s14
	v_cvt_f32_u32_e32 v1, s11
	s_load_dwordx2 s[12:13], s[0:1], 0x40
	s_sub_i32 s3, 0, s11
	s_abs_i32 s18, s2
	v_rcp_iflag_f32_e32 v1, v1
	s_mov_b32 s8, 0
	v_mul_f32_e32 v1, 0x4f7ffffe, v1
	v_cvt_u32_f32_e32 v1, v1
	s_nop 0
	v_readfirstlane_b32 s15, v1
	s_mul_i32 s3, s3, s15
	s_mul_hi_u32 s3, s15, s3
	s_add_i32 s15, s15, s3
	s_waitcnt lgkmcnt(0)
	s_cmp_eq_u64 s[12:13], 0
	s_mul_hi_u32 s19, s18, s15
	s_cbranch_scc1 .LBB142_2
; %bb.1:
	s_ashr_i32 s3, s2, 31
	s_lshl_b64 s[16:17], s[2:3], 2
	s_add_u32 s12, s12, s16
	s_addc_u32 s13, s13, s17
	s_load_dword s8, s[12:13], 0x0
.LBB142_2:
	s_load_dword s33, s[6:7], 0x0
	s_ashr_i32 s7, s14, 31
	s_load_dwordx4 s[12:15], s[0:1], 0x48
	s_waitcnt lgkmcnt(0)
	s_movk_i32 s15, 0x60
	s_ashr_i32 s6, s2, 31
	v_and_b32_e32 v4, 3, v0
	s_mul_i32 s16, s2, 0xc0
	v_cmp_gt_u32_e32 vcc, s15, v0
	s_and_saveexec_b64 s[2:3], vcc
	s_cbranch_execz .LBB142_4
; %bb.3:
	s_load_dwordx2 s[20:21], s[0:1], 0x8
	s_mul_i32 s22, s12, s10
	s_ashr_i32 s23, s22, 31
	s_lshl_b64 s[22:23], s[22:23], 1
	v_lshlrev_b32_e32 v1, 2, v0
	s_waitcnt lgkmcnt(0)
	s_add_u32 s12, s20, s22
	s_addc_u32 s22, s21, s23
	s_ashr_i32 s17, s16, 31
	s_lshl_b64 s[20:21], s[16:17], 1
	s_add_u32 s20, s12, s20
	s_addc_u32 s21, s22, s21
	global_load_dword v1, v1, s[20:21]
	v_and_b32_e32 v2, 0x3fc, v0
	v_mad_u32_u24 v2, v4, s15, v2
	s_waitcnt vmcnt(0)
	ds_write_b32 v2, v1
.LBB142_4:
	s_or_b64 exec, exec, s[2:3]
	s_add_i32 s3, s33, 15
	s_ashr_i32 s12, s3, 31
	s_lshr_b32 s12, s12, 28
	s_add_i32 s3, s3, s12
	s_ashr_i32 s17, s3, 4
	s_xor_b32 s3, s6, s7
	s_mul_i32 s6, s19, s11
	s_sub_i32 s6, s18, s6
	s_add_i32 s7, s19, 1
	s_sub_i32 s12, s6, s11
	s_load_dwordx2 s[20:21], s[0:1], 0x28
	s_load_dword s2, s[0:1], 0x38
	s_cmp_ge_u32 s6, s11
	s_cselect_b32 s7, s7, s19
	s_cselect_b32 s6, s12, s6
	s_add_i32 s12, s7, 1
	s_cmp_ge_u32 s6, s11
	s_cselect_b32 s6, s12, s7
	v_lshrrev_b32_e32 v1, 6, v0
	s_xor_b32 s6, s6, s3
	s_waitcnt lgkmcnt(0)
	s_mul_i32 s22, s2, s10
	s_sub_i32 s12, s6, s3
	s_ashr_i32 s23, s22, 31
	v_cmp_gt_i32_e64 s[6:7], s17, v1
	v_cmp_le_i32_e32 vcc, s17, v1
	v_mbcnt_lo_u32_b32 v5, -1, 0
	s_barrier
                                        ; implicit-def: $vgpr7
                                        ; implicit-def: $vgpr9
                                        ; implicit-def: $vgpr8
	s_and_saveexec_b64 s[2:3], vcc
	s_xor_b64 s[2:3], exec, s[2:3]
; %bb.5:
	v_mbcnt_hi_u32_b32 v7, -1, v5
	v_and_b32_e32 v9, 64, v7
	v_add_u32_e32 v8, 64, v9
                                        ; implicit-def: $vgpr4
                                        ; implicit-def: $vgpr5
; %bb.6:
	s_or_saveexec_b64 s[26:27], s[2:3]
	s_load_dwordx2 s[18:19], s[0:1], 0x0
	s_load_dwordx2 s[24:25], s[0:1], 0x18
	s_load_dword s11, s[0:1], 0x88
	v_mov_b32_e32 v58, 0xff7fffff
	s_mul_i32 s14, s12, s14
	v_lshrrev_b32_e32 v6, 4, v0
	s_xor_b64 exec, exec, s[26:27]
	s_cbranch_execz .LBB142_12
; %bb.7:
	s_load_dwordx2 s[0:1], s[0:1], 0x10
	s_ashr_i32 s15, s14, 31
	s_lshl_b64 s[2:3], s[14:15], 1
	v_bfe_u32 v58, v0, 2, 4
	v_lshlrev_b32_e32 v64, 4, v58
	s_waitcnt lgkmcnt(0)
	s_add_u32 s0, s0, s2
	s_addc_u32 s1, s1, s3
	v_mul_u32_u24_e32 v2, 0x60, v4
	v_mov_b32_e32 v65, 0
	v_lshlrev_b32_e32 v7, 2, v0
	ds_read_b128 v[14:17], v2
	ds_read_b128 v[22:25], v2 offset:16
	ds_read_b128 v[30:33], v2 offset:32
	;; [unrolled: 1-line block ×5, first 2 shown]
	v_lshl_add_u64 v[2:3], s[0:1], 0, v[64:65]
	v_and_b32_e32 v64, 12, v7
	v_mbcnt_hi_u32_b32 v7, -1, v5
	v_and_b32_e32 v9, 64, v7
	v_add_u32_e32 v8, 64, v9
	v_cmp_eq_u32_e32 vcc, 0, v4
	v_xor_b32_e32 v4, 2, v7
	v_cmp_lt_i32_e64 s[0:1], v4, v8
	s_sub_i32 s15, 1, s33
	v_lshl_add_u64 v[2:3], v[2:3], 0, v[64:65]
	v_cndmask_b32_e64 v4, v7, v4, s[0:1]
	v_lshlrev_b32_e32 v59, 2, v4
	v_xor_b32_e32 v4, 1, v7
	v_cmp_lt_i32_e64 s[0:1], v4, v8
	v_and_b32_e32 v64, 60, v6
	s_mov_b32 s12, s13
	v_cndmask_b32_e64 v4, v7, v4, s[0:1]
	s_lshl_b64 s[0:1], s[22:23], 2
	v_lshlrev_b32_e32 v60, 2, v4
	v_lshlrev_b32_e32 v4, 2, v58
	s_add_u32 s0, s20, s0
	v_lshl_or_b32 v4, v1, 6, v4
	s_addc_u32 s1, s21, s1
	s_waitcnt lgkmcnt(5)
	v_lshlrev_b32_e32 v10, 16, v14
	v_and_b32_e32 v11, 0xffff0000, v14
	v_lshlrev_b32_e32 v12, 16, v15
	v_and_b32_e32 v13, 0xffff0000, v15
	v_lshlrev_b32_e32 v14, 16, v16
	v_and_b32_e32 v15, 0xffff0000, v16
	v_lshlrev_b32_e32 v16, 16, v17
	v_and_b32_e32 v17, 0xffff0000, v17
	s_waitcnt lgkmcnt(4)
	v_lshlrev_b32_e32 v18, 16, v22
	v_and_b32_e32 v19, 0xffff0000, v22
	v_lshlrev_b32_e32 v20, 16, v23
	v_and_b32_e32 v21, 0xffff0000, v23
	v_lshlrev_b32_e32 v22, 16, v24
	v_and_b32_e32 v23, 0xffff0000, v24
	v_lshlrev_b32_e32 v24, 16, v25
	v_and_b32_e32 v25, 0xffff0000, v25
	;; [unrolled: 9-line block ×6, first 2 shown]
	v_cmp_neq_f32_e64 s[2:3], s8, 0
	v_lshl_or_b32 v61, v1, 4, v58
	v_add_u32_e32 v62, 0x190, v4
	v_lshl_add_u64 v[4:5], s[0:1], 0, v[64:65]
	s_mov_b64 s[28:29], 0
	s_movk_i32 s34, 0x1000
	v_mov_b32_e32 v58, 0xff7fffff
	v_mov_b32_e32 v63, v1
	s_branch .LBB142_9
.LBB142_8:                              ;   in Loop: Header=BB142_9 Depth=1
	s_or_b64 exec, exec, s[30:31]
	v_add_u32_e32 v63, 2, v63
	v_cmp_le_i32_e64 s[0:1], s17, v63
	v_add_u32_e32 v61, 32, v61
	v_add_u32_e32 v62, 0x80, v62
	s_or_b64 s[28:29], s[0:1], s[28:29]
	v_lshl_add_u64 v[4:5], v[4:5], 0, 8
	s_andn2_b64 exec, exec, s[28:29]
	s_cbranch_execz .LBB142_11
.LBB142_9:                              ; =>This Inner Loop Header: Depth=1
	global_load_dword v64, v[4:5], off
	s_waitcnt vmcnt(0) lgkmcnt(0)
	v_mad_i64_i32 v[64:65], s[0:1], v64, s12, 0
	v_lshl_add_u64 v[64:65], v[64:65], 1, v[2:3]
	global_load_dword v66, v[64:65], off offset:256
	global_load_dword v67, v[64:65], off offset:512
	;; [unrolled: 1-line block ×7, first 2 shown]
	global_load_dword v73, v[64:65], off
	global_load_dword v74, v[64:65], off offset:2048
	global_load_dword v75, v[64:65], off offset:2304
	;; [unrolled: 1-line block ×8, first 2 shown]
	v_add_co_u32_e64 v64, s[0:1], s34, v64
	s_waitcnt vmcnt(14)
	v_lshlrev_b32_e32 v90, 16, v67
	v_addc_co_u32_e64 v65, s[0:1], 0, v65, s[0:1]
	global_load_dword v82, v[64:65], off
	global_load_dword v83, v[64:65], off offset:256
	global_load_dword v84, v[64:65], off offset:512
	;; [unrolled: 1-line block ×6, first 2 shown]
	s_nop 0
	global_load_dword v64, v[64:65], off offset:1792
	v_lshlrev_b32_e32 v65, 16, v66
	v_and_b32_e32 v66, 0xffff0000, v66
	s_waitcnt vmcnt(16)
	v_lshlrev_b32_e32 v89, 16, v73
	v_and_b32_e32 v73, 0xffff0000, v73
	v_mul_f32_e32 v65, v12, v65
	v_mul_f32_e32 v66, v13, v66
	v_and_b32_e32 v67, 0xffff0000, v67
	v_fmac_f32_e32 v65, v10, v89
	v_fmac_f32_e32 v66, v11, v73
	v_lshlrev_b32_e32 v91, 16, v68
	v_and_b32_e32 v68, 0xffff0000, v68
	v_fmac_f32_e32 v65, v14, v90
	v_fmac_f32_e32 v66, v15, v67
	v_lshlrev_b32_e32 v92, 16, v69
	;; [unrolled: 4-line block ×5, first 2 shown]
	v_and_b32_e32 v72, 0xffff0000, v72
	v_fmac_f32_e32 v65, v22, v94
	v_fmac_f32_e32 v66, v23, v71
	s_waitcnt vmcnt(15)
	v_lshlrev_b32_e32 v96, 16, v74
	v_and_b32_e32 v74, 0xffff0000, v74
	v_fmac_f32_e32 v65, v24, v95
	v_fmac_f32_e32 v66, v25, v72
	s_waitcnt vmcnt(14)
	v_lshlrev_b32_e32 v97, 16, v75
	;; [unrolled: 5-line block ×8, first 2 shown]
	v_and_b32_e32 v81, 0xffff0000, v81
	v_fmac_f32_e32 v65, v38, v89
	v_fmac_f32_e32 v66, v39, v80
	;; [unrolled: 1-line block ×4, first 2 shown]
	s_waitcnt vmcnt(7)
	v_lshlrev_b32_e32 v90, 16, v82
	v_and_b32_e32 v82, 0xffff0000, v82
	s_waitcnt vmcnt(6)
	v_lshlrev_b32_e32 v67, 16, v83
	v_and_b32_e32 v83, 0xffff0000, v83
	v_fmac_f32_e32 v65, v42, v90
	v_fmac_f32_e32 v66, v43, v82
	s_waitcnt vmcnt(5)
	v_lshlrev_b32_e32 v91, 16, v84
	v_and_b32_e32 v84, 0xffff0000, v84
	v_fmac_f32_e32 v65, v44, v67
	v_fmac_f32_e32 v66, v45, v83
	;; [unrolled: 5-line block ×7, first 2 shown]
	v_fmac_f32_e32 v65, v56, v70
	v_fmac_f32_e32 v66, v57, v64
	v_add_f32_e32 v64, v65, v66
	ds_bpermute_b32 v65, v59, v64
	s_waitcnt lgkmcnt(0)
	v_add_f32_e32 v64, v64, v65
	ds_bpermute_b32 v65, v60, v64
	s_and_saveexec_b64 s[30:31], vcc
	s_cbranch_execz .LBB142_8
; %bb.10:                               ;   in Loop: Header=BB142_9 Depth=1
	v_add_u32_e32 v66, s15, v61
	v_cvt_f32_i32_e32 v66, v66
	s_waitcnt lgkmcnt(0)
	v_add_f32_e32 v64, v64, v65
	v_cmp_gt_i32_e64 s[0:1], s33, v61
	v_max_f32_e32 v65, v58, v58
	v_mul_f32_e32 v66, s8, v66
	v_cndmask_b32_e64 v66, 0, v66, s[2:3]
	v_fmac_f32_e32 v66, s9, v64
	v_cndmask_b32_e64 v64, 0, v66, s[0:1]
	ds_write_b32 v62, v64
	v_max_f32_e32 v64, v65, v66
	v_cndmask_b32_e64 v58, v58, v64, s[0:1]
	s_branch .LBB142_8
.LBB142_11:
	s_or_b64 exec, exec, s[28:29]
.LBB142_12:
	s_or_b64 exec, exec, s[26:27]
	v_xor_b32_e32 v2, 32, v7
	v_cmp_lt_i32_e32 vcc, v2, v8
	v_xor_b32_e32 v5, 16, v7
	v_max_f32_e32 v4, v58, v58
	v_cndmask_b32_e32 v2, v7, v2, vcc
	v_lshlrev_b32_e32 v2, 2, v2
	ds_bpermute_b32 v3, v2, v58
	v_cmp_lt_i32_e32 vcc, v5, v8
	v_xor_b32_e32 v10, 8, v7
	v_xor_b32_e32 v11, 4, v7
	v_and_b32_e32 v46, 63, v0
	s_waitcnt lgkmcnt(0)
	v_max_f32_e32 v3, v3, v3
	v_max_f32_e32 v4, v4, v3
	v_cndmask_b32_e32 v3, v7, v5, vcc
	v_lshlrev_b32_e32 v3, 2, v3
	ds_bpermute_b32 v5, v3, v4
	v_cmp_lt_i32_e32 vcc, v10, v8
	s_waitcnt lgkmcnt(0)
	v_max_f32_e32 v5, v5, v5
	v_max_f32_e32 v4, v4, v5
	v_cndmask_b32_e32 v5, v7, v10, vcc
	v_lshlrev_b32_e32 v10, 2, v5
	ds_bpermute_b32 v5, v10, v4
	v_cmp_lt_i32_e32 vcc, v11, v8
	s_waitcnt lgkmcnt(0)
	v_max_f32_e32 v5, v5, v5
	v_max_f32_e32 v5, v4, v5
	v_cndmask_b32_e32 v4, v7, v11, vcc
	v_lshlrev_b32_e32 v11, 2, v4
	ds_bpermute_b32 v12, v11, v5
	v_cmp_eq_u32_e32 vcc, 0, v46
	v_lshlrev_b32_e32 v4, 2, v1
	s_and_saveexec_b64 s[0:1], vcc
	s_cbranch_execz .LBB142_14
; %bb.13:
	s_waitcnt lgkmcnt(0)
	v_max_f32_e32 v12, v12, v12
	v_max_f32_e32 v5, v5, v5
	;; [unrolled: 1-line block ×3, first 2 shown]
	ds_write_b32 v4, v5 offset:384
.LBB142_14:
	s_or_b64 exec, exec, s[0:1]
	v_cmp_gt_u32_e64 s[0:1], 2, v46
	s_waitcnt lgkmcnt(0)
	v_mov_b32_e32 v12, 0xff7fffff
	v_lshlrev_b32_e32 v5, 2, v46
	s_barrier
	s_and_saveexec_b64 s[2:3], s[0:1]
; %bb.15:
	ds_read_b32 v12, v5 offset:384
; %bb.16:
	s_or_b64 exec, exec, s[2:3]
	v_xor_b32_e32 v13, 1, v7
	v_cmp_lt_i32_e64 s[2:3], v13, v8
	v_lshlrev_b32_e32 v9, 2, v9
	s_nop 0
	v_cndmask_b32_e64 v13, v7, v13, s[2:3]
	v_lshlrev_b32_e32 v47, 2, v13
	s_waitcnt lgkmcnt(0)
	ds_bpermute_b32 v13, v47, v12
	v_max_f32_e32 v12, v12, v12
	s_lshl_b32 s2, s17, 4
	s_min_i32 s12, s2, s33
	v_cmp_gt_i32_e64 s[2:3], s12, v0
	s_waitcnt lgkmcnt(0)
	v_max_f32_e32 v13, v13, v13
	v_max_f32_e32 v12, v12, v13
	ds_bpermute_b32 v12, v9, v12
	v_mov_b32_e32 v9, 0
	s_and_saveexec_b64 s[26:27], s[2:3]
	s_cbranch_execz .LBB142_20
; %bb.17:
	v_mov_b32_e32 v9, 0x190
	v_lshl_add_u32 v13, v0, 2, v9
	v_mov_b32_e32 v9, 0
	s_mov_b64 s[28:29], 0
	v_mov_b32_e32 v14, v0
.LBB142_18:                             ; =>This Inner Loop Header: Depth=1
	ds_read_b32 v15, v13
	v_add_u32_e32 v14, 0x80, v14
	v_cmp_le_i32_e64 s[8:9], s12, v14
	s_or_b64 s[28:29], s[8:9], s[28:29]
	s_waitcnt lgkmcnt(0)
	v_sub_f32_e32 v15, v15, v12
	v_mul_f32_e32 v15, 0x3fb8aa3b, v15
	v_exp_f32_e32 v15, v15
	ds_write_b32 v13, v15
	v_add_f32_e32 v9, v9, v15
	v_add_u32_e32 v13, 0x200, v13
	s_andn2_b64 exec, exec, s[28:29]
	s_cbranch_execnz .LBB142_18
; %bb.19:
	s_or_b64 exec, exec, s[28:29]
.LBB142_20:
	s_or_b64 exec, exec, s[26:27]
	ds_bpermute_b32 v2, v2, v9
	s_waitcnt lgkmcnt(0)
	v_add_f32_e32 v2, v9, v2
	ds_bpermute_b32 v3, v3, v2
	v_xor_b32_e32 v9, 2, v7
	v_cmp_lt_i32_e64 s[8:9], v9, v8
	s_waitcnt lgkmcnt(0)
	v_add_f32_e32 v2, v2, v3
	ds_bpermute_b32 v3, v10, v2
	v_cndmask_b32_e64 v8, v7, v9, s[8:9]
	s_waitcnt lgkmcnt(0)
	v_add_f32_e32 v2, v2, v3
	ds_bpermute_b32 v3, v11, v2
	s_waitcnt lgkmcnt(0)
	v_add_f32_e32 v2, v2, v3
	v_lshlrev_b32_e32 v3, 2, v8
	ds_bpermute_b32 v3, v3, v2
	s_waitcnt lgkmcnt(0)
	v_add_f32_e32 v2, v2, v3
	ds_bpermute_b32 v3, v47, v2
	s_waitcnt lgkmcnt(0)
	v_add_f32_e32 v2, v2, v3
	s_and_saveexec_b64 s[8:9], vcc
; %bb.21:
	ds_write_b32 v4, v2 offset:392
; %bb.22:
	s_or_b64 exec, exec, s[8:9]
	s_waitcnt lgkmcnt(0)
	s_barrier
	s_and_saveexec_b64 s[8:9], s[0:1]
; %bb.23:
	ds_read_b32 v2, v5 offset:392
; %bb.24:
	s_or_b64 exec, exec, s[8:9]
	s_waitcnt lgkmcnt(0)
	ds_bpermute_b32 v3, v47, v2
	v_lshlrev_b32_e32 v4, 2, v7
	s_waitcnt lgkmcnt(0)
	v_add_f32_e32 v2, v2, v3
	v_and_b32_e32 v3, 0xffffff00, v4
	ds_bpermute_b32 v2, v3, v2
	s_and_saveexec_b64 s[0:1], s[2:3]
	s_cbranch_execz .LBB142_37
; %bb.25:
	s_waitcnt lgkmcnt(0)
	v_add_f32_e32 v2, 0x358637bd, v2
	v_div_scale_f32 v3, s[2:3], v2, v2, 1.0
	v_rcp_f32_e32 v4, v3
	v_div_scale_f32 v5, vcc, 1.0, v2, 1.0
	s_movk_i32 s2, 0x7f
	v_fma_f32 v7, -v3, v4, 1.0
	v_fmac_f32_e32 v4, v7, v4
	v_mul_f32_e32 v7, v5, v4
	v_fma_f32 v8, -v3, v7, v5
	v_fmac_f32_e32 v7, v8, v4
	v_fma_f32 v3, -v3, v7, v5
	v_div_fmas_f32 v3, v3, v4, v7
	v_xad_u32 v4, v0, -1, s12
	v_div_fixup_f32 v2, v3, v2, 1.0
	v_cmp_lt_u32_e32 vcc, s2, v4
	s_mov_b64 s[8:9], -1
	v_mov_b32_e32 v3, v0
	s_and_saveexec_b64 s[2:3], vcc
	s_cbranch_execz .LBB142_34
; %bb.26:
	v_lshrrev_b32_e32 v4, 7, v4
	v_add_u32_e32 v7, -1, v4
	v_lshrrev_b32_e32 v5, 1, v7
	v_mov_b32_e32 v3, v2
	v_add_u32_e32 v5, 1, v5
	v_cmp_lt_u32_e32 vcc, 13, v7
	v_mov_b32_e32 v9, 0
	s_and_saveexec_b64 s[8:9], vcc
	s_cbranch_execz .LBB142_30
; %bb.27:
	v_mov_b32_e32 v8, 0x190
	v_and_b32_e32 v7, -8, v5
	v_lshl_add_u32 v8, v0, 2, v8
	s_mov_b32 s15, 0
	s_mov_b64 s[26:27], 0
.LBB142_28:                             ; =>This Inner Loop Header: Depth=1
	ds_read2st64_b32 v[10:11], v8 offset1:2
	ds_read2st64_b32 v[12:13], v8 offset0:4 offset1:6
	ds_read2st64_b32 v[14:15], v8 offset0:8 offset1:10
	;; [unrolled: 1-line block ×3, first 2 shown]
	v_add_u32_e32 v7, -8, v7
	s_waitcnt lgkmcnt(3)
	v_pk_mul_f32 v[10:11], v[2:3], v[10:11]
	s_waitcnt lgkmcnt(2)
	v_pk_mul_f32 v[12:13], v[2:3], v[12:13]
	ds_write2st64_b32 v8, v10, v11 offset1:2
	ds_write2st64_b32 v8, v12, v13 offset0:4 offset1:6
	ds_read2st64_b32 v[12:13], v8 offset0:16 offset1:18
	s_waitcnt lgkmcnt(4)
	v_pk_mul_f32 v[10:11], v[2:3], v[14:15]
	ds_write2st64_b32 v8, v10, v11 offset0:8 offset1:10
	s_waitcnt lgkmcnt(4)
	v_pk_mul_f32 v[10:11], v[2:3], v[16:17]
	ds_write2st64_b32 v8, v10, v11 offset0:12 offset1:14
	ds_read2st64_b32 v[10:11], v8 offset0:20 offset1:22
	s_waitcnt lgkmcnt(3)
	v_pk_mul_f32 v[12:13], v[2:3], v[12:13]
	ds_read2st64_b32 v[14:15], v8 offset0:24 offset1:26
	ds_write2st64_b32 v8, v12, v13 offset0:16 offset1:18
	ds_read2st64_b32 v[12:13], v8 offset0:28 offset1:30
	s_waitcnt lgkmcnt(3)
	v_pk_mul_f32 v[10:11], v[2:3], v[10:11]
	ds_write2st64_b32 v8, v10, v11 offset0:20 offset1:22
	s_waitcnt lgkmcnt(3)
	v_pk_mul_f32 v[10:11], v[2:3], v[14:15]
	ds_write2st64_b32 v8, v10, v11 offset0:24 offset1:26
	s_waitcnt lgkmcnt(2)
	v_pk_mul_f32 v[10:11], v[2:3], v[12:13]
	s_add_i32 s15, s15, 16
	v_cmp_eq_u32_e32 vcc, 0, v7
	ds_write2st64_b32 v8, v10, v11 offset0:28 offset1:30
	v_add_u32_e32 v8, 0x2000, v8
	s_or_b64 s[26:27], vcc, s[26:27]
	v_mov_b32_e32 v9, s15
	s_andn2_b64 exec, exec, s[26:27]
	s_cbranch_execnz .LBB142_28
; %bb.29:
	s_or_b64 exec, exec, s[26:27]
.LBB142_30:
	s_or_b64 exec, exec, s[8:9]
	v_and_b32_e32 v5, 7, v5
	v_cmp_ne_u32_e32 vcc, 0, v5
	s_and_saveexec_b64 s[8:9], vcc
	s_cbranch_execz .LBB142_33
; %bb.31:
	v_lshlrev_b32_e32 v7, 9, v9
	v_lshlrev_b32_e32 v8, 2, v0
	s_movk_i32 s15, 0x190
	v_add3_u32 v7, v7, v8, s15
	s_mov_b64 s[26:27], 0
.LBB142_32:                             ; =>This Inner Loop Header: Depth=1
	ds_read2st64_b32 v[8:9], v7 offset1:2
	v_add_u32_e32 v5, -1, v5
	v_cmp_eq_u32_e32 vcc, 0, v5
	s_or_b64 s[26:27], vcc, s[26:27]
	s_waitcnt lgkmcnt(0)
	v_pk_mul_f32 v[8:9], v[2:3], v[8:9]
	ds_write2st64_b32 v7, v8, v9 offset1:2
	v_add_u32_e32 v7, 0x400, v7
	s_andn2_b64 exec, exec, s[26:27]
	s_cbranch_execnz .LBB142_32
.LBB142_33:
	s_or_b64 exec, exec, s[8:9]
	v_add_u32_e32 v4, 1, v4
	v_and_b32_e32 v5, 0x3fffffe, v4
	v_cmp_ne_u32_e32 vcc, v4, v5
	v_lshl_add_u32 v3, v5, 7, v0
	s_orn2_b64 s[8:9], vcc, exec
.LBB142_34:
	s_or_b64 exec, exec, s[2:3]
	s_and_b64 exec, exec, s[8:9]
	s_cbranch_execz .LBB142_37
; %bb.35:
	v_mov_b32_e32 v4, 0x190
	v_lshl_add_u32 v4, v3, 2, v4
	s_mov_b64 s[2:3], 0
.LBB142_36:                             ; =>This Inner Loop Header: Depth=1
	ds_read_b32 v5, v4
	v_add_u32_e32 v3, 0x80, v3
	v_cmp_le_i32_e32 vcc, s12, v3
	s_or_b64 s[2:3], vcc, s[2:3]
	s_waitcnt lgkmcnt(0)
	v_mul_f32_e32 v5, v2, v5
	ds_write_b32 v4, v5
	v_add_u32_e32 v4, 0x200, v4
	s_andn2_b64 exec, exec, s[2:3]
	s_cbranch_execnz .LBB142_36
.LBB142_37:
	s_or_b64 exec, exec, s[0:1]
	v_mov_b32_e32 v35, 0
	v_and_b32_e32 v48, 1, v0
	v_mov_b32_e32 v34, v35
	v_mov_b32_e32 v37, v35
	;; [unrolled: 1-line block ×5, first 2 shown]
	s_waitcnt lgkmcnt(0)
	s_barrier
	s_and_saveexec_b64 s[8:9], s[6:7]
	s_cbranch_execz .LBB142_53
; %bb.38:
	s_ashr_i32 s15, s14, 31
	s_lshl_b64 s[0:1], s[14:15], 1
	s_add_u32 s0, s24, s0
	v_lshlrev_b32_e32 v3, 4, v0
	v_lshlrev_b32_e32 v2, 3, v0
	s_addc_u32 s1, s25, s1
	v_and_b32_e32 v40, 0x3f0, v3
	v_mov_b32_e32 v41, 0
	v_and_b32_e32 v2, 8, v2
	s_add_i32 s14, s17, -1
	v_lshl_add_u64 v[42:43], s[0:1], 0, v[40:41]
	s_lshl_b64 s[0:1], s[22:23], 2
	v_lshl_or_b32 v49, v1, 4, v2
	v_lshlrev_b32_e32 v2, 5, v48
	s_add_u32 s0, s20, s0
	v_lshl_or_b32 v2, v1, 6, v2
	v_and_b32_e32 v40, 60, v6
	s_addc_u32 s1, s21, s1
	s_mov_b32 s26, s13
	s_mov_b32 s15, s33
	v_add_u32_e32 v50, 0x190, v2
	v_lshl_add_u64 v[44:45], s[0:1], 0, v[40:41]
	s_mov_b64 s[6:7], 0
	s_mov_b32 s20, 0x5040100
	v_mov_b32_e32 v35, 0
	v_mov_b32_e32 v34, 0
	;; [unrolled: 1-line block ×6, first 2 shown]
	s_branch .LBB142_40
.LBB142_39:                             ;   in Loop: Header=BB142_40 Depth=1
	s_or_b64 exec, exec, s[2:3]
	s_waitcnt lgkmcnt(1)
	v_cvt_pk_bf16_f32 v18, v18, s0
	v_cvt_pk_bf16_f32 v19, v19, s0
	;; [unrolled: 1-line block ×4, first 2 shown]
	s_waitcnt vmcnt(1)
	v_and_b32_e32 v40, 0xffff0000, v30
	v_lshlrev_b32_e32 v19, 16, v19
	v_lshlrev_b32_e32 v30, 16, v30
	;; [unrolled: 1-line block ×3, first 2 shown]
	v_mul_f32_e32 v40, v19, v40
	v_mul_f32_e32 v30, v18, v30
	v_and_b32_e32 v51, 0xffff0000, v31
	v_lshlrev_b32_e32 v21, 16, v21
	v_lshlrev_b32_e32 v31, 16, v31
	;; [unrolled: 1-line block ×3, first 2 shown]
	s_waitcnt lgkmcnt(0)
	v_cvt_pk_bf16_f32 v14, v14, s0
	v_cvt_pk_bf16_f32 v15, v15, s0
	;; [unrolled: 1-line block ×4, first 2 shown]
	v_mul_f32_e32 v51, v21, v51
	v_mul_f32_e32 v31, v20, v31
	v_cvt_pk_bf16_f32 v51, v51, s0
	v_cvt_pk_bf16_f32 v31, v31, s0
	v_and_b32_e32 v52, 0xffff0000, v32
	v_lshlrev_b32_e32 v15, 16, v15
	v_lshlrev_b32_e32 v32, 16, v32
	;; [unrolled: 1-line block ×5, first 2 shown]
	v_cvt_pk_bf16_f32 v16, v16, s0
	v_cvt_pk_bf16_f32 v17, v17, s0
	v_mul_f32_e32 v52, v15, v52
	v_mul_f32_e32 v32, v14, v32
	v_add_f32_e32 v30, v30, v40
	v_lshlrev_b32_e32 v31, 16, v31
	v_lshlrev_b32_e32 v40, 16, v51
	v_cvt_pk_bf16_f32 v52, v52, s0
	v_cvt_pk_bf16_f32 v32, v32, s0
	v_and_b32_e32 v53, 0xffff0000, v33
	v_lshlrev_b32_e32 v17, 16, v17
	v_lshlrev_b32_e32 v33, 16, v33
	;; [unrolled: 1-line block ×3, first 2 shown]
	v_add_f32_e32 v31, v31, v40
	v_mul_f32_e32 v53, v17, v53
	v_mul_f32_e32 v33, v16, v33
	v_add_f32_e32 v30, v31, v30
	v_lshlrev_b32_e32 v31, 16, v32
	v_lshlrev_b32_e32 v32, 16, v52
	v_cvt_pk_bf16_f32 v53, v53, s0
	v_cvt_pk_bf16_f32 v33, v33, s0
	v_add_f32_e32 v31, v31, v32
	v_add_f32_e32 v30, v31, v30
	v_lshlrev_b32_e32 v31, 16, v33
	v_lshlrev_b32_e32 v32, 16, v53
	v_add_f32_e32 v31, v31, v32
	v_add_f32_e32 v30, v31, v30
	v_add_f32_e32 v34, v34, v30
	v_and_b32_e32 v30, 0xffff0000, v26
	v_lshlrev_b32_e32 v26, 16, v26
	v_mul_f32_e32 v30, v19, v30
	v_mul_f32_e32 v26, v18, v26
	v_and_b32_e32 v31, 0xffff0000, v27
	v_lshlrev_b32_e32 v27, 16, v27
	v_cvt_pk_bf16_f32 v30, v30, s0
	v_cvt_pk_bf16_f32 v26, v26, s0
	v_mul_f32_e32 v31, v21, v31
	v_mul_f32_e32 v27, v20, v27
	v_cvt_pk_bf16_f32 v31, v31, s0
	v_cvt_pk_bf16_f32 v27, v27, s0
	v_and_b32_e32 v32, 0xffff0000, v28
	v_lshlrev_b32_e32 v28, 16, v28
	v_lshlrev_b32_e32 v26, 16, v26
	v_lshlrev_b32_e32 v30, 16, v30
	v_mul_f32_e32 v32, v15, v32
	v_mul_f32_e32 v28, v14, v28
	v_add_f32_e32 v26, v26, v30
	v_lshlrev_b32_e32 v27, 16, v27
	v_lshlrev_b32_e32 v30, 16, v31
	v_cvt_pk_bf16_f32 v32, v32, s0
	v_cvt_pk_bf16_f32 v28, v28, s0
	v_and_b32_e32 v33, 0xffff0000, v29
	v_lshlrev_b32_e32 v29, 16, v29
	v_add_f32_e32 v27, v27, v30
	v_mul_f32_e32 v33, v17, v33
	v_mul_f32_e32 v29, v16, v29
	v_add_f32_e32 v26, v27, v26
	v_lshlrev_b32_e32 v27, 16, v28
	v_lshlrev_b32_e32 v28, 16, v32
	v_cvt_pk_bf16_f32 v33, v33, s0
	v_cvt_pk_bf16_f32 v29, v29, s0
	v_add_f32_e32 v27, v27, v28
	v_add_f32_e32 v26, v27, v26
	v_lshlrev_b32_e32 v27, 16, v29
	v_lshlrev_b32_e32 v28, 16, v33
	v_add_f32_e32 v27, v27, v28
	v_add_f32_e32 v26, v27, v26
	v_add_f32_e32 v37, v37, v26
	v_and_b32_e32 v26, 0xffff0000, v10
	v_lshlrev_b32_e32 v10, 16, v10
	v_mul_f32_e32 v26, v19, v26
	v_mul_f32_e32 v10, v18, v10
	v_and_b32_e32 v27, 0xffff0000, v11
	v_lshlrev_b32_e32 v11, 16, v11
	v_cvt_pk_bf16_f32 v26, v26, s0
	v_cvt_pk_bf16_f32 v10, v10, s0
	v_mul_f32_e32 v27, v21, v27
	v_mul_f32_e32 v11, v20, v11
	v_cvt_pk_bf16_f32 v27, v27, s0
	v_cvt_pk_bf16_f32 v11, v11, s0
	v_and_b32_e32 v28, 0xffff0000, v12
	v_lshlrev_b32_e32 v12, 16, v12
	v_lshlrev_b32_e32 v10, 16, v10
	v_lshlrev_b32_e32 v26, 16, v26
	v_mul_f32_e32 v28, v15, v28
	v_mul_f32_e32 v12, v14, v12
	v_add_f32_e32 v10, v10, v26
	v_lshlrev_b32_e32 v11, 16, v11
	v_lshlrev_b32_e32 v26, 16, v27
	v_cvt_pk_bf16_f32 v28, v28, s0
	v_cvt_pk_bf16_f32 v12, v12, s0
	v_and_b32_e32 v29, 0xffff0000, v13
	v_lshlrev_b32_e32 v13, 16, v13
	;; [unrolled: 40-line block ×4, first 2 shown]
	v_add_f32_e32 v3, v3, v6
	v_mul_f32_e32 v5, v16, v5
	v_add_f32_e32 v2, v3, v2
	v_lshlrev_b32_e32 v3, 16, v4
	v_lshlrev_b32_e32 v4, 16, v8
	v_cvt_pk_bf16_f32 v5, v5, s0
	v_add_f32_e32 v3, v3, v4
	v_add_f32_e32 v2, v3, v2
	v_lshlrev_b32_e32 v3, 16, v5
	s_waitcnt vmcnt(0)
	v_and_b32_e32 v5, 0xffff0000, v23
	v_mul_f32_e32 v5, v21, v5
	v_mul_f32_e32 v9, v17, v9
	v_cvt_pk_bf16_f32 v6, v5, s0
	v_lshlrev_b32_e32 v5, 16, v24
	v_cvt_pk_bf16_f32 v9, v9, s0
	v_mul_f32_e32 v5, v14, v5
	v_lshlrev_b32_e32 v4, 16, v9
	v_cvt_pk_bf16_f32 v7, v5, s0
	v_and_b32_e32 v5, 0xffff0000, v24
	v_add_f32_e32 v3, v3, v4
	v_mul_f32_e32 v5, v15, v5
	v_add_f32_e32 v2, v3, v2
	v_cvt_pk_bf16_f32 v8, v5, s0
	v_lshlrev_b32_e32 v5, 16, v25
	v_add_f32_e32 v38, v38, v2
	v_lshlrev_b32_e32 v2, 16, v22
	v_and_b32_e32 v3, 0xffff0000, v22
	v_lshlrev_b32_e32 v4, 16, v23
	v_mul_f32_e32 v5, v16, v5
	v_mul_f32_e32 v2, v18, v2
	v_mul_f32_e32 v3, v19, v3
	v_mul_f32_e32 v4, v20, v4
	v_cvt_pk_bf16_f32 v9, v5, s0
	v_and_b32_e32 v5, 0xffff0000, v25
	v_cvt_pk_bf16_f32 v2, v2, s0
	v_cvt_pk_bf16_f32 v3, v3, s0
	;; [unrolled: 1-line block ×3, first 2 shown]
	v_mul_f32_e32 v5, v17, v5
	v_cvt_pk_bf16_f32 v10, v5, s0
	v_lshlrev_b32_e32 v3, 16, v3
	v_lshlrev_b32_e32 v5, 16, v2
	;; [unrolled: 1-line block ×4, first 2 shown]
	v_pk_add_f32 v[2:3], v[4:5], v[2:3]
	v_lshlrev_b32_e32 v5, 16, v8
	v_lshlrev_b32_e32 v7, 16, v7
	;; [unrolled: 1-line block ×4, first 2 shown]
	v_pk_add_f32 v[4:5], v[6:7], v[4:5]
	v_add_f32_e32 v2, v2, v3
	v_add_f32_e32 v2, v5, v2
	v_add_u32_e32 v1, 2, v1
	v_add_f32_e32 v2, v4, v2
	v_cmp_le_i32_e32 vcc, s17, v1
	v_add_f32_e32 v35, v35, v2
	v_add_u32_e32 v49, 32, v49
	v_add_u32_e32 v50, 0x80, v50
	s_or_b64 s[6:7], vcc, s[6:7]
	v_lshl_add_u64 v[44:45], v[44:45], 0, 8
	s_andn2_b64 exec, exec, s[6:7]
	s_cbranch_execz .LBB142_52
.LBB142_40:                             ; =>This Inner Loop Header: Depth=1
	global_load_dword v2, v[44:45], off
	v_add_u32_e32 v56, 1, v49
	v_or_b32_e32 v54, 3, v49
	v_or_b32_e32 v55, 2, v49
	v_or_b32_e32 v52, 5, v49
	v_or_b32_e32 v53, 4, v49
	v_or_b32_e32 v40, 7, v49
	v_or_b32_e32 v51, 6, v49
	s_waitcnt vmcnt(0)
	v_mad_i64_i32 v[2:3], s[0:1], v2, s26, 0
	v_lshl_add_u64 v[22:23], v[2:3], 1, v[42:43]
	global_load_dwordx4 v[2:5], v[22:23], off
	ds_read2_b64 v[18:21], v50 offset1:1
	ds_read2_b64 v[14:17], v50 offset0:2 offset1:3
	v_cmp_eq_u32_e64 s[0:1], s14, v1
	s_and_saveexec_b64 s[12:13], s[0:1]
	s_cbranch_execnz .LBB142_49
; %bb.41:                               ;   in Loop: Header=BB142_40 Depth=1
	s_or_b64 exec, exec, s[12:13]
	global_load_dwordx4 v[6:9], v[22:23], off offset:1024
	s_and_saveexec_b64 s[12:13], s[0:1]
	s_cbranch_execnz .LBB142_50
.LBB142_42:                             ;   in Loop: Header=BB142_40 Depth=1
	s_or_b64 exec, exec, s[12:13]
	global_load_dwordx4 v[10:13], v[22:23], off offset:2048
	s_and_saveexec_b64 s[12:13], s[0:1]
	s_cbranch_execnz .LBB142_51
.LBB142_43:                             ;   in Loop: Header=BB142_40 Depth=1
	s_or_b64 exec, exec, s[12:13]
	global_load_dwordx4 v[26:29], v[22:23], off offset:3072
	s_and_saveexec_b64 s[12:13], s[0:1]
	s_cbranch_execz .LBB142_45
.LBB142_44:                             ;   in Loop: Header=BB142_40 Depth=1
	v_cmp_gt_i32_e32 vcc, s15, v56
	v_cmp_gt_i32_e64 s[2:3], s33, v55
	s_waitcnt vmcnt(0)
	v_cndmask_b32_sdwa v24, v41, v26, vcc dst_sel:DWORD dst_unused:UNUSED_PAD src0_sel:DWORD src1_sel:WORD_1
	v_cmp_gt_i32_e32 vcc, s33, v49
	s_nop 1
	v_cndmask_b32_e32 v25, 0, v26, vcc
	v_cmp_gt_i32_e32 vcc, s15, v54
	v_perm_b32 v26, v24, v25, s20
	v_cndmask_b32_e64 v24, 0, v27, s[2:3]
	v_cndmask_b32_sdwa v25, v41, v27, vcc dst_sel:DWORD dst_unused:UNUSED_PAD src0_sel:DWORD src1_sel:WORD_1
	v_cmp_gt_i32_e32 vcc, s15, v52
	v_cmp_gt_i32_e64 s[2:3], s33, v53
	v_perm_b32 v27, v25, v24, s20
	v_cndmask_b32_sdwa v25, v41, v28, vcc dst_sel:DWORD dst_unused:UNUSED_PAD src0_sel:DWORD src1_sel:WORD_1
	v_cndmask_b32_e64 v24, 0, v28, s[2:3]
	v_cmp_gt_i32_e32 vcc, s15, v40
	v_cmp_gt_i32_e64 s[2:3], s33, v51
	v_perm_b32 v28, v25, v24, s20
	v_cndmask_b32_sdwa v25, v41, v29, vcc dst_sel:DWORD dst_unused:UNUSED_PAD src0_sel:DWORD src1_sel:WORD_1
	v_cndmask_b32_e64 v24, 0, v29, s[2:3]
	v_perm_b32 v29, v25, v24, s20
.LBB142_45:                             ;   in Loop: Header=BB142_40 Depth=1
	s_or_b64 exec, exec, s[12:13]
	v_add_co_u32_e32 v24, vcc, 0x1000, v22
	s_nop 1
	v_addc_co_u32_e32 v25, vcc, 0, v23, vcc
	global_load_dwordx4 v[30:33], v[24:25], off
	s_and_saveexec_b64 s[12:13], s[0:1]
	s_cbranch_execz .LBB142_47
; %bb.46:                               ;   in Loop: Header=BB142_40 Depth=1
	v_cmp_gt_i32_e32 vcc, s15, v56
	v_cmp_gt_i32_e64 s[2:3], s33, v55
	s_waitcnt vmcnt(0)
	v_cndmask_b32_sdwa v24, v41, v30, vcc dst_sel:DWORD dst_unused:UNUSED_PAD src0_sel:DWORD src1_sel:WORD_1
	v_cmp_gt_i32_e32 vcc, s33, v49
	s_nop 1
	v_cndmask_b32_e32 v25, 0, v30, vcc
	v_cmp_gt_i32_e32 vcc, s15, v54
	v_perm_b32 v30, v24, v25, s20
	v_cndmask_b32_e64 v24, 0, v31, s[2:3]
	v_cndmask_b32_sdwa v25, v41, v31, vcc dst_sel:DWORD dst_unused:UNUSED_PAD src0_sel:DWORD src1_sel:WORD_1
	v_cmp_gt_i32_e32 vcc, s15, v52
	v_cmp_gt_i32_e64 s[2:3], s33, v53
	v_perm_b32 v31, v25, v24, s20
	v_cndmask_b32_sdwa v25, v41, v32, vcc dst_sel:DWORD dst_unused:UNUSED_PAD src0_sel:DWORD src1_sel:WORD_1
	v_cndmask_b32_e64 v24, 0, v32, s[2:3]
	v_cmp_gt_i32_e32 vcc, s15, v40
	v_cmp_gt_i32_e64 s[2:3], s33, v51
	v_perm_b32 v32, v25, v24, s20
	v_cndmask_b32_sdwa v25, v41, v33, vcc dst_sel:DWORD dst_unused:UNUSED_PAD src0_sel:DWORD src1_sel:WORD_1
	v_cndmask_b32_e64 v24, 0, v33, s[2:3]
	v_perm_b32 v33, v25, v24, s20
.LBB142_47:                             ;   in Loop: Header=BB142_40 Depth=1
	s_or_b64 exec, exec, s[12:13]
	v_add_co_u32_e32 v22, vcc, 0x1000, v22
	s_nop 1
	v_addc_co_u32_e32 v23, vcc, 0, v23, vcc
	global_load_dwordx4 v[22:25], v[22:23], off offset:1024
	s_and_saveexec_b64 s[2:3], s[0:1]
	s_cbranch_execz .LBB142_39
; %bb.48:                               ;   in Loop: Header=BB142_40 Depth=1
	v_cmp_gt_i32_e32 vcc, s15, v56
	v_cmp_gt_i32_e64 s[0:1], s33, v55
	s_waitcnt vmcnt(0)
	v_cndmask_b32_sdwa v56, v41, v22, vcc dst_sel:DWORD dst_unused:UNUSED_PAD src0_sel:DWORD src1_sel:WORD_1
	v_cmp_gt_i32_e32 vcc, s33, v49
	s_nop 1
	v_cndmask_b32_e32 v22, 0, v22, vcc
	v_cmp_gt_i32_e32 vcc, s15, v54
	v_cndmask_b32_e64 v54, 0, v23, s[0:1]
	v_cmp_gt_i32_e64 s[0:1], s33, v53
	v_cndmask_b32_sdwa v23, v41, v23, vcc dst_sel:DWORD dst_unused:UNUSED_PAD src0_sel:DWORD src1_sel:WORD_1
	v_cmp_gt_i32_e32 vcc, s15, v52
	v_cndmask_b32_e64 v52, 0, v24, s[0:1]
	v_cmp_gt_i32_e64 s[0:1], s33, v51
	v_cndmask_b32_sdwa v24, v41, v24, vcc dst_sel:DWORD dst_unused:UNUSED_PAD src0_sel:DWORD src1_sel:WORD_1
	v_cmp_gt_i32_e32 vcc, s15, v40
	v_cndmask_b32_e64 v40, 0, v25, s[0:1]
	v_perm_b32 v22, v56, v22, s20
	v_cndmask_b32_sdwa v25, v41, v25, vcc dst_sel:DWORD dst_unused:UNUSED_PAD src0_sel:DWORD src1_sel:WORD_1
	v_perm_b32 v23, v23, v54, s20
	v_perm_b32 v24, v24, v52, s20
	;; [unrolled: 1-line block ×3, first 2 shown]
	s_branch .LBB142_39
.LBB142_49:                             ;   in Loop: Header=BB142_40 Depth=1
	v_cmp_gt_i32_e32 vcc, s15, v56
	v_cmp_gt_i32_e64 s[2:3], s33, v55
	s_waitcnt vmcnt(0)
	v_cndmask_b32_sdwa v6, v41, v2, vcc dst_sel:DWORD dst_unused:UNUSED_PAD src0_sel:DWORD src1_sel:WORD_1
	v_cmp_gt_i32_e32 vcc, s33, v49
	s_nop 1
	v_cndmask_b32_e32 v2, 0, v2, vcc
	v_cmp_gt_i32_e32 vcc, s15, v54
	v_perm_b32 v2, v6, v2, s20
	v_cndmask_b32_e64 v6, 0, v3, s[2:3]
	v_cndmask_b32_sdwa v3, v41, v3, vcc dst_sel:DWORD dst_unused:UNUSED_PAD src0_sel:DWORD src1_sel:WORD_1
	v_cmp_gt_i32_e32 vcc, s15, v52
	v_cmp_gt_i32_e64 s[2:3], s33, v53
	v_perm_b32 v3, v3, v6, s20
	s_nop 0
	v_cndmask_b32_e64 v6, 0, v4, s[2:3]
	v_cndmask_b32_sdwa v4, v41, v4, vcc dst_sel:DWORD dst_unused:UNUSED_PAD src0_sel:DWORD src1_sel:WORD_1
	v_cmp_gt_i32_e32 vcc, s15, v40
	v_cmp_gt_i32_e64 s[2:3], s33, v51
	v_perm_b32 v4, v4, v6, s20
	s_nop 0
	v_cndmask_b32_e64 v6, 0, v5, s[2:3]
	v_cndmask_b32_sdwa v5, v41, v5, vcc dst_sel:DWORD dst_unused:UNUSED_PAD src0_sel:DWORD src1_sel:WORD_1
	v_perm_b32 v5, v5, v6, s20
	s_or_b64 exec, exec, s[12:13]
	global_load_dwordx4 v[6:9], v[22:23], off offset:1024
	s_and_saveexec_b64 s[12:13], s[0:1]
	s_cbranch_execz .LBB142_42
.LBB142_50:                             ;   in Loop: Header=BB142_40 Depth=1
	v_cmp_gt_i32_e32 vcc, s15, v56
	v_cmp_gt_i32_e64 s[2:3], s33, v55
	s_waitcnt vmcnt(0)
	v_cndmask_b32_sdwa v10, v41, v6, vcc dst_sel:DWORD dst_unused:UNUSED_PAD src0_sel:DWORD src1_sel:WORD_1
	v_cmp_gt_i32_e32 vcc, s33, v49
	s_nop 1
	v_cndmask_b32_e32 v6, 0, v6, vcc
	v_cmp_gt_i32_e32 vcc, s15, v54
	v_perm_b32 v6, v10, v6, s20
	v_cndmask_b32_e64 v10, 0, v7, s[2:3]
	v_cndmask_b32_sdwa v7, v41, v7, vcc dst_sel:DWORD dst_unused:UNUSED_PAD src0_sel:DWORD src1_sel:WORD_1
	v_cmp_gt_i32_e32 vcc, s15, v52
	v_cmp_gt_i32_e64 s[2:3], s33, v53
	v_perm_b32 v7, v7, v10, s20
	s_nop 0
	v_cndmask_b32_e64 v10, 0, v8, s[2:3]
	v_cndmask_b32_sdwa v8, v41, v8, vcc dst_sel:DWORD dst_unused:UNUSED_PAD src0_sel:DWORD src1_sel:WORD_1
	v_cmp_gt_i32_e32 vcc, s15, v40
	v_cmp_gt_i32_e64 s[2:3], s33, v51
	v_perm_b32 v8, v8, v10, s20
	s_nop 0
	v_cndmask_b32_e64 v10, 0, v9, s[2:3]
	v_cndmask_b32_sdwa v9, v41, v9, vcc dst_sel:DWORD dst_unused:UNUSED_PAD src0_sel:DWORD src1_sel:WORD_1
	v_perm_b32 v9, v9, v10, s20
	s_or_b64 exec, exec, s[12:13]
	global_load_dwordx4 v[10:13], v[22:23], off offset:2048
	s_and_saveexec_b64 s[12:13], s[0:1]
	s_cbranch_execz .LBB142_43
.LBB142_51:                             ;   in Loop: Header=BB142_40 Depth=1
	v_cmp_gt_i32_e32 vcc, s15, v56
	v_cmp_gt_i32_e64 s[2:3], s33, v55
	s_waitcnt vmcnt(0)
	v_cndmask_b32_sdwa v24, v41, v10, vcc dst_sel:DWORD dst_unused:UNUSED_PAD src0_sel:DWORD src1_sel:WORD_1
	v_cmp_gt_i32_e32 vcc, s33, v49
	s_nop 1
	v_cndmask_b32_e32 v10, 0, v10, vcc
	v_cmp_gt_i32_e32 vcc, s15, v54
	v_perm_b32 v10, v24, v10, s20
	v_cndmask_b32_e64 v24, 0, v11, s[2:3]
	v_cndmask_b32_sdwa v11, v41, v11, vcc dst_sel:DWORD dst_unused:UNUSED_PAD src0_sel:DWORD src1_sel:WORD_1
	v_cmp_gt_i32_e32 vcc, s15, v52
	v_cmp_gt_i32_e64 s[2:3], s33, v53
	v_perm_b32 v11, v11, v24, s20
	s_nop 0
	v_cndmask_b32_e64 v24, 0, v12, s[2:3]
	v_cndmask_b32_sdwa v12, v41, v12, vcc dst_sel:DWORD dst_unused:UNUSED_PAD src0_sel:DWORD src1_sel:WORD_1
	v_cmp_gt_i32_e32 vcc, s15, v40
	v_cmp_gt_i32_e64 s[2:3], s33, v51
	v_perm_b32 v12, v12, v24, s20
	s_nop 0
	v_cndmask_b32_e64 v24, 0, v13, s[2:3]
	v_cndmask_b32_sdwa v13, v41, v13, vcc dst_sel:DWORD dst_unused:UNUSED_PAD src0_sel:DWORD src1_sel:WORD_1
	v_perm_b32 v13, v13, v24, s20
	s_or_b64 exec, exec, s[12:13]
	global_load_dwordx4 v[26:29], v[22:23], off offset:3072
	s_and_saveexec_b64 s[12:13], s[0:1]
	s_cbranch_execnz .LBB142_44
	s_branch .LBB142_45
.LBB142_52:
	s_or_b64 exec, exec, s[6:7]
.LBB142_53:
	s_or_b64 exec, exec, s[8:9]
	ds_bpermute_b32 v2, v47, v38
	ds_bpermute_b32 v3, v47, v39
	;; [unrolled: 1-line block ×4, first 2 shown]
	v_and_b32_e32 v1, 0x3c1, v0
	v_cmp_ne_u32_e32 vcc, 64, v1
	s_waitcnt lgkmcnt(2)
	v_pk_add_f32 v[4:5], v[38:39], v[2:3]
	s_waitcnt lgkmcnt(0)
	v_pk_add_f32 v[2:3], v[36:37], v[6:7]
	ds_bpermute_b32 v6, v47, v34
	ds_bpermute_b32 v7, v47, v35
	s_barrier
	s_waitcnt lgkmcnt(0)
	s_and_saveexec_b64 s[0:1], vcc
	s_xor_b64 s[0:1], exec, s[0:1]
; %bb.54:
                                        ; implicit-def: $vgpr46
; %bb.55:
	s_or_saveexec_b64 s[0:1], s[0:1]
	v_pk_add_f32 v[6:7], v[34:35], v[6:7]
	s_xor_b64 exec, exec, s[0:1]
	s_cbranch_execz .LBB142_57
; %bb.56:
	v_mov_b32_e32 v8, 0x190
	v_lshl_add_u32 v8, v46, 1, v8
	ds_write2_b32 v8, v4, v5 offset1:32
	ds_write2_b32 v8, v2, v3 offset0:64 offset1:96
	ds_write2_b32 v8, v6, v7 offset0:128 offset1:160
.LBB142_57:
	s_or_b64 exec, exec, s[0:1]
	v_cmp_gt_u32_e32 vcc, 64, v0
	v_lshrrev_b32_e32 v0, 1, v0
	s_waitcnt lgkmcnt(0)
	s_barrier
	s_and_saveexec_b64 s[0:1], vcc
	s_cbranch_execz .LBB142_66
; %bb.58:
	v_mov_b32_e32 v8, 0x190
	v_cmp_eq_u32_e32 vcc, 0, v48
	v_lshl_add_u32 v8, v0, 2, v8
	s_and_saveexec_b64 s[2:3], vcc
	s_cbranch_execnz .LBB142_69
; %bb.59:
	s_or_b64 exec, exec, s[2:3]
	s_and_saveexec_b64 s[2:3], vcc
	s_cbranch_execnz .LBB142_70
.LBB142_60:
	s_or_b64 exec, exec, s[2:3]
	s_and_saveexec_b64 s[2:3], vcc
	s_cbranch_execnz .LBB142_71
.LBB142_61:
	s_or_b64 exec, exec, s[2:3]
	s_and_saveexec_b64 s[2:3], vcc
	s_cbranch_execnz .LBB142_72
.LBB142_62:
	s_or_b64 exec, exec, s[2:3]
	s_and_saveexec_b64 s[2:3], vcc
	s_cbranch_execnz .LBB142_73
.LBB142_63:
	s_or_b64 exec, exec, s[2:3]
	s_and_saveexec_b64 s[2:3], vcc
	s_cbranch_execz .LBB142_65
.LBB142_64:
	ds_read_b32 v8, v8 offset:640
	s_waitcnt lgkmcnt(0)
	v_add_f32_e32 v7, v7, v8
.LBB142_65:
	s_or_b64 exec, exec, s[2:3]
.LBB142_66:
	s_or_b64 exec, exec, s[0:1]
	v_cmp_eq_u32_e32 vcc, 0, v1
	s_barrier
	s_and_saveexec_b64 s[0:1], vcc
	s_cbranch_execz .LBB142_68
; %bb.67:
	s_mul_i32 s0, s10, s11
	s_mul_i32 s0, s0, s5
	s_mulk_i32 s0, 0xc0
	s_ashr_i32 s1, s0, 31
	s_lshl_b64 s[0:1], s[0:1], 1
	s_add_u32 s2, s18, s0
	s_mul_i32 s0, s11, s16
	s_addc_u32 s3, s19, s1
	s_ashr_i32 s1, s0, 31
	s_lshl_b64 s[0:1], s[0:1], 1
	s_add_u32 s2, s2, s0
	s_mul_i32 s0, s4, 0xc0
	s_addc_u32 s3, s3, s1
	s_ashr_i32 s1, s0, 31
	s_lshl_b64 s[0:1], s[0:1], 1
	s_add_u32 s0, s2, s0
	s_addc_u32 s1, s3, s1
	v_lshlrev_b32_e32 v0, 1, v0
	v_cvt_pk_bf16_f32 v1, v4, s0
	global_store_short v0, v1, s[0:1]
	v_cvt_pk_bf16_f32 v1, v5, s0
	global_store_short v0, v1, s[0:1] offset:64
	v_cvt_pk_bf16_f32 v1, v2, s0
	global_store_short v0, v1, s[0:1] offset:128
	;; [unrolled: 2-line block ×5, first 2 shown]
.LBB142_68:
	s_endpgm
.LBB142_69:
	ds_read_b32 v9, v8
	s_waitcnt lgkmcnt(0)
	v_add_f32_e32 v4, v4, v9
	s_or_b64 exec, exec, s[2:3]
	s_and_saveexec_b64 s[2:3], vcc
	s_cbranch_execz .LBB142_60
.LBB142_70:
	ds_read_b32 v9, v8 offset:128
	s_waitcnt lgkmcnt(0)
	v_add_f32_e32 v5, v5, v9
	s_or_b64 exec, exec, s[2:3]
	s_and_saveexec_b64 s[2:3], vcc
	s_cbranch_execz .LBB142_61
.LBB142_71:
	ds_read_b32 v9, v8 offset:256
	s_waitcnt lgkmcnt(0)
	v_add_f32_e32 v2, v2, v9
	s_or_b64 exec, exec, s[2:3]
	s_and_saveexec_b64 s[2:3], vcc
	s_cbranch_execz .LBB142_62
.LBB142_72:
	ds_read_b32 v9, v8 offset:384
	s_waitcnt lgkmcnt(0)
	v_add_f32_e32 v3, v3, v9
	s_or_b64 exec, exec, s[2:3]
	s_and_saveexec_b64 s[2:3], vcc
	s_cbranch_execz .LBB142_63
.LBB142_73:
	ds_read_b32 v9, v8 offset:512
	s_waitcnt lgkmcnt(0)
	v_add_f32_e32 v6, v6, v9
	s_or_b64 exec, exec, s[2:3]
	s_and_saveexec_b64 s[2:3], vcc
	s_cbranch_execnz .LBB142_64
	s_branch .LBB142_65
	.section	.rodata,"a",@progbits
	.p2align	6, 0x0
	.amdhsa_kernel _ZN4vllm25paged_attention_v1_kernelI14__hip_bfloat16S1_Li192ELi16ELi128ELNS_18Fp8KVCacheDataTypeE0ELb0EEEvPT_PKS3_PKT0_S9_ifPKiSB_iPKfiiiSD_SD_iiiii
		.amdhsa_group_segment_fixed_size 400
		.amdhsa_private_segment_fixed_size 0
		.amdhsa_kernarg_size 384
		.amdhsa_user_sgpr_count 2
		.amdhsa_user_sgpr_dispatch_ptr 0
		.amdhsa_user_sgpr_queue_ptr 0
		.amdhsa_user_sgpr_kernarg_segment_ptr 1
		.amdhsa_user_sgpr_dispatch_id 0
		.amdhsa_user_sgpr_kernarg_preload_length 0
		.amdhsa_user_sgpr_kernarg_preload_offset 0
		.amdhsa_user_sgpr_private_segment_size 0
		.amdhsa_uses_dynamic_stack 0
		.amdhsa_enable_private_segment 0
		.amdhsa_system_sgpr_workgroup_id_x 1
		.amdhsa_system_sgpr_workgroup_id_y 1
		.amdhsa_system_sgpr_workgroup_id_z 1
		.amdhsa_system_sgpr_workgroup_info 0
		.amdhsa_system_vgpr_workitem_id 0
		.amdhsa_next_free_vgpr 102
		.amdhsa_next_free_sgpr 35
		.amdhsa_accum_offset 104
		.amdhsa_reserve_vcc 1
		.amdhsa_float_round_mode_32 0
		.amdhsa_float_round_mode_16_64 0
		.amdhsa_float_denorm_mode_32 3
		.amdhsa_float_denorm_mode_16_64 3
		.amdhsa_dx10_clamp 1
		.amdhsa_ieee_mode 1
		.amdhsa_fp16_overflow 0
		.amdhsa_tg_split 0
		.amdhsa_exception_fp_ieee_invalid_op 0
		.amdhsa_exception_fp_denorm_src 0
		.amdhsa_exception_fp_ieee_div_zero 0
		.amdhsa_exception_fp_ieee_overflow 0
		.amdhsa_exception_fp_ieee_underflow 0
		.amdhsa_exception_fp_ieee_inexact 0
		.amdhsa_exception_int_div_zero 0
	.end_amdhsa_kernel
	.section	.text._ZN4vllm25paged_attention_v1_kernelI14__hip_bfloat16S1_Li192ELi16ELi128ELNS_18Fp8KVCacheDataTypeE0ELb0EEEvPT_PKS3_PKT0_S9_ifPKiSB_iPKfiiiSD_SD_iiiii,"axG",@progbits,_ZN4vllm25paged_attention_v1_kernelI14__hip_bfloat16S1_Li192ELi16ELi128ELNS_18Fp8KVCacheDataTypeE0ELb0EEEvPT_PKS3_PKT0_S9_ifPKiSB_iPKfiiiSD_SD_iiiii,comdat
.Lfunc_end142:
	.size	_ZN4vllm25paged_attention_v1_kernelI14__hip_bfloat16S1_Li192ELi16ELi128ELNS_18Fp8KVCacheDataTypeE0ELb0EEEvPT_PKS3_PKT0_S9_ifPKiSB_iPKfiiiSD_SD_iiiii, .Lfunc_end142-_ZN4vllm25paged_attention_v1_kernelI14__hip_bfloat16S1_Li192ELi16ELi128ELNS_18Fp8KVCacheDataTypeE0ELb0EEEvPT_PKS3_PKT0_S9_ifPKiSB_iPKfiiiSD_SD_iiiii
                                        ; -- End function
	.set _ZN4vllm25paged_attention_v1_kernelI14__hip_bfloat16S1_Li192ELi16ELi128ELNS_18Fp8KVCacheDataTypeE0ELb0EEEvPT_PKS3_PKT0_S9_ifPKiSB_iPKfiiiSD_SD_iiiii.num_vgpr, 102
	.set _ZN4vllm25paged_attention_v1_kernelI14__hip_bfloat16S1_Li192ELi16ELi128ELNS_18Fp8KVCacheDataTypeE0ELb0EEEvPT_PKS3_PKT0_S9_ifPKiSB_iPKfiiiSD_SD_iiiii.num_agpr, 0
	.set _ZN4vllm25paged_attention_v1_kernelI14__hip_bfloat16S1_Li192ELi16ELi128ELNS_18Fp8KVCacheDataTypeE0ELb0EEEvPT_PKS3_PKT0_S9_ifPKiSB_iPKfiiiSD_SD_iiiii.numbered_sgpr, 35
	.set _ZN4vllm25paged_attention_v1_kernelI14__hip_bfloat16S1_Li192ELi16ELi128ELNS_18Fp8KVCacheDataTypeE0ELb0EEEvPT_PKS3_PKT0_S9_ifPKiSB_iPKfiiiSD_SD_iiiii.num_named_barrier, 0
	.set _ZN4vllm25paged_attention_v1_kernelI14__hip_bfloat16S1_Li192ELi16ELi128ELNS_18Fp8KVCacheDataTypeE0ELb0EEEvPT_PKS3_PKT0_S9_ifPKiSB_iPKfiiiSD_SD_iiiii.private_seg_size, 0
	.set _ZN4vllm25paged_attention_v1_kernelI14__hip_bfloat16S1_Li192ELi16ELi128ELNS_18Fp8KVCacheDataTypeE0ELb0EEEvPT_PKS3_PKT0_S9_ifPKiSB_iPKfiiiSD_SD_iiiii.uses_vcc, 1
	.set _ZN4vllm25paged_attention_v1_kernelI14__hip_bfloat16S1_Li192ELi16ELi128ELNS_18Fp8KVCacheDataTypeE0ELb0EEEvPT_PKS3_PKT0_S9_ifPKiSB_iPKfiiiSD_SD_iiiii.uses_flat_scratch, 0
	.set _ZN4vllm25paged_attention_v1_kernelI14__hip_bfloat16S1_Li192ELi16ELi128ELNS_18Fp8KVCacheDataTypeE0ELb0EEEvPT_PKS3_PKT0_S9_ifPKiSB_iPKfiiiSD_SD_iiiii.has_dyn_sized_stack, 0
	.set _ZN4vllm25paged_attention_v1_kernelI14__hip_bfloat16S1_Li192ELi16ELi128ELNS_18Fp8KVCacheDataTypeE0ELb0EEEvPT_PKS3_PKT0_S9_ifPKiSB_iPKfiiiSD_SD_iiiii.has_recursion, 0
	.set _ZN4vllm25paged_attention_v1_kernelI14__hip_bfloat16S1_Li192ELi16ELi128ELNS_18Fp8KVCacheDataTypeE0ELb0EEEvPT_PKS3_PKT0_S9_ifPKiSB_iPKfiiiSD_SD_iiiii.has_indirect_call, 0
	.section	.AMDGPU.csdata,"",@progbits
; Kernel info:
; codeLenInByte = 6912
; TotalNumSgprs: 41
; NumVgprs: 102
; NumAgprs: 0
; TotalNumVgprs: 102
; ScratchSize: 0
; MemoryBound: 0
; FloatMode: 240
; IeeeMode: 1
; LDSByteSize: 400 bytes/workgroup (compile time only)
; SGPRBlocks: 5
; VGPRBlocks: 12
; NumSGPRsForWavesPerEU: 41
; NumVGPRsForWavesPerEU: 102
; AccumOffset: 104
; Occupancy: 4
; WaveLimiterHint : 1
; COMPUTE_PGM_RSRC2:SCRATCH_EN: 0
; COMPUTE_PGM_RSRC2:USER_SGPR: 2
; COMPUTE_PGM_RSRC2:TRAP_HANDLER: 0
; COMPUTE_PGM_RSRC2:TGID_X_EN: 1
; COMPUTE_PGM_RSRC2:TGID_Y_EN: 1
; COMPUTE_PGM_RSRC2:TGID_Z_EN: 1
; COMPUTE_PGM_RSRC2:TIDIG_COMP_CNT: 0
; COMPUTE_PGM_RSRC3_GFX90A:ACCUM_OFFSET: 25
; COMPUTE_PGM_RSRC3_GFX90A:TG_SPLIT: 0
	.section	.text._ZN4vllm25paged_attention_v1_kernelI14__hip_bfloat16S1_Li256ELi16ELi128ELNS_18Fp8KVCacheDataTypeE0ELb0EEEvPT_PKS3_PKT0_S9_ifPKiSB_iPKfiiiSD_SD_iiiii,"axG",@progbits,_ZN4vllm25paged_attention_v1_kernelI14__hip_bfloat16S1_Li256ELi16ELi128ELNS_18Fp8KVCacheDataTypeE0ELb0EEEvPT_PKS3_PKT0_S9_ifPKiSB_iPKfiiiSD_SD_iiiii,comdat
	.protected	_ZN4vllm25paged_attention_v1_kernelI14__hip_bfloat16S1_Li256ELi16ELi128ELNS_18Fp8KVCacheDataTypeE0ELb0EEEvPT_PKS3_PKT0_S9_ifPKiSB_iPKfiiiSD_SD_iiiii ; -- Begin function _ZN4vllm25paged_attention_v1_kernelI14__hip_bfloat16S1_Li256ELi16ELi128ELNS_18Fp8KVCacheDataTypeE0ELb0EEEvPT_PKS3_PKT0_S9_ifPKiSB_iPKfiiiSD_SD_iiiii
	.globl	_ZN4vllm25paged_attention_v1_kernelI14__hip_bfloat16S1_Li256ELi16ELi128ELNS_18Fp8KVCacheDataTypeE0ELb0EEEvPT_PKS3_PKT0_S9_ifPKiSB_iPKfiiiSD_SD_iiiii
	.p2align	8
	.type	_ZN4vllm25paged_attention_v1_kernelI14__hip_bfloat16S1_Li256ELi16ELi128ELNS_18Fp8KVCacheDataTypeE0ELb0EEEvPT_PKS3_PKT0_S9_ifPKiSB_iPKfiiiSD_SD_iiiii,@function
_ZN4vllm25paged_attention_v1_kernelI14__hip_bfloat16S1_Li256ELi16ELi128ELNS_18Fp8KVCacheDataTypeE0ELb0EEEvPT_PKS3_PKT0_S9_ifPKiSB_iPKfiiiSD_SD_iiiii: ; @_ZN4vllm25paged_attention_v1_kernelI14__hip_bfloat16S1_Li256ELi16ELi128ELNS_18Fp8KVCacheDataTypeE0ELb0EEEvPT_PKS3_PKT0_S9_ifPKiSB_iPKfiiiSD_SD_iiiii
; %bb.0:
	s_load_dword s5, s[0:1], 0x80
	s_load_dwordx2 s[6:7], s[0:1], 0x30
	s_load_dwordx2 s[8:9], s[0:1], 0x20
	s_mov_b32 s10, s3
	s_ashr_i32 s11, s3, 31
	s_lshl_b64 s[12:13], s[10:11], 2
	s_waitcnt lgkmcnt(0)
	s_add_u32 s6, s6, s12
	s_addc_u32 s7, s7, s13
	s_abs_i32 s3, s8
	v_cvt_f32_u32_e32 v1, s3
	s_sub_i32 s12, 0, s3
	s_abs_i32 s11, s5
	s_xor_b32 s8, s5, s8
	v_rcp_iflag_f32_e32 v1, v1
	s_ashr_i32 s8, s8, 31
	v_mul_f32_e32 v1, 0x4f7ffffe, v1
	v_cvt_u32_f32_e32 v1, v1
	s_nop 0
	v_readfirstlane_b32 s13, v1
	s_mul_i32 s12, s12, s13
	s_mul_hi_u32 s12, s13, s12
	s_add_i32 s13, s13, s12
	s_mul_hi_u32 s12, s11, s13
	s_mul_i32 s13, s12, s3
	s_sub_i32 s11, s11, s13
	s_add_i32 s13, s12, 1
	s_sub_i32 s14, s11, s3
	s_cmp_ge_u32 s11, s3
	s_cselect_b32 s12, s13, s12
	s_cselect_b32 s11, s14, s11
	s_add_i32 s13, s12, 1
	s_cmp_ge_u32 s11, s3
	s_cselect_b32 s3, s13, s12
	s_xor_b32 s3, s3, s8
	s_sub_i32 s14, s3, s8
	s_abs_i32 s11, s14
	v_cvt_f32_u32_e32 v1, s11
	s_load_dwordx2 s[12:13], s[0:1], 0x40
	s_sub_i32 s3, 0, s11
	s_abs_i32 s18, s2
	v_rcp_iflag_f32_e32 v1, v1
	s_mov_b32 s8, 0
	v_mul_f32_e32 v1, 0x4f7ffffe, v1
	v_cvt_u32_f32_e32 v1, v1
	s_nop 0
	v_readfirstlane_b32 s15, v1
	s_mul_i32 s3, s3, s15
	s_mul_hi_u32 s3, s15, s3
	s_add_i32 s15, s15, s3
	s_waitcnt lgkmcnt(0)
	s_cmp_eq_u64 s[12:13], 0
	s_mul_hi_u32 s19, s18, s15
	s_cbranch_scc1 .LBB143_2
; %bb.1:
	s_ashr_i32 s3, s2, 31
	s_lshl_b64 s[16:17], s[2:3], 2
	s_add_u32 s12, s12, s16
	s_addc_u32 s13, s13, s17
	s_load_dword s8, s[12:13], 0x0
.LBB143_2:
	s_load_dword s33, s[6:7], 0x0
	s_ashr_i32 s7, s14, 31
	s_load_dwordx4 s[12:15], s[0:1], 0x48
	s_ashr_i32 s6, s2, 31
	s_lshl_b32 s16, s2, 8
	s_movk_i32 s2, 0x80
	v_and_b32_e32 v2, 3, v0
	v_cmp_gt_u32_e32 vcc, s2, v0
	s_and_saveexec_b64 s[2:3], vcc
	s_cbranch_execz .LBB143_4
; %bb.3:
	s_load_dwordx2 s[20:21], s[0:1], 0x8
	s_waitcnt lgkmcnt(0)
	s_mul_i32 s22, s12, s10
	s_ashr_i32 s23, s22, 31
	s_lshl_b64 s[22:23], s[22:23], 1
	v_lshlrev_b32_e32 v1, 2, v0
	s_add_u32 s12, s20, s22
	s_addc_u32 s15, s21, s23
	s_ashr_i32 s17, s16, 31
	s_lshl_b64 s[20:21], s[16:17], 1
	s_add_u32 s20, s12, s20
	s_addc_u32 s21, s15, s21
	global_load_dword v1, v1, s[20:21]
	v_and_b32_e32 v3, 0x3fc, v0
	v_lshl_add_u32 v3, v2, 7, v3
	s_waitcnt vmcnt(0)
	ds_write_b32 v3, v1
.LBB143_4:
	s_or_b64 exec, exec, s[2:3]
	s_waitcnt lgkmcnt(0)
	s_add_i32 s3, s33, 15
	s_ashr_i32 s12, s3, 31
	s_lshr_b32 s12, s12, 28
	s_add_i32 s3, s3, s12
	s_ashr_i32 s17, s3, 4
	s_xor_b32 s3, s6, s7
	s_mul_i32 s6, s19, s11
	s_sub_i32 s6, s18, s6
	s_add_i32 s7, s19, 1
	s_sub_i32 s12, s6, s11
	s_load_dwordx2 s[20:21], s[0:1], 0x28
	s_load_dword s2, s[0:1], 0x38
	s_cmp_ge_u32 s6, s11
	s_cselect_b32 s7, s7, s19
	s_cselect_b32 s6, s12, s6
	s_add_i32 s12, s7, 1
	s_cmp_ge_u32 s6, s11
	s_cselect_b32 s6, s12, s7
	v_lshrrev_b32_e32 v1, 6, v0
	s_xor_b32 s6, s6, s3
	s_waitcnt lgkmcnt(0)
	s_mul_i32 s22, s2, s10
	s_sub_i32 s12, s6, s3
	s_ashr_i32 s23, s22, 31
	v_cmp_gt_i32_e64 s[6:7], s17, v1
	v_cmp_le_i32_e32 vcc, s17, v1
	v_mbcnt_lo_u32_b32 v4, -1, 0
	s_barrier
                                        ; implicit-def: $vgpr7
                                        ; implicit-def: $vgpr9
                                        ; implicit-def: $vgpr8
	s_and_saveexec_b64 s[2:3], vcc
	s_xor_b64 s[2:3], exec, s[2:3]
; %bb.5:
	v_mbcnt_hi_u32_b32 v7, -1, v4
	v_and_b32_e32 v9, 64, v7
	v_add_u32_e32 v8, 64, v9
                                        ; implicit-def: $vgpr2
                                        ; implicit-def: $vgpr4
; %bb.6:
	s_or_saveexec_b64 s[26:27], s[2:3]
	s_load_dwordx2 s[18:19], s[0:1], 0x0
	s_load_dwordx2 s[24:25], s[0:1], 0x18
	s_load_dword s11, s[0:1], 0x88
	v_mov_b32_e32 v74, 0xff7fffff
	s_mul_i32 s14, s12, s14
	v_lshrrev_b32_e32 v6, 4, v0
	s_xor_b64 exec, exec, s[26:27]
	s_cbranch_execz .LBB143_12
; %bb.7:
	s_load_dwordx2 s[0:1], s[0:1], 0x10
	s_ashr_i32 s15, s14, 31
	s_lshl_b64 s[2:3], s[14:15], 1
	v_lshlrev_b32_e32 v3, 7, v2
	v_bfe_u32 v5, v0, 2, 4
	s_waitcnt lgkmcnt(0)
	s_add_u32 s0, s0, s2
	ds_read_b128 v[14:17], v3
	ds_read_b128 v[22:25], v3 offset:16
	ds_read_b128 v[30:33], v3 offset:32
	ds_read_b128 v[38:41], v3 offset:48
	ds_read_b128 v[46:49], v3 offset:64
	ds_read_b128 v[54:57], v3 offset:80
	ds_read_b128 v[62:65], v3 offset:96
	ds_read_b128 v[70:73], v3 offset:112
	s_addc_u32 s1, s1, s3
	v_lshlrev_b32_e32 v80, 4, v5
	v_mov_b32_e32 v81, 0
	v_lshlrev_b32_e32 v3, 2, v0
	v_lshl_add_u64 v[8:9], s[0:1], 0, v[80:81]
	v_and_b32_e32 v80, 12, v3
	v_mbcnt_hi_u32_b32 v7, -1, v4
	v_cmp_eq_u32_e32 vcc, 0, v2
	v_lshl_add_u64 v[2:3], v[8:9], 0, v[80:81]
	v_and_b32_e32 v9, 64, v7
	v_add_u32_e32 v8, 64, v9
	v_xor_b32_e32 v4, 2, v7
	v_cmp_lt_i32_e64 s[0:1], v4, v8
	s_sub_i32 s15, 1, s33
	v_and_b32_e32 v80, 60, v6
	v_cndmask_b32_e64 v4, v7, v4, s[0:1]
	v_lshlrev_b32_e32 v75, 2, v4
	v_xor_b32_e32 v4, 1, v7
	v_cmp_lt_i32_e64 s[0:1], v4, v8
	s_waitcnt lgkmcnt(7)
	v_lshlrev_b32_e32 v10, 16, v14
	v_and_b32_e32 v11, 0xffff0000, v14
	v_cndmask_b32_e64 v4, v7, v4, s[0:1]
	s_lshl_b64 s[0:1], s[22:23], 2
	v_lshlrev_b32_e32 v76, 2, v4
	v_lshlrev_b32_e32 v4, 2, v5
	s_add_u32 s0, s20, s0
	v_lshl_or_b32 v4, v1, 6, v4
	s_addc_u32 s1, s21, s1
	v_lshlrev_b32_e32 v12, 16, v15
	v_and_b32_e32 v13, 0xffff0000, v15
	v_lshlrev_b32_e32 v14, 16, v16
	v_and_b32_e32 v15, 0xffff0000, v16
	v_lshlrev_b32_e32 v16, 16, v17
	v_and_b32_e32 v17, 0xffff0000, v17
	s_waitcnt lgkmcnt(6)
	v_lshlrev_b32_e32 v18, 16, v22
	v_and_b32_e32 v19, 0xffff0000, v22
	v_lshlrev_b32_e32 v20, 16, v23
	v_and_b32_e32 v21, 0xffff0000, v23
	v_lshlrev_b32_e32 v22, 16, v24
	v_and_b32_e32 v23, 0xffff0000, v24
	v_lshlrev_b32_e32 v24, 16, v25
	v_and_b32_e32 v25, 0xffff0000, v25
	s_waitcnt lgkmcnt(5)
	v_lshlrev_b32_e32 v26, 16, v30
	v_and_b32_e32 v27, 0xffff0000, v30
	;; [unrolled: 9-line block ×7, first 2 shown]
	v_lshlrev_b32_e32 v68, 16, v71
	v_and_b32_e32 v69, 0xffff0000, v71
	v_lshlrev_b32_e32 v70, 16, v72
	v_and_b32_e32 v71, 0xffff0000, v72
	;; [unrolled: 2-line block ×3, first 2 shown]
	s_mov_b32 s12, s13
	v_cmp_neq_f32_e64 s[2:3], s8, 0
	v_lshl_or_b32 v77, v1, 4, v5
	v_add_u32_e32 v78, 0x210, v4
	v_lshl_add_u64 v[4:5], s[0:1], 0, v[80:81]
	s_mov_b64 s[28:29], 0
	s_movk_i32 s34, 0x1000
	v_mov_b32_e32 v74, 0xff7fffff
	v_mov_b32_e32 v79, v1
	s_branch .LBB143_9
.LBB143_8:                              ;   in Loop: Header=BB143_9 Depth=1
	s_or_b64 exec, exec, s[30:31]
	v_add_u32_e32 v79, 2, v79
	v_cmp_le_i32_e64 s[0:1], s17, v79
	v_add_u32_e32 v77, 32, v77
	v_add_u32_e32 v78, 0x80, v78
	s_or_b64 s[28:29], s[0:1], s[28:29]
	v_lshl_add_u64 v[4:5], v[4:5], 0, 8
	s_andn2_b64 exec, exec, s[28:29]
	s_cbranch_execz .LBB143_11
.LBB143_9:                              ; =>This Inner Loop Header: Depth=1
	global_load_dword v80, v[4:5], off
	s_waitcnt vmcnt(0) lgkmcnt(0)
	v_mad_i64_i32 v[80:81], s[0:1], v80, s12, 0
	v_lshl_add_u64 v[80:81], v[80:81], 1, v[2:3]
	global_load_dword v87, v[80:81], off offset:256
	global_load_dword v90, v[80:81], off
	global_load_dword v91, v[80:81], off offset:512
	global_load_dword v92, v[80:81], off offset:768
	;; [unrolled: 1-line block ×9, first 2 shown]
	v_add_co_u32_e64 v88, s[0:1], s34, v80
	s_nop 1
	v_addc_co_u32_e64 v89, s[0:1], 0, v81, s[0:1]
	global_load_dword v100, v[80:81], off offset:2816
	global_load_dword v101, v[80:81], off offset:3072
	;; [unrolled: 1-line block ×5, first 2 shown]
	global_load_dword v105, v[88:89], off
	global_load_dword v106, v[88:89], off offset:256
	global_load_dword v107, v[88:89], off offset:512
	;; [unrolled: 1-line block ×15, first 2 shown]
	s_waitcnt vmcnt(31)
	v_lshlrev_b32_e32 v80, 16, v87
	v_mul_f32_e32 v80, v12, v80
	s_waitcnt vmcnt(30)
	v_lshlrev_b32_e32 v81, 16, v90
	v_fmac_f32_e32 v80, v10, v81
	v_and_b32_e32 v81, 0xffff0000, v87
	v_and_b32_e32 v88, 0xffff0000, v90
	v_mul_f32_e32 v81, v13, v81
	s_waitcnt vmcnt(29)
	v_lshlrev_b32_e32 v87, 16, v91
	v_fmac_f32_e32 v81, v11, v88
	v_fmac_f32_e32 v80, v14, v87
	v_and_b32_e32 v87, 0xffff0000, v91
	v_fmac_f32_e32 v81, v15, v87
	s_waitcnt vmcnt(28)
	v_lshlrev_b32_e32 v87, 16, v92
	v_fmac_f32_e32 v80, v16, v87
	v_and_b32_e32 v87, 0xffff0000, v92
	v_fmac_f32_e32 v81, v17, v87
	s_waitcnt vmcnt(27)
	v_lshlrev_b32_e32 v87, 16, v93
	;; [unrolled: 5-line block ×18, first 2 shown]
	v_and_b32_e32 v88, 0xffff0000, v109
	v_fmac_f32_e32 v80, v50, v87
	s_waitcnt vmcnt(10)
	v_lshlrev_b32_e32 v87, 16, v110
	v_and_b32_e32 v89, 0xffff0000, v110
	v_fmac_f32_e32 v81, v51, v88
	s_waitcnt vmcnt(9)
	v_lshlrev_b32_e32 v88, 16, v111
	v_and_b32_e32 v90, 0xffff0000, v111
	v_fmac_f32_e32 v80, v52, v87
	v_fmac_f32_e32 v81, v53, v89
	s_waitcnt vmcnt(8)
	v_lshlrev_b32_e32 v87, 16, v112
	v_and_b32_e32 v91, 0xffff0000, v112
	v_fmac_f32_e32 v80, v54, v88
	;; [unrolled: 5-line block ×10, first 2 shown]
	v_fmac_f32_e32 v81, v71, v83
	v_fmac_f32_e32 v80, v72, v88
	;; [unrolled: 1-line block ×3, first 2 shown]
	v_add_f32_e32 v80, v80, v81
	ds_bpermute_b32 v81, v75, v80
	s_waitcnt lgkmcnt(0)
	v_add_f32_e32 v80, v80, v81
	ds_bpermute_b32 v81, v76, v80
	s_and_saveexec_b64 s[30:31], vcc
	s_cbranch_execz .LBB143_8
; %bb.10:                               ;   in Loop: Header=BB143_9 Depth=1
	v_add_u32_e32 v82, s15, v77
	v_cvt_f32_i32_e32 v82, v82
	s_waitcnt lgkmcnt(0)
	v_add_f32_e32 v80, v80, v81
	v_cmp_gt_i32_e64 s[0:1], s33, v77
	v_max_f32_e32 v81, v74, v74
	v_mul_f32_e32 v82, s8, v82
	v_cndmask_b32_e64 v82, 0, v82, s[2:3]
	v_fmac_f32_e32 v82, s9, v80
	v_cndmask_b32_e64 v80, 0, v82, s[0:1]
	ds_write_b32 v78, v80
	v_max_f32_e32 v80, v81, v82
	v_cndmask_b32_e64 v74, v74, v80, s[0:1]
	s_branch .LBB143_8
.LBB143_11:
	s_or_b64 exec, exec, s[28:29]
.LBB143_12:
	s_or_b64 exec, exec, s[26:27]
	v_xor_b32_e32 v2, 32, v7
	v_cmp_lt_i32_e32 vcc, v2, v8
	v_xor_b32_e32 v5, 16, v7
	v_max_f32_e32 v4, v74, v74
	v_cndmask_b32_e32 v2, v7, v2, vcc
	v_lshlrev_b32_e32 v2, 2, v2
	ds_bpermute_b32 v3, v2, v74
	v_cmp_lt_i32_e32 vcc, v5, v8
	v_xor_b32_e32 v10, 8, v7
	v_xor_b32_e32 v11, 4, v7
	v_and_b32_e32 v56, 63, v0
	s_waitcnt lgkmcnt(0)
	v_max_f32_e32 v3, v3, v3
	v_max_f32_e32 v4, v4, v3
	v_cndmask_b32_e32 v3, v7, v5, vcc
	v_lshlrev_b32_e32 v3, 2, v3
	ds_bpermute_b32 v5, v3, v4
	v_cmp_lt_i32_e32 vcc, v10, v8
	s_waitcnt lgkmcnt(0)
	v_max_f32_e32 v5, v5, v5
	v_max_f32_e32 v4, v4, v5
	v_cndmask_b32_e32 v5, v7, v10, vcc
	v_lshlrev_b32_e32 v10, 2, v5
	ds_bpermute_b32 v5, v10, v4
	v_cmp_lt_i32_e32 vcc, v11, v8
	s_waitcnt lgkmcnt(0)
	v_max_f32_e32 v5, v5, v5
	v_max_f32_e32 v5, v4, v5
	v_cndmask_b32_e32 v4, v7, v11, vcc
	v_lshlrev_b32_e32 v11, 2, v4
	ds_bpermute_b32 v12, v11, v5
	v_cmp_eq_u32_e32 vcc, 0, v56
	v_lshlrev_b32_e32 v4, 2, v1
	s_and_saveexec_b64 s[0:1], vcc
	s_cbranch_execz .LBB143_14
; %bb.13:
	s_waitcnt lgkmcnt(0)
	v_max_f32_e32 v12, v12, v12
	v_max_f32_e32 v5, v5, v5
	;; [unrolled: 1-line block ×3, first 2 shown]
	ds_write_b32 v4, v5 offset:512
.LBB143_14:
	s_or_b64 exec, exec, s[0:1]
	v_cmp_gt_u32_e64 s[0:1], 2, v56
	s_waitcnt lgkmcnt(0)
	v_mov_b32_e32 v12, 0xff7fffff
	v_lshlrev_b32_e32 v5, 2, v56
	s_barrier
	s_and_saveexec_b64 s[2:3], s[0:1]
; %bb.15:
	ds_read_b32 v12, v5 offset:512
; %bb.16:
	s_or_b64 exec, exec, s[2:3]
	v_xor_b32_e32 v13, 1, v7
	v_cmp_lt_i32_e64 s[2:3], v13, v8
	v_lshlrev_b32_e32 v9, 2, v9
	s_nop 0
	v_cndmask_b32_e64 v13, v7, v13, s[2:3]
	v_lshlrev_b32_e32 v57, 2, v13
	s_waitcnt lgkmcnt(0)
	ds_bpermute_b32 v13, v57, v12
	v_max_f32_e32 v12, v12, v12
	s_lshl_b32 s2, s17, 4
	s_min_i32 s12, s2, s33
	v_cmp_gt_i32_e64 s[2:3], s12, v0
	s_waitcnt lgkmcnt(0)
	v_max_f32_e32 v13, v13, v13
	v_max_f32_e32 v12, v12, v13
	ds_bpermute_b32 v12, v9, v12
	v_mov_b32_e32 v9, 0
	s_and_saveexec_b64 s[26:27], s[2:3]
	s_cbranch_execz .LBB143_20
; %bb.17:
	v_mov_b32_e32 v9, 0x210
	v_lshl_add_u32 v13, v0, 2, v9
	v_mov_b32_e32 v9, 0
	s_mov_b64 s[28:29], 0
	v_mov_b32_e32 v14, v0
.LBB143_18:                             ; =>This Inner Loop Header: Depth=1
	ds_read_b32 v15, v13
	v_add_u32_e32 v14, 0x80, v14
	v_cmp_le_i32_e64 s[8:9], s12, v14
	s_or_b64 s[28:29], s[8:9], s[28:29]
	s_waitcnt lgkmcnt(0)
	v_sub_f32_e32 v15, v15, v12
	v_mul_f32_e32 v15, 0x3fb8aa3b, v15
	v_exp_f32_e32 v15, v15
	ds_write_b32 v13, v15
	v_add_f32_e32 v9, v9, v15
	v_add_u32_e32 v13, 0x200, v13
	s_andn2_b64 exec, exec, s[28:29]
	s_cbranch_execnz .LBB143_18
; %bb.19:
	s_or_b64 exec, exec, s[28:29]
.LBB143_20:
	s_or_b64 exec, exec, s[26:27]
	ds_bpermute_b32 v2, v2, v9
	s_waitcnt lgkmcnt(0)
	v_add_f32_e32 v2, v9, v2
	ds_bpermute_b32 v3, v3, v2
	v_xor_b32_e32 v9, 2, v7
	v_cmp_lt_i32_e64 s[8:9], v9, v8
	s_waitcnt lgkmcnt(0)
	v_add_f32_e32 v2, v2, v3
	ds_bpermute_b32 v3, v10, v2
	v_cndmask_b32_e64 v8, v7, v9, s[8:9]
	s_waitcnt lgkmcnt(0)
	v_add_f32_e32 v2, v2, v3
	ds_bpermute_b32 v3, v11, v2
	s_waitcnt lgkmcnt(0)
	v_add_f32_e32 v2, v2, v3
	v_lshlrev_b32_e32 v3, 2, v8
	ds_bpermute_b32 v3, v3, v2
	s_waitcnt lgkmcnt(0)
	v_add_f32_e32 v2, v2, v3
	ds_bpermute_b32 v3, v57, v2
	s_waitcnt lgkmcnt(0)
	v_add_f32_e32 v2, v2, v3
	s_and_saveexec_b64 s[8:9], vcc
; %bb.21:
	ds_write_b32 v4, v2 offset:520
; %bb.22:
	s_or_b64 exec, exec, s[8:9]
	s_waitcnt lgkmcnt(0)
	s_barrier
	s_and_saveexec_b64 s[8:9], s[0:1]
; %bb.23:
	ds_read_b32 v2, v5 offset:520
; %bb.24:
	s_or_b64 exec, exec, s[8:9]
	s_waitcnt lgkmcnt(0)
	ds_bpermute_b32 v3, v57, v2
	v_lshlrev_b32_e32 v4, 2, v7
	s_waitcnt lgkmcnt(0)
	v_add_f32_e32 v2, v2, v3
	v_and_b32_e32 v3, 0xffffff00, v4
	ds_bpermute_b32 v2, v3, v2
	s_and_saveexec_b64 s[0:1], s[2:3]
	s_cbranch_execz .LBB143_37
; %bb.25:
	s_waitcnt lgkmcnt(0)
	v_add_f32_e32 v2, 0x358637bd, v2
	v_div_scale_f32 v3, s[2:3], v2, v2, 1.0
	v_rcp_f32_e32 v4, v3
	v_div_scale_f32 v5, vcc, 1.0, v2, 1.0
	s_movk_i32 s2, 0x7f
	v_fma_f32 v7, -v3, v4, 1.0
	v_fmac_f32_e32 v4, v7, v4
	v_mul_f32_e32 v7, v5, v4
	v_fma_f32 v8, -v3, v7, v5
	v_fmac_f32_e32 v7, v8, v4
	v_fma_f32 v3, -v3, v7, v5
	v_div_fmas_f32 v3, v3, v4, v7
	v_xad_u32 v4, v0, -1, s12
	v_div_fixup_f32 v2, v3, v2, 1.0
	v_cmp_lt_u32_e32 vcc, s2, v4
	s_mov_b64 s[8:9], -1
	v_mov_b32_e32 v3, v0
	s_and_saveexec_b64 s[2:3], vcc
	s_cbranch_execz .LBB143_34
; %bb.26:
	v_lshrrev_b32_e32 v4, 7, v4
	v_add_u32_e32 v7, -1, v4
	v_lshrrev_b32_e32 v5, 1, v7
	v_mov_b32_e32 v3, v2
	v_add_u32_e32 v5, 1, v5
	v_cmp_lt_u32_e32 vcc, 13, v7
	v_mov_b32_e32 v9, 0
	s_and_saveexec_b64 s[8:9], vcc
	s_cbranch_execz .LBB143_30
; %bb.27:
	v_mov_b32_e32 v8, 0x210
	v_and_b32_e32 v7, -8, v5
	v_lshl_add_u32 v8, v0, 2, v8
	s_mov_b32 s15, 0
	s_mov_b64 s[26:27], 0
.LBB143_28:                             ; =>This Inner Loop Header: Depth=1
	ds_read2st64_b32 v[10:11], v8 offset1:2
	ds_read2st64_b32 v[12:13], v8 offset0:4 offset1:6
	ds_read2st64_b32 v[14:15], v8 offset0:8 offset1:10
	;; [unrolled: 1-line block ×3, first 2 shown]
	v_add_u32_e32 v7, -8, v7
	s_waitcnt lgkmcnt(3)
	v_pk_mul_f32 v[10:11], v[2:3], v[10:11]
	s_waitcnt lgkmcnt(2)
	v_pk_mul_f32 v[12:13], v[2:3], v[12:13]
	ds_write2st64_b32 v8, v10, v11 offset1:2
	ds_write2st64_b32 v8, v12, v13 offset0:4 offset1:6
	ds_read2st64_b32 v[12:13], v8 offset0:16 offset1:18
	s_waitcnt lgkmcnt(4)
	v_pk_mul_f32 v[10:11], v[2:3], v[14:15]
	ds_write2st64_b32 v8, v10, v11 offset0:8 offset1:10
	s_waitcnt lgkmcnt(4)
	v_pk_mul_f32 v[10:11], v[2:3], v[16:17]
	ds_write2st64_b32 v8, v10, v11 offset0:12 offset1:14
	ds_read2st64_b32 v[10:11], v8 offset0:20 offset1:22
	s_waitcnt lgkmcnt(3)
	v_pk_mul_f32 v[12:13], v[2:3], v[12:13]
	ds_read2st64_b32 v[14:15], v8 offset0:24 offset1:26
	ds_write2st64_b32 v8, v12, v13 offset0:16 offset1:18
	ds_read2st64_b32 v[12:13], v8 offset0:28 offset1:30
	s_waitcnt lgkmcnt(3)
	v_pk_mul_f32 v[10:11], v[2:3], v[10:11]
	ds_write2st64_b32 v8, v10, v11 offset0:20 offset1:22
	s_waitcnt lgkmcnt(3)
	v_pk_mul_f32 v[10:11], v[2:3], v[14:15]
	ds_write2st64_b32 v8, v10, v11 offset0:24 offset1:26
	s_waitcnt lgkmcnt(2)
	v_pk_mul_f32 v[10:11], v[2:3], v[12:13]
	s_add_i32 s15, s15, 16
	v_cmp_eq_u32_e32 vcc, 0, v7
	ds_write2st64_b32 v8, v10, v11 offset0:28 offset1:30
	v_add_u32_e32 v8, 0x2000, v8
	s_or_b64 s[26:27], vcc, s[26:27]
	v_mov_b32_e32 v9, s15
	s_andn2_b64 exec, exec, s[26:27]
	s_cbranch_execnz .LBB143_28
; %bb.29:
	s_or_b64 exec, exec, s[26:27]
.LBB143_30:
	s_or_b64 exec, exec, s[8:9]
	v_and_b32_e32 v5, 7, v5
	v_cmp_ne_u32_e32 vcc, 0, v5
	s_and_saveexec_b64 s[8:9], vcc
	s_cbranch_execz .LBB143_33
; %bb.31:
	v_lshlrev_b32_e32 v7, 9, v9
	v_lshlrev_b32_e32 v8, 2, v0
	s_movk_i32 s15, 0x210
	v_add3_u32 v7, v7, v8, s15
	s_mov_b64 s[26:27], 0
.LBB143_32:                             ; =>This Inner Loop Header: Depth=1
	ds_read2st64_b32 v[8:9], v7 offset1:2
	v_add_u32_e32 v5, -1, v5
	v_cmp_eq_u32_e32 vcc, 0, v5
	s_or_b64 s[26:27], vcc, s[26:27]
	s_waitcnt lgkmcnt(0)
	v_pk_mul_f32 v[8:9], v[2:3], v[8:9]
	ds_write2st64_b32 v7, v8, v9 offset1:2
	v_add_u32_e32 v7, 0x400, v7
	s_andn2_b64 exec, exec, s[26:27]
	s_cbranch_execnz .LBB143_32
.LBB143_33:
	s_or_b64 exec, exec, s[8:9]
	v_add_u32_e32 v4, 1, v4
	v_and_b32_e32 v5, 0x3fffffe, v4
	v_cmp_ne_u32_e32 vcc, v4, v5
	v_lshl_add_u32 v3, v5, 7, v0
	s_orn2_b64 s[8:9], vcc, exec
.LBB143_34:
	s_or_b64 exec, exec, s[2:3]
	s_and_b64 exec, exec, s[8:9]
	s_cbranch_execz .LBB143_37
; %bb.35:
	v_mov_b32_e32 v4, 0x210
	v_lshl_add_u32 v4, v3, 2, v4
	s_mov_b64 s[2:3], 0
.LBB143_36:                             ; =>This Inner Loop Header: Depth=1
	ds_read_b32 v5, v4
	v_add_u32_e32 v3, 0x80, v3
	v_cmp_le_i32_e32 vcc, s12, v3
	s_or_b64 s[2:3], vcc, s[2:3]
	s_waitcnt lgkmcnt(0)
	v_mul_f32_e32 v5, v2, v5
	ds_write_b32 v4, v5
	v_add_u32_e32 v4, 0x200, v4
	s_andn2_b64 exec, exec, s[2:3]
	s_cbranch_execnz .LBB143_36
.LBB143_37:
	s_or_b64 exec, exec, s[0:1]
	v_mov_b32_e32 v43, 0
	v_and_b32_e32 v58, 1, v0
	v_mov_b32_e32 v42, v43
	v_mov_b32_e32 v45, v43
	;; [unrolled: 1-line block ×7, first 2 shown]
	s_waitcnt lgkmcnt(0)
	s_barrier
	s_and_saveexec_b64 s[8:9], s[6:7]
	s_cbranch_execz .LBB143_57
; %bb.38:
	s_ashr_i32 s15, s14, 31
	s_lshl_b64 s[0:1], s[14:15], 1
	s_add_u32 s0, s24, s0
	v_lshlrev_b32_e32 v3, 4, v0
	v_lshlrev_b32_e32 v2, 3, v0
	s_addc_u32 s1, s25, s1
	v_and_b32_e32 v50, 0x3f0, v3
	v_mov_b32_e32 v51, 0
	v_and_b32_e32 v2, 8, v2
	s_add_i32 s14, s17, -1
	v_lshl_add_u64 v[52:53], s[0:1], 0, v[50:51]
	s_lshl_b64 s[0:1], s[22:23], 2
	v_lshl_or_b32 v59, v1, 4, v2
	v_lshlrev_b32_e32 v2, 5, v58
	s_add_u32 s0, s20, s0
	v_lshl_or_b32 v2, v1, 6, v2
	v_and_b32_e32 v50, 60, v6
	s_addc_u32 s1, s21, s1
	s_mov_b32 s26, s13
	s_mov_b32 s15, s33
	v_add_u32_e32 v60, 0x210, v2
	v_lshl_add_u64 v[54:55], s[0:1], 0, v[50:51]
	s_mov_b64 s[6:7], 0
	s_mov_b32 s20, 0x5040100
	v_mov_b32_e32 v43, 0
	v_mov_b32_e32 v42, 0
	;; [unrolled: 1-line block ×8, first 2 shown]
	s_branch .LBB143_40
.LBB143_39:                             ;   in Loop: Header=BB143_40 Depth=1
	s_or_b64 exec, exec, s[2:3]
	s_waitcnt lgkmcnt(1)
	v_cvt_pk_bf16_f32 v19, v19, s0
	s_waitcnt lgkmcnt(0)
	v_cvt_pk_bf16_f32 v50, v14, s0
	v_cvt_pk_bf16_f32 v61, v15, s0
	s_waitcnt vmcnt(1)
	v_and_b32_e32 v15, 0xffff0000, v38
	v_lshlrev_b32_e32 v14, 16, v19
	v_cvt_pk_bf16_f32 v18, v18, s0
	v_mul_f32_e32 v15, v14, v15
	v_cvt_pk_bf16_f32 v63, v15, s0
	v_lshlrev_b32_e32 v15, 16, v38
	v_lshlrev_b32_e32 v18, 16, v18
	v_cvt_pk_bf16_f32 v21, v21, s0
	v_mul_f32_e32 v15, v18, v15
	v_cvt_pk_bf16_f32 v62, v16, s0
	v_cvt_pk_bf16_f32 v38, v15, s0
	v_and_b32_e32 v16, 0xffff0000, v39
	v_lshlrev_b32_e32 v15, 16, v21
	v_cvt_pk_bf16_f32 v20, v20, s0
	v_mul_f32_e32 v16, v15, v16
	v_cvt_pk_bf16_f32 v64, v16, s0
	v_lshlrev_b32_e32 v16, 16, v39
	v_lshlrev_b32_e32 v19, 16, v20
	v_mul_f32_e32 v16, v19, v16
	v_cvt_pk_bf16_f32 v39, v16, s0
	v_and_b32_e32 v20, 0xffff0000, v40
	v_lshlrev_b32_e32 v16, 16, v61
	v_mul_f32_e32 v20, v16, v20
	v_cvt_pk_bf16_f32 v61, v20, s0
	v_lshlrev_b32_e32 v21, 16, v40
	v_lshlrev_b32_e32 v20, 16, v50
	v_cvt_pk_bf16_f32 v17, v17, s0
	v_mul_f32_e32 v21, v20, v21
	v_cvt_pk_bf16_f32 v40, v21, s0
	v_and_b32_e32 v21, 0xffff0000, v41
	v_lshlrev_b32_e32 v17, 16, v17
	v_mul_f32_e32 v21, v17, v21
	v_cvt_pk_bf16_f32 v50, v21, s0
	v_lshlrev_b32_e32 v21, 16, v62
	v_lshlrev_b32_e32 v38, 16, v38
	;; [unrolled: 1-line block ×3, first 2 shown]
	v_add_f32_e32 v38, v38, v62
	v_lshlrev_b32_e32 v39, 16, v39
	v_lshlrev_b32_e32 v62, 16, v64
	;; [unrolled: 1-line block ×3, first 2 shown]
	v_add_f32_e32 v39, v39, v62
	v_mul_f32_e32 v41, v21, v41
	v_add_f32_e32 v38, v39, v38
	v_lshlrev_b32_e32 v39, 16, v40
	v_lshlrev_b32_e32 v40, 16, v61
	v_cvt_pk_bf16_f32 v41, v41, s0
	v_add_f32_e32 v39, v39, v40
	v_add_f32_e32 v38, v39, v38
	v_lshlrev_b32_e32 v39, 16, v41
	v_lshlrev_b32_e32 v40, 16, v50
	v_add_f32_e32 v39, v39, v40
	v_add_f32_e32 v38, v39, v38
	v_add_f32_e32 v42, v42, v38
	v_and_b32_e32 v38, 0xffff0000, v34
	v_lshlrev_b32_e32 v34, 16, v34
	v_mul_f32_e32 v38, v14, v38
	v_mul_f32_e32 v34, v18, v34
	v_and_b32_e32 v39, 0xffff0000, v35
	v_lshlrev_b32_e32 v35, 16, v35
	v_cvt_pk_bf16_f32 v38, v38, s0
	v_cvt_pk_bf16_f32 v34, v34, s0
	v_mul_f32_e32 v39, v15, v39
	v_mul_f32_e32 v35, v19, v35
	v_cvt_pk_bf16_f32 v39, v39, s0
	v_cvt_pk_bf16_f32 v35, v35, s0
	v_and_b32_e32 v40, 0xffff0000, v36
	v_lshlrev_b32_e32 v36, 16, v36
	v_lshlrev_b32_e32 v34, 16, v34
	v_lshlrev_b32_e32 v38, 16, v38
	v_mul_f32_e32 v40, v16, v40
	v_mul_f32_e32 v36, v20, v36
	v_add_f32_e32 v34, v34, v38
	v_lshlrev_b32_e32 v35, 16, v35
	v_lshlrev_b32_e32 v38, 16, v39
	v_cvt_pk_bf16_f32 v40, v40, s0
	v_cvt_pk_bf16_f32 v36, v36, s0
	v_and_b32_e32 v41, 0xffff0000, v37
	v_lshlrev_b32_e32 v37, 16, v37
	v_add_f32_e32 v35, v35, v38
	v_mul_f32_e32 v41, v17, v41
	v_mul_f32_e32 v37, v21, v37
	v_add_f32_e32 v34, v35, v34
	v_lshlrev_b32_e32 v35, 16, v36
	v_lshlrev_b32_e32 v36, 16, v40
	v_cvt_pk_bf16_f32 v41, v41, s0
	v_cvt_pk_bf16_f32 v37, v37, s0
	v_add_f32_e32 v35, v35, v36
	v_add_f32_e32 v34, v35, v34
	v_lshlrev_b32_e32 v35, 16, v37
	v_lshlrev_b32_e32 v36, 16, v41
	v_add_f32_e32 v35, v35, v36
	v_add_f32_e32 v34, v35, v34
	v_add_f32_e32 v45, v45, v34
	v_and_b32_e32 v34, 0xffff0000, v30
	v_lshlrev_b32_e32 v30, 16, v30
	v_mul_f32_e32 v34, v14, v34
	v_mul_f32_e32 v30, v18, v30
	v_and_b32_e32 v35, 0xffff0000, v31
	v_lshlrev_b32_e32 v31, 16, v31
	v_cvt_pk_bf16_f32 v34, v34, s0
	v_cvt_pk_bf16_f32 v30, v30, s0
	v_mul_f32_e32 v35, v15, v35
	v_mul_f32_e32 v31, v19, v31
	v_cvt_pk_bf16_f32 v35, v35, s0
	v_cvt_pk_bf16_f32 v31, v31, s0
	v_and_b32_e32 v36, 0xffff0000, v32
	v_lshlrev_b32_e32 v32, 16, v32
	v_lshlrev_b32_e32 v30, 16, v30
	v_lshlrev_b32_e32 v34, 16, v34
	v_mul_f32_e32 v36, v16, v36
	v_mul_f32_e32 v32, v20, v32
	v_add_f32_e32 v30, v30, v34
	v_lshlrev_b32_e32 v31, 16, v31
	v_lshlrev_b32_e32 v34, 16, v35
	v_cvt_pk_bf16_f32 v36, v36, s0
	v_cvt_pk_bf16_f32 v32, v32, s0
	v_and_b32_e32 v37, 0xffff0000, v33
	v_lshlrev_b32_e32 v33, 16, v33
	v_add_f32_e32 v31, v31, v34
	v_mul_f32_e32 v37, v17, v37
	v_mul_f32_e32 v33, v21, v33
	v_add_f32_e32 v30, v31, v30
	v_lshlrev_b32_e32 v31, 16, v32
	v_lshlrev_b32_e32 v32, 16, v36
	v_cvt_pk_bf16_f32 v37, v37, s0
	;; [unrolled: 40-line block ×5, first 2 shown]
	v_cvt_pk_bf16_f32 v9, v9, s0
	v_add_f32_e32 v7, v7, v8
	v_add_f32_e32 v6, v7, v6
	v_lshlrev_b32_e32 v7, 16, v9
	v_lshlrev_b32_e32 v8, 16, v13
	v_add_f32_e32 v7, v7, v8
	v_add_f32_e32 v6, v7, v6
	;; [unrolled: 1-line block ×3, first 2 shown]
	v_and_b32_e32 v6, 0xffff0000, v2
	v_lshlrev_b32_e32 v2, 16, v2
	v_mul_f32_e32 v6, v14, v6
	v_mul_f32_e32 v2, v18, v2
	v_and_b32_e32 v7, 0xffff0000, v3
	v_lshlrev_b32_e32 v3, 16, v3
	v_cvt_pk_bf16_f32 v6, v6, s0
	v_cvt_pk_bf16_f32 v2, v2, s0
	v_mul_f32_e32 v7, v15, v7
	v_mul_f32_e32 v3, v19, v3
	v_cvt_pk_bf16_f32 v7, v7, s0
	v_cvt_pk_bf16_f32 v3, v3, s0
	v_and_b32_e32 v8, 0xffff0000, v4
	v_lshlrev_b32_e32 v4, 16, v4
	v_lshlrev_b32_e32 v2, 16, v2
	;; [unrolled: 1-line block ×3, first 2 shown]
	v_mul_f32_e32 v8, v16, v8
	v_mul_f32_e32 v4, v20, v4
	v_add_f32_e32 v2, v2, v6
	v_lshlrev_b32_e32 v3, 16, v3
	v_lshlrev_b32_e32 v6, 16, v7
	v_cvt_pk_bf16_f32 v8, v8, s0
	v_cvt_pk_bf16_f32 v4, v4, s0
	v_and_b32_e32 v9, 0xffff0000, v5
	v_lshlrev_b32_e32 v5, 16, v5
	v_add_f32_e32 v3, v3, v6
	v_mul_f32_e32 v5, v21, v5
	v_add_f32_e32 v2, v3, v2
	v_lshlrev_b32_e32 v3, 16, v4
	v_lshlrev_b32_e32 v4, 16, v8
	v_cvt_pk_bf16_f32 v5, v5, s0
	v_add_f32_e32 v3, v3, v4
	v_add_f32_e32 v2, v3, v2
	v_lshlrev_b32_e32 v3, 16, v5
	s_waitcnt vmcnt(0)
	v_and_b32_e32 v5, 0xffff0000, v27
	v_mul_f32_e32 v5, v15, v5
	v_mul_f32_e32 v9, v17, v9
	v_cvt_pk_bf16_f32 v6, v5, s0
	v_lshlrev_b32_e32 v5, 16, v28
	v_cvt_pk_bf16_f32 v9, v9, s0
	v_mul_f32_e32 v5, v20, v5
	v_lshlrev_b32_e32 v4, 16, v9
	v_cvt_pk_bf16_f32 v7, v5, s0
	v_and_b32_e32 v5, 0xffff0000, v28
	v_add_f32_e32 v3, v3, v4
	v_mul_f32_e32 v5, v16, v5
	v_add_f32_e32 v2, v3, v2
	v_cvt_pk_bf16_f32 v8, v5, s0
	v_lshlrev_b32_e32 v5, 16, v29
	v_add_f32_e32 v48, v48, v2
	v_lshlrev_b32_e32 v2, 16, v26
	v_and_b32_e32 v3, 0xffff0000, v26
	v_lshlrev_b32_e32 v4, 16, v27
	v_mul_f32_e32 v5, v21, v5
	v_mul_f32_e32 v2, v18, v2
	;; [unrolled: 1-line block ×4, first 2 shown]
	v_cvt_pk_bf16_f32 v9, v5, s0
	v_and_b32_e32 v5, 0xffff0000, v29
	v_cvt_pk_bf16_f32 v2, v2, s0
	v_cvt_pk_bf16_f32 v3, v3, s0
	;; [unrolled: 1-line block ×3, first 2 shown]
	v_mul_f32_e32 v5, v17, v5
	v_cvt_pk_bf16_f32 v10, v5, s0
	v_lshlrev_b32_e32 v3, 16, v3
	v_lshlrev_b32_e32 v5, 16, v2
	;; [unrolled: 1-line block ×4, first 2 shown]
	v_pk_add_f32 v[2:3], v[4:5], v[2:3]
	v_lshlrev_b32_e32 v5, 16, v8
	v_lshlrev_b32_e32 v7, 16, v7
	v_lshlrev_b32_e32 v4, 16, v10
	v_lshlrev_b32_e32 v6, 16, v9
	v_pk_add_f32 v[4:5], v[6:7], v[4:5]
	v_add_f32_e32 v2, v2, v3
	v_add_f32_e32 v2, v5, v2
	v_add_u32_e32 v1, 2, v1
	v_add_f32_e32 v2, v4, v2
	v_cmp_le_i32_e32 vcc, s17, v1
	v_add_f32_e32 v43, v43, v2
	v_add_u32_e32 v59, 32, v59
	v_add_u32_e32 v60, 0x80, v60
	s_or_b64 s[6:7], vcc, s[6:7]
	v_lshl_add_u64 v[54:55], v[54:55], 0, 8
	s_andn2_b64 exec, exec, s[6:7]
	s_cbranch_execz .LBB143_56
.LBB143_40:                             ; =>This Inner Loop Header: Depth=1
	global_load_dword v2, v[54:55], off
	v_add_u32_e32 v66, 1, v59
	v_or_b32_e32 v64, 3, v59
	v_or_b32_e32 v65, 2, v59
	;; [unrolled: 1-line block ×6, first 2 shown]
	s_waitcnt vmcnt(0)
	v_mad_i64_i32 v[2:3], s[0:1], v2, s26, 0
	v_lshl_add_u64 v[26:27], v[2:3], 1, v[52:53]
	global_load_dwordx4 v[2:5], v[26:27], off
	ds_read2_b64 v[18:21], v60 offset1:1
	ds_read2_b64 v[14:17], v60 offset0:2 offset1:3
	v_cmp_eq_u32_e64 s[0:1], s14, v1
	s_and_saveexec_b64 s[12:13], s[0:1]
	s_cbranch_execnz .LBB143_53
; %bb.41:                               ;   in Loop: Header=BB143_40 Depth=1
	s_or_b64 exec, exec, s[12:13]
	global_load_dwordx4 v[6:9], v[26:27], off offset:1024
	s_and_saveexec_b64 s[12:13], s[0:1]
	s_cbranch_execnz .LBB143_54
.LBB143_42:                             ;   in Loop: Header=BB143_40 Depth=1
	s_or_b64 exec, exec, s[12:13]
	global_load_dwordx4 v[10:13], v[26:27], off offset:2048
	s_and_saveexec_b64 s[12:13], s[0:1]
	s_cbranch_execnz .LBB143_55
.LBB143_43:                             ;   in Loop: Header=BB143_40 Depth=1
	s_or_b64 exec, exec, s[12:13]
	global_load_dwordx4 v[22:25], v[26:27], off offset:3072
	s_and_saveexec_b64 s[12:13], s[0:1]
	s_cbranch_execz .LBB143_45
.LBB143_44:                             ;   in Loop: Header=BB143_40 Depth=1
	v_cmp_gt_i32_e32 vcc, s15, v66
	v_cmp_gt_i32_e64 s[2:3], s33, v65
	s_waitcnt vmcnt(0)
	v_cndmask_b32_sdwa v28, v51, v22, vcc dst_sel:DWORD dst_unused:UNUSED_PAD src0_sel:DWORD src1_sel:WORD_1
	v_cmp_gt_i32_e32 vcc, s33, v59
	s_nop 1
	v_cndmask_b32_e32 v22, 0, v22, vcc
	v_cmp_gt_i32_e32 vcc, s15, v64
	v_perm_b32 v22, v28, v22, s20
	v_cndmask_b32_e64 v28, 0, v23, s[2:3]
	v_cndmask_b32_sdwa v23, v51, v23, vcc dst_sel:DWORD dst_unused:UNUSED_PAD src0_sel:DWORD src1_sel:WORD_1
	v_cmp_gt_i32_e32 vcc, s15, v62
	v_cmp_gt_i32_e64 s[2:3], s33, v63
	v_perm_b32 v23, v23, v28, s20
	s_nop 0
	v_cndmask_b32_e64 v28, 0, v24, s[2:3]
	v_cndmask_b32_sdwa v24, v51, v24, vcc dst_sel:DWORD dst_unused:UNUSED_PAD src0_sel:DWORD src1_sel:WORD_1
	v_cmp_gt_i32_e32 vcc, s15, v50
	v_cmp_gt_i32_e64 s[2:3], s33, v61
	v_perm_b32 v24, v24, v28, s20
	s_nop 0
	v_cndmask_b32_e64 v28, 0, v25, s[2:3]
	v_cndmask_b32_sdwa v25, v51, v25, vcc dst_sel:DWORD dst_unused:UNUSED_PAD src0_sel:DWORD src1_sel:WORD_1
	v_perm_b32 v25, v25, v28, s20
.LBB143_45:                             ;   in Loop: Header=BB143_40 Depth=1
	s_or_b64 exec, exec, s[12:13]
	v_add_co_u32_e32 v28, vcc, 0x1000, v26
	s_nop 1
	v_addc_co_u32_e32 v29, vcc, 0, v27, vcc
	global_load_dwordx4 v[30:33], v[28:29], off
	s_and_saveexec_b64 s[12:13], s[0:1]
	s_cbranch_execz .LBB143_47
; %bb.46:                               ;   in Loop: Header=BB143_40 Depth=1
	v_cmp_gt_i32_e32 vcc, s15, v66
	v_cmp_gt_i32_e64 s[2:3], s33, v65
	s_waitcnt vmcnt(0)
	v_cndmask_b32_sdwa v28, v51, v30, vcc dst_sel:DWORD dst_unused:UNUSED_PAD src0_sel:DWORD src1_sel:WORD_1
	v_cmp_gt_i32_e32 vcc, s33, v59
	s_nop 1
	v_cndmask_b32_e32 v29, 0, v30, vcc
	v_cmp_gt_i32_e32 vcc, s15, v64
	v_perm_b32 v30, v28, v29, s20
	v_cndmask_b32_e64 v28, 0, v31, s[2:3]
	v_cndmask_b32_sdwa v29, v51, v31, vcc dst_sel:DWORD dst_unused:UNUSED_PAD src0_sel:DWORD src1_sel:WORD_1
	v_cmp_gt_i32_e32 vcc, s15, v62
	v_cmp_gt_i32_e64 s[2:3], s33, v63
	v_perm_b32 v31, v29, v28, s20
	v_cndmask_b32_sdwa v29, v51, v32, vcc dst_sel:DWORD dst_unused:UNUSED_PAD src0_sel:DWORD src1_sel:WORD_1
	v_cndmask_b32_e64 v28, 0, v32, s[2:3]
	v_cmp_gt_i32_e32 vcc, s15, v50
	v_cmp_gt_i32_e64 s[2:3], s33, v61
	v_perm_b32 v32, v29, v28, s20
	v_cndmask_b32_sdwa v29, v51, v33, vcc dst_sel:DWORD dst_unused:UNUSED_PAD src0_sel:DWORD src1_sel:WORD_1
	v_cndmask_b32_e64 v28, 0, v33, s[2:3]
	v_perm_b32 v33, v29, v28, s20
.LBB143_47:                             ;   in Loop: Header=BB143_40 Depth=1
	s_or_b64 exec, exec, s[12:13]
	v_add_co_u32_e32 v28, vcc, 0x1000, v26
	s_nop 1
	v_addc_co_u32_e32 v29, vcc, 0, v27, vcc
	global_load_dwordx4 v[34:37], v[28:29], off offset:1024
	s_and_saveexec_b64 s[12:13], s[0:1]
	s_cbranch_execz .LBB143_49
; %bb.48:                               ;   in Loop: Header=BB143_40 Depth=1
	v_cmp_gt_i32_e32 vcc, s15, v66
	v_cmp_gt_i32_e64 s[2:3], s33, v65
	s_waitcnt vmcnt(0)
	v_cndmask_b32_sdwa v28, v51, v34, vcc dst_sel:DWORD dst_unused:UNUSED_PAD src0_sel:DWORD src1_sel:WORD_1
	v_cmp_gt_i32_e32 vcc, s33, v59
	s_nop 1
	v_cndmask_b32_e32 v29, 0, v34, vcc
	v_cmp_gt_i32_e32 vcc, s15, v64
	v_perm_b32 v34, v28, v29, s20
	v_cndmask_b32_e64 v28, 0, v35, s[2:3]
	v_cndmask_b32_sdwa v29, v51, v35, vcc dst_sel:DWORD dst_unused:UNUSED_PAD src0_sel:DWORD src1_sel:WORD_1
	v_cmp_gt_i32_e32 vcc, s15, v62
	v_cmp_gt_i32_e64 s[2:3], s33, v63
	v_perm_b32 v35, v29, v28, s20
	v_cndmask_b32_sdwa v29, v51, v36, vcc dst_sel:DWORD dst_unused:UNUSED_PAD src0_sel:DWORD src1_sel:WORD_1
	v_cndmask_b32_e64 v28, 0, v36, s[2:3]
	v_cmp_gt_i32_e32 vcc, s15, v50
	v_cmp_gt_i32_e64 s[2:3], s33, v61
	v_perm_b32 v36, v29, v28, s20
	v_cndmask_b32_sdwa v29, v51, v37, vcc dst_sel:DWORD dst_unused:UNUSED_PAD src0_sel:DWORD src1_sel:WORD_1
	v_cndmask_b32_e64 v28, 0, v37, s[2:3]
	v_perm_b32 v37, v29, v28, s20
.LBB143_49:                             ;   in Loop: Header=BB143_40 Depth=1
	s_or_b64 exec, exec, s[12:13]
	v_add_co_u32_e32 v28, vcc, 0x1000, v26
	s_nop 1
	v_addc_co_u32_e32 v29, vcc, 0, v27, vcc
	global_load_dwordx4 v[38:41], v[28:29], off offset:2048
	;; [unrolled: 31-line block ×3, first 2 shown]
	s_and_saveexec_b64 s[2:3], s[0:1]
	s_cbranch_execz .LBB143_39
; %bb.52:                               ;   in Loop: Header=BB143_40 Depth=1
	v_cmp_gt_i32_e32 vcc, s15, v66
	v_cmp_gt_i32_e64 s[0:1], s33, v65
	s_waitcnt vmcnt(0)
	v_cndmask_b32_sdwa v66, v51, v26, vcc dst_sel:DWORD dst_unused:UNUSED_PAD src0_sel:DWORD src1_sel:WORD_1
	v_cmp_gt_i32_e32 vcc, s33, v59
	s_nop 1
	v_cndmask_b32_e32 v26, 0, v26, vcc
	v_cmp_gt_i32_e32 vcc, s15, v64
	v_cndmask_b32_e64 v64, 0, v27, s[0:1]
	v_cmp_gt_i32_e64 s[0:1], s33, v63
	v_cndmask_b32_sdwa v27, v51, v27, vcc dst_sel:DWORD dst_unused:UNUSED_PAD src0_sel:DWORD src1_sel:WORD_1
	v_cmp_gt_i32_e32 vcc, s15, v62
	v_cndmask_b32_e64 v62, 0, v28, s[0:1]
	v_cmp_gt_i32_e64 s[0:1], s33, v61
	v_cndmask_b32_sdwa v28, v51, v28, vcc dst_sel:DWORD dst_unused:UNUSED_PAD src0_sel:DWORD src1_sel:WORD_1
	v_cmp_gt_i32_e32 vcc, s15, v50
	v_cndmask_b32_e64 v50, 0, v29, s[0:1]
	v_perm_b32 v26, v66, v26, s20
	v_cndmask_b32_sdwa v29, v51, v29, vcc dst_sel:DWORD dst_unused:UNUSED_PAD src0_sel:DWORD src1_sel:WORD_1
	v_perm_b32 v27, v27, v64, s20
	v_perm_b32 v28, v28, v62, s20
	;; [unrolled: 1-line block ×3, first 2 shown]
	s_branch .LBB143_39
.LBB143_53:                             ;   in Loop: Header=BB143_40 Depth=1
	v_cmp_gt_i32_e32 vcc, s15, v66
	v_cmp_gt_i32_e64 s[2:3], s33, v65
	s_waitcnt vmcnt(0)
	v_cndmask_b32_sdwa v6, v51, v2, vcc dst_sel:DWORD dst_unused:UNUSED_PAD src0_sel:DWORD src1_sel:WORD_1
	v_cmp_gt_i32_e32 vcc, s33, v59
	s_nop 1
	v_cndmask_b32_e32 v2, 0, v2, vcc
	v_cmp_gt_i32_e32 vcc, s15, v64
	v_perm_b32 v2, v6, v2, s20
	v_cndmask_b32_e64 v6, 0, v3, s[2:3]
	v_cndmask_b32_sdwa v3, v51, v3, vcc dst_sel:DWORD dst_unused:UNUSED_PAD src0_sel:DWORD src1_sel:WORD_1
	v_cmp_gt_i32_e32 vcc, s15, v62
	v_cmp_gt_i32_e64 s[2:3], s33, v63
	v_perm_b32 v3, v3, v6, s20
	s_nop 0
	v_cndmask_b32_e64 v6, 0, v4, s[2:3]
	v_cndmask_b32_sdwa v4, v51, v4, vcc dst_sel:DWORD dst_unused:UNUSED_PAD src0_sel:DWORD src1_sel:WORD_1
	v_cmp_gt_i32_e32 vcc, s15, v50
	v_cmp_gt_i32_e64 s[2:3], s33, v61
	v_perm_b32 v4, v4, v6, s20
	s_nop 0
	v_cndmask_b32_e64 v6, 0, v5, s[2:3]
	v_cndmask_b32_sdwa v5, v51, v5, vcc dst_sel:DWORD dst_unused:UNUSED_PAD src0_sel:DWORD src1_sel:WORD_1
	v_perm_b32 v5, v5, v6, s20
	s_or_b64 exec, exec, s[12:13]
	global_load_dwordx4 v[6:9], v[26:27], off offset:1024
	s_and_saveexec_b64 s[12:13], s[0:1]
	s_cbranch_execz .LBB143_42
.LBB143_54:                             ;   in Loop: Header=BB143_40 Depth=1
	v_cmp_gt_i32_e32 vcc, s15, v66
	v_cmp_gt_i32_e64 s[2:3], s33, v65
	s_waitcnt vmcnt(0)
	v_cndmask_b32_sdwa v10, v51, v6, vcc dst_sel:DWORD dst_unused:UNUSED_PAD src0_sel:DWORD src1_sel:WORD_1
	v_cmp_gt_i32_e32 vcc, s33, v59
	s_nop 1
	v_cndmask_b32_e32 v6, 0, v6, vcc
	v_cmp_gt_i32_e32 vcc, s15, v64
	v_perm_b32 v6, v10, v6, s20
	v_cndmask_b32_e64 v10, 0, v7, s[2:3]
	v_cndmask_b32_sdwa v7, v51, v7, vcc dst_sel:DWORD dst_unused:UNUSED_PAD src0_sel:DWORD src1_sel:WORD_1
	v_cmp_gt_i32_e32 vcc, s15, v62
	v_cmp_gt_i32_e64 s[2:3], s33, v63
	v_perm_b32 v7, v7, v10, s20
	s_nop 0
	v_cndmask_b32_e64 v10, 0, v8, s[2:3]
	v_cndmask_b32_sdwa v8, v51, v8, vcc dst_sel:DWORD dst_unused:UNUSED_PAD src0_sel:DWORD src1_sel:WORD_1
	v_cmp_gt_i32_e32 vcc, s15, v50
	v_cmp_gt_i32_e64 s[2:3], s33, v61
	v_perm_b32 v8, v8, v10, s20
	s_nop 0
	v_cndmask_b32_e64 v10, 0, v9, s[2:3]
	v_cndmask_b32_sdwa v9, v51, v9, vcc dst_sel:DWORD dst_unused:UNUSED_PAD src0_sel:DWORD src1_sel:WORD_1
	v_perm_b32 v9, v9, v10, s20
	s_or_b64 exec, exec, s[12:13]
	global_load_dwordx4 v[10:13], v[26:27], off offset:2048
	s_and_saveexec_b64 s[12:13], s[0:1]
	s_cbranch_execz .LBB143_43
.LBB143_55:                             ;   in Loop: Header=BB143_40 Depth=1
	v_cmp_gt_i32_e32 vcc, s15, v66
	v_cmp_gt_i32_e64 s[2:3], s33, v65
	s_waitcnt vmcnt(0)
	v_cndmask_b32_sdwa v22, v51, v10, vcc dst_sel:DWORD dst_unused:UNUSED_PAD src0_sel:DWORD src1_sel:WORD_1
	v_cmp_gt_i32_e32 vcc, s33, v59
	s_nop 1
	v_cndmask_b32_e32 v10, 0, v10, vcc
	v_cmp_gt_i32_e32 vcc, s15, v64
	v_perm_b32 v10, v22, v10, s20
	v_cndmask_b32_e64 v22, 0, v11, s[2:3]
	v_cndmask_b32_sdwa v11, v51, v11, vcc dst_sel:DWORD dst_unused:UNUSED_PAD src0_sel:DWORD src1_sel:WORD_1
	v_cmp_gt_i32_e32 vcc, s15, v62
	v_cmp_gt_i32_e64 s[2:3], s33, v63
	v_perm_b32 v11, v11, v22, s20
	s_nop 0
	v_cndmask_b32_e64 v22, 0, v12, s[2:3]
	v_cndmask_b32_sdwa v12, v51, v12, vcc dst_sel:DWORD dst_unused:UNUSED_PAD src0_sel:DWORD src1_sel:WORD_1
	v_cmp_gt_i32_e32 vcc, s15, v50
	v_cmp_gt_i32_e64 s[2:3], s33, v61
	v_perm_b32 v12, v12, v22, s20
	s_nop 0
	v_cndmask_b32_e64 v22, 0, v13, s[2:3]
	v_cndmask_b32_sdwa v13, v51, v13, vcc dst_sel:DWORD dst_unused:UNUSED_PAD src0_sel:DWORD src1_sel:WORD_1
	v_perm_b32 v13, v13, v22, s20
	s_or_b64 exec, exec, s[12:13]
	global_load_dwordx4 v[22:25], v[26:27], off offset:3072
	s_and_saveexec_b64 s[12:13], s[0:1]
	s_cbranch_execnz .LBB143_44
	s_branch .LBB143_45
.LBB143_56:
	s_or_b64 exec, exec, s[6:7]
.LBB143_57:
	s_or_b64 exec, exec, s[8:9]
	ds_bpermute_b32 v2, v57, v48
	ds_bpermute_b32 v3, v57, v49
	ds_bpermute_b32 v8, v57, v44
	ds_bpermute_b32 v9, v57, v45
	ds_bpermute_b32 v4, v57, v46
	ds_bpermute_b32 v5, v57, v47
	s_waitcnt lgkmcnt(4)
	v_pk_add_f32 v[6:7], v[48:49], v[2:3]
	v_and_b32_e32 v1, 0x3c1, v0
	s_waitcnt lgkmcnt(2)
	v_pk_add_f32 v[2:3], v[44:45], v[8:9]
	ds_bpermute_b32 v8, v57, v42
	ds_bpermute_b32 v9, v57, v43
	s_waitcnt lgkmcnt(2)
	v_pk_add_f32 v[4:5], v[46:47], v[4:5]
	v_cmp_ne_u32_e32 vcc, 64, v1
	s_waitcnt lgkmcnt(0)
	s_barrier
	s_and_saveexec_b64 s[0:1], vcc
	s_xor_b64 s[0:1], exec, s[0:1]
; %bb.58:
                                        ; implicit-def: $vgpr56
; %bb.59:
	s_or_saveexec_b64 s[0:1], s[0:1]
	v_pk_add_f32 v[8:9], v[42:43], v[8:9]
	s_xor_b64 exec, exec, s[0:1]
	s_cbranch_execz .LBB143_61
; %bb.60:
	v_mov_b32_e32 v10, 0x210
	v_lshl_add_u32 v10, v56, 1, v10
	ds_write2_b32 v10, v6, v7 offset1:32
	ds_write2_b32 v10, v4, v5 offset0:64 offset1:96
	ds_write2_b32 v10, v2, v3 offset0:128 offset1:160
	;; [unrolled: 1-line block ×3, first 2 shown]
.LBB143_61:
	s_or_b64 exec, exec, s[0:1]
	v_cmp_gt_u32_e32 vcc, 64, v0
	v_lshrrev_b32_e32 v0, 1, v0
	s_waitcnt lgkmcnt(0)
	s_barrier
	s_and_saveexec_b64 s[0:1], vcc
	s_cbranch_execz .LBB143_72
; %bb.62:
	v_mov_b32_e32 v10, 0x210
	v_cmp_eq_u32_e32 vcc, 0, v58
	v_lshl_add_u32 v10, v0, 2, v10
	s_and_saveexec_b64 s[2:3], vcc
	s_cbranch_execnz .LBB143_75
; %bb.63:
	s_or_b64 exec, exec, s[2:3]
	s_and_saveexec_b64 s[2:3], vcc
	s_cbranch_execnz .LBB143_76
.LBB143_64:
	s_or_b64 exec, exec, s[2:3]
	s_and_saveexec_b64 s[2:3], vcc
	s_cbranch_execnz .LBB143_77
.LBB143_65:
	s_or_b64 exec, exec, s[2:3]
	s_and_saveexec_b64 s[2:3], vcc
	s_cbranch_execnz .LBB143_78
.LBB143_66:
	s_or_b64 exec, exec, s[2:3]
	s_and_saveexec_b64 s[2:3], vcc
	s_cbranch_execnz .LBB143_79
.LBB143_67:
	s_or_b64 exec, exec, s[2:3]
	s_and_saveexec_b64 s[2:3], vcc
	s_cbranch_execnz .LBB143_80
.LBB143_68:
	s_or_b64 exec, exec, s[2:3]
	s_and_saveexec_b64 s[2:3], vcc
	s_cbranch_execnz .LBB143_81
.LBB143_69:
	s_or_b64 exec, exec, s[2:3]
	s_and_saveexec_b64 s[2:3], vcc
	s_cbranch_execz .LBB143_71
.LBB143_70:
	ds_read_b32 v10, v10 offset:896
	s_waitcnt lgkmcnt(0)
	v_add_f32_e32 v9, v9, v10
.LBB143_71:
	s_or_b64 exec, exec, s[2:3]
.LBB143_72:
	s_or_b64 exec, exec, s[0:1]
	v_cmp_eq_u32_e32 vcc, 0, v1
	s_barrier
	s_and_saveexec_b64 s[0:1], vcc
	s_cbranch_execz .LBB143_74
; %bb.73:
	s_mul_i32 s0, s10, s11
	s_mul_i32 s0, s0, s5
	s_lshl_b32 s0, s0, 8
	s_ashr_i32 s1, s0, 31
	s_lshl_b64 s[0:1], s[0:1], 1
	s_add_u32 s2, s18, s0
	s_mul_i32 s0, s11, s16
	s_addc_u32 s3, s19, s1
	s_ashr_i32 s1, s0, 31
	s_lshl_b64 s[0:1], s[0:1], 1
	s_add_u32 s2, s2, s0
	s_addc_u32 s3, s3, s1
	s_lshl_b32 s0, s4, 8
	s_ashr_i32 s1, s0, 31
	s_lshl_b64 s[0:1], s[0:1], 1
	s_add_u32 s0, s2, s0
	s_addc_u32 s1, s3, s1
	v_lshlrev_b32_e32 v0, 1, v0
	v_cvt_pk_bf16_f32 v1, v6, s0
	global_store_short v0, v1, s[0:1]
	v_cvt_pk_bf16_f32 v1, v7, s0
	global_store_short v0, v1, s[0:1] offset:64
	v_cvt_pk_bf16_f32 v1, v4, s0
	global_store_short v0, v1, s[0:1] offset:128
	;; [unrolled: 2-line block ×7, first 2 shown]
.LBB143_74:
	s_endpgm
.LBB143_75:
	ds_read_b32 v11, v10
	s_waitcnt lgkmcnt(0)
	v_add_f32_e32 v6, v6, v11
	s_or_b64 exec, exec, s[2:3]
	s_and_saveexec_b64 s[2:3], vcc
	s_cbranch_execz .LBB143_64
.LBB143_76:
	ds_read_b32 v11, v10 offset:128
	s_waitcnt lgkmcnt(0)
	v_add_f32_e32 v7, v7, v11
	s_or_b64 exec, exec, s[2:3]
	s_and_saveexec_b64 s[2:3], vcc
	s_cbranch_execz .LBB143_65
.LBB143_77:
	ds_read_b32 v11, v10 offset:256
	s_waitcnt lgkmcnt(0)
	v_add_f32_e32 v4, v4, v11
	s_or_b64 exec, exec, s[2:3]
	s_and_saveexec_b64 s[2:3], vcc
	s_cbranch_execz .LBB143_66
.LBB143_78:
	ds_read_b32 v11, v10 offset:384
	s_waitcnt lgkmcnt(0)
	v_add_f32_e32 v5, v5, v11
	s_or_b64 exec, exec, s[2:3]
	s_and_saveexec_b64 s[2:3], vcc
	s_cbranch_execz .LBB143_67
.LBB143_79:
	ds_read_b32 v11, v10 offset:512
	s_waitcnt lgkmcnt(0)
	v_add_f32_e32 v2, v2, v11
	s_or_b64 exec, exec, s[2:3]
	s_and_saveexec_b64 s[2:3], vcc
	s_cbranch_execz .LBB143_68
.LBB143_80:
	ds_read_b32 v11, v10 offset:640
	s_waitcnt lgkmcnt(0)
	v_add_f32_e32 v3, v3, v11
	s_or_b64 exec, exec, s[2:3]
	s_and_saveexec_b64 s[2:3], vcc
	s_cbranch_execz .LBB143_69
.LBB143_81:
	ds_read_b32 v11, v10 offset:768
	s_waitcnt lgkmcnt(0)
	v_add_f32_e32 v8, v8, v11
	s_or_b64 exec, exec, s[2:3]
	s_and_saveexec_b64 s[2:3], vcc
	s_cbranch_execnz .LBB143_70
	s_branch .LBB143_71
	.section	.rodata,"a",@progbits
	.p2align	6, 0x0
	.amdhsa_kernel _ZN4vllm25paged_attention_v1_kernelI14__hip_bfloat16S1_Li256ELi16ELi128ELNS_18Fp8KVCacheDataTypeE0ELb0EEEvPT_PKS3_PKT0_S9_ifPKiSB_iPKfiiiSD_SD_iiiii
		.amdhsa_group_segment_fixed_size 528
		.amdhsa_private_segment_fixed_size 0
		.amdhsa_kernarg_size 384
		.amdhsa_user_sgpr_count 2
		.amdhsa_user_sgpr_dispatch_ptr 0
		.amdhsa_user_sgpr_queue_ptr 0
		.amdhsa_user_sgpr_kernarg_segment_ptr 1
		.amdhsa_user_sgpr_dispatch_id 0
		.amdhsa_user_sgpr_kernarg_preload_length 0
		.amdhsa_user_sgpr_kernarg_preload_offset 0
		.amdhsa_user_sgpr_private_segment_size 0
		.amdhsa_uses_dynamic_stack 0
		.amdhsa_enable_private_segment 0
		.amdhsa_system_sgpr_workgroup_id_x 1
		.amdhsa_system_sgpr_workgroup_id_y 1
		.amdhsa_system_sgpr_workgroup_id_z 1
		.amdhsa_system_sgpr_workgroup_info 0
		.amdhsa_system_vgpr_workitem_id 0
		.amdhsa_next_free_vgpr 116
		.amdhsa_next_free_sgpr 35
		.amdhsa_accum_offset 116
		.amdhsa_reserve_vcc 1
		.amdhsa_float_round_mode_32 0
		.amdhsa_float_round_mode_16_64 0
		.amdhsa_float_denorm_mode_32 3
		.amdhsa_float_denorm_mode_16_64 3
		.amdhsa_dx10_clamp 1
		.amdhsa_ieee_mode 1
		.amdhsa_fp16_overflow 0
		.amdhsa_tg_split 0
		.amdhsa_exception_fp_ieee_invalid_op 0
		.amdhsa_exception_fp_denorm_src 0
		.amdhsa_exception_fp_ieee_div_zero 0
		.amdhsa_exception_fp_ieee_overflow 0
		.amdhsa_exception_fp_ieee_underflow 0
		.amdhsa_exception_fp_ieee_inexact 0
		.amdhsa_exception_int_div_zero 0
	.end_amdhsa_kernel
	.section	.text._ZN4vllm25paged_attention_v1_kernelI14__hip_bfloat16S1_Li256ELi16ELi128ELNS_18Fp8KVCacheDataTypeE0ELb0EEEvPT_PKS3_PKT0_S9_ifPKiSB_iPKfiiiSD_SD_iiiii,"axG",@progbits,_ZN4vllm25paged_attention_v1_kernelI14__hip_bfloat16S1_Li256ELi16ELi128ELNS_18Fp8KVCacheDataTypeE0ELb0EEEvPT_PKS3_PKT0_S9_ifPKiSB_iPKfiiiSD_SD_iiiii,comdat
.Lfunc_end143:
	.size	_ZN4vllm25paged_attention_v1_kernelI14__hip_bfloat16S1_Li256ELi16ELi128ELNS_18Fp8KVCacheDataTypeE0ELb0EEEvPT_PKS3_PKT0_S9_ifPKiSB_iPKfiiiSD_SD_iiiii, .Lfunc_end143-_ZN4vllm25paged_attention_v1_kernelI14__hip_bfloat16S1_Li256ELi16ELi128ELNS_18Fp8KVCacheDataTypeE0ELb0EEEvPT_PKS3_PKT0_S9_ifPKiSB_iPKfiiiSD_SD_iiiii
                                        ; -- End function
	.set _ZN4vllm25paged_attention_v1_kernelI14__hip_bfloat16S1_Li256ELi16ELi128ELNS_18Fp8KVCacheDataTypeE0ELb0EEEvPT_PKS3_PKT0_S9_ifPKiSB_iPKfiiiSD_SD_iiiii.num_vgpr, 116
	.set _ZN4vllm25paged_attention_v1_kernelI14__hip_bfloat16S1_Li256ELi16ELi128ELNS_18Fp8KVCacheDataTypeE0ELb0EEEvPT_PKS3_PKT0_S9_ifPKiSB_iPKfiiiSD_SD_iiiii.num_agpr, 0
	.set _ZN4vllm25paged_attention_v1_kernelI14__hip_bfloat16S1_Li256ELi16ELi128ELNS_18Fp8KVCacheDataTypeE0ELb0EEEvPT_PKS3_PKT0_S9_ifPKiSB_iPKfiiiSD_SD_iiiii.numbered_sgpr, 35
	.set _ZN4vllm25paged_attention_v1_kernelI14__hip_bfloat16S1_Li256ELi16ELi128ELNS_18Fp8KVCacheDataTypeE0ELb0EEEvPT_PKS3_PKT0_S9_ifPKiSB_iPKfiiiSD_SD_iiiii.num_named_barrier, 0
	.set _ZN4vllm25paged_attention_v1_kernelI14__hip_bfloat16S1_Li256ELi16ELi128ELNS_18Fp8KVCacheDataTypeE0ELb0EEEvPT_PKS3_PKT0_S9_ifPKiSB_iPKfiiiSD_SD_iiiii.private_seg_size, 0
	.set _ZN4vllm25paged_attention_v1_kernelI14__hip_bfloat16S1_Li256ELi16ELi128ELNS_18Fp8KVCacheDataTypeE0ELb0EEEvPT_PKS3_PKT0_S9_ifPKiSB_iPKfiiiSD_SD_iiiii.uses_vcc, 1
	.set _ZN4vllm25paged_attention_v1_kernelI14__hip_bfloat16S1_Li256ELi16ELi128ELNS_18Fp8KVCacheDataTypeE0ELb0EEEvPT_PKS3_PKT0_S9_ifPKiSB_iPKfiiiSD_SD_iiiii.uses_flat_scratch, 0
	.set _ZN4vllm25paged_attention_v1_kernelI14__hip_bfloat16S1_Li256ELi16ELi128ELNS_18Fp8KVCacheDataTypeE0ELb0EEEvPT_PKS3_PKT0_S9_ifPKiSB_iPKfiiiSD_SD_iiiii.has_dyn_sized_stack, 0
	.set _ZN4vllm25paged_attention_v1_kernelI14__hip_bfloat16S1_Li256ELi16ELi128ELNS_18Fp8KVCacheDataTypeE0ELb0EEEvPT_PKS3_PKT0_S9_ifPKiSB_iPKfiiiSD_SD_iiiii.has_recursion, 0
	.set _ZN4vllm25paged_attention_v1_kernelI14__hip_bfloat16S1_Li256ELi16ELi128ELNS_18Fp8KVCacheDataTypeE0ELb0EEEvPT_PKS3_PKT0_S9_ifPKiSB_iPKfiiiSD_SD_iiiii.has_indirect_call, 0
	.section	.AMDGPU.csdata,"",@progbits
; Kernel info:
; codeLenInByte = 8248
; TotalNumSgprs: 41
; NumVgprs: 116
; NumAgprs: 0
; TotalNumVgprs: 116
; ScratchSize: 0
; MemoryBound: 0
; FloatMode: 240
; IeeeMode: 1
; LDSByteSize: 528 bytes/workgroup (compile time only)
; SGPRBlocks: 5
; VGPRBlocks: 14
; NumSGPRsForWavesPerEU: 41
; NumVGPRsForWavesPerEU: 116
; AccumOffset: 116
; Occupancy: 4
; WaveLimiterHint : 1
; COMPUTE_PGM_RSRC2:SCRATCH_EN: 0
; COMPUTE_PGM_RSRC2:USER_SGPR: 2
; COMPUTE_PGM_RSRC2:TRAP_HANDLER: 0
; COMPUTE_PGM_RSRC2:TGID_X_EN: 1
; COMPUTE_PGM_RSRC2:TGID_Y_EN: 1
; COMPUTE_PGM_RSRC2:TGID_Z_EN: 1
; COMPUTE_PGM_RSRC2:TIDIG_COMP_CNT: 0
; COMPUTE_PGM_RSRC3_GFX90A:ACCUM_OFFSET: 28
; COMPUTE_PGM_RSRC3_GFX90A:TG_SPLIT: 0
	.section	.text._ZN4vllm25paged_attention_v1_kernelI14__hip_bfloat16S1_Li32ELi32ELi128ELNS_18Fp8KVCacheDataTypeE0ELb1EEEvPT_PKS3_PKT0_S9_ifPKiSB_iPKfiiiSD_SD_iiiii,"axG",@progbits,_ZN4vllm25paged_attention_v1_kernelI14__hip_bfloat16S1_Li32ELi32ELi128ELNS_18Fp8KVCacheDataTypeE0ELb1EEEvPT_PKS3_PKT0_S9_ifPKiSB_iPKfiiiSD_SD_iiiii,comdat
	.protected	_ZN4vllm25paged_attention_v1_kernelI14__hip_bfloat16S1_Li32ELi32ELi128ELNS_18Fp8KVCacheDataTypeE0ELb1EEEvPT_PKS3_PKT0_S9_ifPKiSB_iPKfiiiSD_SD_iiiii ; -- Begin function _ZN4vllm25paged_attention_v1_kernelI14__hip_bfloat16S1_Li32ELi32ELi128ELNS_18Fp8KVCacheDataTypeE0ELb1EEEvPT_PKS3_PKT0_S9_ifPKiSB_iPKfiiiSD_SD_iiiii
	.globl	_ZN4vllm25paged_attention_v1_kernelI14__hip_bfloat16S1_Li32ELi32ELi128ELNS_18Fp8KVCacheDataTypeE0ELb1EEEvPT_PKS3_PKT0_S9_ifPKiSB_iPKfiiiSD_SD_iiiii
	.p2align	8
	.type	_ZN4vllm25paged_attention_v1_kernelI14__hip_bfloat16S1_Li32ELi32ELi128ELNS_18Fp8KVCacheDataTypeE0ELb1EEEvPT_PKS3_PKT0_S9_ifPKiSB_iPKfiiiSD_SD_iiiii,@function
_ZN4vllm25paged_attention_v1_kernelI14__hip_bfloat16S1_Li32ELi32ELi128ELNS_18Fp8KVCacheDataTypeE0ELb1EEEvPT_PKS3_PKT0_S9_ifPKiSB_iPKfiiiSD_SD_iiiii: ; @_ZN4vllm25paged_attention_v1_kernelI14__hip_bfloat16S1_Li32ELi32ELi128ELNS_18Fp8KVCacheDataTypeE0ELb1EEEvPT_PKS3_PKT0_S9_ifPKiSB_iPKfiiiSD_SD_iiiii
; %bb.0:
	s_load_dword s5, s[0:1], 0x80
	s_load_dwordx2 s[6:7], s[0:1], 0x30
	s_load_dwordx2 s[30:31], s[0:1], 0x20
	s_mov_b32 s10, s3
	s_ashr_i32 s11, s3, 31
	s_lshl_b64 s[8:9], s[10:11], 2
	s_waitcnt lgkmcnt(0)
	s_add_u32 s6, s6, s8
	s_addc_u32 s7, s7, s9
	s_abs_i32 s3, s30
	v_cvt_f32_u32_e32 v1, s3
	s_sub_i32 s11, 0, s3
	s_abs_i32 s9, s5
	s_xor_b32 s8, s5, s30
	v_rcp_iflag_f32_e32 v1, v1
	s_ashr_i32 s8, s8, 31
	s_mov_b32 s42, 0
	v_mul_f32_e32 v1, 0x4f7ffffe, v1
	v_cvt_u32_f32_e32 v1, v1
	s_nop 0
	v_readfirstlane_b32 s12, v1
	s_mul_i32 s11, s11, s12
	s_mul_hi_u32 s11, s12, s11
	s_add_i32 s12, s12, s11
	s_mul_hi_u32 s11, s9, s12
	s_mul_i32 s12, s11, s3
	s_sub_i32 s9, s9, s12
	s_add_i32 s12, s11, 1
	s_sub_i32 s13, s9, s3
	s_cmp_ge_u32 s9, s3
	s_cselect_b32 s11, s12, s11
	s_cselect_b32 s9, s13, s9
	s_add_i32 s12, s11, 1
	s_cmp_ge_u32 s9, s3
	s_cselect_b32 s3, s12, s11
	s_xor_b32 s3, s3, s8
	s_sub_i32 s12, s3, s8
	s_abs_i32 s22, s12
	v_cvt_f32_u32_e32 v1, s22
	s_load_dwordx2 s[8:9], s[0:1], 0x40
	s_sub_i32 s3, 0, s22
	s_abs_i32 s23, s2
	v_rcp_iflag_f32_e32 v1, v1
	s_nop 0
	v_mul_f32_e32 v1, 0x4f7ffffe, v1
	v_cvt_u32_f32_e32 v1, v1
	s_nop 0
	v_readfirstlane_b32 s11, v1
	s_mul_i32 s3, s3, s11
	s_mul_hi_u32 s3, s11, s3
	s_add_i32 s11, s11, s3
	s_waitcnt lgkmcnt(0)
	s_cmp_eq_u64 s[8:9], 0
	s_mul_hi_u32 s24, s23, s11
	s_cbranch_scc1 .LBB144_2
; %bb.1:
	s_ashr_i32 s3, s2, 31
	s_lshl_b64 s[14:15], s[2:3], 2
	s_add_u32 s8, s8, s14
	s_addc_u32 s9, s9, s15
	s_load_dword s42, s[8:9], 0x0
.LBB144_2:
	s_load_dword s11, s[6:7], 0x0
	s_ashr_i32 s9, s12, 31
	s_load_dwordx4 s[12:15], s[0:1], 0x48
	s_ashr_i32 s3, s2, 31
	v_and_b32_e32 v4, 1, v0
	s_lshl_b32 s20, s2, 5
	v_cmp_gt_u32_e32 vcc, 8, v0
	v_lshlrev_b32_e32 v6, 3, v0
	s_and_saveexec_b64 s[6:7], vcc
	s_cbranch_execz .LBB144_4
; %bb.3:
	s_load_dwordx2 s[16:17], s[0:1], 0x8
	s_waitcnt lgkmcnt(0)
	s_mul_i32 s18, s12, s10
	s_ashr_i32 s19, s18, 31
	s_lshl_b64 s[18:19], s[18:19], 1
	v_lshlrev_b32_e32 v1, 2, v0
	s_add_u32 s8, s16, s18
	s_addc_u32 s12, s17, s19
	s_ashr_i32 s21, s20, 31
	s_lshl_b64 s[16:17], s[20:21], 1
	s_add_u32 s16, s8, s16
	s_addc_u32 s17, s12, s17
	global_load_dwordx2 v[2:3], v6, s[16:17]
	v_and_b32_e32 v1, 0xff8, v1
	v_lshl_add_u32 v1, v4, 5, v1
	s_waitcnt vmcnt(0)
	ds_write_b64 v1, v[2:3]
.LBB144_4:
	s_or_b64 exec, exec, s[6:7]
	s_mul_i32 s6, s24, s22
	s_sub_i32 s6, s23, s6
	s_xor_b32 s3, s3, s9
	s_add_i32 s7, s24, 1
	s_sub_i32 s9, s6, s22
	s_load_dwordx4 s[16:19], s[0:1], 0x68
	s_load_dword s8, s[0:1], 0x78
	s_cmp_ge_u32 s6, s22
	s_cselect_b32 s7, s7, s24
	s_cselect_b32 s6, s9, s6
	s_add_i32 s9, s7, 1
	s_cmp_ge_u32 s6, s22
	s_cselect_b32 s6, s9, s7
	s_waitcnt lgkmcnt(0)
	s_abs_i32 s21, s19
	v_cvt_f32_u32_e32 v1, s21
	s_xor_b32 s6, s6, s3
	s_sub_i32 s3, s6, s3
	s_sub_i32 s6, 0, s21
	v_rcp_iflag_f32_e32 v1, v1
	s_add_i32 s15, s11, -1
	s_abs_i32 s9, s15
	v_mul_f32_e32 v1, 0x4f7ffffe, v1
	v_cvt_u32_f32_e32 v1, v1
	s_barrier
	v_readfirstlane_b32 s33, v1
	s_mul_i32 s6, s6, s33
	s_mul_hi_u32 s6, s33, s6
	s_add_i32 s33, s33, s6
	s_cmp_lt_i32 s8, 0
	s_mul_hi_u32 s12, s9, s33
	s_cbranch_scc0 .LBB144_6
; %bb.5:
	s_mul_i32 s6, s16, s30
	s_add_i32 s6, s3, s6
	s_mul_i32 s6, s6, s8
	s_sub_i32 s40, 1, s6
	s_mov_b64 s[6:7], 0
	s_branch .LBB144_7
.LBB144_6:
	s_mov_b64 s[6:7], -1
                                        ; implicit-def: $sgpr40
.LBB144_7:
	s_load_dwordx2 s[24:25], s[0:1], 0x28
	s_ashr_i32 s15, s15, 31
	s_andn2_b64 vcc, exec, s[6:7]
	s_ashr_i32 s19, s19, 31
	s_cbranch_vccnz .LBB144_9
; %bb.8:
	s_mul_i32 s6, s5, s16
	s_add_i32 s2, s6, s2
	s_mul_i32 s2, s2, s8
	s_add_i32 s40, s2, 1
.LBB144_9:
	s_load_dword s2, s[0:1], 0x38
	s_load_dwordx2 s[22:23], s[0:1], 0x0
	s_load_dwordx2 s[28:29], s[0:1], 0x18
	s_load_dword s16, s[0:1], 0x88
	s_xor_b32 s6, s15, s19
	s_waitcnt lgkmcnt(0)
	s_mul_i32 s26, s2, s10
	s_mul_i32 s2, s12, s21
	s_sub_i32 s2, s9, s2
	s_ashr_i32 s27, s26, 31
	s_add_i32 s7, s12, 1
	s_sub_i32 s8, s2, s21
	s_cmp_ge_u32 s2, s21
	s_cselect_b32 s7, s7, s12
	s_cselect_b32 s2, s8, s2
	s_add_i32 s8, s7, 1
	s_cmp_ge_u32 s2, s21
	s_cselect_b32 s2, s8, s7
	s_xor_b32 s2, s2, s6
	s_sub_i32 s12, s2, s6
	s_add_i32 s2, s11, 31
	s_ashr_i32 s6, s2, 31
	s_lshr_b32 s6, s6, 27
	s_add_i32 s2, s2, s6
	s_ashr_i32 s41, s2, 5
	v_lshrrev_b32_e32 v1, 6, v0
	v_cmp_gt_i32_e64 s[6:7], s41, v1
	v_mov_b32_e32 v11, 0xff7fffff
	s_mul_i32 s14, s3, s14
	v_lshrrev_b32_e32 v7, 4, v0
	v_lshlrev_b32_e32 v26, 5, v1
	v_mbcnt_lo_u32_b32 v8, -1, 0
	s_and_saveexec_b64 s[34:35], s[6:7]
	s_cbranch_execz .LBB144_21
; %bb.10:
	s_load_dwordx2 s[0:1], s[0:1], 0x10
	s_ashr_i32 s15, s14, 31
	s_sub_i32 s30, s12, s17
	s_lshl_b64 s[2:3], s[14:15], 1
	v_bfe_u32 v9, v0, 1, 5
	s_waitcnt lgkmcnt(0)
	s_add_u32 s0, s0, s2
	s_addc_u32 s1, s1, s3
	s_abs_i32 s15, s18
	v_cvt_f32_u32_e32 v2, s15
	v_lshlrev_b32_e32 v14, 4, v9
	v_mov_b32_e32 v15, 0
	v_cmp_eq_u32_e32 vcc, 0, v4
	v_rcp_iflag_f32_e32 v5, v2
	v_lshl_add_u64 v[2:3], s[0:1], 0, v[14:15]
	s_sub_i32 s0, 0, s15
	v_lshlrev_b32_e32 v10, 5, v4
	v_mul_f32_e32 v5, 0x4f7ffffe, v5
	v_cvt_u32_f32_e32 v5, v5
	v_and_b32_e32 v14, 8, v6
	v_lshl_add_u64 v[2:3], v[2:3], 0, v[14:15]
	v_and_b32_e32 v14, 60, v7
	v_mul_lo_u32 v4, s0, v5
	s_lshl_b64 s[0:1], s[26:27], 2
	s_add_u32 s0, s24, s0
	v_mul_hi_u32 v4, v5, v4
	s_addc_u32 s1, s25, s1
	v_subrev_u32_e32 v11, s11, v9
	v_add_u32_e32 v12, v5, v4
	v_lshl_add_u64 v[4:5], s[0:1], 0, v[14:15]
	v_add_u32_e32 v14, 1, v11
	v_lshlrev_b32_e32 v11, 2, v9
	v_lshl_or_b32 v11, v1, 7, v11
	v_mbcnt_hi_u32_b32 v17, -1, v8
	v_add_u32_e32 v15, 0x50, v11
	v_and_b32_e32 v11, 64, v17
	s_mov_b32 s43, s13
	v_cmp_neq_f32_e64 s[2:3], s42, 0
	v_lshlrev_b32_e32 v13, 5, v1
	v_mov_b32_e32 v16, 0xff7fffff
	s_mov_b64 s[36:37], 0
	v_xor_b32_e32 v18, 1, v17
	v_add_u32_e32 v19, 64, v11
	v_mov_b32_e32 v11, 0xff7fffff
	v_mov_b32_e32 v20, v1
	s_branch .LBB144_13
.LBB144_11:                             ;   in Loop: Header=BB144_13 Depth=1
	s_or_b64 exec, exec, s[38:39]
.LBB144_12:                             ;   in Loop: Header=BB144_13 Depth=1
	s_or_b64 exec, exec, s[8:9]
	v_add_u32_e32 v20, 2, v20
	v_cmp_le_i32_e64 s[0:1], s41, v20
	v_lshl_add_u64 v[4:5], v[4:5], 0, 8
	v_add_u32_e32 v13, 64, v13
	s_or_b64 s[36:37], s[0:1], s[36:37]
	v_add_u32_e32 v15, 0x100, v15
	s_andn2_b64 exec, exec, s[36:37]
	s_cbranch_execz .LBB144_20
.LBB144_13:                             ; =>This Inner Loop Header: Depth=1
	v_mul_hi_u32 v21, v13, s33
	s_waitcnt lgkmcnt(0)
	v_mul_lo_u32 v22, v21, s21
	v_sub_u32_e32 v22, v13, v22
	v_add_u32_e32 v23, 1, v21
	v_cmp_le_u32_e64 s[0:1], s21, v22
	s_nop 1
	v_cndmask_b32_e64 v21, v21, v23, s[0:1]
	v_subrev_u32_e32 v23, s21, v22
	v_cndmask_b32_e64 v22, v22, v23, s[0:1]
	v_add_u32_e32 v23, 1, v21
	v_cmp_le_u32_e64 s[0:1], s21, v22
	s_nop 1
	v_cndmask_b32_e64 v21, v21, v23, s[0:1]
	v_xor_b32_e32 v21, s19, v21
	v_subrev_u32_e32 v21, s19, v21
	v_add_u32_e32 v22, s40, v21
	v_sub_u32_e32 v24, 0, v22
	v_ashrrev_i32_e32 v23, 31, v22
	v_max_i32_e32 v22, v22, v24
	v_mul_hi_u32 v24, v22, v12
	v_mul_lo_u32 v24, v24, s15
	v_sub_u32_e32 v22, v22, v24
	v_subrev_u32_e32 v24, s15, v22
	v_cmp_le_u32_e64 s[0:1], s15, v22
	v_cmp_ge_i32_e64 s[8:9], s30, v21
	s_nop 0
	v_cndmask_b32_e64 v22, v22, v24, s[0:1]
	v_subrev_u32_e32 v24, s15, v22
	v_cmp_le_u32_e64 s[0:1], s15, v22
	s_nop 1
	v_cndmask_b32_e64 v22, v22, v24, s[0:1]
	v_xor_b32_e32 v22, v22, v23
	v_sub_u32_e32 v22, v22, v23
	v_cmp_ne_u32_e64 s[0:1], 0, v22
	s_and_b64 s[0:1], s[0:1], s[8:9]
	s_and_saveexec_b64 s[8:9], s[0:1]
	s_xor_b64 s[0:1], exec, s[8:9]
	s_cbranch_execz .LBB144_17
; %bb.14:                               ;   in Loop: Header=BB144_13 Depth=1
	s_and_saveexec_b64 s[8:9], vcc
; %bb.15:                               ;   in Loop: Header=BB144_13 Depth=1
	ds_write_b32 v15, v16
; %bb.16:                               ;   in Loop: Header=BB144_13 Depth=1
	s_or_b64 exec, exec, s[8:9]
.LBB144_17:                             ;   in Loop: Header=BB144_13 Depth=1
	s_andn2_saveexec_b64 s[8:9], s[0:1]
	s_cbranch_execz .LBB144_12
; %bb.18:                               ;   in Loop: Header=BB144_13 Depth=1
	global_load_dword v21, v[4:5], off
	s_waitcnt vmcnt(0)
	v_mad_i64_i32 v[22:23], s[0:1], v21, s43, 0
	v_lshl_add_u64 v[22:23], v[22:23], 1, v[2:3]
	global_load_dwordx2 v[32:33], v[22:23], off
	global_load_dwordx2 v[34:35], v[22:23], off offset:512
	global_load_dwordx2 v[36:37], v[22:23], off offset:1024
	;; [unrolled: 1-line block ×3, first 2 shown]
	ds_read_b128 v[22:25], v10
	ds_read_b128 v[28:31], v10 offset:16
	v_cmp_lt_i32_e64 s[0:1], v18, v19
	s_waitcnt lgkmcnt(1)
	v_lshlrev_b32_e32 v41, 16, v24
	v_cndmask_b32_e64 v21, v17, v18, s[0:1]
	v_and_b32_e32 v24, 0xffff0000, v24
	v_lshlrev_b32_e32 v27, 2, v21
	v_lshlrev_b32_e32 v21, 16, v22
	;; [unrolled: 1-line block ×3, first 2 shown]
	v_and_b32_e32 v22, 0xffff0000, v22
	v_lshlrev_b32_e32 v40, 16, v23
	s_waitcnt lgkmcnt(0)
	v_lshlrev_b32_e32 v43, 16, v28
	v_and_b32_e32 v25, 0xffff0000, v25
	v_and_b32_e32 v28, 0xffff0000, v28
	v_lshlrev_b32_e32 v44, 16, v29
	v_lshlrev_b32_e32 v45, 16, v30
	v_and_b32_e32 v23, 0xffff0000, v23
	v_and_b32_e32 v30, 0xffff0000, v30
	v_lshlrev_b32_e32 v46, 16, v31
	v_and_b32_e32 v29, 0xffff0000, v29
	v_and_b32_e32 v31, 0xffff0000, v31
	s_waitcnt vmcnt(3)
	v_lshlrev_b32_e32 v47, 16, v32
	s_waitcnt vmcnt(2)
	v_lshlrev_b32_e32 v49, 16, v34
	v_and_b32_e32 v34, 0xffff0000, v34
	v_and_b32_e32 v32, 0xffff0000, v32
	v_lshlrev_b32_e32 v50, 16, v35
	v_mul_f32_e32 v41, v41, v49
	v_mul_f32_e32 v24, v24, v34
	v_lshlrev_b32_e32 v48, 16, v33
	v_and_b32_e32 v35, 0xffff0000, v35
	s_waitcnt vmcnt(1)
	v_lshlrev_b32_e32 v51, 16, v36
	v_and_b32_e32 v36, 0xffff0000, v36
	v_mul_f32_e32 v34, v42, v50
	v_fmac_f32_e32 v41, v21, v47
	v_fmac_f32_e32 v24, v22, v32
	v_and_b32_e32 v33, 0xffff0000, v33
	v_lshlrev_b32_e32 v52, 16, v37
	s_waitcnt vmcnt(0)
	v_lshlrev_b32_e32 v53, 16, v38
	v_and_b32_e32 v38, 0xffff0000, v38
	v_mul_f32_e32 v25, v25, v35
	v_fmac_f32_e32 v34, v40, v48
	v_fmac_f32_e32 v41, v43, v51
	;; [unrolled: 1-line block ×3, first 2 shown]
	v_and_b32_e32 v37, 0xffff0000, v37
	v_lshlrev_b32_e32 v54, 16, v39
	v_fmac_f32_e32 v25, v23, v33
	v_fmac_f32_e32 v34, v44, v52
	;; [unrolled: 1-line block ×4, first 2 shown]
	v_and_b32_e32 v39, 0xffff0000, v39
	v_fmac_f32_e32 v25, v29, v37
	v_fmac_f32_e32 v34, v46, v54
	v_add_f32_e32 v21, v41, v24
	v_fmac_f32_e32 v25, v31, v39
	v_add_f32_e32 v21, v21, v34
	v_add_f32_e32 v21, v25, v21
	ds_bpermute_b32 v22, v27, v21
	s_and_saveexec_b64 s[38:39], vcc
	s_cbranch_execz .LBB144_11
; %bb.19:                               ;   in Loop: Header=BB144_13 Depth=1
	v_add_u32_e32 v23, v14, v13
	v_cvt_f32_i32_e32 v23, v23
	s_waitcnt lgkmcnt(0)
	v_add_f32_e32 v21, v21, v22
	v_add_u32_e32 v24, v9, v13
	v_cmp_gt_i32_e64 s[0:1], s11, v24
	v_mul_f32_e32 v22, s42, v23
	v_cndmask_b32_e64 v22, 0, v22, s[2:3]
	v_fmac_f32_e32 v22, s31, v21
	v_cndmask_b32_e64 v21, 0, v22, s[0:1]
	ds_write_b32 v15, v21
	v_max_f32_e32 v21, v11, v11
	v_max_f32_e32 v21, v21, v22
	v_cndmask_b32_e64 v11, v11, v21, s[0:1]
	s_branch .LBB144_11
.LBB144_20:
	s_or_b64 exec, exec, s[36:37]
.LBB144_21:
	s_or_b64 exec, exec, s[34:35]
	v_mbcnt_hi_u32_b32 v2, -1, v8
	v_and_b32_e32 v12, 64, v2
	v_add_u32_e32 v13, 64, v12
	v_xor_b32_e32 v3, 32, v2
	v_cmp_lt_i32_e32 vcc, v3, v13
	v_xor_b32_e32 v8, 16, v2
	v_max_f32_e32 v5, v11, v11
	v_cndmask_b32_e32 v3, v2, v3, vcc
	v_lshlrev_b32_e32 v3, 2, v3
	ds_bpermute_b32 v4, v3, v11
	v_cmp_lt_i32_e32 vcc, v8, v13
	v_xor_b32_e32 v9, 8, v2
	v_xor_b32_e32 v10, 4, v2
	;; [unrolled: 1-line block ×3, first 2 shown]
	s_waitcnt lgkmcnt(0)
	v_max_f32_e32 v4, v4, v4
	v_max_f32_e32 v5, v5, v4
	v_cndmask_b32_e32 v4, v2, v8, vcc
	v_lshlrev_b32_e32 v4, 2, v4
	ds_bpermute_b32 v8, v4, v5
	v_cmp_lt_i32_e32 vcc, v9, v13
	v_and_b32_e32 v27, 63, v0
	s_waitcnt lgkmcnt(0)
	v_max_f32_e32 v8, v8, v8
	v_max_f32_e32 v8, v5, v8
	v_cndmask_b32_e32 v5, v2, v9, vcc
	v_lshlrev_b32_e32 v5, 2, v5
	ds_bpermute_b32 v9, v5, v8
	v_cmp_lt_i32_e32 vcc, v10, v13
	s_waitcnt lgkmcnt(0)
	v_max_f32_e32 v9, v9, v9
	v_max_f32_e32 v9, v8, v9
	v_cndmask_b32_e32 v8, v2, v10, vcc
	v_lshlrev_b32_e32 v8, 2, v8
	ds_bpermute_b32 v10, v8, v9
	v_cmp_lt_i32_e32 vcc, v11, v13
	s_waitcnt lgkmcnt(0)
	v_max_f32_e32 v10, v10, v10
	v_max_f32_e32 v10, v9, v10
	v_cndmask_b32_e32 v9, v2, v11, vcc
	v_lshlrev_b32_e32 v28, 2, v9
	ds_bpermute_b32 v11, v28, v10
	v_cmp_eq_u32_e32 vcc, 0, v27
	v_lshlrev_b32_e32 v9, 2, v1
	s_and_saveexec_b64 s[0:1], vcc
	s_cbranch_execz .LBB144_23
; %bb.22:
	s_waitcnt lgkmcnt(0)
	v_max_f32_e32 v11, v11, v11
	v_max_f32_e32 v10, v10, v10
	;; [unrolled: 1-line block ×3, first 2 shown]
	ds_write_b32 v9, v10 offset:64
.LBB144_23:
	s_or_b64 exec, exec, s[0:1]
	v_cmp_gt_u32_e64 s[0:1], 2, v27
	s_waitcnt lgkmcnt(0)
	v_mov_b32_e32 v11, 0xff7fffff
	v_lshlrev_b32_e32 v10, 2, v27
	s_barrier
	s_and_saveexec_b64 s[2:3], s[0:1]
; %bb.24:
	ds_read_b32 v11, v10 offset:64
; %bb.25:
	s_or_b64 exec, exec, s[2:3]
	v_xor_b32_e32 v14, 1, v2
	v_cmp_lt_i32_e64 s[2:3], v14, v13
	v_lshlrev_b32_e32 v12, 2, v12
	s_nop 0
	v_cndmask_b32_e64 v13, v2, v14, s[2:3]
	v_lshlrev_b32_e32 v29, 2, v13
	s_waitcnt lgkmcnt(0)
	ds_bpermute_b32 v13, v29, v11
	v_max_f32_e32 v11, v11, v11
	s_lshl_b32 s2, s41, 5
	s_min_i32 s15, s2, s11
	v_cmp_gt_i32_e64 s[2:3], s15, v0
	s_waitcnt lgkmcnt(0)
	v_max_f32_e32 v13, v13, v13
	v_max_f32_e32 v11, v11, v13
	ds_bpermute_b32 v12, v12, v11
	v_mov_b32_e32 v11, 0
	s_and_saveexec_b64 s[30:31], s[2:3]
	s_cbranch_execz .LBB144_29
; %bb.26:
	v_mov_b32_e32 v11, 0x50
	v_lshl_add_u32 v13, v0, 2, v11
	v_mov_b32_e32 v11, 0
	s_mov_b64 s[34:35], 0
	v_mov_b32_e32 v14, v0
.LBB144_27:                             ; =>This Inner Loop Header: Depth=1
	ds_read_b32 v15, v13
	v_add_u32_e32 v14, 0x80, v14
	v_cmp_le_i32_e64 s[8:9], s15, v14
	s_or_b64 s[34:35], s[8:9], s[34:35]
	s_waitcnt lgkmcnt(0)
	v_sub_f32_e32 v15, v15, v12
	v_mul_f32_e32 v15, 0x3fb8aa3b, v15
	v_exp_f32_e32 v15, v15
	ds_write_b32 v13, v15
	v_add_f32_e32 v11, v11, v15
	v_add_u32_e32 v13, 0x200, v13
	s_andn2_b64 exec, exec, s[34:35]
	s_cbranch_execnz .LBB144_27
; %bb.28:
	s_or_b64 exec, exec, s[34:35]
.LBB144_29:
	s_or_b64 exec, exec, s[30:31]
	ds_bpermute_b32 v3, v3, v11
	s_waitcnt lgkmcnt(0)
	v_add_f32_e32 v3, v11, v3
	ds_bpermute_b32 v4, v4, v3
	s_waitcnt lgkmcnt(0)
	v_add_f32_e32 v3, v3, v4
	;; [unrolled: 3-line block ×6, first 2 shown]
	s_and_saveexec_b64 s[8:9], vcc
; %bb.30:
	ds_write_b32 v9, v3 offset:72
; %bb.31:
	s_or_b64 exec, exec, s[8:9]
	s_waitcnt lgkmcnt(0)
	s_barrier
	s_and_saveexec_b64 s[8:9], s[0:1]
; %bb.32:
	ds_read_b32 v3, v10 offset:72
; %bb.33:
	s_or_b64 exec, exec, s[8:9]
	s_waitcnt lgkmcnt(0)
	ds_bpermute_b32 v4, v29, v3
	v_lshlrev_b32_e32 v2, 2, v2
	v_and_b32_e32 v2, 0x100, v2
	s_waitcnt lgkmcnt(0)
	v_add_f32_e32 v3, v3, v4
	ds_bpermute_b32 v2, v2, v3
	s_and_saveexec_b64 s[0:1], s[2:3]
	s_cbranch_execz .LBB144_46
; %bb.34:
	s_waitcnt lgkmcnt(0)
	v_add_f32_e32 v2, 0x358637bd, v2
	v_div_scale_f32 v3, s[2:3], v2, v2, 1.0
	v_rcp_f32_e32 v4, v3
	v_div_scale_f32 v5, vcc, 1.0, v2, 1.0
	s_movk_i32 s2, 0x7f
	v_fma_f32 v8, -v3, v4, 1.0
	v_fmac_f32_e32 v4, v8, v4
	v_mul_f32_e32 v8, v5, v4
	v_fma_f32 v9, -v3, v8, v5
	v_fmac_f32_e32 v8, v9, v4
	v_fma_f32 v3, -v3, v8, v5
	v_div_fmas_f32 v3, v3, v4, v8
	v_xad_u32 v4, v0, -1, s15
	v_div_fixup_f32 v2, v3, v2, 1.0
	v_cmp_lt_u32_e32 vcc, s2, v4
	s_mov_b64 s[8:9], -1
	v_mov_b32_e32 v3, v0
	s_and_saveexec_b64 s[2:3], vcc
	s_cbranch_execz .LBB144_43
; %bb.35:
	v_lshrrev_b32_e32 v4, 7, v4
	v_add_u32_e32 v8, -1, v4
	v_lshrrev_b32_e32 v5, 1, v8
	v_mov_b32_e32 v3, v2
	v_add_u32_e32 v5, 1, v5
	v_cmp_lt_u32_e32 vcc, 13, v8
	v_mov_b32_e32 v10, 0
	s_and_saveexec_b64 s[8:9], vcc
	s_cbranch_execz .LBB144_39
; %bb.36:
	v_mov_b32_e32 v9, 0x50
	v_and_b32_e32 v8, -8, v5
	v_lshl_add_u32 v9, v0, 2, v9
	s_mov_b32 s34, 0
	s_mov_b64 s[30:31], 0
.LBB144_37:                             ; =>This Inner Loop Header: Depth=1
	ds_read2st64_b32 v[10:11], v9 offset1:2
	ds_read2st64_b32 v[12:13], v9 offset0:4 offset1:6
	ds_read2st64_b32 v[14:15], v9 offset0:8 offset1:10
	;; [unrolled: 1-line block ×3, first 2 shown]
	v_add_u32_e32 v8, -8, v8
	s_waitcnt lgkmcnt(3)
	v_pk_mul_f32 v[10:11], v[2:3], v[10:11]
	s_waitcnt lgkmcnt(2)
	v_pk_mul_f32 v[12:13], v[2:3], v[12:13]
	ds_write2st64_b32 v9, v10, v11 offset1:2
	ds_write2st64_b32 v9, v12, v13 offset0:4 offset1:6
	ds_read2st64_b32 v[12:13], v9 offset0:16 offset1:18
	s_waitcnt lgkmcnt(4)
	v_pk_mul_f32 v[10:11], v[2:3], v[14:15]
	ds_write2st64_b32 v9, v10, v11 offset0:8 offset1:10
	s_waitcnt lgkmcnt(4)
	v_pk_mul_f32 v[10:11], v[2:3], v[16:17]
	ds_write2st64_b32 v9, v10, v11 offset0:12 offset1:14
	ds_read2st64_b32 v[10:11], v9 offset0:20 offset1:22
	s_waitcnt lgkmcnt(3)
	v_pk_mul_f32 v[12:13], v[2:3], v[12:13]
	ds_read2st64_b32 v[14:15], v9 offset0:24 offset1:26
	ds_write2st64_b32 v9, v12, v13 offset0:16 offset1:18
	ds_read2st64_b32 v[12:13], v9 offset0:28 offset1:30
	s_waitcnt lgkmcnt(3)
	v_pk_mul_f32 v[10:11], v[2:3], v[10:11]
	ds_write2st64_b32 v9, v10, v11 offset0:20 offset1:22
	s_waitcnt lgkmcnt(3)
	v_pk_mul_f32 v[10:11], v[2:3], v[14:15]
	ds_write2st64_b32 v9, v10, v11 offset0:24 offset1:26
	s_waitcnt lgkmcnt(2)
	v_pk_mul_f32 v[10:11], v[2:3], v[12:13]
	s_add_i32 s34, s34, 16
	v_cmp_eq_u32_e32 vcc, 0, v8
	ds_write2st64_b32 v9, v10, v11 offset0:28 offset1:30
	v_add_u32_e32 v9, 0x2000, v9
	s_or_b64 s[30:31], vcc, s[30:31]
	v_mov_b32_e32 v10, s34
	s_andn2_b64 exec, exec, s[30:31]
	s_cbranch_execnz .LBB144_37
; %bb.38:
	s_or_b64 exec, exec, s[30:31]
.LBB144_39:
	s_or_b64 exec, exec, s[8:9]
	v_and_b32_e32 v5, 7, v5
	v_cmp_ne_u32_e32 vcc, 0, v5
	s_and_saveexec_b64 s[8:9], vcc
	s_cbranch_execz .LBB144_42
; %bb.40:
	v_lshlrev_b32_e32 v8, 9, v10
	v_lshlrev_b32_e32 v9, 2, v0
	s_movk_i32 s30, 0x50
	v_add3_u32 v8, v8, v9, s30
	s_mov_b64 s[30:31], 0
.LBB144_41:                             ; =>This Inner Loop Header: Depth=1
	ds_read2st64_b32 v[10:11], v8 offset1:2
	v_add_u32_e32 v5, -1, v5
	v_cmp_eq_u32_e32 vcc, 0, v5
	s_or_b64 s[30:31], vcc, s[30:31]
	s_waitcnt lgkmcnt(0)
	v_pk_mul_f32 v[10:11], v[2:3], v[10:11]
	ds_write2st64_b32 v8, v10, v11 offset1:2
	v_add_u32_e32 v8, 0x400, v8
	s_andn2_b64 exec, exec, s[30:31]
	s_cbranch_execnz .LBB144_41
.LBB144_42:
	s_or_b64 exec, exec, s[8:9]
	v_add_u32_e32 v4, 1, v4
	v_and_b32_e32 v5, 0x3fffffe, v4
	v_cmp_ne_u32_e32 vcc, v4, v5
	v_lshl_add_u32 v3, v5, 7, v0
	s_orn2_b64 s[8:9], vcc, exec
.LBB144_43:
	s_or_b64 exec, exec, s[2:3]
	s_and_b64 exec, exec, s[8:9]
	s_cbranch_execz .LBB144_46
; %bb.44:
	v_mov_b32_e32 v4, 0x50
	v_lshl_add_u32 v4, v3, 2, v4
	s_mov_b64 s[2:3], 0
.LBB144_45:                             ; =>This Inner Loop Header: Depth=1
	ds_read_b32 v5, v4
	v_add_u32_e32 v3, 0x80, v3
	v_cmp_le_i32_e32 vcc, s15, v3
	s_or_b64 s[2:3], vcc, s[2:3]
	s_waitcnt lgkmcnt(0)
	v_mul_f32_e32 v5, v2, v5
	ds_write_b32 v4, v5
	v_add_u32_e32 v4, 0x200, v4
	s_andn2_b64 exec, exec, s[2:3]
	s_cbranch_execnz .LBB144_45
.LBB144_46:
	s_or_b64 exec, exec, s[0:1]
	v_mov_b32_e32 v21, 0
	v_and_b32_e32 v30, 3, v0
	v_mov_b32_e32 v20, v21
	s_waitcnt lgkmcnt(0)
	s_barrier
	s_and_saveexec_b64 s[8:9], s[6:7]
	s_cbranch_execz .LBB144_56
; %bb.47:
	s_ashr_i32 s15, s14, 31
	s_sub_i32 s17, s12, s17
	s_lshl_b64 s[0:1], s[14:15], 1
	s_add_u32 s0, s28, s0
	s_addc_u32 s1, s29, s1
	s_abs_i32 s18, s18
	v_cvt_f32_u32_e32 v2, s18
	v_lshlrev_b32_e32 v3, 4, v0
	v_and_b32_e32 v18, 0x3f0, v3
	v_mov_b32_e32 v19, 0
	v_rcp_iflag_f32_e32 v2, v2
	v_lshl_add_u64 v[22:23], s[0:1], 0, v[18:19]
	s_sub_i32 s0, 0, s18
	s_add_i32 s29, s41, -1
	v_mul_f32_e32 v2, 0x4f7ffffe, v2
	v_cvt_u32_f32_e32 v2, v2
	v_and_b32_e32 v18, 60, v7
	v_and_b32_e32 v31, 24, v6
	s_mov_b32 s28, s13
	v_mul_lo_u32 v3, s0, v2
	v_mul_hi_u32 v3, v2, v3
	s_lshl_b64 s[0:1], s[26:27], 2
	v_add_u32_e32 v32, v2, v3
	s_add_u32 s0, s24, s0
	v_lshlrev_b32_e32 v2, 5, v30
	s_addc_u32 s1, s25, s1
	v_lshl_or_b32 v2, v1, 7, v2
	s_mov_b32 s30, s11
	v_lshl_add_u64 v[24:25], s[0:1], 0, v[18:19]
	v_add_u32_e32 v18, 0x50, v2
	s_mov_b64 s[6:7], 0
	s_mov_b32 s24, 0x5040100
	v_mov_b32_e32 v20, 0
	v_mov_b32_e32 v21, v19
	s_branch .LBB144_50
.LBB144_48:                             ;   in Loop: Header=BB144_50 Depth=1
	s_or_b64 exec, exec, s[2:3]
	s_waitcnt lgkmcnt(0)
	v_cvt_pk_bf16_f32 v10, v10, s0
	s_waitcnt vmcnt(1)
	v_and_b32_e32 v35, 0xffff0000, v4
	v_lshlrev_b32_e32 v4, 16, v4
	v_lshlrev_b32_e32 v36, 16, v10
	v_cvt_pk_bf16_f32 v13, v13, s0
	v_mul_f32_e32 v4, v36, v4
	v_cvt_pk_bf16_f32 v14, v14, s0
	v_cvt_pk_bf16_f32 v15, v15, s0
	v_cvt_pk_bf16_f32 v10, v4, s0
	v_and_b32_e32 v4, 0xffff0000, v5
	v_lshlrev_b32_e32 v13, 16, v13
	v_cvt_pk_bf16_f32 v16, v16, s0
	v_cvt_pk_bf16_f32 v17, v17, s0
	;; [unrolled: 1-line block ×3, first 2 shown]
	v_and_b32_e32 v33, 0xffff0000, v2
	v_lshlrev_b32_e32 v15, 16, v15
	v_lshlrev_b32_e32 v2, 16, v2
	;; [unrolled: 1-line block ×3, first 2 shown]
	v_mul_f32_e32 v4, v13, v4
	v_cvt_pk_bf16_f32 v11, v11, s0
	v_mul_f32_e32 v33, v15, v33
	v_mul_f32_e32 v2, v14, v2
	v_and_b32_e32 v34, 0xffff0000, v3
	v_lshlrev_b32_e32 v17, 16, v17
	v_lshlrev_b32_e32 v3, 16, v3
	;; [unrolled: 1-line block ×3, first 2 shown]
	v_cvt_pk_bf16_f32 v37, v4, s0
	v_lshlrev_b32_e32 v4, 16, v5
	v_lshlrev_b32_e32 v5, 16, v12
	v_cvt_pk_bf16_f32 v33, v33, s0
	v_cvt_pk_bf16_f32 v2, v2, s0
	v_mul_f32_e32 v34, v17, v34
	v_mul_f32_e32 v3, v16, v3
	v_lshlrev_b32_e32 v11, 16, v11
	v_mul_f32_e32 v4, v5, v4
	v_cvt_pk_bf16_f32 v34, v34, s0
	v_cvt_pk_bf16_f32 v3, v3, s0
	v_mul_f32_e32 v35, v11, v35
	v_cvt_pk_bf16_f32 v12, v4, s0
	v_lshlrev_b32_e32 v2, 16, v2
	v_lshlrev_b32_e32 v4, 16, v33
	v_cvt_pk_bf16_f32 v35, v35, s0
	v_add_f32_e32 v2, v4, v2
	v_lshlrev_b32_e32 v3, 16, v3
	v_lshlrev_b32_e32 v4, 16, v34
	v_add_f32_e32 v4, v4, v3
	v_lshlrev_b32_e32 v3, 16, v10
	v_lshlrev_b32_e32 v10, 16, v35
	;; [unrolled: 3-line block ×3, first 2 shown]
	v_add_f32_e32 v12, v12, v3
	s_waitcnt vmcnt(0)
	v_lshlrev_b32_e32 v3, 16, v6
	v_mul_f32_e32 v3, v14, v3
	v_lshlrev_b32_e32 v14, 16, v7
	v_and_b32_e32 v7, 0xffff0000, v7
	v_and_b32_e32 v6, 0xffff0000, v6
	v_mul_f32_e32 v7, v17, v7
	v_mul_f32_e32 v6, v15, v6
	v_cvt_pk_bf16_f32 v15, v7, s0
	v_lshlrev_b32_e32 v7, 16, v8
	v_mul_f32_e32 v7, v36, v7
	v_mul_f32_e32 v14, v16, v14
	v_cvt_pk_bf16_f32 v16, v7, s0
	v_and_b32_e32 v7, 0xffff0000, v8
	v_mul_f32_e32 v7, v11, v7
	v_cvt_pk_bf16_f32 v11, v7, s0
	v_lshlrev_b32_e32 v7, 16, v9
	v_mul_f32_e32 v5, v5, v7
	v_and_b32_e32 v7, 0xffff0000, v9
	v_cvt_pk_bf16_f32 v3, v3, s0
	v_cvt_pk_bf16_f32 v6, v6, s0
	;; [unrolled: 1-line block ×3, first 2 shown]
	v_mul_f32_e32 v7, v13, v7
	v_cvt_pk_bf16_f32 v5, v5, s0
	v_cvt_pk_bf16_f32 v13, v7, s0
	v_lshlrev_b32_e32 v7, 16, v6
	v_lshlrev_b32_e32 v9, 16, v3
	;; [unrolled: 1-line block ×4, first 2 shown]
	v_pk_add_f32 v[6:7], v[8:9], v[6:7]
	v_lshlrev_b32_e32 v9, 16, v11
	v_lshlrev_b32_e32 v15, 16, v16
	;; [unrolled: 1-line block ×4, first 2 shown]
	v_pk_add_f32 v[8:9], v[14:15], v[8:9]
	v_mov_b32_e32 v5, v6
	v_mov_b32_e32 v3, v7
	;; [unrolled: 1-line block ×3, first 2 shown]
	v_pk_add_f32 v[2:3], v[4:5], v[2:3]
	v_mov_b32_e32 v13, v8
	v_pk_add_f32 v[2:3], v[10:11], v[2:3]
	s_nop 0
	v_pk_add_f32 v[2:3], v[12:13], v[2:3]
	s_nop 0
	v_pk_add_f32 v[20:21], v[20:21], v[2:3]
.LBB144_49:                             ;   in Loop: Header=BB144_50 Depth=1
	s_or_b64 exec, exec, s[12:13]
	v_add_u32_e32 v1, 2, v1
	v_cmp_le_i32_e32 vcc, s41, v1
	v_lshl_add_u64 v[24:25], v[24:25], 0, 8
	v_add_u32_e32 v26, 64, v26
	s_or_b64 s[6:7], vcc, s[6:7]
	v_add_u32_e32 v18, 0x100, v18
	s_andn2_b64 exec, exec, s[6:7]
	s_cbranch_execz .LBB144_55
.LBB144_50:                             ; =>This Inner Loop Header: Depth=1
	v_mul_hi_u32 v2, v26, s33
	v_mul_lo_u32 v3, v2, s21
	v_sub_u32_e32 v3, v26, v3
	v_add_u32_e32 v4, 1, v2
	v_cmp_le_u32_e32 vcc, s21, v3
	s_nop 1
	v_cndmask_b32_e32 v2, v2, v4, vcc
	v_subrev_u32_e32 v4, s21, v3
	v_cndmask_b32_e32 v3, v3, v4, vcc
	v_add_u32_e32 v4, 1, v2
	v_cmp_le_u32_e32 vcc, s21, v3
	s_nop 1
	v_cndmask_b32_e32 v2, v2, v4, vcc
	v_xor_b32_e32 v2, s19, v2
	v_subrev_u32_e32 v2, s19, v2
	v_add_u32_e32 v3, s40, v2
	v_sub_u32_e32 v5, 0, v3
	v_ashrrev_i32_e32 v4, 31, v3
	v_max_i32_e32 v3, v3, v5
	v_mul_hi_u32 v5, v3, v32
	v_mul_lo_u32 v5, v5, s18
	v_sub_u32_e32 v3, v3, v5
	v_subrev_u32_e32 v5, s18, v3
	v_cmp_le_u32_e32 vcc, s18, v3
	v_cmp_lt_i32_e64 s[0:1], s17, v2
	s_nop 0
	v_cndmask_b32_e32 v3, v3, v5, vcc
	v_subrev_u32_e32 v5, s18, v3
	v_cmp_le_u32_e32 vcc, s18, v3
	s_nop 1
	v_cndmask_b32_e32 v3, v3, v5, vcc
	v_xor_b32_e32 v3, v3, v4
	v_sub_u32_e32 v3, v3, v4
	v_cmp_eq_u32_e32 vcc, 0, v3
	s_or_b64 s[0:1], vcc, s[0:1]
	s_and_saveexec_b64 s[12:13], s[0:1]
	s_cbranch_execz .LBB144_49
; %bb.51:                               ;   in Loop: Header=BB144_50 Depth=1
	global_load_dword v2, v[24:25], off
	v_add_u32_e32 v35, v31, v26
	v_add_u32_e32 v40, 1, v35
	v_or_b32_e32 v38, 3, v35
	v_or_b32_e32 v39, 2, v35
	;; [unrolled: 1-line block ×6, first 2 shown]
	s_waitcnt vmcnt(0)
	v_mad_i64_i32 v[2:3], s[0:1], v2, s28, 0
	v_lshl_add_u64 v[6:7], v[2:3], 1, v[22:23]
	global_load_dwordx4 v[2:5], v[6:7], off
	ds_read2_b64 v[14:17], v18 offset1:1
	ds_read2_b64 v[10:13], v18 offset0:2 offset1:3
	v_cmp_eq_u32_e64 s[0:1], s29, v1
	s_and_saveexec_b64 s[14:15], s[0:1]
	s_cbranch_execz .LBB144_53
; %bb.52:                               ;   in Loop: Header=BB144_50 Depth=1
	v_cmp_gt_i32_e32 vcc, s30, v40
	v_cmp_gt_i32_e64 s[2:3], s11, v39
	s_waitcnt vmcnt(0)
	v_cndmask_b32_sdwa v8, v19, v2, vcc dst_sel:DWORD dst_unused:UNUSED_PAD src0_sel:DWORD src1_sel:WORD_1
	v_cmp_gt_i32_e32 vcc, s11, v35
	s_nop 1
	v_cndmask_b32_e32 v2, 0, v2, vcc
	v_cmp_gt_i32_e32 vcc, s30, v38
	v_perm_b32 v2, v8, v2, s24
	v_cndmask_b32_e64 v8, 0, v3, s[2:3]
	v_cndmask_b32_sdwa v3, v19, v3, vcc dst_sel:DWORD dst_unused:UNUSED_PAD src0_sel:DWORD src1_sel:WORD_1
	v_cmp_gt_i32_e32 vcc, s30, v36
	v_cmp_gt_i32_e64 s[2:3], s11, v37
	v_perm_b32 v3, v3, v8, s24
	s_nop 0
	v_cndmask_b32_e64 v8, 0, v4, s[2:3]
	v_cndmask_b32_sdwa v4, v19, v4, vcc dst_sel:DWORD dst_unused:UNUSED_PAD src0_sel:DWORD src1_sel:WORD_1
	v_cmp_gt_i32_e32 vcc, s30, v33
	v_cmp_gt_i32_e64 s[2:3], s11, v34
	v_perm_b32 v4, v4, v8, s24
	s_nop 0
	v_cndmask_b32_e64 v8, 0, v5, s[2:3]
	v_cndmask_b32_sdwa v5, v19, v5, vcc dst_sel:DWORD dst_unused:UNUSED_PAD src0_sel:DWORD src1_sel:WORD_1
	v_perm_b32 v5, v5, v8, s24
.LBB144_53:                             ;   in Loop: Header=BB144_50 Depth=1
	s_or_b64 exec, exec, s[14:15]
	global_load_dwordx4 v[6:9], v[6:7], off offset:1024
	s_and_saveexec_b64 s[2:3], s[0:1]
	s_cbranch_execz .LBB144_48
; %bb.54:                               ;   in Loop: Header=BB144_50 Depth=1
	v_cmp_gt_i32_e32 vcc, s30, v40
	v_cmp_gt_i32_e64 s[0:1], s11, v39
	s_waitcnt vmcnt(0)
	v_cndmask_b32_sdwa v40, v19, v6, vcc dst_sel:DWORD dst_unused:UNUSED_PAD src0_sel:DWORD src1_sel:WORD_1
	v_cmp_gt_i32_e32 vcc, s11, v35
	v_cndmask_b32_e64 v35, 0, v7, s[0:1]
	v_cmp_gt_i32_e64 s[0:1], s11, v37
	v_cndmask_b32_e32 v6, 0, v6, vcc
	v_cmp_gt_i32_e32 vcc, s30, v38
	v_perm_b32 v6, v40, v6, s24
	s_nop 0
	v_cndmask_b32_sdwa v7, v19, v7, vcc dst_sel:DWORD dst_unused:UNUSED_PAD src0_sel:DWORD src1_sel:WORD_1
	v_cmp_gt_i32_e32 vcc, s30, v36
	v_perm_b32 v7, v7, v35, s24
	v_cndmask_b32_e64 v35, 0, v8, s[0:1]
	v_cndmask_b32_sdwa v8, v19, v8, vcc dst_sel:DWORD dst_unused:UNUSED_PAD src0_sel:DWORD src1_sel:WORD_1
	v_cmp_gt_i32_e32 vcc, s30, v33
	v_cmp_gt_i32_e64 s[0:1], s11, v34
	v_perm_b32 v8, v8, v35, s24
	s_nop 0
	v_cndmask_b32_e64 v33, 0, v9, s[0:1]
	v_cndmask_b32_sdwa v9, v19, v9, vcc dst_sel:DWORD dst_unused:UNUSED_PAD src0_sel:DWORD src1_sel:WORD_1
	v_perm_b32 v9, v9, v33, s24
	s_branch .LBB144_48
.LBB144_55:
	s_or_b64 exec, exec, s[6:7]
.LBB144_56:
	s_or_b64 exec, exec, s[8:9]
	ds_bpermute_b32 v2, v28, v20
	ds_bpermute_b32 v3, v28, v21
	v_and_b32_e32 v1, 0x3c3, v0
	v_cmp_eq_u32_e32 vcc, 64, v1
	s_waitcnt lgkmcnt(0)
	s_barrier
	v_pk_add_f32 v[2:3], v[20:21], v[2:3]
	ds_bpermute_b32 v4, v29, v2
	ds_bpermute_b32 v5, v29, v3
	s_waitcnt lgkmcnt(0)
	v_pk_add_f32 v[2:3], v[2:3], v[4:5]
	s_and_saveexec_b64 s[0:1], vcc
; %bb.57:
	v_add_u32_e32 v4, 0x50, v27
	ds_write2_b32 v4, v2, v3 offset1:16
; %bb.58:
	s_or_b64 exec, exec, s[0:1]
	v_cmp_gt_u32_e32 vcc, 64, v0
	v_lshrrev_b32_e32 v0, 2, v0
	s_waitcnt lgkmcnt(0)
	s_barrier
	s_and_saveexec_b64 s[0:1], vcc
	s_cbranch_execz .LBB144_64
; %bb.59:
	v_mov_b32_e32 v4, 0x50
	v_cmp_eq_u32_e32 vcc, 0, v30
	v_lshl_add_u32 v4, v0, 2, v4
	s_and_saveexec_b64 s[2:3], vcc
	s_cbranch_execz .LBB144_61
; %bb.60:
	ds_read_b32 v5, v4
	s_waitcnt lgkmcnt(0)
	v_add_f32_e32 v2, v2, v5
.LBB144_61:
	s_or_b64 exec, exec, s[2:3]
	s_and_saveexec_b64 s[2:3], vcc
	s_cbranch_execz .LBB144_63
; %bb.62:
	ds_read_b32 v4, v4 offset:64
	s_waitcnt lgkmcnt(0)
	v_add_f32_e32 v3, v3, v4
.LBB144_63:
	s_or_b64 exec, exec, s[2:3]
.LBB144_64:
	s_or_b64 exec, exec, s[0:1]
	v_cmp_eq_u32_e32 vcc, 0, v1
	s_barrier
	s_and_saveexec_b64 s[0:1], vcc
	s_cbranch_execz .LBB144_66
; %bb.65:
	s_mul_i32 s0, s10, s16
	s_mul_i32 s0, s0, s5
	s_lshl_b32 s0, s0, 5
	s_ashr_i32 s1, s0, 31
	s_lshl_b64 s[0:1], s[0:1], 1
	s_add_u32 s2, s22, s0
	s_mul_i32 s0, s16, s20
	s_addc_u32 s3, s23, s1
	s_ashr_i32 s1, s0, 31
	s_lshl_b64 s[0:1], s[0:1], 1
	s_add_u32 s2, s2, s0
	s_addc_u32 s3, s3, s1
	s_lshl_b32 s0, s4, 5
	s_ashr_i32 s1, s0, 31
	s_lshl_b64 s[0:1], s[0:1], 1
	s_add_u32 s0, s2, s0
	s_addc_u32 s1, s3, s1
	v_cvt_pk_bf16_f32 v1, v2, s0
	v_lshlrev_b32_e32 v0, 1, v0
	global_store_short v0, v1, s[0:1]
	v_cvt_pk_bf16_f32 v1, v3, s0
	global_store_short v0, v1, s[0:1] offset:32
.LBB144_66:
	s_endpgm
	.section	.rodata,"a",@progbits
	.p2align	6, 0x0
	.amdhsa_kernel _ZN4vllm25paged_attention_v1_kernelI14__hip_bfloat16S1_Li32ELi32ELi128ELNS_18Fp8KVCacheDataTypeE0ELb1EEEvPT_PKS3_PKT0_S9_ifPKiSB_iPKfiiiSD_SD_iiiii
		.amdhsa_group_segment_fixed_size 80
		.amdhsa_private_segment_fixed_size 0
		.amdhsa_kernarg_size 384
		.amdhsa_user_sgpr_count 2
		.amdhsa_user_sgpr_dispatch_ptr 0
		.amdhsa_user_sgpr_queue_ptr 0
		.amdhsa_user_sgpr_kernarg_segment_ptr 1
		.amdhsa_user_sgpr_dispatch_id 0
		.amdhsa_user_sgpr_kernarg_preload_length 0
		.amdhsa_user_sgpr_kernarg_preload_offset 0
		.amdhsa_user_sgpr_private_segment_size 0
		.amdhsa_uses_dynamic_stack 0
		.amdhsa_enable_private_segment 0
		.amdhsa_system_sgpr_workgroup_id_x 1
		.amdhsa_system_sgpr_workgroup_id_y 1
		.amdhsa_system_sgpr_workgroup_id_z 1
		.amdhsa_system_sgpr_workgroup_info 0
		.amdhsa_system_vgpr_workitem_id 0
		.amdhsa_next_free_vgpr 55
		.amdhsa_next_free_sgpr 44
		.amdhsa_accum_offset 56
		.amdhsa_reserve_vcc 1
		.amdhsa_float_round_mode_32 0
		.amdhsa_float_round_mode_16_64 0
		.amdhsa_float_denorm_mode_32 3
		.amdhsa_float_denorm_mode_16_64 3
		.amdhsa_dx10_clamp 1
		.amdhsa_ieee_mode 1
		.amdhsa_fp16_overflow 0
		.amdhsa_tg_split 0
		.amdhsa_exception_fp_ieee_invalid_op 0
		.amdhsa_exception_fp_denorm_src 0
		.amdhsa_exception_fp_ieee_div_zero 0
		.amdhsa_exception_fp_ieee_overflow 0
		.amdhsa_exception_fp_ieee_underflow 0
		.amdhsa_exception_fp_ieee_inexact 0
		.amdhsa_exception_int_div_zero 0
	.end_amdhsa_kernel
	.section	.text._ZN4vllm25paged_attention_v1_kernelI14__hip_bfloat16S1_Li32ELi32ELi128ELNS_18Fp8KVCacheDataTypeE0ELb1EEEvPT_PKS3_PKT0_S9_ifPKiSB_iPKfiiiSD_SD_iiiii,"axG",@progbits,_ZN4vllm25paged_attention_v1_kernelI14__hip_bfloat16S1_Li32ELi32ELi128ELNS_18Fp8KVCacheDataTypeE0ELb1EEEvPT_PKS3_PKT0_S9_ifPKiSB_iPKfiiiSD_SD_iiiii,comdat
.Lfunc_end144:
	.size	_ZN4vllm25paged_attention_v1_kernelI14__hip_bfloat16S1_Li32ELi32ELi128ELNS_18Fp8KVCacheDataTypeE0ELb1EEEvPT_PKS3_PKT0_S9_ifPKiSB_iPKfiiiSD_SD_iiiii, .Lfunc_end144-_ZN4vllm25paged_attention_v1_kernelI14__hip_bfloat16S1_Li32ELi32ELi128ELNS_18Fp8KVCacheDataTypeE0ELb1EEEvPT_PKS3_PKT0_S9_ifPKiSB_iPKfiiiSD_SD_iiiii
                                        ; -- End function
	.set _ZN4vllm25paged_attention_v1_kernelI14__hip_bfloat16S1_Li32ELi32ELi128ELNS_18Fp8KVCacheDataTypeE0ELb1EEEvPT_PKS3_PKT0_S9_ifPKiSB_iPKfiiiSD_SD_iiiii.num_vgpr, 55
	.set _ZN4vllm25paged_attention_v1_kernelI14__hip_bfloat16S1_Li32ELi32ELi128ELNS_18Fp8KVCacheDataTypeE0ELb1EEEvPT_PKS3_PKT0_S9_ifPKiSB_iPKfiiiSD_SD_iiiii.num_agpr, 0
	.set _ZN4vllm25paged_attention_v1_kernelI14__hip_bfloat16S1_Li32ELi32ELi128ELNS_18Fp8KVCacheDataTypeE0ELb1EEEvPT_PKS3_PKT0_S9_ifPKiSB_iPKfiiiSD_SD_iiiii.numbered_sgpr, 44
	.set _ZN4vllm25paged_attention_v1_kernelI14__hip_bfloat16S1_Li32ELi32ELi128ELNS_18Fp8KVCacheDataTypeE0ELb1EEEvPT_PKS3_PKT0_S9_ifPKiSB_iPKfiiiSD_SD_iiiii.num_named_barrier, 0
	.set _ZN4vllm25paged_attention_v1_kernelI14__hip_bfloat16S1_Li32ELi32ELi128ELNS_18Fp8KVCacheDataTypeE0ELb1EEEvPT_PKS3_PKT0_S9_ifPKiSB_iPKfiiiSD_SD_iiiii.private_seg_size, 0
	.set _ZN4vllm25paged_attention_v1_kernelI14__hip_bfloat16S1_Li32ELi32ELi128ELNS_18Fp8KVCacheDataTypeE0ELb1EEEvPT_PKS3_PKT0_S9_ifPKiSB_iPKfiiiSD_SD_iiiii.uses_vcc, 1
	.set _ZN4vllm25paged_attention_v1_kernelI14__hip_bfloat16S1_Li32ELi32ELi128ELNS_18Fp8KVCacheDataTypeE0ELb1EEEvPT_PKS3_PKT0_S9_ifPKiSB_iPKfiiiSD_SD_iiiii.uses_flat_scratch, 0
	.set _ZN4vllm25paged_attention_v1_kernelI14__hip_bfloat16S1_Li32ELi32ELi128ELNS_18Fp8KVCacheDataTypeE0ELb1EEEvPT_PKS3_PKT0_S9_ifPKiSB_iPKfiiiSD_SD_iiiii.has_dyn_sized_stack, 0
	.set _ZN4vllm25paged_attention_v1_kernelI14__hip_bfloat16S1_Li32ELi32ELi128ELNS_18Fp8KVCacheDataTypeE0ELb1EEEvPT_PKS3_PKT0_S9_ifPKiSB_iPKfiiiSD_SD_iiiii.has_recursion, 0
	.set _ZN4vllm25paged_attention_v1_kernelI14__hip_bfloat16S1_Li32ELi32ELi128ELNS_18Fp8KVCacheDataTypeE0ELb1EEEvPT_PKS3_PKT0_S9_ifPKiSB_iPKfiiiSD_SD_iiiii.has_indirect_call, 0
	.section	.AMDGPU.csdata,"",@progbits
; Kernel info:
; codeLenInByte = 4868
; TotalNumSgprs: 50
; NumVgprs: 55
; NumAgprs: 0
; TotalNumVgprs: 55
; ScratchSize: 0
; MemoryBound: 0
; FloatMode: 240
; IeeeMode: 1
; LDSByteSize: 80 bytes/workgroup (compile time only)
; SGPRBlocks: 6
; VGPRBlocks: 6
; NumSGPRsForWavesPerEU: 50
; NumVGPRsForWavesPerEU: 55
; AccumOffset: 56
; Occupancy: 8
; WaveLimiterHint : 1
; COMPUTE_PGM_RSRC2:SCRATCH_EN: 0
; COMPUTE_PGM_RSRC2:USER_SGPR: 2
; COMPUTE_PGM_RSRC2:TRAP_HANDLER: 0
; COMPUTE_PGM_RSRC2:TGID_X_EN: 1
; COMPUTE_PGM_RSRC2:TGID_Y_EN: 1
; COMPUTE_PGM_RSRC2:TGID_Z_EN: 1
; COMPUTE_PGM_RSRC2:TIDIG_COMP_CNT: 0
; COMPUTE_PGM_RSRC3_GFX90A:ACCUM_OFFSET: 13
; COMPUTE_PGM_RSRC3_GFX90A:TG_SPLIT: 0
	.section	.text._ZN4vllm25paged_attention_v1_kernelI14__hip_bfloat16S1_Li64ELi32ELi128ELNS_18Fp8KVCacheDataTypeE0ELb1EEEvPT_PKS3_PKT0_S9_ifPKiSB_iPKfiiiSD_SD_iiiii,"axG",@progbits,_ZN4vllm25paged_attention_v1_kernelI14__hip_bfloat16S1_Li64ELi32ELi128ELNS_18Fp8KVCacheDataTypeE0ELb1EEEvPT_PKS3_PKT0_S9_ifPKiSB_iPKfiiiSD_SD_iiiii,comdat
	.protected	_ZN4vllm25paged_attention_v1_kernelI14__hip_bfloat16S1_Li64ELi32ELi128ELNS_18Fp8KVCacheDataTypeE0ELb1EEEvPT_PKS3_PKT0_S9_ifPKiSB_iPKfiiiSD_SD_iiiii ; -- Begin function _ZN4vllm25paged_attention_v1_kernelI14__hip_bfloat16S1_Li64ELi32ELi128ELNS_18Fp8KVCacheDataTypeE0ELb1EEEvPT_PKS3_PKT0_S9_ifPKiSB_iPKfiiiSD_SD_iiiii
	.globl	_ZN4vllm25paged_attention_v1_kernelI14__hip_bfloat16S1_Li64ELi32ELi128ELNS_18Fp8KVCacheDataTypeE0ELb1EEEvPT_PKS3_PKT0_S9_ifPKiSB_iPKfiiiSD_SD_iiiii
	.p2align	8
	.type	_ZN4vllm25paged_attention_v1_kernelI14__hip_bfloat16S1_Li64ELi32ELi128ELNS_18Fp8KVCacheDataTypeE0ELb1EEEvPT_PKS3_PKT0_S9_ifPKiSB_iPKfiiiSD_SD_iiiii,@function
_ZN4vllm25paged_attention_v1_kernelI14__hip_bfloat16S1_Li64ELi32ELi128ELNS_18Fp8KVCacheDataTypeE0ELb1EEEvPT_PKS3_PKT0_S9_ifPKiSB_iPKfiiiSD_SD_iiiii: ; @_ZN4vllm25paged_attention_v1_kernelI14__hip_bfloat16S1_Li64ELi32ELi128ELNS_18Fp8KVCacheDataTypeE0ELb1EEEvPT_PKS3_PKT0_S9_ifPKiSB_iPKfiiiSD_SD_iiiii
; %bb.0:
	s_load_dword s5, s[0:1], 0x80
	s_load_dwordx2 s[6:7], s[0:1], 0x30
	s_load_dwordx2 s[30:31], s[0:1], 0x20
	s_mov_b32 s10, s3
	s_ashr_i32 s11, s3, 31
	s_lshl_b64 s[8:9], s[10:11], 2
	s_waitcnt lgkmcnt(0)
	s_add_u32 s6, s6, s8
	s_addc_u32 s7, s7, s9
	s_abs_i32 s3, s30
	v_cvt_f32_u32_e32 v1, s3
	s_sub_i32 s11, 0, s3
	s_abs_i32 s9, s5
	s_xor_b32 s8, s5, s30
	v_rcp_iflag_f32_e32 v1, v1
	s_ashr_i32 s8, s8, 31
	s_mov_b32 s42, 0
	v_mul_f32_e32 v1, 0x4f7ffffe, v1
	v_cvt_u32_f32_e32 v1, v1
	s_nop 0
	v_readfirstlane_b32 s12, v1
	s_mul_i32 s11, s11, s12
	s_mul_hi_u32 s11, s12, s11
	s_add_i32 s12, s12, s11
	s_mul_hi_u32 s11, s9, s12
	s_mul_i32 s12, s11, s3
	s_sub_i32 s9, s9, s12
	s_add_i32 s12, s11, 1
	s_sub_i32 s13, s9, s3
	s_cmp_ge_u32 s9, s3
	s_cselect_b32 s11, s12, s11
	s_cselect_b32 s9, s13, s9
	s_add_i32 s12, s11, 1
	s_cmp_ge_u32 s9, s3
	s_cselect_b32 s3, s12, s11
	s_xor_b32 s3, s3, s8
	s_sub_i32 s12, s3, s8
	s_abs_i32 s11, s12
	v_cvt_f32_u32_e32 v1, s11
	s_load_dwordx2 s[8:9], s[0:1], 0x40
	s_sub_i32 s3, 0, s11
	s_abs_i32 s22, s2
	v_rcp_iflag_f32_e32 v1, v1
	s_nop 0
	v_mul_f32_e32 v1, 0x4f7ffffe, v1
	v_cvt_u32_f32_e32 v1, v1
	s_nop 0
	v_readfirstlane_b32 s13, v1
	s_mul_i32 s3, s3, s13
	s_mul_hi_u32 s3, s13, s3
	s_add_i32 s13, s13, s3
	s_waitcnt lgkmcnt(0)
	s_cmp_eq_u64 s[8:9], 0
	s_mul_hi_u32 s23, s22, s13
	s_cbranch_scc1 .LBB145_2
; %bb.1:
	s_ashr_i32 s3, s2, 31
	s_lshl_b64 s[14:15], s[2:3], 2
	s_add_u32 s8, s8, s14
	s_addc_u32 s9, s9, s15
	s_load_dword s42, s[8:9], 0x0
.LBB145_2:
	s_load_dword s33, s[6:7], 0x0
	s_ashr_i32 s9, s12, 31
	s_load_dwordx4 s[12:15], s[0:1], 0x48
	s_ashr_i32 s3, s2, 31
	v_and_b32_e32 v4, 1, v0
	s_lshl_b32 s20, s2, 6
	v_cmp_gt_u32_e32 vcc, 16, v0
	v_lshlrev_b32_e32 v24, 3, v0
	s_and_saveexec_b64 s[6:7], vcc
	s_cbranch_execz .LBB145_4
; %bb.3:
	s_load_dwordx2 s[16:17], s[0:1], 0x8
	s_waitcnt lgkmcnt(0)
	s_mul_i32 s18, s12, s10
	s_ashr_i32 s19, s18, 31
	s_lshl_b64 s[18:19], s[18:19], 1
	v_lshlrev_b32_e32 v1, 2, v0
	s_add_u32 s8, s16, s18
	s_addc_u32 s12, s17, s19
	s_ashr_i32 s21, s20, 31
	s_lshl_b64 s[16:17], s[20:21], 1
	s_add_u32 s16, s8, s16
	s_addc_u32 s17, s12, s17
	global_load_dwordx2 v[2:3], v24, s[16:17]
	v_and_b32_e32 v1, 0xff8, v1
	v_lshl_add_u32 v1, v4, 6, v1
	s_waitcnt vmcnt(0)
	ds_write_b64 v1, v[2:3]
.LBB145_4:
	s_or_b64 exec, exec, s[6:7]
	s_mul_i32 s6, s23, s11
	s_sub_i32 s6, s22, s6
	s_xor_b32 s3, s3, s9
	s_add_i32 s7, s23, 1
	s_sub_i32 s9, s6, s11
	s_load_dwordx4 s[16:19], s[0:1], 0x68
	s_load_dword s8, s[0:1], 0x78
	s_cmp_ge_u32 s6, s11
	s_cselect_b32 s7, s7, s23
	s_cselect_b32 s6, s9, s6
	s_add_i32 s9, s7, 1
	s_cmp_ge_u32 s6, s11
	s_cselect_b32 s6, s9, s7
	s_waitcnt lgkmcnt(0)
	s_abs_i32 s21, s19
	v_cvt_f32_u32_e32 v1, s21
	s_xor_b32 s6, s6, s3
	s_sub_i32 s3, s6, s3
	s_sub_i32 s6, 0, s21
	v_rcp_iflag_f32_e32 v1, v1
	s_add_i32 s11, s33, -1
	s_abs_i32 s9, s11
	v_mul_f32_e32 v1, 0x4f7ffffe, v1
	v_cvt_u32_f32_e32 v1, v1
	s_barrier
	v_readfirstlane_b32 s40, v1
	s_mul_i32 s6, s6, s40
	s_mul_hi_u32 s6, s40, s6
	s_add_i32 s40, s40, s6
	s_cmp_lt_i32 s8, 0
	s_mul_hi_u32 s12, s9, s40
	s_cbranch_scc0 .LBB145_6
; %bb.5:
	s_mul_i32 s6, s16, s30
	s_add_i32 s6, s3, s6
	s_mul_i32 s6, s6, s8
	s_sub_i32 s41, 1, s6
	s_mov_b64 s[6:7], 0
	s_branch .LBB145_7
.LBB145_6:
	s_mov_b64 s[6:7], -1
                                        ; implicit-def: $sgpr41
.LBB145_7:
	s_load_dwordx2 s[24:25], s[0:1], 0x28
	s_ashr_i32 s15, s11, 31
	s_andn2_b64 vcc, exec, s[6:7]
	s_ashr_i32 s19, s19, 31
	s_cbranch_vccnz .LBB145_9
; %bb.8:
	s_mul_i32 s6, s5, s16
	s_add_i32 s2, s6, s2
	s_mul_i32 s2, s2, s8
	s_add_i32 s41, s2, 1
.LBB145_9:
	s_load_dword s2, s[0:1], 0x38
	s_load_dwordx2 s[22:23], s[0:1], 0x0
	s_load_dwordx2 s[28:29], s[0:1], 0x18
	s_load_dword s11, s[0:1], 0x88
	s_xor_b32 s6, s15, s19
	s_waitcnt lgkmcnt(0)
	s_mul_i32 s26, s2, s10
	s_mul_i32 s2, s12, s21
	s_sub_i32 s2, s9, s2
	s_ashr_i32 s27, s26, 31
	s_add_i32 s7, s12, 1
	s_sub_i32 s8, s2, s21
	s_cmp_ge_u32 s2, s21
	s_cselect_b32 s7, s7, s12
	s_cselect_b32 s2, s8, s2
	s_add_i32 s8, s7, 1
	s_cmp_ge_u32 s2, s21
	s_cselect_b32 s2, s8, s7
	s_xor_b32 s2, s2, s6
	s_sub_i32 s12, s2, s6
	s_add_i32 s2, s33, 31
	s_ashr_i32 s6, s2, 31
	s_lshr_b32 s6, s6, 27
	s_add_i32 s2, s2, s6
	s_ashr_i32 s16, s2, 5
	v_lshrrev_b32_e32 v1, 6, v0
	v_cmp_gt_i32_e64 s[6:7], s16, v1
	v_mov_b32_e32 v29, 0xff7fffff
	s_mul_i32 s14, s3, s14
	v_lshrrev_b32_e32 v25, 4, v0
	v_lshlrev_b32_e32 v36, 5, v1
	v_mbcnt_lo_u32_b32 v26, -1, 0
	s_and_saveexec_b64 s[34:35], s[6:7]
	s_cbranch_execz .LBB145_21
; %bb.10:
	s_load_dwordx2 s[0:1], s[0:1], 0x10
	s_ashr_i32 s15, s14, 31
	s_sub_i32 s30, s12, s17
	s_lshl_b64 s[2:3], s[14:15], 1
	v_bfe_u32 v27, v0, 1, 5
	s_waitcnt lgkmcnt(0)
	s_add_u32 s0, s0, s2
	s_addc_u32 s1, s1, s3
	s_abs_i32 s15, s18
	v_cvt_f32_u32_e32 v2, s15
	v_lshlrev_b32_e32 v6, 4, v27
	v_mov_b32_e32 v7, 0
	v_cmp_eq_u32_e32 vcc, 0, v4
	v_rcp_iflag_f32_e32 v5, v2
	v_lshl_add_u64 v[2:3], s[0:1], 0, v[6:7]
	s_sub_i32 s0, 0, s15
	v_lshlrev_b32_e32 v28, 6, v4
	v_mul_f32_e32 v5, 0x4f7ffffe, v5
	v_cvt_u32_f32_e32 v5, v5
	v_and_b32_e32 v6, 8, v24
	v_lshl_add_u64 v[2:3], v[2:3], 0, v[6:7]
	v_and_b32_e32 v6, 60, v25
	v_mul_lo_u32 v4, s0, v5
	s_lshl_b64 s[0:1], s[26:27], 2
	s_add_u32 s0, s24, s0
	v_mul_hi_u32 v4, v5, v4
	s_addc_u32 s1, s25, s1
	v_add_u32_e32 v30, v5, v4
	v_lshl_add_u64 v[4:5], s[0:1], 0, v[6:7]
	v_subrev_u32_e32 v6, s33, v27
	v_add_u32_e32 v32, 1, v6
	v_lshlrev_b32_e32 v6, 2, v27
	v_lshl_or_b32 v6, v1, 7, v6
	v_mbcnt_hi_u32_b32 v35, -1, v26
	v_add_u32_e32 v33, 0x90, v6
	v_and_b32_e32 v6, 64, v35
	s_mov_b32 s43, s13
	v_cmp_neq_f32_e64 s[2:3], s42, 0
	v_lshlrev_b32_e32 v31, 5, v1
	v_mov_b32_e32 v34, 0xff7fffff
	s_mov_b64 s[36:37], 0
	v_xor_b32_e32 v37, 1, v35
	v_add_u32_e32 v38, 64, v6
	v_mov_b32_e32 v29, 0xff7fffff
	v_mov_b32_e32 v39, v1
	s_branch .LBB145_13
.LBB145_11:                             ;   in Loop: Header=BB145_13 Depth=1
	s_or_b64 exec, exec, s[38:39]
.LBB145_12:                             ;   in Loop: Header=BB145_13 Depth=1
	s_or_b64 exec, exec, s[8:9]
	v_add_u32_e32 v39, 2, v39
	v_cmp_le_i32_e64 s[0:1], s16, v39
	v_lshl_add_u64 v[4:5], v[4:5], 0, 8
	v_add_u32_e32 v31, 64, v31
	s_or_b64 s[36:37], s[0:1], s[36:37]
	v_add_u32_e32 v33, 0x100, v33
	s_andn2_b64 exec, exec, s[36:37]
	s_cbranch_execz .LBB145_20
.LBB145_13:                             ; =>This Inner Loop Header: Depth=1
	v_mul_hi_u32 v6, v31, s40
	s_waitcnt lgkmcnt(0)
	v_mul_lo_u32 v7, v6, s21
	v_sub_u32_e32 v7, v31, v7
	v_add_u32_e32 v8, 1, v6
	v_cmp_le_u32_e64 s[0:1], s21, v7
	s_nop 1
	v_cndmask_b32_e64 v6, v6, v8, s[0:1]
	v_subrev_u32_e32 v8, s21, v7
	v_cndmask_b32_e64 v7, v7, v8, s[0:1]
	v_add_u32_e32 v8, 1, v6
	v_cmp_le_u32_e64 s[0:1], s21, v7
	s_nop 1
	v_cndmask_b32_e64 v6, v6, v8, s[0:1]
	v_xor_b32_e32 v6, s19, v6
	v_subrev_u32_e32 v6, s19, v6
	v_add_u32_e32 v7, s41, v6
	v_sub_u32_e32 v9, 0, v7
	v_ashrrev_i32_e32 v8, 31, v7
	v_max_i32_e32 v7, v7, v9
	v_mul_hi_u32 v9, v7, v30
	v_mul_lo_u32 v9, v9, s15
	v_sub_u32_e32 v7, v7, v9
	v_subrev_u32_e32 v9, s15, v7
	v_cmp_le_u32_e64 s[0:1], s15, v7
	v_cmp_ge_i32_e64 s[8:9], s30, v6
	s_nop 0
	v_cndmask_b32_e64 v7, v7, v9, s[0:1]
	v_subrev_u32_e32 v9, s15, v7
	v_cmp_le_u32_e64 s[0:1], s15, v7
	s_nop 1
	v_cndmask_b32_e64 v7, v7, v9, s[0:1]
	v_xor_b32_e32 v7, v7, v8
	v_sub_u32_e32 v7, v7, v8
	v_cmp_ne_u32_e64 s[0:1], 0, v7
	s_and_b64 s[0:1], s[0:1], s[8:9]
	s_and_saveexec_b64 s[8:9], s[0:1]
	s_xor_b64 s[0:1], exec, s[8:9]
	s_cbranch_execz .LBB145_17
; %bb.14:                               ;   in Loop: Header=BB145_13 Depth=1
	s_and_saveexec_b64 s[8:9], vcc
; %bb.15:                               ;   in Loop: Header=BB145_13 Depth=1
	ds_write_b32 v33, v34
; %bb.16:                               ;   in Loop: Header=BB145_13 Depth=1
	s_or_b64 exec, exec, s[8:9]
.LBB145_17:                             ;   in Loop: Header=BB145_13 Depth=1
	s_andn2_saveexec_b64 s[8:9], s[0:1]
	s_cbranch_execz .LBB145_12
; %bb.18:                               ;   in Loop: Header=BB145_13 Depth=1
	global_load_dword v6, v[4:5], off
	s_waitcnt vmcnt(0)
	v_mad_i64_i32 v[6:7], s[0:1], v6, s43, 0
	v_lshl_add_u64 v[18:19], v[6:7], 1, v[2:3]
	global_load_dwordx2 v[12:13], v[18:19], off
	global_load_dwordx2 v[10:11], v[18:19], off offset:512
	global_load_dwordx2 v[8:9], v[18:19], off offset:1024
	;; [unrolled: 1-line block ×7, first 2 shown]
	ds_read_b128 v[40:43], v28
	ds_read_b128 v[44:47], v28 offset:16
	ds_read_b128 v[48:51], v28 offset:32
	;; [unrolled: 1-line block ×3, first 2 shown]
	v_cmp_lt_i32_e64 s[0:1], v37, v38
	s_waitcnt lgkmcnt(3)
	v_lshlrev_b32_e32 v57, 16, v42
	v_and_b32_e32 v42, 0xffff0000, v42
	v_lshlrev_b32_e32 v19, 16, v40
	v_lshlrev_b32_e32 v58, 16, v43
	v_and_b32_e32 v40, 0xffff0000, v40
	v_lshlrev_b32_e32 v56, 16, v41
	s_waitcnt lgkmcnt(2)
	v_lshlrev_b32_e32 v59, 16, v44
	v_and_b32_e32 v43, 0xffff0000, v43
	v_and_b32_e32 v44, 0xffff0000, v44
	v_lshlrev_b32_e32 v60, 16, v45
	v_lshlrev_b32_e32 v61, 16, v46
	v_and_b32_e32 v41, 0xffff0000, v41
	v_and_b32_e32 v46, 0xffff0000, v46
	v_lshlrev_b32_e32 v62, 16, v47
	s_waitcnt lgkmcnt(1)
	v_lshlrev_b32_e32 v63, 16, v48
	v_and_b32_e32 v45, 0xffff0000, v45
	v_and_b32_e32 v48, 0xffff0000, v48
	v_lshlrev_b32_e32 v64, 16, v49
	v_lshlrev_b32_e32 v65, 16, v50
	v_and_b32_e32 v47, 0xffff0000, v47
	;; [unrolled: 9-line block ×3, first 2 shown]
	v_and_b32_e32 v54, 0xffff0000, v54
	v_lshlrev_b32_e32 v70, 16, v55
	v_and_b32_e32 v53, 0xffff0000, v53
	v_and_b32_e32 v55, 0xffff0000, v55
	v_cndmask_b32_e64 v18, v35, v37, s[0:1]
	v_lshlrev_b32_e32 v18, 2, v18
	s_waitcnt vmcnt(7)
	v_lshlrev_b32_e32 v71, 16, v12
	s_waitcnt vmcnt(6)
	v_lshlrev_b32_e32 v73, 16, v10
	v_and_b32_e32 v10, 0xffff0000, v10
	v_and_b32_e32 v12, 0xffff0000, v12
	v_lshlrev_b32_e32 v74, 16, v11
	v_mul_f32_e32 v57, v57, v73
	v_mul_f32_e32 v10, v42, v10
	v_lshlrev_b32_e32 v72, 16, v13
	v_and_b32_e32 v11, 0xffff0000, v11
	s_waitcnt vmcnt(5)
	v_lshlrev_b32_e32 v75, 16, v8
	v_and_b32_e32 v8, 0xffff0000, v8
	v_mul_f32_e32 v42, v58, v74
	v_fmac_f32_e32 v57, v19, v71
	v_fmac_f32_e32 v10, v40, v12
	v_and_b32_e32 v13, 0xffff0000, v13
	v_lshlrev_b32_e32 v76, 16, v9
	s_waitcnt vmcnt(4)
	v_lshlrev_b32_e32 v77, 16, v6
	v_and_b32_e32 v6, 0xffff0000, v6
	v_mul_f32_e32 v11, v43, v11
	v_fmac_f32_e32 v42, v56, v72
	v_fmac_f32_e32 v57, v59, v75
	v_fmac_f32_e32 v10, v44, v8
	v_and_b32_e32 v9, 0xffff0000, v9
	v_lshlrev_b32_e32 v78, 16, v7
	s_waitcnt vmcnt(3)
	v_lshlrev_b32_e32 v79, 16, v22
	v_and_b32_e32 v22, 0xffff0000, v22
	v_fmac_f32_e32 v11, v41, v13
	v_fmac_f32_e32 v42, v60, v76
	v_fmac_f32_e32 v57, v61, v77
	v_fmac_f32_e32 v10, v46, v6
	v_and_b32_e32 v7, 0xffff0000, v7
	v_lshlrev_b32_e32 v80, 16, v23
	s_waitcnt vmcnt(2)
	v_lshlrev_b32_e32 v81, 16, v20
	v_and_b32_e32 v20, 0xffff0000, v20
	v_fmac_f32_e32 v11, v45, v9
	;; [unrolled: 9-line block ×4, first 2 shown]
	v_fmac_f32_e32 v42, v66, v82
	v_fmac_f32_e32 v57, v67, v83
	;; [unrolled: 1-line block ×3, first 2 shown]
	v_and_b32_e32 v17, 0xffff0000, v17
	v_lshlrev_b32_e32 v86, 16, v15
	v_fmac_f32_e32 v11, v51, v21
	v_fmac_f32_e32 v42, v68, v84
	;; [unrolled: 1-line block ×4, first 2 shown]
	v_and_b32_e32 v15, 0xffff0000, v15
	v_fmac_f32_e32 v11, v53, v17
	v_fmac_f32_e32 v42, v70, v86
	v_add_f32_e32 v6, v57, v10
	v_fmac_f32_e32 v11, v55, v15
	v_add_f32_e32 v6, v6, v42
	v_add_f32_e32 v6, v11, v6
	ds_bpermute_b32 v7, v18, v6
	s_and_saveexec_b64 s[38:39], vcc
	s_cbranch_execz .LBB145_11
; %bb.19:                               ;   in Loop: Header=BB145_13 Depth=1
	v_add_u32_e32 v8, v32, v31
	v_cvt_f32_i32_e32 v8, v8
	s_waitcnt lgkmcnt(0)
	v_add_f32_e32 v6, v6, v7
	v_add_u32_e32 v9, v27, v31
	v_cmp_gt_i32_e64 s[0:1], s33, v9
	v_mul_f32_e32 v7, s42, v8
	v_cndmask_b32_e64 v7, 0, v7, s[2:3]
	v_fmac_f32_e32 v7, s31, v6
	v_cndmask_b32_e64 v6, 0, v7, s[0:1]
	ds_write_b32 v33, v6
	v_max_f32_e32 v6, v29, v29
	v_max_f32_e32 v6, v6, v7
	v_cndmask_b32_e64 v29, v29, v6, s[0:1]
	s_branch .LBB145_11
.LBB145_20:
	s_or_b64 exec, exec, s[36:37]
.LBB145_21:
	s_or_b64 exec, exec, s[34:35]
	v_mbcnt_hi_u32_b32 v2, -1, v26
	v_and_b32_e32 v9, 64, v2
	v_add_u32_e32 v10, 64, v9
	v_xor_b32_e32 v3, 32, v2
	v_cmp_lt_i32_e32 vcc, v3, v10
	v_xor_b32_e32 v6, 16, v2
	v_max_f32_e32 v5, v29, v29
	v_cndmask_b32_e32 v3, v2, v3, vcc
	v_lshlrev_b32_e32 v3, 2, v3
	ds_bpermute_b32 v4, v3, v29
	v_cmp_lt_i32_e32 vcc, v6, v10
	s_waitcnt lgkmcnt(1)
	v_xor_b32_e32 v7, 8, v2
	v_xor_b32_e32 v8, 4, v2
	v_xor_b32_e32 v11, 2, v2
	s_waitcnt lgkmcnt(0)
	v_max_f32_e32 v4, v4, v4
	v_max_f32_e32 v5, v5, v4
	v_cndmask_b32_e32 v4, v2, v6, vcc
	v_lshlrev_b32_e32 v4, 2, v4
	ds_bpermute_b32 v6, v4, v5
	v_cmp_lt_i32_e32 vcc, v7, v10
	v_and_b32_e32 v37, 63, v0
	s_waitcnt lgkmcnt(0)
	v_max_f32_e32 v6, v6, v6
	v_max_f32_e32 v6, v5, v6
	v_cndmask_b32_e32 v5, v2, v7, vcc
	v_lshlrev_b32_e32 v5, 2, v5
	ds_bpermute_b32 v7, v5, v6
	v_cmp_lt_i32_e32 vcc, v8, v10
	s_waitcnt lgkmcnt(0)
	v_max_f32_e32 v7, v7, v7
	v_max_f32_e32 v7, v6, v7
	v_cndmask_b32_e32 v6, v2, v8, vcc
	v_lshlrev_b32_e32 v6, 2, v6
	ds_bpermute_b32 v8, v6, v7
	v_cmp_lt_i32_e32 vcc, v11, v10
	s_waitcnt lgkmcnt(0)
	v_max_f32_e32 v8, v8, v8
	v_max_f32_e32 v8, v7, v8
	v_cndmask_b32_e32 v7, v2, v11, vcc
	v_lshlrev_b32_e32 v38, 2, v7
	ds_bpermute_b32 v11, v38, v8
	v_cmp_eq_u32_e32 vcc, 0, v37
	v_lshlrev_b32_e32 v7, 2, v1
	s_and_saveexec_b64 s[0:1], vcc
	s_cbranch_execz .LBB145_23
; %bb.22:
	s_waitcnt lgkmcnt(0)
	v_max_f32_e32 v11, v11, v11
	v_max_f32_e32 v8, v8, v8
	v_max_f32_e32 v8, v8, v11
	ds_write_b32 v7, v8 offset:128
.LBB145_23:
	s_or_b64 exec, exec, s[0:1]
	v_cmp_gt_u32_e64 s[0:1], 2, v37
	s_waitcnt lgkmcnt(0)
	v_mov_b32_e32 v11, 0xff7fffff
	v_lshlrev_b32_e32 v8, 2, v37
	s_barrier
	s_and_saveexec_b64 s[2:3], s[0:1]
; %bb.24:
	ds_read_b32 v11, v8 offset:128
; %bb.25:
	s_or_b64 exec, exec, s[2:3]
	v_xor_b32_e32 v12, 1, v2
	v_cmp_lt_i32_e64 s[2:3], v12, v10
	v_lshlrev_b32_e32 v9, 2, v9
	s_nop 0
	v_cndmask_b32_e64 v10, v2, v12, s[2:3]
	v_lshlrev_b32_e32 v39, 2, v10
	s_waitcnt lgkmcnt(0)
	ds_bpermute_b32 v10, v39, v11
	v_max_f32_e32 v11, v11, v11
	s_lshl_b32 s2, s16, 5
	s_min_i32 s15, s2, s33
	v_cmp_gt_i32_e64 s[2:3], s15, v0
	s_waitcnt lgkmcnt(0)
	v_max_f32_e32 v10, v10, v10
	v_max_f32_e32 v10, v11, v10
	ds_bpermute_b32 v10, v9, v10
	v_mov_b32_e32 v9, 0
	s_and_saveexec_b64 s[30:31], s[2:3]
	s_cbranch_execz .LBB145_29
; %bb.26:
	v_mov_b32_e32 v9, 0x90
	v_lshl_add_u32 v11, v0, 2, v9
	v_mov_b32_e32 v9, 0
	s_mov_b64 s[34:35], 0
	v_mov_b32_e32 v12, v0
.LBB145_27:                             ; =>This Inner Loop Header: Depth=1
	ds_read_b32 v13, v11
	v_add_u32_e32 v12, 0x80, v12
	v_cmp_le_i32_e64 s[8:9], s15, v12
	s_or_b64 s[34:35], s[8:9], s[34:35]
	s_waitcnt lgkmcnt(0)
	v_sub_f32_e32 v13, v13, v10
	v_mul_f32_e32 v13, 0x3fb8aa3b, v13
	v_exp_f32_e32 v13, v13
	ds_write_b32 v11, v13
	v_add_f32_e32 v9, v9, v13
	v_add_u32_e32 v11, 0x200, v11
	s_andn2_b64 exec, exec, s[34:35]
	s_cbranch_execnz .LBB145_27
; %bb.28:
	s_or_b64 exec, exec, s[34:35]
.LBB145_29:
	s_or_b64 exec, exec, s[30:31]
	ds_bpermute_b32 v3, v3, v9
	s_waitcnt lgkmcnt(0)
	v_add_f32_e32 v3, v9, v3
	ds_bpermute_b32 v4, v4, v3
	s_waitcnt lgkmcnt(0)
	v_add_f32_e32 v3, v3, v4
	;; [unrolled: 3-line block ×6, first 2 shown]
	s_and_saveexec_b64 s[8:9], vcc
; %bb.30:
	ds_write_b32 v7, v3 offset:136
; %bb.31:
	s_or_b64 exec, exec, s[8:9]
	s_waitcnt lgkmcnt(0)
	s_barrier
	s_and_saveexec_b64 s[8:9], s[0:1]
; %bb.32:
	ds_read_b32 v3, v8 offset:136
; %bb.33:
	s_or_b64 exec, exec, s[8:9]
	s_waitcnt lgkmcnt(0)
	ds_bpermute_b32 v4, v39, v3
	v_lshlrev_b32_e32 v2, 2, v2
	v_and_b32_e32 v2, 0x100, v2
	s_waitcnt lgkmcnt(0)
	v_add_f32_e32 v3, v3, v4
	ds_bpermute_b32 v2, v2, v3
	s_and_saveexec_b64 s[0:1], s[2:3]
	s_cbranch_execz .LBB145_46
; %bb.34:
	s_waitcnt lgkmcnt(0)
	v_add_f32_e32 v2, 0x358637bd, v2
	v_div_scale_f32 v3, s[2:3], v2, v2, 1.0
	v_rcp_f32_e32 v4, v3
	v_div_scale_f32 v5, vcc, 1.0, v2, 1.0
	s_movk_i32 s2, 0x7f
	v_fma_f32 v6, -v3, v4, 1.0
	v_fmac_f32_e32 v4, v6, v4
	v_mul_f32_e32 v6, v5, v4
	v_fma_f32 v7, -v3, v6, v5
	v_fmac_f32_e32 v6, v7, v4
	v_fma_f32 v3, -v3, v6, v5
	v_div_fmas_f32 v3, v3, v4, v6
	v_xad_u32 v4, v0, -1, s15
	v_div_fixup_f32 v2, v3, v2, 1.0
	v_cmp_lt_u32_e32 vcc, s2, v4
	s_mov_b64 s[8:9], -1
	v_mov_b32_e32 v3, v0
	s_and_saveexec_b64 s[2:3], vcc
	s_cbranch_execz .LBB145_43
; %bb.35:
	v_lshrrev_b32_e32 v4, 7, v4
	v_add_u32_e32 v6, -1, v4
	v_lshrrev_b32_e32 v5, 1, v6
	v_mov_b32_e32 v3, v2
	v_add_u32_e32 v5, 1, v5
	v_cmp_lt_u32_e32 vcc, 13, v6
	v_mov_b32_e32 v8, 0
	s_and_saveexec_b64 s[8:9], vcc
	s_cbranch_execz .LBB145_39
; %bb.36:
	v_mov_b32_e32 v7, 0x90
	v_and_b32_e32 v6, -8, v5
	v_lshl_add_u32 v7, v0, 2, v7
	s_mov_b32 s34, 0
	s_mov_b64 s[30:31], 0
.LBB145_37:                             ; =>This Inner Loop Header: Depth=1
	ds_read2st64_b32 v[8:9], v7 offset1:2
	ds_read2st64_b32 v[10:11], v7 offset0:4 offset1:6
	ds_read2st64_b32 v[12:13], v7 offset0:8 offset1:10
	;; [unrolled: 1-line block ×3, first 2 shown]
	v_add_u32_e32 v6, -8, v6
	s_waitcnt lgkmcnt(3)
	v_pk_mul_f32 v[8:9], v[2:3], v[8:9]
	s_waitcnt lgkmcnt(2)
	v_pk_mul_f32 v[10:11], v[2:3], v[10:11]
	ds_write2st64_b32 v7, v8, v9 offset1:2
	ds_write2st64_b32 v7, v10, v11 offset0:4 offset1:6
	ds_read2st64_b32 v[10:11], v7 offset0:16 offset1:18
	s_waitcnt lgkmcnt(4)
	v_pk_mul_f32 v[8:9], v[2:3], v[12:13]
	ds_write2st64_b32 v7, v8, v9 offset0:8 offset1:10
	s_waitcnt lgkmcnt(4)
	v_pk_mul_f32 v[8:9], v[2:3], v[14:15]
	ds_write2st64_b32 v7, v8, v9 offset0:12 offset1:14
	ds_read2st64_b32 v[8:9], v7 offset0:20 offset1:22
	s_waitcnt lgkmcnt(3)
	v_pk_mul_f32 v[10:11], v[2:3], v[10:11]
	ds_read2st64_b32 v[12:13], v7 offset0:24 offset1:26
	ds_write2st64_b32 v7, v10, v11 offset0:16 offset1:18
	ds_read2st64_b32 v[10:11], v7 offset0:28 offset1:30
	s_waitcnt lgkmcnt(3)
	v_pk_mul_f32 v[8:9], v[2:3], v[8:9]
	ds_write2st64_b32 v7, v8, v9 offset0:20 offset1:22
	s_waitcnt lgkmcnt(3)
	v_pk_mul_f32 v[8:9], v[2:3], v[12:13]
	ds_write2st64_b32 v7, v8, v9 offset0:24 offset1:26
	s_waitcnt lgkmcnt(2)
	v_pk_mul_f32 v[8:9], v[2:3], v[10:11]
	s_add_i32 s34, s34, 16
	v_cmp_eq_u32_e32 vcc, 0, v6
	ds_write2st64_b32 v7, v8, v9 offset0:28 offset1:30
	v_add_u32_e32 v7, 0x2000, v7
	s_or_b64 s[30:31], vcc, s[30:31]
	v_mov_b32_e32 v8, s34
	s_andn2_b64 exec, exec, s[30:31]
	s_cbranch_execnz .LBB145_37
; %bb.38:
	s_or_b64 exec, exec, s[30:31]
.LBB145_39:
	s_or_b64 exec, exec, s[8:9]
	v_and_b32_e32 v5, 7, v5
	v_cmp_ne_u32_e32 vcc, 0, v5
	s_and_saveexec_b64 s[8:9], vcc
	s_cbranch_execz .LBB145_42
; %bb.40:
	v_lshlrev_b32_e32 v6, 9, v8
	v_lshlrev_b32_e32 v7, 2, v0
	s_movk_i32 s30, 0x90
	v_add3_u32 v6, v6, v7, s30
	s_mov_b64 s[30:31], 0
.LBB145_41:                             ; =>This Inner Loop Header: Depth=1
	ds_read2st64_b32 v[8:9], v6 offset1:2
	v_add_u32_e32 v5, -1, v5
	v_cmp_eq_u32_e32 vcc, 0, v5
	s_or_b64 s[30:31], vcc, s[30:31]
	s_waitcnt lgkmcnt(0)
	v_pk_mul_f32 v[8:9], v[2:3], v[8:9]
	ds_write2st64_b32 v6, v8, v9 offset1:2
	v_add_u32_e32 v6, 0x400, v6
	s_andn2_b64 exec, exec, s[30:31]
	s_cbranch_execnz .LBB145_41
.LBB145_42:
	s_or_b64 exec, exec, s[8:9]
	v_add_u32_e32 v4, 1, v4
	v_and_b32_e32 v5, 0x3fffffe, v4
	v_cmp_ne_u32_e32 vcc, v4, v5
	v_lshl_add_u32 v3, v5, 7, v0
	s_orn2_b64 s[8:9], vcc, exec
.LBB145_43:
	s_or_b64 exec, exec, s[2:3]
	s_and_b64 exec, exec, s[8:9]
	s_cbranch_execz .LBB145_46
; %bb.44:
	v_mov_b32_e32 v4, 0x90
	v_lshl_add_u32 v4, v3, 2, v4
	s_mov_b64 s[2:3], 0
.LBB145_45:                             ; =>This Inner Loop Header: Depth=1
	ds_read_b32 v5, v4
	v_add_u32_e32 v3, 0x80, v3
	v_cmp_le_i32_e32 vcc, s15, v3
	s_or_b64 s[2:3], vcc, s[2:3]
	s_waitcnt lgkmcnt(0)
	v_mul_f32_e32 v5, v2, v5
	ds_write_b32 v4, v5
	v_add_u32_e32 v4, 0x200, v4
	s_andn2_b64 exec, exec, s[2:3]
	s_cbranch_execnz .LBB145_45
.LBB145_46:
	s_or_b64 exec, exec, s[0:1]
	v_mov_b32_e32 v27, 0
	v_and_b32_e32 v40, 3, v0
	v_mov_b32_e32 v26, 0
	v_mov_b32_e32 v29, 0
	;; [unrolled: 1-line block ×3, first 2 shown]
	s_waitcnt lgkmcnt(0)
	s_barrier
	s_and_saveexec_b64 s[8:9], s[6:7]
	s_cbranch_execz .LBB145_60
; %bb.47:
	s_ashr_i32 s15, s14, 31
	s_sub_i32 s17, s12, s17
	s_lshl_b64 s[0:1], s[14:15], 1
	s_add_u32 s0, s28, s0
	s_addc_u32 s1, s29, s1
	s_abs_i32 s18, s18
	v_cvt_f32_u32_e32 v2, s18
	v_lshlrev_b32_e32 v3, 4, v0
	v_and_b32_e32 v30, 0x3f0, v3
	v_mov_b32_e32 v31, 0
	v_rcp_iflag_f32_e32 v2, v2
	v_lshl_add_u64 v[32:33], s[0:1], 0, v[30:31]
	s_sub_i32 s0, 0, s18
	s_add_i32 s29, s16, -1
	v_mul_f32_e32 v2, 0x4f7ffffe, v2
	v_cvt_u32_f32_e32 v2, v2
	v_and_b32_e32 v30, 60, v25
	v_and_b32_e32 v41, 24, v24
	s_mov_b32 s28, s13
	v_mul_lo_u32 v3, s0, v2
	v_mul_hi_u32 v3, v2, v3
	s_lshl_b64 s[0:1], s[26:27], 2
	v_add_u32_e32 v42, v2, v3
	s_add_u32 s0, s24, s0
	v_lshlrev_b32_e32 v2, 5, v40
	s_addc_u32 s1, s25, s1
	v_lshl_or_b32 v2, v1, 7, v2
	s_mov_b32 s30, s33
	v_lshl_add_u64 v[34:35], s[0:1], 0, v[30:31]
	v_add_u32_e32 v30, 0x90, v2
	s_mov_b64 s[6:7], 0
	s_mov_b32 s24, 0x5040100
	v_mov_b32_e32 v28, 0
	v_mov_b32_e32 v29, 0
	;; [unrolled: 1-line block ×4, first 2 shown]
	s_branch .LBB145_50
.LBB145_48:                             ;   in Loop: Header=BB145_50 Depth=1
	s_or_b64 exec, exec, s[2:3]
	s_waitcnt lgkmcnt(1)
	v_cvt_pk_bf16_f32 v14, v14, s0
	v_cvt_pk_bf16_f32 v15, v15, s0
	;; [unrolled: 1-line block ×4, first 2 shown]
	s_waitcnt vmcnt(1)
	v_and_b32_e32 v43, 0xffff0000, v22
	v_lshlrev_b32_e32 v15, 16, v15
	v_lshlrev_b32_e32 v22, 16, v22
	;; [unrolled: 1-line block ×3, first 2 shown]
	v_mul_f32_e32 v43, v15, v43
	v_mul_f32_e32 v22, v14, v22
	v_and_b32_e32 v44, 0xffff0000, v23
	v_lshlrev_b32_e32 v17, 16, v17
	v_lshlrev_b32_e32 v23, 16, v23
	;; [unrolled: 1-line block ×3, first 2 shown]
	s_waitcnt lgkmcnt(0)
	v_cvt_pk_bf16_f32 v10, v10, s0
	v_cvt_pk_bf16_f32 v11, v11, s0
	;; [unrolled: 1-line block ×4, first 2 shown]
	v_mul_f32_e32 v44, v17, v44
	v_mul_f32_e32 v23, v16, v23
	v_cvt_pk_bf16_f32 v44, v44, s0
	v_cvt_pk_bf16_f32 v23, v23, s0
	v_and_b32_e32 v45, 0xffff0000, v24
	v_lshlrev_b32_e32 v11, 16, v11
	v_lshlrev_b32_e32 v24, 16, v24
	;; [unrolled: 1-line block ×5, first 2 shown]
	v_cvt_pk_bf16_f32 v12, v12, s0
	v_cvt_pk_bf16_f32 v13, v13, s0
	v_mul_f32_e32 v45, v11, v45
	v_mul_f32_e32 v24, v10, v24
	v_add_f32_e32 v22, v22, v43
	v_lshlrev_b32_e32 v23, 16, v23
	v_lshlrev_b32_e32 v43, 16, v44
	v_cvt_pk_bf16_f32 v45, v45, s0
	v_cvt_pk_bf16_f32 v24, v24, s0
	v_and_b32_e32 v46, 0xffff0000, v25
	v_lshlrev_b32_e32 v13, 16, v13
	v_lshlrev_b32_e32 v25, 16, v25
	;; [unrolled: 1-line block ×3, first 2 shown]
	v_add_f32_e32 v23, v23, v43
	v_mul_f32_e32 v46, v13, v46
	v_mul_f32_e32 v25, v12, v25
	v_add_f32_e32 v22, v23, v22
	v_lshlrev_b32_e32 v23, 16, v24
	v_lshlrev_b32_e32 v24, 16, v45
	v_cvt_pk_bf16_f32 v46, v46, s0
	v_cvt_pk_bf16_f32 v25, v25, s0
	v_add_f32_e32 v23, v23, v24
	v_add_f32_e32 v22, v23, v22
	v_lshlrev_b32_e32 v23, 16, v25
	v_lshlrev_b32_e32 v24, 16, v46
	v_add_f32_e32 v23, v23, v24
	v_add_f32_e32 v22, v23, v22
	v_add_f32_e32 v26, v26, v22
	v_and_b32_e32 v22, 0xffff0000, v6
	v_lshlrev_b32_e32 v6, 16, v6
	v_mul_f32_e32 v22, v15, v22
	v_mul_f32_e32 v6, v14, v6
	v_and_b32_e32 v23, 0xffff0000, v7
	v_lshlrev_b32_e32 v7, 16, v7
	v_cvt_pk_bf16_f32 v22, v22, s0
	v_cvt_pk_bf16_f32 v6, v6, s0
	v_mul_f32_e32 v23, v17, v23
	v_mul_f32_e32 v7, v16, v7
	v_cvt_pk_bf16_f32 v23, v23, s0
	v_cvt_pk_bf16_f32 v7, v7, s0
	v_and_b32_e32 v24, 0xffff0000, v8
	v_lshlrev_b32_e32 v8, 16, v8
	v_lshlrev_b32_e32 v6, 16, v6
	;; [unrolled: 1-line block ×3, first 2 shown]
	v_mul_f32_e32 v24, v11, v24
	v_mul_f32_e32 v8, v10, v8
	v_add_f32_e32 v6, v6, v22
	v_lshlrev_b32_e32 v7, 16, v7
	v_lshlrev_b32_e32 v22, 16, v23
	v_cvt_pk_bf16_f32 v24, v24, s0
	v_cvt_pk_bf16_f32 v8, v8, s0
	v_and_b32_e32 v25, 0xffff0000, v9
	v_lshlrev_b32_e32 v9, 16, v9
	v_add_f32_e32 v7, v7, v22
	v_mul_f32_e32 v25, v13, v25
	v_mul_f32_e32 v9, v12, v9
	v_add_f32_e32 v6, v7, v6
	v_lshlrev_b32_e32 v7, 16, v8
	v_lshlrev_b32_e32 v8, 16, v24
	v_cvt_pk_bf16_f32 v25, v25, s0
	v_cvt_pk_bf16_f32 v9, v9, s0
	v_add_f32_e32 v7, v7, v8
	v_add_f32_e32 v6, v7, v6
	v_lshlrev_b32_e32 v7, 16, v9
	v_lshlrev_b32_e32 v8, 16, v25
	v_add_f32_e32 v7, v7, v8
	v_add_f32_e32 v6, v7, v6
	v_add_f32_e32 v29, v29, v6
	v_and_b32_e32 v6, 0xffff0000, v2
	v_lshlrev_b32_e32 v2, 16, v2
	v_mul_f32_e32 v6, v15, v6
	v_mul_f32_e32 v2, v14, v2
	v_and_b32_e32 v7, 0xffff0000, v3
	v_lshlrev_b32_e32 v3, 16, v3
	v_cvt_pk_bf16_f32 v6, v6, s0
	v_cvt_pk_bf16_f32 v2, v2, s0
	v_mul_f32_e32 v7, v17, v7
	v_mul_f32_e32 v3, v16, v3
	v_cvt_pk_bf16_f32 v7, v7, s0
	v_cvt_pk_bf16_f32 v3, v3, s0
	v_and_b32_e32 v8, 0xffff0000, v4
	v_lshlrev_b32_e32 v4, 16, v4
	v_lshlrev_b32_e32 v2, 16, v2
	;; [unrolled: 1-line block ×3, first 2 shown]
	v_mul_f32_e32 v8, v11, v8
	v_mul_f32_e32 v4, v10, v4
	v_add_f32_e32 v2, v2, v6
	v_lshlrev_b32_e32 v3, 16, v3
	v_lshlrev_b32_e32 v6, 16, v7
	v_cvt_pk_bf16_f32 v8, v8, s0
	v_cvt_pk_bf16_f32 v4, v4, s0
	v_and_b32_e32 v9, 0xffff0000, v5
	v_lshlrev_b32_e32 v5, 16, v5
	v_add_f32_e32 v3, v3, v6
	v_mul_f32_e32 v5, v12, v5
	v_add_f32_e32 v2, v3, v2
	v_lshlrev_b32_e32 v3, 16, v4
	v_lshlrev_b32_e32 v4, 16, v8
	v_cvt_pk_bf16_f32 v5, v5, s0
	v_add_f32_e32 v3, v3, v4
	v_add_f32_e32 v2, v3, v2
	v_lshlrev_b32_e32 v3, 16, v5
	s_waitcnt vmcnt(0)
	v_and_b32_e32 v5, 0xffff0000, v19
	v_mul_f32_e32 v5, v17, v5
	v_mul_f32_e32 v9, v13, v9
	v_cvt_pk_bf16_f32 v6, v5, s0
	v_lshlrev_b32_e32 v5, 16, v20
	v_cvt_pk_bf16_f32 v9, v9, s0
	v_mul_f32_e32 v5, v10, v5
	v_lshlrev_b32_e32 v4, 16, v9
	v_cvt_pk_bf16_f32 v7, v5, s0
	v_and_b32_e32 v5, 0xffff0000, v20
	v_add_f32_e32 v3, v3, v4
	v_mul_f32_e32 v5, v11, v5
	v_add_f32_e32 v2, v3, v2
	v_cvt_pk_bf16_f32 v8, v5, s0
	v_lshlrev_b32_e32 v5, 16, v21
	v_add_f32_e32 v28, v28, v2
	v_lshlrev_b32_e32 v2, 16, v18
	v_and_b32_e32 v3, 0xffff0000, v18
	v_lshlrev_b32_e32 v4, 16, v19
	v_mul_f32_e32 v5, v12, v5
	v_mul_f32_e32 v2, v14, v2
	;; [unrolled: 1-line block ×4, first 2 shown]
	v_cvt_pk_bf16_f32 v9, v5, s0
	v_and_b32_e32 v5, 0xffff0000, v21
	v_cvt_pk_bf16_f32 v2, v2, s0
	v_cvt_pk_bf16_f32 v3, v3, s0
	;; [unrolled: 1-line block ×3, first 2 shown]
	v_mul_f32_e32 v5, v13, v5
	v_cvt_pk_bf16_f32 v10, v5, s0
	v_lshlrev_b32_e32 v3, 16, v3
	v_lshlrev_b32_e32 v5, 16, v2
	;; [unrolled: 1-line block ×4, first 2 shown]
	v_pk_add_f32 v[2:3], v[4:5], v[2:3]
	v_lshlrev_b32_e32 v5, 16, v8
	v_lshlrev_b32_e32 v7, 16, v7
	;; [unrolled: 1-line block ×4, first 2 shown]
	v_pk_add_f32 v[4:5], v[6:7], v[4:5]
	v_add_f32_e32 v2, v2, v3
	v_add_f32_e32 v2, v5, v2
	;; [unrolled: 1-line block ×4, first 2 shown]
.LBB145_49:                             ;   in Loop: Header=BB145_50 Depth=1
	s_or_b64 exec, exec, s[12:13]
	v_add_u32_e32 v1, 2, v1
	v_cmp_le_i32_e32 vcc, s16, v1
	v_lshl_add_u64 v[34:35], v[34:35], 0, 8
	v_add_u32_e32 v36, 64, v36
	s_or_b64 s[6:7], vcc, s[6:7]
	v_add_u32_e32 v30, 0x100, v30
	s_andn2_b64 exec, exec, s[6:7]
	s_cbranch_execz .LBB145_59
.LBB145_50:                             ; =>This Inner Loop Header: Depth=1
	v_mul_hi_u32 v2, v36, s40
	v_mul_lo_u32 v3, v2, s21
	v_sub_u32_e32 v3, v36, v3
	v_add_u32_e32 v4, 1, v2
	v_cmp_le_u32_e32 vcc, s21, v3
	s_nop 1
	v_cndmask_b32_e32 v2, v2, v4, vcc
	v_subrev_u32_e32 v4, s21, v3
	v_cndmask_b32_e32 v3, v3, v4, vcc
	v_add_u32_e32 v4, 1, v2
	v_cmp_le_u32_e32 vcc, s21, v3
	s_nop 1
	v_cndmask_b32_e32 v2, v2, v4, vcc
	v_xor_b32_e32 v2, s19, v2
	v_subrev_u32_e32 v2, s19, v2
	v_add_u32_e32 v3, s41, v2
	v_sub_u32_e32 v5, 0, v3
	v_ashrrev_i32_e32 v4, 31, v3
	v_max_i32_e32 v3, v3, v5
	v_mul_hi_u32 v5, v3, v42
	v_mul_lo_u32 v5, v5, s18
	v_sub_u32_e32 v3, v3, v5
	v_subrev_u32_e32 v5, s18, v3
	v_cmp_le_u32_e32 vcc, s18, v3
	v_cmp_lt_i32_e64 s[0:1], s17, v2
	s_nop 0
	v_cndmask_b32_e32 v3, v3, v5, vcc
	v_subrev_u32_e32 v5, s18, v3
	v_cmp_le_u32_e32 vcc, s18, v3
	s_nop 1
	v_cndmask_b32_e32 v3, v3, v5, vcc
	v_xor_b32_e32 v3, v3, v4
	v_sub_u32_e32 v3, v3, v4
	v_cmp_eq_u32_e32 vcc, 0, v3
	s_or_b64 s[0:1], vcc, s[0:1]
	s_and_saveexec_b64 s[12:13], s[0:1]
	s_cbranch_execz .LBB145_49
; %bb.51:                               ;   in Loop: Header=BB145_50 Depth=1
	global_load_dword v2, v[34:35], off
	v_add_u32_e32 v45, v41, v36
	v_add_u32_e32 v50, 1, v45
	v_or_b32_e32 v48, 3, v45
	v_or_b32_e32 v49, 2, v45
	;; [unrolled: 1-line block ×6, first 2 shown]
	s_waitcnt vmcnt(0)
	v_mad_i64_i32 v[2:3], s[0:1], v2, s28, 0
	v_lshl_add_u64 v[18:19], v[2:3], 1, v[32:33]
	global_load_dwordx4 v[2:5], v[18:19], off
	ds_read2_b64 v[14:17], v30 offset1:1
	ds_read2_b64 v[10:13], v30 offset0:2 offset1:3
	v_cmp_eq_u32_e64 s[0:1], s29, v1
	s_and_saveexec_b64 s[14:15], s[0:1]
	s_cbranch_execnz .LBB145_55
; %bb.52:                               ;   in Loop: Header=BB145_50 Depth=1
	s_or_b64 exec, exec, s[14:15]
	global_load_dwordx4 v[6:9], v[18:19], off offset:1024
	s_and_saveexec_b64 s[14:15], s[0:1]
	s_cbranch_execnz .LBB145_56
.LBB145_53:                             ;   in Loop: Header=BB145_50 Depth=1
	s_or_b64 exec, exec, s[14:15]
	global_load_dwordx4 v[22:25], v[18:19], off offset:2048
	s_and_saveexec_b64 s[14:15], s[0:1]
	s_cbranch_execnz .LBB145_57
.LBB145_54:                             ;   in Loop: Header=BB145_50 Depth=1
	s_or_b64 exec, exec, s[14:15]
	global_load_dwordx4 v[18:21], v[18:19], off offset:3072
	s_and_saveexec_b64 s[2:3], s[0:1]
	s_cbranch_execz .LBB145_48
	s_branch .LBB145_58
.LBB145_55:                             ;   in Loop: Header=BB145_50 Depth=1
	v_cmp_gt_i32_e32 vcc, s30, v50
	v_cmp_gt_i32_e64 s[2:3], s33, v49
	s_waitcnt vmcnt(0)
	v_cndmask_b32_sdwa v6, v31, v2, vcc dst_sel:DWORD dst_unused:UNUSED_PAD src0_sel:DWORD src1_sel:WORD_1
	v_cmp_gt_i32_e32 vcc, s33, v45
	s_nop 1
	v_cndmask_b32_e32 v2, 0, v2, vcc
	v_cmp_gt_i32_e32 vcc, s30, v48
	v_perm_b32 v2, v6, v2, s24
	v_cndmask_b32_e64 v6, 0, v3, s[2:3]
	v_cndmask_b32_sdwa v3, v31, v3, vcc dst_sel:DWORD dst_unused:UNUSED_PAD src0_sel:DWORD src1_sel:WORD_1
	v_cmp_gt_i32_e32 vcc, s30, v46
	v_cmp_gt_i32_e64 s[2:3], s33, v47
	v_perm_b32 v3, v3, v6, s24
	s_nop 0
	v_cndmask_b32_e64 v6, 0, v4, s[2:3]
	v_cndmask_b32_sdwa v4, v31, v4, vcc dst_sel:DWORD dst_unused:UNUSED_PAD src0_sel:DWORD src1_sel:WORD_1
	v_cmp_gt_i32_e32 vcc, s30, v43
	v_cmp_gt_i32_e64 s[2:3], s33, v44
	v_perm_b32 v4, v4, v6, s24
	s_nop 0
	v_cndmask_b32_e64 v6, 0, v5, s[2:3]
	v_cndmask_b32_sdwa v5, v31, v5, vcc dst_sel:DWORD dst_unused:UNUSED_PAD src0_sel:DWORD src1_sel:WORD_1
	v_perm_b32 v5, v5, v6, s24
	s_or_b64 exec, exec, s[14:15]
	global_load_dwordx4 v[6:9], v[18:19], off offset:1024
	s_and_saveexec_b64 s[14:15], s[0:1]
	s_cbranch_execz .LBB145_53
.LBB145_56:                             ;   in Loop: Header=BB145_50 Depth=1
	v_cmp_gt_i32_e32 vcc, s30, v50
	v_cmp_gt_i32_e64 s[2:3], s33, v49
	s_waitcnt vmcnt(0)
	v_cndmask_b32_sdwa v20, v31, v6, vcc dst_sel:DWORD dst_unused:UNUSED_PAD src0_sel:DWORD src1_sel:WORD_1
	v_cmp_gt_i32_e32 vcc, s33, v45
	s_nop 1
	v_cndmask_b32_e32 v6, 0, v6, vcc
	v_cmp_gt_i32_e32 vcc, s30, v48
	v_perm_b32 v6, v20, v6, s24
	v_cndmask_b32_e64 v20, 0, v7, s[2:3]
	v_cndmask_b32_sdwa v7, v31, v7, vcc dst_sel:DWORD dst_unused:UNUSED_PAD src0_sel:DWORD src1_sel:WORD_1
	v_cmp_gt_i32_e32 vcc, s30, v46
	v_cmp_gt_i32_e64 s[2:3], s33, v47
	v_perm_b32 v7, v7, v20, s24
	s_nop 0
	v_cndmask_b32_e64 v20, 0, v8, s[2:3]
	v_cndmask_b32_sdwa v8, v31, v8, vcc dst_sel:DWORD dst_unused:UNUSED_PAD src0_sel:DWORD src1_sel:WORD_1
	v_cmp_gt_i32_e32 vcc, s30, v43
	v_cmp_gt_i32_e64 s[2:3], s33, v44
	v_perm_b32 v8, v8, v20, s24
	s_nop 0
	v_cndmask_b32_e64 v20, 0, v9, s[2:3]
	v_cndmask_b32_sdwa v9, v31, v9, vcc dst_sel:DWORD dst_unused:UNUSED_PAD src0_sel:DWORD src1_sel:WORD_1
	v_perm_b32 v9, v9, v20, s24
	s_or_b64 exec, exec, s[14:15]
	global_load_dwordx4 v[22:25], v[18:19], off offset:2048
	s_and_saveexec_b64 s[14:15], s[0:1]
	s_cbranch_execz .LBB145_54
.LBB145_57:                             ;   in Loop: Header=BB145_50 Depth=1
	v_cmp_gt_i32_e32 vcc, s30, v50
	v_cmp_gt_i32_e64 s[2:3], s33, v49
	s_waitcnt vmcnt(0)
	v_cndmask_b32_sdwa v20, v31, v22, vcc dst_sel:DWORD dst_unused:UNUSED_PAD src0_sel:DWORD src1_sel:WORD_1
	v_cmp_gt_i32_e32 vcc, s33, v45
	s_nop 1
	v_cndmask_b32_e32 v21, 0, v22, vcc
	v_cmp_gt_i32_e32 vcc, s30, v48
	v_perm_b32 v22, v20, v21, s24
	v_cndmask_b32_e64 v20, 0, v23, s[2:3]
	v_cndmask_b32_sdwa v21, v31, v23, vcc dst_sel:DWORD dst_unused:UNUSED_PAD src0_sel:DWORD src1_sel:WORD_1
	v_cmp_gt_i32_e32 vcc, s30, v46
	v_cmp_gt_i32_e64 s[2:3], s33, v47
	v_perm_b32 v23, v21, v20, s24
	v_cndmask_b32_sdwa v21, v31, v24, vcc dst_sel:DWORD dst_unused:UNUSED_PAD src0_sel:DWORD src1_sel:WORD_1
	v_cndmask_b32_e64 v20, 0, v24, s[2:3]
	v_cmp_gt_i32_e32 vcc, s30, v43
	v_cmp_gt_i32_e64 s[2:3], s33, v44
	v_perm_b32 v24, v21, v20, s24
	v_cndmask_b32_sdwa v21, v31, v25, vcc dst_sel:DWORD dst_unused:UNUSED_PAD src0_sel:DWORD src1_sel:WORD_1
	v_cndmask_b32_e64 v20, 0, v25, s[2:3]
	v_perm_b32 v25, v21, v20, s24
	s_or_b64 exec, exec, s[14:15]
	global_load_dwordx4 v[18:21], v[18:19], off offset:3072
	s_and_saveexec_b64 s[2:3], s[0:1]
	s_cbranch_execz .LBB145_48
.LBB145_58:                             ;   in Loop: Header=BB145_50 Depth=1
	v_cmp_gt_i32_e32 vcc, s30, v50
	v_cmp_gt_i32_e64 s[0:1], s33, v49
	s_waitcnt vmcnt(0)
	v_cndmask_b32_sdwa v50, v31, v18, vcc dst_sel:DWORD dst_unused:UNUSED_PAD src0_sel:DWORD src1_sel:WORD_1
	v_cmp_gt_i32_e32 vcc, s33, v45
	v_cndmask_b32_e64 v45, 0, v19, s[0:1]
	v_cmp_gt_i32_e64 s[0:1], s33, v47
	v_cndmask_b32_e32 v18, 0, v18, vcc
	v_cmp_gt_i32_e32 vcc, s30, v48
	v_perm_b32 v18, v50, v18, s24
	s_nop 0
	v_cndmask_b32_sdwa v19, v31, v19, vcc dst_sel:DWORD dst_unused:UNUSED_PAD src0_sel:DWORD src1_sel:WORD_1
	v_cmp_gt_i32_e32 vcc, s30, v46
	v_perm_b32 v19, v19, v45, s24
	v_cndmask_b32_e64 v45, 0, v20, s[0:1]
	v_cndmask_b32_sdwa v20, v31, v20, vcc dst_sel:DWORD dst_unused:UNUSED_PAD src0_sel:DWORD src1_sel:WORD_1
	v_cmp_gt_i32_e32 vcc, s30, v43
	v_cmp_gt_i32_e64 s[0:1], s33, v44
	v_perm_b32 v20, v20, v45, s24
	s_nop 0
	v_cndmask_b32_e64 v43, 0, v21, s[0:1]
	v_cndmask_b32_sdwa v21, v31, v21, vcc dst_sel:DWORD dst_unused:UNUSED_PAD src0_sel:DWORD src1_sel:WORD_1
	v_perm_b32 v21, v21, v43, s24
	s_branch .LBB145_48
.LBB145_59:
	s_or_b64 exec, exec, s[6:7]
.LBB145_60:
	s_or_b64 exec, exec, s[8:9]
	ds_bpermute_b32 v2, v38, v28
	ds_bpermute_b32 v3, v38, v29
	ds_bpermute_b32 v4, v38, v26
	ds_bpermute_b32 v5, v38, v27
	v_and_b32_e32 v1, 0x3c3, v0
	v_cmp_ne_u32_e32 vcc, 64, v1
	s_waitcnt lgkmcnt(2)
	v_pk_add_f32 v[2:3], v[28:29], v[2:3]
	ds_bpermute_b32 v8, v39, v2
	ds_bpermute_b32 v9, v39, v3
	s_waitcnt lgkmcnt(2)
	v_pk_add_f32 v[4:5], v[26:27], v[4:5]
	ds_bpermute_b32 v6, v39, v4
	ds_bpermute_b32 v7, v39, v5
	s_waitcnt lgkmcnt(0)
	v_pk_add_f32 v[2:3], v[2:3], v[8:9]
	s_barrier
	s_and_saveexec_b64 s[0:1], vcc
	s_xor_b64 s[0:1], exec, s[0:1]
; %bb.61:
                                        ; implicit-def: $vgpr37
; %bb.62:
	s_or_saveexec_b64 s[0:1], s[0:1]
	v_pk_add_f32 v[4:5], v[4:5], v[6:7]
	s_xor_b64 exec, exec, s[0:1]
	s_cbranch_execz .LBB145_64
; %bb.63:
	v_add_u32_e32 v6, 0x90, v37
	ds_write2_b32 v6, v2, v3 offset1:16
	ds_write2_b32 v6, v4, v5 offset0:32 offset1:48
.LBB145_64:
	s_or_b64 exec, exec, s[0:1]
	v_cmp_gt_u32_e32 vcc, 64, v0
	v_lshrrev_b32_e32 v0, 2, v0
	s_waitcnt lgkmcnt(0)
	s_barrier
	s_and_saveexec_b64 s[0:1], vcc
	s_cbranch_execz .LBB145_71
; %bb.65:
	v_mov_b32_e32 v6, 0x90
	v_cmp_eq_u32_e32 vcc, 0, v40
	v_lshl_add_u32 v6, v0, 2, v6
	s_and_saveexec_b64 s[2:3], vcc
	s_cbranch_execnz .LBB145_74
; %bb.66:
	s_or_b64 exec, exec, s[2:3]
	s_and_saveexec_b64 s[2:3], vcc
	s_cbranch_execnz .LBB145_75
.LBB145_67:
	s_or_b64 exec, exec, s[2:3]
	s_and_saveexec_b64 s[2:3], vcc
	s_cbranch_execnz .LBB145_76
.LBB145_68:
	s_or_b64 exec, exec, s[2:3]
	s_and_saveexec_b64 s[2:3], vcc
	s_cbranch_execz .LBB145_70
.LBB145_69:
	ds_read_b32 v6, v6 offset:192
	s_waitcnt lgkmcnt(0)
	v_add_f32_e32 v5, v5, v6
.LBB145_70:
	s_or_b64 exec, exec, s[2:3]
.LBB145_71:
	s_or_b64 exec, exec, s[0:1]
	v_cmp_eq_u32_e32 vcc, 0, v1
	s_barrier
	s_and_saveexec_b64 s[0:1], vcc
	s_cbranch_execz .LBB145_73
; %bb.72:
	s_mul_i32 s0, s10, s11
	s_mul_i32 s0, s0, s5
	s_lshl_b32 s0, s0, 6
	s_ashr_i32 s1, s0, 31
	s_lshl_b64 s[0:1], s[0:1], 1
	s_add_u32 s2, s22, s0
	s_mul_i32 s0, s11, s20
	s_addc_u32 s3, s23, s1
	s_ashr_i32 s1, s0, 31
	s_lshl_b64 s[0:1], s[0:1], 1
	s_add_u32 s2, s2, s0
	s_addc_u32 s3, s3, s1
	s_lshl_b32 s0, s4, 6
	s_ashr_i32 s1, s0, 31
	s_lshl_b64 s[0:1], s[0:1], 1
	s_add_u32 s0, s2, s0
	s_addc_u32 s1, s3, s1
	v_lshlrev_b32_e32 v0, 1, v0
	v_cvt_pk_bf16_f32 v1, v2, s0
	global_store_short v0, v1, s[0:1]
	v_cvt_pk_bf16_f32 v1, v3, s0
	global_store_short v0, v1, s[0:1] offset:32
	v_cvt_pk_bf16_f32 v1, v4, s0
	global_store_short v0, v1, s[0:1] offset:64
	;; [unrolled: 2-line block ×3, first 2 shown]
.LBB145_73:
	s_endpgm
.LBB145_74:
	ds_read_b32 v7, v6
	s_waitcnt lgkmcnt(0)
	v_add_f32_e32 v2, v2, v7
	s_or_b64 exec, exec, s[2:3]
	s_and_saveexec_b64 s[2:3], vcc
	s_cbranch_execz .LBB145_67
.LBB145_75:
	ds_read_b32 v7, v6 offset:64
	s_waitcnt lgkmcnt(0)
	v_add_f32_e32 v3, v3, v7
	s_or_b64 exec, exec, s[2:3]
	s_and_saveexec_b64 s[2:3], vcc
	s_cbranch_execz .LBB145_68
.LBB145_76:
	ds_read_b32 v7, v6 offset:128
	s_waitcnt lgkmcnt(0)
	v_add_f32_e32 v4, v4, v7
	s_or_b64 exec, exec, s[2:3]
	s_and_saveexec_b64 s[2:3], vcc
	s_cbranch_execnz .LBB145_69
	s_branch .LBB145_70
	.section	.rodata,"a",@progbits
	.p2align	6, 0x0
	.amdhsa_kernel _ZN4vllm25paged_attention_v1_kernelI14__hip_bfloat16S1_Li64ELi32ELi128ELNS_18Fp8KVCacheDataTypeE0ELb1EEEvPT_PKS3_PKT0_S9_ifPKiSB_iPKfiiiSD_SD_iiiii
		.amdhsa_group_segment_fixed_size 144
		.amdhsa_private_segment_fixed_size 0
		.amdhsa_kernarg_size 384
		.amdhsa_user_sgpr_count 2
		.amdhsa_user_sgpr_dispatch_ptr 0
		.amdhsa_user_sgpr_queue_ptr 0
		.amdhsa_user_sgpr_kernarg_segment_ptr 1
		.amdhsa_user_sgpr_dispatch_id 0
		.amdhsa_user_sgpr_kernarg_preload_length 0
		.amdhsa_user_sgpr_kernarg_preload_offset 0
		.amdhsa_user_sgpr_private_segment_size 0
		.amdhsa_uses_dynamic_stack 0
		.amdhsa_enable_private_segment 0
		.amdhsa_system_sgpr_workgroup_id_x 1
		.amdhsa_system_sgpr_workgroup_id_y 1
		.amdhsa_system_sgpr_workgroup_id_z 1
		.amdhsa_system_sgpr_workgroup_info 0
		.amdhsa_system_vgpr_workitem_id 0
		.amdhsa_next_free_vgpr 87
		.amdhsa_next_free_sgpr 44
		.amdhsa_accum_offset 88
		.amdhsa_reserve_vcc 1
		.amdhsa_float_round_mode_32 0
		.amdhsa_float_round_mode_16_64 0
		.amdhsa_float_denorm_mode_32 3
		.amdhsa_float_denorm_mode_16_64 3
		.amdhsa_dx10_clamp 1
		.amdhsa_ieee_mode 1
		.amdhsa_fp16_overflow 0
		.amdhsa_tg_split 0
		.amdhsa_exception_fp_ieee_invalid_op 0
		.amdhsa_exception_fp_denorm_src 0
		.amdhsa_exception_fp_ieee_div_zero 0
		.amdhsa_exception_fp_ieee_overflow 0
		.amdhsa_exception_fp_ieee_underflow 0
		.amdhsa_exception_fp_ieee_inexact 0
		.amdhsa_exception_int_div_zero 0
	.end_amdhsa_kernel
	.section	.text._ZN4vllm25paged_attention_v1_kernelI14__hip_bfloat16S1_Li64ELi32ELi128ELNS_18Fp8KVCacheDataTypeE0ELb1EEEvPT_PKS3_PKT0_S9_ifPKiSB_iPKfiiiSD_SD_iiiii,"axG",@progbits,_ZN4vllm25paged_attention_v1_kernelI14__hip_bfloat16S1_Li64ELi32ELi128ELNS_18Fp8KVCacheDataTypeE0ELb1EEEvPT_PKS3_PKT0_S9_ifPKiSB_iPKfiiiSD_SD_iiiii,comdat
.Lfunc_end145:
	.size	_ZN4vllm25paged_attention_v1_kernelI14__hip_bfloat16S1_Li64ELi32ELi128ELNS_18Fp8KVCacheDataTypeE0ELb1EEEvPT_PKS3_PKT0_S9_ifPKiSB_iPKfiiiSD_SD_iiiii, .Lfunc_end145-_ZN4vllm25paged_attention_v1_kernelI14__hip_bfloat16S1_Li64ELi32ELi128ELNS_18Fp8KVCacheDataTypeE0ELb1EEEvPT_PKS3_PKT0_S9_ifPKiSB_iPKfiiiSD_SD_iiiii
                                        ; -- End function
	.set _ZN4vllm25paged_attention_v1_kernelI14__hip_bfloat16S1_Li64ELi32ELi128ELNS_18Fp8KVCacheDataTypeE0ELb1EEEvPT_PKS3_PKT0_S9_ifPKiSB_iPKfiiiSD_SD_iiiii.num_vgpr, 87
	.set _ZN4vllm25paged_attention_v1_kernelI14__hip_bfloat16S1_Li64ELi32ELi128ELNS_18Fp8KVCacheDataTypeE0ELb1EEEvPT_PKS3_PKT0_S9_ifPKiSB_iPKfiiiSD_SD_iiiii.num_agpr, 0
	.set _ZN4vllm25paged_attention_v1_kernelI14__hip_bfloat16S1_Li64ELi32ELi128ELNS_18Fp8KVCacheDataTypeE0ELb1EEEvPT_PKS3_PKT0_S9_ifPKiSB_iPKfiiiSD_SD_iiiii.numbered_sgpr, 44
	.set _ZN4vllm25paged_attention_v1_kernelI14__hip_bfloat16S1_Li64ELi32ELi128ELNS_18Fp8KVCacheDataTypeE0ELb1EEEvPT_PKS3_PKT0_S9_ifPKiSB_iPKfiiiSD_SD_iiiii.num_named_barrier, 0
	.set _ZN4vllm25paged_attention_v1_kernelI14__hip_bfloat16S1_Li64ELi32ELi128ELNS_18Fp8KVCacheDataTypeE0ELb1EEEvPT_PKS3_PKT0_S9_ifPKiSB_iPKfiiiSD_SD_iiiii.private_seg_size, 0
	.set _ZN4vllm25paged_attention_v1_kernelI14__hip_bfloat16S1_Li64ELi32ELi128ELNS_18Fp8KVCacheDataTypeE0ELb1EEEvPT_PKS3_PKT0_S9_ifPKiSB_iPKfiiiSD_SD_iiiii.uses_vcc, 1
	.set _ZN4vllm25paged_attention_v1_kernelI14__hip_bfloat16S1_Li64ELi32ELi128ELNS_18Fp8KVCacheDataTypeE0ELb1EEEvPT_PKS3_PKT0_S9_ifPKiSB_iPKfiiiSD_SD_iiiii.uses_flat_scratch, 0
	.set _ZN4vllm25paged_attention_v1_kernelI14__hip_bfloat16S1_Li64ELi32ELi128ELNS_18Fp8KVCacheDataTypeE0ELb1EEEvPT_PKS3_PKT0_S9_ifPKiSB_iPKfiiiSD_SD_iiiii.has_dyn_sized_stack, 0
	.set _ZN4vllm25paged_attention_v1_kernelI14__hip_bfloat16S1_Li64ELi32ELi128ELNS_18Fp8KVCacheDataTypeE0ELb1EEEvPT_PKS3_PKT0_S9_ifPKiSB_iPKfiiiSD_SD_iiiii.has_recursion, 0
	.set _ZN4vllm25paged_attention_v1_kernelI14__hip_bfloat16S1_Li64ELi32ELi128ELNS_18Fp8KVCacheDataTypeE0ELb1EEEvPT_PKS3_PKT0_S9_ifPKiSB_iPKfiiiSD_SD_iiiii.has_indirect_call, 0
	.section	.AMDGPU.csdata,"",@progbits
; Kernel info:
; codeLenInByte = 6216
; TotalNumSgprs: 50
; NumVgprs: 87
; NumAgprs: 0
; TotalNumVgprs: 87
; ScratchSize: 0
; MemoryBound: 0
; FloatMode: 240
; IeeeMode: 1
; LDSByteSize: 144 bytes/workgroup (compile time only)
; SGPRBlocks: 6
; VGPRBlocks: 10
; NumSGPRsForWavesPerEU: 50
; NumVGPRsForWavesPerEU: 87
; AccumOffset: 88
; Occupancy: 5
; WaveLimiterHint : 1
; COMPUTE_PGM_RSRC2:SCRATCH_EN: 0
; COMPUTE_PGM_RSRC2:USER_SGPR: 2
; COMPUTE_PGM_RSRC2:TRAP_HANDLER: 0
; COMPUTE_PGM_RSRC2:TGID_X_EN: 1
; COMPUTE_PGM_RSRC2:TGID_Y_EN: 1
; COMPUTE_PGM_RSRC2:TGID_Z_EN: 1
; COMPUTE_PGM_RSRC2:TIDIG_COMP_CNT: 0
; COMPUTE_PGM_RSRC3_GFX90A:ACCUM_OFFSET: 21
; COMPUTE_PGM_RSRC3_GFX90A:TG_SPLIT: 0
	.section	.text._ZN4vllm25paged_attention_v1_kernelI14__hip_bfloat16S1_Li80ELi32ELi128ELNS_18Fp8KVCacheDataTypeE0ELb1EEEvPT_PKS3_PKT0_S9_ifPKiSB_iPKfiiiSD_SD_iiiii,"axG",@progbits,_ZN4vllm25paged_attention_v1_kernelI14__hip_bfloat16S1_Li80ELi32ELi128ELNS_18Fp8KVCacheDataTypeE0ELb1EEEvPT_PKS3_PKT0_S9_ifPKiSB_iPKfiiiSD_SD_iiiii,comdat
	.protected	_ZN4vllm25paged_attention_v1_kernelI14__hip_bfloat16S1_Li80ELi32ELi128ELNS_18Fp8KVCacheDataTypeE0ELb1EEEvPT_PKS3_PKT0_S9_ifPKiSB_iPKfiiiSD_SD_iiiii ; -- Begin function _ZN4vllm25paged_attention_v1_kernelI14__hip_bfloat16S1_Li80ELi32ELi128ELNS_18Fp8KVCacheDataTypeE0ELb1EEEvPT_PKS3_PKT0_S9_ifPKiSB_iPKfiiiSD_SD_iiiii
	.globl	_ZN4vllm25paged_attention_v1_kernelI14__hip_bfloat16S1_Li80ELi32ELi128ELNS_18Fp8KVCacheDataTypeE0ELb1EEEvPT_PKS3_PKT0_S9_ifPKiSB_iPKfiiiSD_SD_iiiii
	.p2align	8
	.type	_ZN4vllm25paged_attention_v1_kernelI14__hip_bfloat16S1_Li80ELi32ELi128ELNS_18Fp8KVCacheDataTypeE0ELb1EEEvPT_PKS3_PKT0_S9_ifPKiSB_iPKfiiiSD_SD_iiiii,@function
_ZN4vllm25paged_attention_v1_kernelI14__hip_bfloat16S1_Li80ELi32ELi128ELNS_18Fp8KVCacheDataTypeE0ELb1EEEvPT_PKS3_PKT0_S9_ifPKiSB_iPKfiiiSD_SD_iiiii: ; @_ZN4vllm25paged_attention_v1_kernelI14__hip_bfloat16S1_Li80ELi32ELi128ELNS_18Fp8KVCacheDataTypeE0ELb1EEEvPT_PKS3_PKT0_S9_ifPKiSB_iPKfiiiSD_SD_iiiii
; %bb.0:
	s_load_dword s5, s[0:1], 0x80
	s_load_dwordx2 s[6:7], s[0:1], 0x30
	s_load_dwordx2 s[30:31], s[0:1], 0x20
	s_mov_b32 s10, s3
	s_ashr_i32 s11, s3, 31
	s_lshl_b64 s[8:9], s[10:11], 2
	s_waitcnt lgkmcnt(0)
	s_add_u32 s6, s6, s8
	s_addc_u32 s7, s7, s9
	s_abs_i32 s3, s30
	v_cvt_f32_u32_e32 v1, s3
	s_sub_i32 s11, 0, s3
	s_abs_i32 s9, s5
	s_xor_b32 s8, s5, s30
	v_rcp_iflag_f32_e32 v1, v1
	s_ashr_i32 s8, s8, 31
	s_mov_b32 s42, 0
	v_mul_f32_e32 v1, 0x4f7ffffe, v1
	v_cvt_u32_f32_e32 v1, v1
	s_nop 0
	v_readfirstlane_b32 s12, v1
	s_mul_i32 s11, s11, s12
	s_mul_hi_u32 s11, s12, s11
	s_add_i32 s12, s12, s11
	s_mul_hi_u32 s11, s9, s12
	s_mul_i32 s12, s11, s3
	s_sub_i32 s9, s9, s12
	s_add_i32 s12, s11, 1
	s_sub_i32 s13, s9, s3
	s_cmp_ge_u32 s9, s3
	s_cselect_b32 s11, s12, s11
	s_cselect_b32 s9, s13, s9
	s_add_i32 s12, s11, 1
	s_cmp_ge_u32 s9, s3
	s_cselect_b32 s3, s12, s11
	s_xor_b32 s3, s3, s8
	s_sub_i32 s12, s3, s8
	s_abs_i32 s11, s12
	v_cvt_f32_u32_e32 v1, s11
	s_load_dwordx2 s[8:9], s[0:1], 0x40
	s_sub_i32 s3, 0, s11
	s_abs_i32 s22, s2
	v_rcp_iflag_f32_e32 v1, v1
	s_nop 0
	v_mul_f32_e32 v1, 0x4f7ffffe, v1
	v_cvt_u32_f32_e32 v1, v1
	s_nop 0
	v_readfirstlane_b32 s13, v1
	s_mul_i32 s3, s3, s13
	s_mul_hi_u32 s3, s13, s3
	s_add_i32 s13, s13, s3
	s_waitcnt lgkmcnt(0)
	s_cmp_eq_u64 s[8:9], 0
	s_mul_hi_u32 s23, s22, s13
	s_cbranch_scc1 .LBB146_2
; %bb.1:
	s_ashr_i32 s3, s2, 31
	s_lshl_b64 s[14:15], s[2:3], 2
	s_add_u32 s8, s8, s14
	s_addc_u32 s9, s9, s15
	s_load_dword s42, s[8:9], 0x0
.LBB146_2:
	s_load_dword s33, s[6:7], 0x0
	s_ashr_i32 s9, s12, 31
	s_load_dwordx4 s[12:15], s[0:1], 0x48
	s_ashr_i32 s3, s2, 31
	v_and_b32_e32 v4, 1, v0
	s_movk_i32 s8, 0x50
	s_mul_i32 s20, s2, 0x50
	v_cmp_gt_u32_e32 vcc, 20, v0
	v_lshlrev_b32_e32 v14, 3, v0
	s_and_saveexec_b64 s[6:7], vcc
	s_cbranch_execz .LBB146_4
; %bb.3:
	s_load_dwordx2 s[16:17], s[0:1], 0x8
	s_waitcnt lgkmcnt(0)
	s_mul_i32 s18, s12, s10
	s_ashr_i32 s19, s18, 31
	s_lshl_b64 s[18:19], s[18:19], 1
	v_lshlrev_b32_e32 v1, 2, v0
	s_add_u32 s12, s16, s18
	s_addc_u32 s15, s17, s19
	s_ashr_i32 s21, s20, 31
	s_lshl_b64 s[16:17], s[20:21], 1
	s_add_u32 s16, s12, s16
	s_addc_u32 s17, s15, s17
	global_load_dwordx2 v[2:3], v14, s[16:17]
	v_and_b32_e32 v1, 0xff8, v1
	v_mad_u32_u24 v1, v4, s8, v1
	s_waitcnt vmcnt(0)
	ds_write_b64 v1, v[2:3]
.LBB146_4:
	s_or_b64 exec, exec, s[6:7]
	s_mul_i32 s6, s23, s11
	s_sub_i32 s6, s22, s6
	s_xor_b32 s3, s3, s9
	s_add_i32 s7, s23, 1
	s_sub_i32 s9, s6, s11
	s_load_dwordx4 s[16:19], s[0:1], 0x68
	s_load_dword s8, s[0:1], 0x78
	s_cmp_ge_u32 s6, s11
	s_cselect_b32 s7, s7, s23
	s_cselect_b32 s6, s9, s6
	s_add_i32 s9, s7, 1
	s_cmp_ge_u32 s6, s11
	s_cselect_b32 s6, s9, s7
	s_waitcnt lgkmcnt(0)
	s_abs_i32 s21, s19
	v_cvt_f32_u32_e32 v1, s21
	s_xor_b32 s6, s6, s3
	s_sub_i32 s3, s6, s3
	s_sub_i32 s6, 0, s21
	v_rcp_iflag_f32_e32 v1, v1
	s_add_i32 s11, s33, -1
	s_abs_i32 s9, s11
	v_mul_f32_e32 v1, 0x4f7ffffe, v1
	v_cvt_u32_f32_e32 v1, v1
	s_barrier
	v_readfirstlane_b32 s40, v1
	s_mul_i32 s6, s6, s40
	s_mul_hi_u32 s6, s40, s6
	s_add_i32 s40, s40, s6
	s_cmp_lt_i32 s8, 0
	s_mul_hi_u32 s12, s9, s40
	s_cbranch_scc0 .LBB146_6
; %bb.5:
	s_mul_i32 s6, s16, s30
	s_add_i32 s6, s3, s6
	s_mul_i32 s6, s6, s8
	s_sub_i32 s41, 1, s6
	s_mov_b64 s[6:7], 0
	s_branch .LBB146_7
.LBB146_6:
	s_mov_b64 s[6:7], -1
                                        ; implicit-def: $sgpr41
.LBB146_7:
	s_load_dwordx2 s[24:25], s[0:1], 0x28
	s_ashr_i32 s15, s11, 31
	s_andn2_b64 vcc, exec, s[6:7]
	s_ashr_i32 s19, s19, 31
	s_cbranch_vccnz .LBB146_9
; %bb.8:
	s_mul_i32 s6, s5, s16
	s_add_i32 s2, s6, s2
	s_mul_i32 s2, s2, s8
	s_add_i32 s41, s2, 1
.LBB146_9:
	s_load_dword s2, s[0:1], 0x38
	s_load_dwordx2 s[22:23], s[0:1], 0x0
	s_load_dwordx2 s[28:29], s[0:1], 0x18
	s_load_dword s11, s[0:1], 0x88
	s_xor_b32 s6, s15, s19
	s_waitcnt lgkmcnt(0)
	s_mul_i32 s26, s2, s10
	s_mul_i32 s2, s12, s21
	s_sub_i32 s2, s9, s2
	s_ashr_i32 s27, s26, 31
	s_add_i32 s7, s12, 1
	s_sub_i32 s8, s2, s21
	s_cmp_ge_u32 s2, s21
	s_cselect_b32 s7, s7, s12
	s_cselect_b32 s2, s8, s2
	s_add_i32 s8, s7, 1
	s_cmp_ge_u32 s2, s21
	s_cselect_b32 s2, s8, s7
	s_xor_b32 s2, s2, s6
	s_sub_i32 s12, s2, s6
	s_add_i32 s2, s33, 31
	s_ashr_i32 s6, s2, 31
	s_lshr_b32 s6, s6, 27
	s_add_i32 s2, s2, s6
	s_ashr_i32 s16, s2, 5
	v_lshrrev_b32_e32 v1, 6, v0
	v_cmp_gt_i32_e64 s[6:7], s16, v1
	v_mov_b32_e32 v19, 0xff7fffff
	s_mul_i32 s14, s3, s14
	v_lshrrev_b32_e32 v15, 4, v0
	v_lshlrev_b32_e32 v40, 5, v1
	v_mbcnt_lo_u32_b32 v16, -1, 0
	s_and_saveexec_b64 s[34:35], s[6:7]
	s_cbranch_execz .LBB146_21
; %bb.10:
	s_load_dwordx2 s[0:1], s[0:1], 0x10
	s_ashr_i32 s15, s14, 31
	s_sub_i32 s30, s12, s17
	s_lshl_b64 s[2:3], s[14:15], 1
	v_bfe_u32 v17, v0, 1, 5
	s_waitcnt lgkmcnt(0)
	s_add_u32 s0, s0, s2
	s_addc_u32 s1, s1, s3
	s_abs_i32 s15, s18
	v_cvt_f32_u32_e32 v2, s15
	v_lshlrev_b32_e32 v6, 4, v17
	v_mov_b32_e32 v7, 0
	v_cmp_eq_u32_e32 vcc, 0, v4
	v_rcp_iflag_f32_e32 v5, v2
	v_lshl_add_u64 v[2:3], s[0:1], 0, v[6:7]
	s_sub_i32 s0, 0, s15
	v_mul_u32_u24_e32 v18, 0x50, v4
	v_mul_f32_e32 v5, 0x4f7ffffe, v5
	v_cvt_u32_f32_e32 v5, v5
	v_and_b32_e32 v6, 8, v14
	v_lshl_add_u64 v[2:3], v[2:3], 0, v[6:7]
	v_and_b32_e32 v6, 60, v15
	v_mul_lo_u32 v4, s0, v5
	s_lshl_b64 s[0:1], s[26:27], 2
	s_add_u32 s0, s24, s0
	v_mul_hi_u32 v4, v5, v4
	s_addc_u32 s1, s25, s1
	v_add_u32_e32 v20, v5, v4
	v_lshl_add_u64 v[4:5], s[0:1], 0, v[6:7]
	v_subrev_u32_e32 v6, s33, v17
	v_add_u32_e32 v22, 1, v6
	v_lshlrev_b32_e32 v6, 2, v17
	v_lshl_or_b32 v6, v1, 7, v6
	v_mbcnt_hi_u32_b32 v25, -1, v16
	v_add_u32_e32 v23, 0xb0, v6
	v_and_b32_e32 v6, 64, v25
	s_mov_b32 s43, s13
	v_cmp_neq_f32_e64 s[2:3], s42, 0
	v_lshlrev_b32_e32 v21, 5, v1
	v_mov_b32_e32 v24, 0xff7fffff
	s_mov_b64 s[36:37], 0
	s_movk_i32 s44, 0x1000
	v_xor_b32_e32 v26, 1, v25
	v_add_u32_e32 v27, 64, v6
	v_mov_b32_e32 v19, 0xff7fffff
	v_mov_b32_e32 v28, v1
	s_branch .LBB146_13
.LBB146_11:                             ;   in Loop: Header=BB146_13 Depth=1
	s_or_b64 exec, exec, s[38:39]
.LBB146_12:                             ;   in Loop: Header=BB146_13 Depth=1
	s_or_b64 exec, exec, s[8:9]
	v_add_u32_e32 v28, 2, v28
	v_cmp_le_i32_e64 s[0:1], s16, v28
	v_lshl_add_u64 v[4:5], v[4:5], 0, 8
	v_add_u32_e32 v21, 64, v21
	s_or_b64 s[36:37], s[0:1], s[36:37]
	v_add_u32_e32 v23, 0x100, v23
	s_andn2_b64 exec, exec, s[36:37]
	s_cbranch_execz .LBB146_20
.LBB146_13:                             ; =>This Inner Loop Header: Depth=1
	v_mul_hi_u32 v6, v21, s40
	s_waitcnt lgkmcnt(0)
	v_mul_lo_u32 v7, v6, s21
	v_sub_u32_e32 v7, v21, v7
	v_add_u32_e32 v8, 1, v6
	v_cmp_le_u32_e64 s[0:1], s21, v7
	s_nop 1
	v_cndmask_b32_e64 v6, v6, v8, s[0:1]
	v_subrev_u32_e32 v8, s21, v7
	v_cndmask_b32_e64 v7, v7, v8, s[0:1]
	v_add_u32_e32 v8, 1, v6
	v_cmp_le_u32_e64 s[0:1], s21, v7
	s_nop 1
	v_cndmask_b32_e64 v6, v6, v8, s[0:1]
	v_xor_b32_e32 v6, s19, v6
	v_subrev_u32_e32 v6, s19, v6
	v_add_u32_e32 v7, s41, v6
	v_sub_u32_e32 v9, 0, v7
	v_ashrrev_i32_e32 v8, 31, v7
	v_max_i32_e32 v7, v7, v9
	v_mul_hi_u32 v9, v7, v20
	v_mul_lo_u32 v9, v9, s15
	v_sub_u32_e32 v7, v7, v9
	v_subrev_u32_e32 v9, s15, v7
	v_cmp_le_u32_e64 s[0:1], s15, v7
	v_cmp_ge_i32_e64 s[8:9], s30, v6
	s_nop 0
	v_cndmask_b32_e64 v7, v7, v9, s[0:1]
	v_subrev_u32_e32 v9, s15, v7
	v_cmp_le_u32_e64 s[0:1], s15, v7
	s_nop 1
	v_cndmask_b32_e64 v7, v7, v9, s[0:1]
	v_xor_b32_e32 v7, v7, v8
	v_sub_u32_e32 v7, v7, v8
	v_cmp_ne_u32_e64 s[0:1], 0, v7
	s_and_b64 s[0:1], s[0:1], s[8:9]
	s_and_saveexec_b64 s[8:9], s[0:1]
	s_xor_b64 s[0:1], exec, s[8:9]
	s_cbranch_execz .LBB146_17
; %bb.14:                               ;   in Loop: Header=BB146_13 Depth=1
	s_and_saveexec_b64 s[8:9], vcc
; %bb.15:                               ;   in Loop: Header=BB146_13 Depth=1
	ds_write_b32 v23, v24
; %bb.16:                               ;   in Loop: Header=BB146_13 Depth=1
	s_or_b64 exec, exec, s[8:9]
.LBB146_17:                             ;   in Loop: Header=BB146_13 Depth=1
	s_andn2_saveexec_b64 s[8:9], s[0:1]
	s_cbranch_execz .LBB146_12
; %bb.18:                               ;   in Loop: Header=BB146_13 Depth=1
	global_load_dword v6, v[4:5], off
	s_waitcnt vmcnt(0)
	v_mad_i64_i32 v[6:7], s[0:1], v6, s43, 0
	v_lshl_add_u64 v[6:7], v[6:7], 1, v[2:3]
	global_load_dwordx2 v[10:11], v[6:7], off
	global_load_dwordx2 v[8:9], v[6:7], off offset:512
	global_load_dwordx2 v[38:39], v[6:7], off offset:1024
	global_load_dwordx2 v[54:55], v[6:7], off offset:1536
	global_load_dwordx2 v[56:57], v[6:7], off offset:2048
	global_load_dwordx2 v[58:59], v[6:7], off offset:2560
	global_load_dwordx2 v[12:13], v[6:7], off offset:3072
	ds_read_b128 v[30:33], v18
	ds_read_b128 v[34:37], v18 offset:16
	ds_read_b128 v[42:45], v18 offset:32
	;; [unrolled: 1-line block ×4, first 2 shown]
	s_waitcnt lgkmcnt(4)
	v_lshlrev_b32_e32 v29, 16, v30
	v_and_b32_e32 v78, 0xffff0000, v30
	v_add_co_u32_e64 v30, s[0:1], s44, v6
	v_lshlrev_b32_e32 v41, 16, v31
	v_lshlrev_b32_e32 v60, 16, v32
	v_and_b32_e32 v79, 0xffff0000, v31
	v_and_b32_e32 v32, 0xffff0000, v32
	v_addc_co_u32_e64 v31, s[0:1], 0, v7, s[0:1]
	global_load_dwordx2 v[6:7], v[6:7], off offset:3584
	v_lshlrev_b32_e32 v61, 16, v33
	s_waitcnt lgkmcnt(3)
	v_lshlrev_b32_e32 v62, 16, v34
	v_and_b32_e32 v33, 0xffff0000, v33
	v_and_b32_e32 v34, 0xffff0000, v34
	v_lshlrev_b32_e32 v63, 16, v35
	v_lshlrev_b32_e32 v64, 16, v36
	v_and_b32_e32 v36, 0xffff0000, v36
	v_lshlrev_b32_e32 v65, 16, v37
	s_waitcnt lgkmcnt(2)
	v_lshlrev_b32_e32 v66, 16, v42
	v_and_b32_e32 v35, 0xffff0000, v35
	v_and_b32_e32 v42, 0xffff0000, v42
	v_lshlrev_b32_e32 v67, 16, v43
	v_lshlrev_b32_e32 v68, 16, v44
	v_and_b32_e32 v37, 0xffff0000, v37
	v_and_b32_e32 v44, 0xffff0000, v44
	v_lshlrev_b32_e32 v69, 16, v45
	s_waitcnt lgkmcnt(1)
	v_lshlrev_b32_e32 v70, 16, v46
	v_and_b32_e32 v43, 0xffff0000, v43
	v_and_b32_e32 v46, 0xffff0000, v46
	v_lshlrev_b32_e32 v71, 16, v47
	v_lshlrev_b32_e32 v72, 16, v48
	v_and_b32_e32 v45, 0xffff0000, v45
	;; [unrolled: 9-line block ×3, first 2 shown]
	v_and_b32_e32 v52, 0xffff0000, v52
	v_lshlrev_b32_e32 v77, 16, v53
	v_and_b32_e32 v51, 0xffff0000, v51
	v_and_b32_e32 v53, 0xffff0000, v53
	v_cmp_lt_i32_e64 s[0:1], v26, v27
	s_waitcnt vmcnt(7)
	v_lshlrev_b32_e32 v81, 16, v11
	v_and_b32_e32 v82, 0xffff0000, v11
	s_waitcnt vmcnt(6)
	v_lshlrev_b32_e32 v11, 16, v8
	v_and_b32_e32 v8, 0xffff0000, v8
	v_lshlrev_b32_e32 v80, 16, v10
	v_and_b32_e32 v10, 0xffff0000, v10
	v_mul_f32_e32 v32, v32, v8
	v_lshlrev_b32_e32 v83, 16, v9
	v_and_b32_e32 v84, 0xffff0000, v9
	v_mul_f32_e32 v60, v60, v11
	v_fmac_f32_e32 v32, v78, v10
	global_load_dwordx2 v[8:9], v[30:31], off
	global_load_dwordx2 v[10:11], v[30:31], off offset:512
	s_waitcnt vmcnt(7)
	v_lshlrev_b32_e32 v85, 16, v38
	v_and_b32_e32 v38, 0xffff0000, v38
	v_fmac_f32_e32 v60, v29, v80
	v_mul_f32_e32 v30, v61, v83
	v_lshlrev_b32_e32 v86, 16, v39
	s_waitcnt vmcnt(6)
	v_lshlrev_b32_e32 v87, 16, v54
	v_and_b32_e32 v54, 0xffff0000, v54
	v_fmac_f32_e32 v30, v41, v81
	v_mul_f32_e32 v33, v33, v84
	v_fmac_f32_e32 v60, v62, v85
	v_fmac_f32_e32 v32, v34, v38
	v_and_b32_e32 v39, 0xffff0000, v39
	v_lshlrev_b32_e32 v88, 16, v55
	s_waitcnt vmcnt(5)
	v_lshlrev_b32_e32 v89, 16, v56
	v_and_b32_e32 v56, 0xffff0000, v56
	v_fmac_f32_e32 v33, v79, v82
	v_fmac_f32_e32 v30, v63, v86
	v_fmac_f32_e32 v60, v64, v87
	v_fmac_f32_e32 v32, v36, v54
	v_and_b32_e32 v55, 0xffff0000, v55
	v_lshlrev_b32_e32 v90, 16, v57
	s_waitcnt vmcnt(4)
	v_lshlrev_b32_e32 v91, 16, v58
	v_and_b32_e32 v29, 0xffff0000, v58
	v_fmac_f32_e32 v33, v35, v39
	v_fmac_f32_e32 v30, v65, v88
	;; [unrolled: 9-line block ×4, first 2 shown]
	v_fmac_f32_e32 v60, v70, v80
	v_fmac_f32_e32 v32, v46, v12
	v_and_b32_e32 v13, 0xffff0000, v13
	v_lshlrev_b32_e32 v41, 16, v7
	v_fmac_f32_e32 v33, v45, v59
	v_fmac_f32_e32 v30, v71, v92
	;; [unrolled: 1-line block ×4, first 2 shown]
	v_and_b32_e32 v7, 0xffff0000, v7
	v_fmac_f32_e32 v33, v47, v13
	v_fmac_f32_e32 v30, v73, v41
	;; [unrolled: 1-line block ×3, first 2 shown]
	v_cndmask_b32_e64 v61, v25, v26, s[0:1]
	v_lshlrev_b32_e32 v61, 2, v61
	s_waitcnt vmcnt(1)
	v_lshlrev_b32_e32 v78, 16, v8
	v_and_b32_e32 v8, 0xffff0000, v8
	v_lshlrev_b32_e32 v79, 16, v9
	s_waitcnt vmcnt(0)
	v_lshlrev_b32_e32 v81, 16, v10
	v_and_b32_e32 v10, 0xffff0000, v10
	v_fmac_f32_e32 v60, v74, v78
	v_fmac_f32_e32 v32, v50, v8
	v_and_b32_e32 v9, 0xffff0000, v9
	v_lshlrev_b32_e32 v62, 16, v11
	v_fmac_f32_e32 v30, v75, v79
	v_fmac_f32_e32 v60, v76, v81
	;; [unrolled: 1-line block ×3, first 2 shown]
	v_and_b32_e32 v11, 0xffff0000, v11
	v_fmac_f32_e32 v33, v51, v9
	v_fmac_f32_e32 v30, v77, v62
	v_add_f32_e32 v6, v60, v32
	v_fmac_f32_e32 v33, v53, v11
	v_add_f32_e32 v6, v6, v30
	v_add_f32_e32 v6, v33, v6
	ds_bpermute_b32 v7, v61, v6
	s_and_saveexec_b64 s[38:39], vcc
	s_cbranch_execz .LBB146_11
; %bb.19:                               ;   in Loop: Header=BB146_13 Depth=1
	v_add_u32_e32 v8, v22, v21
	v_cvt_f32_i32_e32 v8, v8
	s_waitcnt lgkmcnt(0)
	v_add_f32_e32 v6, v6, v7
	v_add_u32_e32 v9, v17, v21
	v_cmp_gt_i32_e64 s[0:1], s33, v9
	v_mul_f32_e32 v7, s42, v8
	v_cndmask_b32_e64 v7, 0, v7, s[2:3]
	v_fmac_f32_e32 v7, s31, v6
	v_cndmask_b32_e64 v6, 0, v7, s[0:1]
	ds_write_b32 v23, v6
	v_max_f32_e32 v6, v19, v19
	v_max_f32_e32 v6, v6, v7
	v_cndmask_b32_e64 v19, v19, v6, s[0:1]
	s_branch .LBB146_11
.LBB146_20:
	s_or_b64 exec, exec, s[36:37]
.LBB146_21:
	s_or_b64 exec, exec, s[34:35]
	v_mbcnt_hi_u32_b32 v2, -1, v16
	v_and_b32_e32 v9, 64, v2
	v_add_u32_e32 v10, 64, v9
	v_xor_b32_e32 v3, 32, v2
	v_cmp_lt_i32_e32 vcc, v3, v10
	v_xor_b32_e32 v6, 16, v2
	v_max_f32_e32 v5, v19, v19
	v_cndmask_b32_e32 v3, v2, v3, vcc
	v_lshlrev_b32_e32 v3, 2, v3
	ds_bpermute_b32 v4, v3, v19
	v_cmp_lt_i32_e32 vcc, v6, v10
	s_waitcnt lgkmcnt(1)
	v_xor_b32_e32 v7, 8, v2
	v_xor_b32_e32 v8, 4, v2
	;; [unrolled: 1-line block ×3, first 2 shown]
	s_waitcnt lgkmcnt(0)
	v_max_f32_e32 v4, v4, v4
	v_max_f32_e32 v5, v5, v4
	v_cndmask_b32_e32 v4, v2, v6, vcc
	v_lshlrev_b32_e32 v4, 2, v4
	ds_bpermute_b32 v6, v4, v5
	v_cmp_lt_i32_e32 vcc, v7, v10
	v_and_b32_e32 v41, 63, v0
	s_waitcnt lgkmcnt(0)
	v_max_f32_e32 v6, v6, v6
	v_max_f32_e32 v6, v5, v6
	v_cndmask_b32_e32 v5, v2, v7, vcc
	v_lshlrev_b32_e32 v5, 2, v5
	ds_bpermute_b32 v7, v5, v6
	v_cmp_lt_i32_e32 vcc, v8, v10
	s_waitcnt lgkmcnt(0)
	v_max_f32_e32 v7, v7, v7
	v_max_f32_e32 v7, v6, v7
	v_cndmask_b32_e32 v6, v2, v8, vcc
	v_lshlrev_b32_e32 v6, 2, v6
	ds_bpermute_b32 v8, v6, v7
	v_cmp_lt_i32_e32 vcc, v11, v10
	s_waitcnt lgkmcnt(0)
	v_max_f32_e32 v8, v8, v8
	v_max_f32_e32 v8, v7, v8
	v_cndmask_b32_e32 v7, v2, v11, vcc
	v_lshlrev_b32_e32 v42, 2, v7
	ds_bpermute_b32 v11, v42, v8
	v_cmp_eq_u32_e32 vcc, 0, v41
	v_lshlrev_b32_e32 v7, 2, v1
	s_and_saveexec_b64 s[0:1], vcc
	s_cbranch_execz .LBB146_23
; %bb.22:
	s_waitcnt lgkmcnt(0)
	v_max_f32_e32 v11, v11, v11
	v_max_f32_e32 v8, v8, v8
	;; [unrolled: 1-line block ×3, first 2 shown]
	ds_write_b32 v7, v8 offset:160
.LBB146_23:
	s_or_b64 exec, exec, s[0:1]
	v_cmp_gt_u32_e64 s[0:1], 2, v41
	s_waitcnt lgkmcnt(0)
	v_mov_b32_e32 v11, 0xff7fffff
	v_lshlrev_b32_e32 v8, 2, v41
	s_barrier
	s_and_saveexec_b64 s[2:3], s[0:1]
; %bb.24:
	ds_read_b32 v11, v8 offset:160
; %bb.25:
	s_or_b64 exec, exec, s[2:3]
	v_xor_b32_e32 v12, 1, v2
	v_cmp_lt_i32_e64 s[2:3], v12, v10
	v_lshlrev_b32_e32 v9, 2, v9
	s_nop 0
	v_cndmask_b32_e64 v10, v2, v12, s[2:3]
	v_lshlrev_b32_e32 v43, 2, v10
	s_waitcnt lgkmcnt(0)
	ds_bpermute_b32 v10, v43, v11
	v_max_f32_e32 v11, v11, v11
	s_lshl_b32 s2, s16, 5
	s_min_i32 s15, s2, s33
	v_cmp_gt_i32_e64 s[2:3], s15, v0
	s_waitcnt lgkmcnt(0)
	v_max_f32_e32 v10, v10, v10
	v_max_f32_e32 v10, v11, v10
	ds_bpermute_b32 v10, v9, v10
	v_mov_b32_e32 v9, 0
	s_and_saveexec_b64 s[30:31], s[2:3]
	s_cbranch_execz .LBB146_29
; %bb.26:
	v_mov_b32_e32 v9, 0xb0
	v_lshl_add_u32 v11, v0, 2, v9
	v_mov_b32_e32 v9, 0
	s_mov_b64 s[34:35], 0
	v_mov_b32_e32 v12, v0
.LBB146_27:                             ; =>This Inner Loop Header: Depth=1
	ds_read_b32 v13, v11
	v_add_u32_e32 v12, 0x80, v12
	v_cmp_le_i32_e64 s[8:9], s15, v12
	s_or_b64 s[34:35], s[8:9], s[34:35]
	s_waitcnt lgkmcnt(0)
	v_sub_f32_e32 v13, v13, v10
	v_mul_f32_e32 v13, 0x3fb8aa3b, v13
	v_exp_f32_e32 v13, v13
	ds_write_b32 v11, v13
	v_add_f32_e32 v9, v9, v13
	v_add_u32_e32 v11, 0x200, v11
	s_andn2_b64 exec, exec, s[34:35]
	s_cbranch_execnz .LBB146_27
; %bb.28:
	s_or_b64 exec, exec, s[34:35]
.LBB146_29:
	s_or_b64 exec, exec, s[30:31]
	ds_bpermute_b32 v3, v3, v9
	s_waitcnt lgkmcnt(0)
	v_add_f32_e32 v3, v9, v3
	ds_bpermute_b32 v4, v4, v3
	s_waitcnt lgkmcnt(0)
	v_add_f32_e32 v3, v3, v4
	;; [unrolled: 3-line block ×6, first 2 shown]
	s_and_saveexec_b64 s[8:9], vcc
; %bb.30:
	ds_write_b32 v7, v3 offset:168
; %bb.31:
	s_or_b64 exec, exec, s[8:9]
	s_waitcnt lgkmcnt(0)
	s_barrier
	s_and_saveexec_b64 s[8:9], s[0:1]
; %bb.32:
	ds_read_b32 v3, v8 offset:168
; %bb.33:
	s_or_b64 exec, exec, s[8:9]
	s_waitcnt lgkmcnt(0)
	ds_bpermute_b32 v4, v43, v3
	v_lshlrev_b32_e32 v2, 2, v2
	v_and_b32_e32 v2, 0x100, v2
	s_waitcnt lgkmcnt(0)
	v_add_f32_e32 v3, v3, v4
	ds_bpermute_b32 v2, v2, v3
	s_and_saveexec_b64 s[0:1], s[2:3]
	s_cbranch_execz .LBB146_46
; %bb.34:
	s_waitcnt lgkmcnt(0)
	v_add_f32_e32 v2, 0x358637bd, v2
	v_div_scale_f32 v3, s[2:3], v2, v2, 1.0
	v_rcp_f32_e32 v4, v3
	v_div_scale_f32 v5, vcc, 1.0, v2, 1.0
	s_movk_i32 s2, 0x7f
	v_fma_f32 v6, -v3, v4, 1.0
	v_fmac_f32_e32 v4, v6, v4
	v_mul_f32_e32 v6, v5, v4
	v_fma_f32 v7, -v3, v6, v5
	v_fmac_f32_e32 v6, v7, v4
	v_fma_f32 v3, -v3, v6, v5
	v_div_fmas_f32 v3, v3, v4, v6
	v_xad_u32 v4, v0, -1, s15
	v_div_fixup_f32 v2, v3, v2, 1.0
	v_cmp_lt_u32_e32 vcc, s2, v4
	s_mov_b64 s[8:9], -1
	v_mov_b32_e32 v3, v0
	s_and_saveexec_b64 s[2:3], vcc
	s_cbranch_execz .LBB146_43
; %bb.35:
	v_lshrrev_b32_e32 v4, 7, v4
	v_add_u32_e32 v6, -1, v4
	v_lshrrev_b32_e32 v5, 1, v6
	v_mov_b32_e32 v3, v2
	v_add_u32_e32 v5, 1, v5
	v_cmp_lt_u32_e32 vcc, 13, v6
	v_mov_b32_e32 v8, 0
	s_and_saveexec_b64 s[8:9], vcc
	s_cbranch_execz .LBB146_39
; %bb.36:
	v_mov_b32_e32 v7, 0xb0
	v_and_b32_e32 v6, -8, v5
	v_lshl_add_u32 v7, v0, 2, v7
	s_mov_b32 s34, 0
	s_mov_b64 s[30:31], 0
.LBB146_37:                             ; =>This Inner Loop Header: Depth=1
	ds_read2st64_b32 v[8:9], v7 offset1:2
	ds_read2st64_b32 v[10:11], v7 offset0:4 offset1:6
	ds_read2st64_b32 v[12:13], v7 offset0:8 offset1:10
	;; [unrolled: 1-line block ×3, first 2 shown]
	v_add_u32_e32 v6, -8, v6
	s_waitcnt lgkmcnt(3)
	v_pk_mul_f32 v[8:9], v[2:3], v[8:9]
	s_waitcnt lgkmcnt(2)
	v_pk_mul_f32 v[10:11], v[2:3], v[10:11]
	ds_write2st64_b32 v7, v8, v9 offset1:2
	ds_write2st64_b32 v7, v10, v11 offset0:4 offset1:6
	ds_read2st64_b32 v[10:11], v7 offset0:16 offset1:18
	s_waitcnt lgkmcnt(4)
	v_pk_mul_f32 v[8:9], v[2:3], v[12:13]
	ds_write2st64_b32 v7, v8, v9 offset0:8 offset1:10
	s_waitcnt lgkmcnt(4)
	v_pk_mul_f32 v[8:9], v[2:3], v[16:17]
	ds_write2st64_b32 v7, v8, v9 offset0:12 offset1:14
	ds_read2st64_b32 v[8:9], v7 offset0:20 offset1:22
	s_waitcnt lgkmcnt(3)
	v_pk_mul_f32 v[10:11], v[2:3], v[10:11]
	ds_read2st64_b32 v[12:13], v7 offset0:24 offset1:26
	ds_write2st64_b32 v7, v10, v11 offset0:16 offset1:18
	ds_read2st64_b32 v[10:11], v7 offset0:28 offset1:30
	s_waitcnt lgkmcnt(3)
	v_pk_mul_f32 v[8:9], v[2:3], v[8:9]
	ds_write2st64_b32 v7, v8, v9 offset0:20 offset1:22
	s_waitcnt lgkmcnt(3)
	v_pk_mul_f32 v[8:9], v[2:3], v[12:13]
	ds_write2st64_b32 v7, v8, v9 offset0:24 offset1:26
	s_waitcnt lgkmcnt(2)
	v_pk_mul_f32 v[8:9], v[2:3], v[10:11]
	s_add_i32 s34, s34, 16
	v_cmp_eq_u32_e32 vcc, 0, v6
	ds_write2st64_b32 v7, v8, v9 offset0:28 offset1:30
	v_add_u32_e32 v7, 0x2000, v7
	s_or_b64 s[30:31], vcc, s[30:31]
	v_mov_b32_e32 v8, s34
	s_andn2_b64 exec, exec, s[30:31]
	s_cbranch_execnz .LBB146_37
; %bb.38:
	s_or_b64 exec, exec, s[30:31]
.LBB146_39:
	s_or_b64 exec, exec, s[8:9]
	v_and_b32_e32 v5, 7, v5
	v_cmp_ne_u32_e32 vcc, 0, v5
	s_and_saveexec_b64 s[8:9], vcc
	s_cbranch_execz .LBB146_42
; %bb.40:
	v_lshlrev_b32_e32 v6, 9, v8
	v_lshlrev_b32_e32 v7, 2, v0
	s_movk_i32 s30, 0xb0
	v_add3_u32 v6, v6, v7, s30
	s_mov_b64 s[30:31], 0
.LBB146_41:                             ; =>This Inner Loop Header: Depth=1
	ds_read2st64_b32 v[8:9], v6 offset1:2
	v_add_u32_e32 v5, -1, v5
	v_cmp_eq_u32_e32 vcc, 0, v5
	s_or_b64 s[30:31], vcc, s[30:31]
	s_waitcnt lgkmcnt(0)
	v_pk_mul_f32 v[8:9], v[2:3], v[8:9]
	ds_write2st64_b32 v6, v8, v9 offset1:2
	v_add_u32_e32 v6, 0x400, v6
	s_andn2_b64 exec, exec, s[30:31]
	s_cbranch_execnz .LBB146_41
.LBB146_42:
	s_or_b64 exec, exec, s[8:9]
	v_add_u32_e32 v4, 1, v4
	v_and_b32_e32 v5, 0x3fffffe, v4
	v_cmp_ne_u32_e32 vcc, v4, v5
	v_lshl_add_u32 v3, v5, 7, v0
	s_orn2_b64 s[8:9], vcc, exec
.LBB146_43:
	s_or_b64 exec, exec, s[2:3]
	s_and_b64 exec, exec, s[8:9]
	s_cbranch_execz .LBB146_46
; %bb.44:
	v_mov_b32_e32 v4, 0xb0
	v_lshl_add_u32 v4, v3, 2, v4
	s_mov_b64 s[2:3], 0
.LBB146_45:                             ; =>This Inner Loop Header: Depth=1
	ds_read_b32 v5, v4
	v_add_u32_e32 v3, 0x80, v3
	v_cmp_le_i32_e32 vcc, s15, v3
	s_or_b64 s[2:3], vcc, s[2:3]
	s_waitcnt lgkmcnt(0)
	v_mul_f32_e32 v5, v2, v5
	ds_write_b32 v4, v5
	v_add_u32_e32 v4, 0x200, v4
	s_andn2_b64 exec, exec, s[2:3]
	s_cbranch_execnz .LBB146_45
.LBB146_46:
	s_or_b64 exec, exec, s[0:1]
	v_mov_b32_e32 v31, 0
	v_and_b32_e32 v44, 3, v0
	v_mov_b32_e32 v30, 0
	v_mov_b32_e32 v33, 0
	v_mov_b32_e32 v32, 0
	v_mov_b32_e32 v34, 0
	s_waitcnt lgkmcnt(0)
	s_barrier
	s_and_saveexec_b64 s[8:9], s[6:7]
	s_cbranch_execz .LBB146_62
; %bb.47:
	s_ashr_i32 s15, s14, 31
	s_sub_i32 s17, s12, s17
	s_lshl_b64 s[0:1], s[14:15], 1
	s_add_u32 s0, s28, s0
	s_addc_u32 s1, s29, s1
	s_abs_i32 s18, s18
	v_cvt_f32_u32_e32 v2, s18
	v_lshlrev_b32_e32 v3, 4, v0
	v_and_b32_e32 v34, 0x3f0, v3
	v_mov_b32_e32 v35, 0
	v_rcp_iflag_f32_e32 v2, v2
	v_lshl_add_u64 v[36:37], s[0:1], 0, v[34:35]
	s_sub_i32 s0, 0, s18
	s_add_i32 s29, s16, -1
	v_mul_f32_e32 v2, 0x4f7ffffe, v2
	v_cvt_u32_f32_e32 v2, v2
	v_and_b32_e32 v34, 60, v15
	v_and_b32_e32 v45, 24, v14
	s_mov_b32 s28, s13
	v_mul_lo_u32 v3, s0, v2
	v_mul_hi_u32 v3, v2, v3
	s_lshl_b64 s[0:1], s[26:27], 2
	v_add_u32_e32 v46, v2, v3
	s_add_u32 s0, s24, s0
	v_lshlrev_b32_e32 v2, 5, v44
	s_addc_u32 s1, s25, s1
	v_lshl_or_b32 v2, v1, 7, v2
	s_mov_b32 s30, s33
	v_lshl_add_u64 v[38:39], s[0:1], 0, v[34:35]
	v_add_u32_e32 v47, 0xb0, v2
	s_mov_b64 s[6:7], 0
	s_mov_b32 s24, 0x5040100
	v_mov_b32_e32 v34, 0
	v_mov_b32_e32 v32, 0
	;; [unrolled: 1-line block ×5, first 2 shown]
	s_branch .LBB146_50
.LBB146_48:                             ;   in Loop: Header=BB146_50 Depth=1
	s_or_b64 exec, exec, s[2:3]
	s_waitcnt lgkmcnt(1)
	v_cvt_pk_bf16_f32 v14, v14, s0
	v_cvt_pk_bf16_f32 v15, v15, s0
	v_cvt_pk_bf16_f32 v16, v16, s0
	v_cvt_pk_bf16_f32 v17, v17, s0
	s_waitcnt vmcnt(1)
	v_and_b32_e32 v48, 0xffff0000, v26
	v_lshlrev_b32_e32 v15, 16, v15
	v_lshlrev_b32_e32 v26, 16, v26
	;; [unrolled: 1-line block ×3, first 2 shown]
	v_mul_f32_e32 v48, v15, v48
	v_mul_f32_e32 v26, v14, v26
	v_and_b32_e32 v49, 0xffff0000, v27
	v_lshlrev_b32_e32 v17, 16, v17
	v_lshlrev_b32_e32 v27, 16, v27
	;; [unrolled: 1-line block ×3, first 2 shown]
	s_waitcnt lgkmcnt(0)
	v_cvt_pk_bf16_f32 v10, v10, s0
	v_cvt_pk_bf16_f32 v11, v11, s0
	;; [unrolled: 1-line block ×4, first 2 shown]
	v_mul_f32_e32 v49, v17, v49
	v_mul_f32_e32 v27, v16, v27
	v_cvt_pk_bf16_f32 v49, v49, s0
	v_cvt_pk_bf16_f32 v27, v27, s0
	v_and_b32_e32 v50, 0xffff0000, v28
	v_lshlrev_b32_e32 v11, 16, v11
	v_lshlrev_b32_e32 v28, 16, v28
	;; [unrolled: 1-line block ×5, first 2 shown]
	v_cvt_pk_bf16_f32 v12, v12, s0
	v_cvt_pk_bf16_f32 v13, v13, s0
	v_mul_f32_e32 v50, v11, v50
	v_mul_f32_e32 v28, v10, v28
	v_add_f32_e32 v26, v26, v48
	v_lshlrev_b32_e32 v27, 16, v27
	v_lshlrev_b32_e32 v48, 16, v49
	v_cvt_pk_bf16_f32 v50, v50, s0
	v_cvt_pk_bf16_f32 v28, v28, s0
	v_and_b32_e32 v51, 0xffff0000, v29
	v_lshlrev_b32_e32 v13, 16, v13
	v_lshlrev_b32_e32 v29, 16, v29
	;; [unrolled: 1-line block ×3, first 2 shown]
	v_add_f32_e32 v27, v27, v48
	v_mul_f32_e32 v51, v13, v51
	v_mul_f32_e32 v29, v12, v29
	v_add_f32_e32 v26, v27, v26
	v_lshlrev_b32_e32 v27, 16, v28
	v_lshlrev_b32_e32 v28, 16, v50
	v_cvt_pk_bf16_f32 v51, v51, s0
	v_cvt_pk_bf16_f32 v29, v29, s0
	v_add_f32_e32 v27, v27, v28
	v_add_f32_e32 v26, v27, v26
	v_lshlrev_b32_e32 v27, 16, v29
	v_lshlrev_b32_e32 v28, 16, v51
	v_add_f32_e32 v27, v27, v28
	v_add_f32_e32 v26, v27, v26
	v_add_f32_e32 v31, v31, v26
	v_and_b32_e32 v26, 0xffff0000, v22
	v_lshlrev_b32_e32 v22, 16, v22
	v_mul_f32_e32 v26, v15, v26
	v_mul_f32_e32 v22, v14, v22
	v_and_b32_e32 v27, 0xffff0000, v23
	v_lshlrev_b32_e32 v23, 16, v23
	v_cvt_pk_bf16_f32 v26, v26, s0
	v_cvt_pk_bf16_f32 v22, v22, s0
	v_mul_f32_e32 v27, v17, v27
	v_mul_f32_e32 v23, v16, v23
	v_cvt_pk_bf16_f32 v27, v27, s0
	v_cvt_pk_bf16_f32 v23, v23, s0
	v_and_b32_e32 v28, 0xffff0000, v24
	v_lshlrev_b32_e32 v24, 16, v24
	v_lshlrev_b32_e32 v22, 16, v22
	v_lshlrev_b32_e32 v26, 16, v26
	v_mul_f32_e32 v28, v11, v28
	v_mul_f32_e32 v24, v10, v24
	v_add_f32_e32 v22, v22, v26
	v_lshlrev_b32_e32 v23, 16, v23
	v_lshlrev_b32_e32 v26, 16, v27
	v_cvt_pk_bf16_f32 v28, v28, s0
	v_cvt_pk_bf16_f32 v24, v24, s0
	v_and_b32_e32 v29, 0xffff0000, v25
	v_lshlrev_b32_e32 v25, 16, v25
	v_add_f32_e32 v23, v23, v26
	v_mul_f32_e32 v29, v13, v29
	v_mul_f32_e32 v25, v12, v25
	v_add_f32_e32 v22, v23, v22
	v_lshlrev_b32_e32 v23, 16, v24
	v_lshlrev_b32_e32 v24, 16, v28
	v_cvt_pk_bf16_f32 v29, v29, s0
	v_cvt_pk_bf16_f32 v25, v25, s0
	v_add_f32_e32 v23, v23, v24
	v_add_f32_e32 v22, v23, v22
	v_lshlrev_b32_e32 v23, 16, v25
	v_lshlrev_b32_e32 v24, 16, v29
	v_add_f32_e32 v23, v23, v24
	v_add_f32_e32 v22, v23, v22
	v_add_f32_e32 v30, v30, v22
	v_and_b32_e32 v22, 0xffff0000, v6
	v_lshlrev_b32_e32 v6, 16, v6
	v_mul_f32_e32 v22, v15, v22
	v_mul_f32_e32 v6, v14, v6
	v_and_b32_e32 v23, 0xffff0000, v7
	v_lshlrev_b32_e32 v7, 16, v7
	v_cvt_pk_bf16_f32 v22, v22, s0
	v_cvt_pk_bf16_f32 v6, v6, s0
	v_mul_f32_e32 v23, v17, v23
	v_mul_f32_e32 v7, v16, v7
	v_cvt_pk_bf16_f32 v23, v23, s0
	v_cvt_pk_bf16_f32 v7, v7, s0
	v_and_b32_e32 v24, 0xffff0000, v8
	v_lshlrev_b32_e32 v8, 16, v8
	v_lshlrev_b32_e32 v6, 16, v6
	v_lshlrev_b32_e32 v22, 16, v22
	v_mul_f32_e32 v24, v11, v24
	v_mul_f32_e32 v8, v10, v8
	v_add_f32_e32 v6, v6, v22
	v_lshlrev_b32_e32 v7, 16, v7
	v_lshlrev_b32_e32 v22, 16, v23
	v_cvt_pk_bf16_f32 v24, v24, s0
	v_cvt_pk_bf16_f32 v8, v8, s0
	v_and_b32_e32 v25, 0xffff0000, v9
	v_lshlrev_b32_e32 v9, 16, v9
	;; [unrolled: 40-line block ×3, first 2 shown]
	v_add_f32_e32 v3, v3, v6
	v_mul_f32_e32 v9, v13, v9
	v_mul_f32_e32 v5, v12, v5
	v_add_f32_e32 v2, v3, v2
	v_lshlrev_b32_e32 v3, 16, v4
	v_lshlrev_b32_e32 v4, 16, v8
	v_cvt_pk_bf16_f32 v9, v9, s0
	v_cvt_pk_bf16_f32 v5, v5, s0
	v_add_f32_e32 v3, v3, v4
	v_add_f32_e32 v2, v3, v2
	v_lshlrev_b32_e32 v3, 16, v5
	v_lshlrev_b32_e32 v4, 16, v9
	v_add_f32_e32 v3, v3, v4
	v_add_f32_e32 v2, v3, v2
	;; [unrolled: 1-line block ×3, first 2 shown]
	s_waitcnt vmcnt(0)
	v_and_b32_e32 v2, 0xffff0000, v18
	v_lshlrev_b32_e32 v3, 16, v18
	v_and_b32_e32 v4, 0xffff0000, v19
	v_lshlrev_b32_e32 v5, 16, v19
	v_mul_f32_e32 v2, v15, v2
	v_mul_f32_e32 v3, v14, v3
	;; [unrolled: 1-line block ×4, first 2 shown]
	v_and_b32_e32 v6, 0xffff0000, v20
	v_lshlrev_b32_e32 v7, 16, v20
	v_cvt_pk_bf16_f32 v2, v2, s0
	v_cvt_pk_bf16_f32 v3, v3, s0
	;; [unrolled: 1-line block ×4, first 2 shown]
	v_mul_f32_e32 v6, v11, v6
	v_mul_f32_e32 v7, v10, v7
	v_and_b32_e32 v8, 0xffff0000, v21
	v_lshlrev_b32_e32 v9, 16, v21
	v_cvt_pk_bf16_f32 v6, v6, s0
	v_cvt_pk_bf16_f32 v7, v7, s0
	v_mul_f32_e32 v8, v13, v8
	v_mul_f32_e32 v9, v12, v9
	v_lshlrev_b32_e32 v3, 16, v3
	v_lshlrev_b32_e32 v2, 16, v2
	;; [unrolled: 1-line block ×4, first 2 shown]
	v_cvt_pk_bf16_f32 v8, v8, s0
	v_cvt_pk_bf16_f32 v9, v9, s0
	v_lshlrev_b32_e32 v7, 16, v7
	v_lshlrev_b32_e32 v6, 16, v6
	v_add_f32_e32 v2, v2, v3
	v_add_f32_e32 v3, v4, v5
	v_lshlrev_b32_e32 v9, 16, v9
	v_lshlrev_b32_e32 v8, 16, v8
	v_add_f32_e32 v2, v3, v2
	v_add_f32_e32 v3, v6, v7
	;; [unrolled: 1-line block ×6, first 2 shown]
.LBB146_49:                             ;   in Loop: Header=BB146_50 Depth=1
	s_or_b64 exec, exec, s[12:13]
	v_add_u32_e32 v1, 2, v1
	v_cmp_le_i32_e32 vcc, s16, v1
	v_lshl_add_u64 v[38:39], v[38:39], 0, 8
	v_add_u32_e32 v40, 64, v40
	s_or_b64 s[6:7], vcc, s[6:7]
	v_add_u32_e32 v47, 0x100, v47
	s_andn2_b64 exec, exec, s[6:7]
	s_cbranch_execz .LBB146_61
.LBB146_50:                             ; =>This Inner Loop Header: Depth=1
	v_mul_hi_u32 v2, v40, s40
	v_mul_lo_u32 v3, v2, s21
	v_sub_u32_e32 v3, v40, v3
	v_add_u32_e32 v4, 1, v2
	v_cmp_le_u32_e32 vcc, s21, v3
	s_nop 1
	v_cndmask_b32_e32 v2, v2, v4, vcc
	v_subrev_u32_e32 v4, s21, v3
	v_cndmask_b32_e32 v3, v3, v4, vcc
	v_add_u32_e32 v4, 1, v2
	v_cmp_le_u32_e32 vcc, s21, v3
	s_nop 1
	v_cndmask_b32_e32 v2, v2, v4, vcc
	v_xor_b32_e32 v2, s19, v2
	v_subrev_u32_e32 v2, s19, v2
	v_add_u32_e32 v3, s41, v2
	v_sub_u32_e32 v5, 0, v3
	v_ashrrev_i32_e32 v4, 31, v3
	v_max_i32_e32 v3, v3, v5
	v_mul_hi_u32 v5, v3, v46
	v_mul_lo_u32 v5, v5, s18
	v_sub_u32_e32 v3, v3, v5
	v_subrev_u32_e32 v5, s18, v3
	v_cmp_le_u32_e32 vcc, s18, v3
	v_cmp_lt_i32_e64 s[0:1], s17, v2
	s_nop 0
	v_cndmask_b32_e32 v3, v3, v5, vcc
	v_subrev_u32_e32 v5, s18, v3
	v_cmp_le_u32_e32 vcc, s18, v3
	s_nop 1
	v_cndmask_b32_e32 v3, v3, v5, vcc
	v_xor_b32_e32 v3, v3, v4
	v_sub_u32_e32 v3, v3, v4
	v_cmp_eq_u32_e32 vcc, 0, v3
	s_or_b64 s[0:1], vcc, s[0:1]
	s_and_saveexec_b64 s[12:13], s[0:1]
	s_cbranch_execz .LBB146_49
; %bb.51:                               ;   in Loop: Header=BB146_50 Depth=1
	global_load_dword v2, v[38:39], off
	v_add_u32_e32 v50, v45, v40
	v_add_u32_e32 v55, 1, v50
	v_or_b32_e32 v53, 3, v50
	v_or_b32_e32 v54, 2, v50
	;; [unrolled: 1-line block ×6, first 2 shown]
	s_waitcnt vmcnt(0)
	v_mad_i64_i32 v[2:3], s[0:1], v2, s28, 0
	v_lshl_add_u64 v[18:19], v[2:3], 1, v[36:37]
	global_load_dwordx4 v[2:5], v[18:19], off
	ds_read2_b64 v[14:17], v47 offset1:1
	ds_read2_b64 v[10:13], v47 offset0:2 offset1:3
	v_cmp_eq_u32_e64 s[0:1], s29, v1
	s_and_saveexec_b64 s[14:15], s[0:1]
	s_cbranch_execnz .LBB146_58
; %bb.52:                               ;   in Loop: Header=BB146_50 Depth=1
	s_or_b64 exec, exec, s[14:15]
	global_load_dwordx4 v[6:9], v[18:19], off offset:1024
	s_and_saveexec_b64 s[14:15], s[0:1]
	s_cbranch_execnz .LBB146_59
.LBB146_53:                             ;   in Loop: Header=BB146_50 Depth=1
	s_or_b64 exec, exec, s[14:15]
	global_load_dwordx4 v[22:25], v[18:19], off offset:2048
	s_and_saveexec_b64 s[14:15], s[0:1]
	s_cbranch_execnz .LBB146_60
.LBB146_54:                             ;   in Loop: Header=BB146_50 Depth=1
	s_or_b64 exec, exec, s[14:15]
	global_load_dwordx4 v[26:29], v[18:19], off offset:3072
	s_and_saveexec_b64 s[14:15], s[0:1]
	s_cbranch_execz .LBB146_56
.LBB146_55:                             ;   in Loop: Header=BB146_50 Depth=1
	v_cmp_gt_i32_e32 vcc, s30, v55
	v_cmp_gt_i32_e64 s[2:3], s33, v54
	s_waitcnt vmcnt(0)
	v_cndmask_b32_sdwa v20, v35, v26, vcc dst_sel:DWORD dst_unused:UNUSED_PAD src0_sel:DWORD src1_sel:WORD_1
	v_cmp_gt_i32_e32 vcc, s33, v50
	s_nop 1
	v_cndmask_b32_e32 v21, 0, v26, vcc
	v_cmp_gt_i32_e32 vcc, s30, v53
	v_perm_b32 v26, v20, v21, s24
	v_cndmask_b32_e64 v20, 0, v27, s[2:3]
	v_cndmask_b32_sdwa v21, v35, v27, vcc dst_sel:DWORD dst_unused:UNUSED_PAD src0_sel:DWORD src1_sel:WORD_1
	v_cmp_gt_i32_e32 vcc, s30, v51
	v_cmp_gt_i32_e64 s[2:3], s33, v52
	v_perm_b32 v27, v21, v20, s24
	v_cndmask_b32_sdwa v21, v35, v28, vcc dst_sel:DWORD dst_unused:UNUSED_PAD src0_sel:DWORD src1_sel:WORD_1
	v_cndmask_b32_e64 v20, 0, v28, s[2:3]
	v_cmp_gt_i32_e32 vcc, s30, v48
	v_cmp_gt_i32_e64 s[2:3], s33, v49
	v_perm_b32 v28, v21, v20, s24
	v_cndmask_b32_sdwa v21, v35, v29, vcc dst_sel:DWORD dst_unused:UNUSED_PAD src0_sel:DWORD src1_sel:WORD_1
	v_cndmask_b32_e64 v20, 0, v29, s[2:3]
	v_perm_b32 v29, v21, v20, s24
.LBB146_56:                             ;   in Loop: Header=BB146_50 Depth=1
	s_or_b64 exec, exec, s[14:15]
	v_add_co_u32_e32 v18, vcc, 0x1000, v18
	s_nop 1
	v_addc_co_u32_e32 v19, vcc, 0, v19, vcc
	global_load_dwordx4 v[18:21], v[18:19], off
	s_and_saveexec_b64 s[2:3], s[0:1]
	s_cbranch_execz .LBB146_48
; %bb.57:                               ;   in Loop: Header=BB146_50 Depth=1
	v_cmp_gt_i32_e32 vcc, s30, v55
	v_cmp_gt_i32_e64 s[0:1], s33, v54
	s_waitcnt vmcnt(0)
	v_cndmask_b32_sdwa v55, v35, v18, vcc dst_sel:DWORD dst_unused:UNUSED_PAD src0_sel:DWORD src1_sel:WORD_1
	v_cmp_gt_i32_e32 vcc, s33, v50
	v_cndmask_b32_e64 v50, 0, v19, s[0:1]
	v_cmp_gt_i32_e64 s[0:1], s33, v52
	v_cndmask_b32_e32 v18, 0, v18, vcc
	v_cmp_gt_i32_e32 vcc, s30, v53
	v_perm_b32 v18, v55, v18, s24
	s_nop 0
	v_cndmask_b32_sdwa v19, v35, v19, vcc dst_sel:DWORD dst_unused:UNUSED_PAD src0_sel:DWORD src1_sel:WORD_1
	v_cmp_gt_i32_e32 vcc, s30, v51
	v_perm_b32 v19, v19, v50, s24
	v_cndmask_b32_e64 v50, 0, v20, s[0:1]
	v_cndmask_b32_sdwa v20, v35, v20, vcc dst_sel:DWORD dst_unused:UNUSED_PAD src0_sel:DWORD src1_sel:WORD_1
	v_cmp_gt_i32_e32 vcc, s30, v48
	v_cmp_gt_i32_e64 s[0:1], s33, v49
	v_perm_b32 v20, v20, v50, s24
	s_nop 0
	v_cndmask_b32_e64 v48, 0, v21, s[0:1]
	v_cndmask_b32_sdwa v21, v35, v21, vcc dst_sel:DWORD dst_unused:UNUSED_PAD src0_sel:DWORD src1_sel:WORD_1
	v_perm_b32 v21, v21, v48, s24
	s_branch .LBB146_48
.LBB146_58:                             ;   in Loop: Header=BB146_50 Depth=1
	v_cmp_gt_i32_e32 vcc, s30, v55
	v_cmp_gt_i32_e64 s[2:3], s33, v54
	s_waitcnt vmcnt(0)
	v_cndmask_b32_sdwa v6, v35, v2, vcc dst_sel:DWORD dst_unused:UNUSED_PAD src0_sel:DWORD src1_sel:WORD_1
	v_cmp_gt_i32_e32 vcc, s33, v50
	s_nop 1
	v_cndmask_b32_e32 v2, 0, v2, vcc
	v_cmp_gt_i32_e32 vcc, s30, v53
	v_perm_b32 v2, v6, v2, s24
	v_cndmask_b32_e64 v6, 0, v3, s[2:3]
	v_cndmask_b32_sdwa v3, v35, v3, vcc dst_sel:DWORD dst_unused:UNUSED_PAD src0_sel:DWORD src1_sel:WORD_1
	v_cmp_gt_i32_e32 vcc, s30, v51
	v_cmp_gt_i32_e64 s[2:3], s33, v52
	v_perm_b32 v3, v3, v6, s24
	s_nop 0
	v_cndmask_b32_e64 v6, 0, v4, s[2:3]
	v_cndmask_b32_sdwa v4, v35, v4, vcc dst_sel:DWORD dst_unused:UNUSED_PAD src0_sel:DWORD src1_sel:WORD_1
	v_cmp_gt_i32_e32 vcc, s30, v48
	v_cmp_gt_i32_e64 s[2:3], s33, v49
	v_perm_b32 v4, v4, v6, s24
	s_nop 0
	v_cndmask_b32_e64 v6, 0, v5, s[2:3]
	v_cndmask_b32_sdwa v5, v35, v5, vcc dst_sel:DWORD dst_unused:UNUSED_PAD src0_sel:DWORD src1_sel:WORD_1
	v_perm_b32 v5, v5, v6, s24
	s_or_b64 exec, exec, s[14:15]
	global_load_dwordx4 v[6:9], v[18:19], off offset:1024
	s_and_saveexec_b64 s[14:15], s[0:1]
	s_cbranch_execz .LBB146_53
.LBB146_59:                             ;   in Loop: Header=BB146_50 Depth=1
	v_cmp_gt_i32_e32 vcc, s30, v55
	v_cmp_gt_i32_e64 s[2:3], s33, v54
	s_waitcnt vmcnt(0)
	v_cndmask_b32_sdwa v20, v35, v6, vcc dst_sel:DWORD dst_unused:UNUSED_PAD src0_sel:DWORD src1_sel:WORD_1
	v_cmp_gt_i32_e32 vcc, s33, v50
	s_nop 1
	v_cndmask_b32_e32 v6, 0, v6, vcc
	v_cmp_gt_i32_e32 vcc, s30, v53
	v_perm_b32 v6, v20, v6, s24
	v_cndmask_b32_e64 v20, 0, v7, s[2:3]
	v_cndmask_b32_sdwa v7, v35, v7, vcc dst_sel:DWORD dst_unused:UNUSED_PAD src0_sel:DWORD src1_sel:WORD_1
	v_cmp_gt_i32_e32 vcc, s30, v51
	v_cmp_gt_i32_e64 s[2:3], s33, v52
	v_perm_b32 v7, v7, v20, s24
	s_nop 0
	v_cndmask_b32_e64 v20, 0, v8, s[2:3]
	v_cndmask_b32_sdwa v8, v35, v8, vcc dst_sel:DWORD dst_unused:UNUSED_PAD src0_sel:DWORD src1_sel:WORD_1
	v_cmp_gt_i32_e32 vcc, s30, v48
	v_cmp_gt_i32_e64 s[2:3], s33, v49
	v_perm_b32 v8, v8, v20, s24
	s_nop 0
	v_cndmask_b32_e64 v20, 0, v9, s[2:3]
	v_cndmask_b32_sdwa v9, v35, v9, vcc dst_sel:DWORD dst_unused:UNUSED_PAD src0_sel:DWORD src1_sel:WORD_1
	v_perm_b32 v9, v9, v20, s24
	s_or_b64 exec, exec, s[14:15]
	global_load_dwordx4 v[22:25], v[18:19], off offset:2048
	s_and_saveexec_b64 s[14:15], s[0:1]
	s_cbranch_execz .LBB146_54
.LBB146_60:                             ;   in Loop: Header=BB146_50 Depth=1
	v_cmp_gt_i32_e32 vcc, s30, v55
	v_cmp_gt_i32_e64 s[2:3], s33, v54
	s_waitcnt vmcnt(0)
	v_cndmask_b32_sdwa v20, v35, v22, vcc dst_sel:DWORD dst_unused:UNUSED_PAD src0_sel:DWORD src1_sel:WORD_1
	v_cmp_gt_i32_e32 vcc, s33, v50
	s_nop 1
	v_cndmask_b32_e32 v21, 0, v22, vcc
	v_cmp_gt_i32_e32 vcc, s30, v53
	v_perm_b32 v22, v20, v21, s24
	v_cndmask_b32_e64 v20, 0, v23, s[2:3]
	v_cndmask_b32_sdwa v21, v35, v23, vcc dst_sel:DWORD dst_unused:UNUSED_PAD src0_sel:DWORD src1_sel:WORD_1
	v_cmp_gt_i32_e32 vcc, s30, v51
	v_cmp_gt_i32_e64 s[2:3], s33, v52
	v_perm_b32 v23, v21, v20, s24
	v_cndmask_b32_sdwa v21, v35, v24, vcc dst_sel:DWORD dst_unused:UNUSED_PAD src0_sel:DWORD src1_sel:WORD_1
	v_cndmask_b32_e64 v20, 0, v24, s[2:3]
	v_cmp_gt_i32_e32 vcc, s30, v48
	v_cmp_gt_i32_e64 s[2:3], s33, v49
	v_perm_b32 v24, v21, v20, s24
	v_cndmask_b32_sdwa v21, v35, v25, vcc dst_sel:DWORD dst_unused:UNUSED_PAD src0_sel:DWORD src1_sel:WORD_1
	v_cndmask_b32_e64 v20, 0, v25, s[2:3]
	v_perm_b32 v25, v21, v20, s24
	s_or_b64 exec, exec, s[14:15]
	global_load_dwordx4 v[26:29], v[18:19], off offset:3072
	s_and_saveexec_b64 s[14:15], s[0:1]
	s_cbranch_execnz .LBB146_55
	s_branch .LBB146_56
.LBB146_61:
	s_or_b64 exec, exec, s[6:7]
.LBB146_62:
	s_or_b64 exec, exec, s[8:9]
	ds_bpermute_b32 v2, v42, v32
	ds_bpermute_b32 v3, v42, v33
	;; [unrolled: 1-line block ×5, first 2 shown]
	s_waitcnt lgkmcnt(0)
	v_pk_add_f32 v[2:3], v[32:33], v[2:3]
	ds_bpermute_b32 v6, v43, v2
	ds_bpermute_b32 v7, v43, v3
	v_pk_add_f32 v[8:9], v[30:31], v[4:5]
	ds_bpermute_b32 v10, v43, v8
	ds_bpermute_b32 v11, v43, v9
	s_barrier
	s_waitcnt lgkmcnt(2)
	v_pk_add_f32 v[4:5], v[2:3], v[6:7]
	v_add_f32_e32 v6, v34, v1
	ds_bpermute_b32 v7, v43, v6
	v_and_b32_e32 v1, 0x3c3, v0
	s_waitcnt lgkmcnt(1)
	v_pk_add_f32 v[2:3], v[8:9], v[10:11]
	v_cmp_ne_u32_e32 vcc, 64, v1
	s_waitcnt lgkmcnt(0)
	s_and_saveexec_b64 s[0:1], vcc
	s_xor_b64 s[0:1], exec, s[0:1]
; %bb.63:
                                        ; implicit-def: $vgpr41
; %bb.64:
	s_or_saveexec_b64 s[0:1], s[0:1]
	v_add_f32_e32 v6, v6, v7
	s_xor_b64 exec, exec, s[0:1]
	s_cbranch_execz .LBB146_66
; %bb.65:
	v_add_u32_e32 v7, 0xb0, v41
	ds_write2_b32 v7, v4, v5 offset1:16
	ds_write2_b32 v7, v2, v3 offset0:32 offset1:48
	ds_write_b32 v7, v6 offset:256
.LBB146_66:
	s_or_b64 exec, exec, s[0:1]
	v_cmp_gt_u32_e32 vcc, 64, v0
	v_lshrrev_b32_e32 v0, 2, v0
	s_waitcnt lgkmcnt(0)
	s_barrier
	s_and_saveexec_b64 s[0:1], vcc
	s_cbranch_execz .LBB146_74
; %bb.67:
	v_mov_b32_e32 v7, 0xb0
	v_cmp_eq_u32_e32 vcc, 0, v44
	v_lshl_add_u32 v7, v0, 2, v7
	s_and_saveexec_b64 s[2:3], vcc
	s_cbranch_execnz .LBB146_77
; %bb.68:
	s_or_b64 exec, exec, s[2:3]
	s_and_saveexec_b64 s[2:3], vcc
	s_cbranch_execnz .LBB146_78
.LBB146_69:
	s_or_b64 exec, exec, s[2:3]
	s_and_saveexec_b64 s[2:3], vcc
	s_cbranch_execnz .LBB146_79
.LBB146_70:
	s_or_b64 exec, exec, s[2:3]
	s_and_saveexec_b64 s[2:3], vcc
	s_cbranch_execnz .LBB146_80
.LBB146_71:
	s_or_b64 exec, exec, s[2:3]
	s_and_saveexec_b64 s[2:3], vcc
	s_cbranch_execz .LBB146_73
.LBB146_72:
	ds_read_b32 v7, v7 offset:256
	s_waitcnt lgkmcnt(0)
	v_add_f32_e32 v6, v6, v7
.LBB146_73:
	s_or_b64 exec, exec, s[2:3]
.LBB146_74:
	s_or_b64 exec, exec, s[0:1]
	v_cmp_eq_u32_e32 vcc, 0, v1
	s_barrier
	s_and_saveexec_b64 s[0:1], vcc
	s_cbranch_execz .LBB146_76
; %bb.75:
	s_mul_i32 s0, s10, s11
	s_mul_i32 s0, s0, s5
	s_mulk_i32 s0, 0x50
	s_ashr_i32 s1, s0, 31
	s_lshl_b64 s[0:1], s[0:1], 1
	s_add_u32 s2, s22, s0
	s_mul_i32 s0, s11, s20
	s_addc_u32 s3, s23, s1
	s_ashr_i32 s1, s0, 31
	s_lshl_b64 s[0:1], s[0:1], 1
	s_add_u32 s2, s2, s0
	s_mul_i32 s0, s4, 0x50
	s_addc_u32 s3, s3, s1
	s_ashr_i32 s1, s0, 31
	s_lshl_b64 s[0:1], s[0:1], 1
	s_add_u32 s0, s2, s0
	s_addc_u32 s1, s3, s1
	v_lshlrev_b32_e32 v0, 1, v0
	v_cvt_pk_bf16_f32 v1, v4, s0
	global_store_short v0, v1, s[0:1]
	v_cvt_pk_bf16_f32 v1, v5, s0
	global_store_short v0, v1, s[0:1] offset:32
	v_cvt_pk_bf16_f32 v1, v2, s0
	global_store_short v0, v1, s[0:1] offset:64
	;; [unrolled: 2-line block ×4, first 2 shown]
.LBB146_76:
	s_endpgm
.LBB146_77:
	ds_read_b32 v8, v7
	s_waitcnt lgkmcnt(0)
	v_add_f32_e32 v4, v4, v8
	s_or_b64 exec, exec, s[2:3]
	s_and_saveexec_b64 s[2:3], vcc
	s_cbranch_execz .LBB146_69
.LBB146_78:
	ds_read_b32 v8, v7 offset:64
	s_waitcnt lgkmcnt(0)
	v_add_f32_e32 v5, v5, v8
	s_or_b64 exec, exec, s[2:3]
	s_and_saveexec_b64 s[2:3], vcc
	s_cbranch_execz .LBB146_70
.LBB146_79:
	ds_read_b32 v8, v7 offset:128
	s_waitcnt lgkmcnt(0)
	v_add_f32_e32 v2, v2, v8
	s_or_b64 exec, exec, s[2:3]
	s_and_saveexec_b64 s[2:3], vcc
	s_cbranch_execz .LBB146_71
.LBB146_80:
	ds_read_b32 v8, v7 offset:192
	s_waitcnt lgkmcnt(0)
	v_add_f32_e32 v3, v3, v8
	s_or_b64 exec, exec, s[2:3]
	s_and_saveexec_b64 s[2:3], vcc
	s_cbranch_execnz .LBB146_72
	s_branch .LBB146_73
	.section	.rodata,"a",@progbits
	.p2align	6, 0x0
	.amdhsa_kernel _ZN4vllm25paged_attention_v1_kernelI14__hip_bfloat16S1_Li80ELi32ELi128ELNS_18Fp8KVCacheDataTypeE0ELb1EEEvPT_PKS3_PKT0_S9_ifPKiSB_iPKfiiiSD_SD_iiiii
		.amdhsa_group_segment_fixed_size 176
		.amdhsa_private_segment_fixed_size 0
		.amdhsa_kernarg_size 384
		.amdhsa_user_sgpr_count 2
		.amdhsa_user_sgpr_dispatch_ptr 0
		.amdhsa_user_sgpr_queue_ptr 0
		.amdhsa_user_sgpr_kernarg_segment_ptr 1
		.amdhsa_user_sgpr_dispatch_id 0
		.amdhsa_user_sgpr_kernarg_preload_length 0
		.amdhsa_user_sgpr_kernarg_preload_offset 0
		.amdhsa_user_sgpr_private_segment_size 0
		.amdhsa_uses_dynamic_stack 0
		.amdhsa_enable_private_segment 0
		.amdhsa_system_sgpr_workgroup_id_x 1
		.amdhsa_system_sgpr_workgroup_id_y 1
		.amdhsa_system_sgpr_workgroup_id_z 1
		.amdhsa_system_sgpr_workgroup_info 0
		.amdhsa_system_vgpr_workitem_id 0
		.amdhsa_next_free_vgpr 93
		.amdhsa_next_free_sgpr 45
		.amdhsa_accum_offset 96
		.amdhsa_reserve_vcc 1
		.amdhsa_float_round_mode_32 0
		.amdhsa_float_round_mode_16_64 0
		.amdhsa_float_denorm_mode_32 3
		.amdhsa_float_denorm_mode_16_64 3
		.amdhsa_dx10_clamp 1
		.amdhsa_ieee_mode 1
		.amdhsa_fp16_overflow 0
		.amdhsa_tg_split 0
		.amdhsa_exception_fp_ieee_invalid_op 0
		.amdhsa_exception_fp_denorm_src 0
		.amdhsa_exception_fp_ieee_div_zero 0
		.amdhsa_exception_fp_ieee_overflow 0
		.amdhsa_exception_fp_ieee_underflow 0
		.amdhsa_exception_fp_ieee_inexact 0
		.amdhsa_exception_int_div_zero 0
	.end_amdhsa_kernel
	.section	.text._ZN4vllm25paged_attention_v1_kernelI14__hip_bfloat16S1_Li80ELi32ELi128ELNS_18Fp8KVCacheDataTypeE0ELb1EEEvPT_PKS3_PKT0_S9_ifPKiSB_iPKfiiiSD_SD_iiiii,"axG",@progbits,_ZN4vllm25paged_attention_v1_kernelI14__hip_bfloat16S1_Li80ELi32ELi128ELNS_18Fp8KVCacheDataTypeE0ELb1EEEvPT_PKS3_PKT0_S9_ifPKiSB_iPKfiiiSD_SD_iiiii,comdat
.Lfunc_end146:
	.size	_ZN4vllm25paged_attention_v1_kernelI14__hip_bfloat16S1_Li80ELi32ELi128ELNS_18Fp8KVCacheDataTypeE0ELb1EEEvPT_PKS3_PKT0_S9_ifPKiSB_iPKfiiiSD_SD_iiiii, .Lfunc_end146-_ZN4vllm25paged_attention_v1_kernelI14__hip_bfloat16S1_Li80ELi32ELi128ELNS_18Fp8KVCacheDataTypeE0ELb1EEEvPT_PKS3_PKT0_S9_ifPKiSB_iPKfiiiSD_SD_iiiii
                                        ; -- End function
	.set _ZN4vllm25paged_attention_v1_kernelI14__hip_bfloat16S1_Li80ELi32ELi128ELNS_18Fp8KVCacheDataTypeE0ELb1EEEvPT_PKS3_PKT0_S9_ifPKiSB_iPKfiiiSD_SD_iiiii.num_vgpr, 93
	.set _ZN4vllm25paged_attention_v1_kernelI14__hip_bfloat16S1_Li80ELi32ELi128ELNS_18Fp8KVCacheDataTypeE0ELb1EEEvPT_PKS3_PKT0_S9_ifPKiSB_iPKfiiiSD_SD_iiiii.num_agpr, 0
	.set _ZN4vllm25paged_attention_v1_kernelI14__hip_bfloat16S1_Li80ELi32ELi128ELNS_18Fp8KVCacheDataTypeE0ELb1EEEvPT_PKS3_PKT0_S9_ifPKiSB_iPKfiiiSD_SD_iiiii.numbered_sgpr, 45
	.set _ZN4vllm25paged_attention_v1_kernelI14__hip_bfloat16S1_Li80ELi32ELi128ELNS_18Fp8KVCacheDataTypeE0ELb1EEEvPT_PKS3_PKT0_S9_ifPKiSB_iPKfiiiSD_SD_iiiii.num_named_barrier, 0
	.set _ZN4vllm25paged_attention_v1_kernelI14__hip_bfloat16S1_Li80ELi32ELi128ELNS_18Fp8KVCacheDataTypeE0ELb1EEEvPT_PKS3_PKT0_S9_ifPKiSB_iPKfiiiSD_SD_iiiii.private_seg_size, 0
	.set _ZN4vllm25paged_attention_v1_kernelI14__hip_bfloat16S1_Li80ELi32ELi128ELNS_18Fp8KVCacheDataTypeE0ELb1EEEvPT_PKS3_PKT0_S9_ifPKiSB_iPKfiiiSD_SD_iiiii.uses_vcc, 1
	.set _ZN4vllm25paged_attention_v1_kernelI14__hip_bfloat16S1_Li80ELi32ELi128ELNS_18Fp8KVCacheDataTypeE0ELb1EEEvPT_PKS3_PKT0_S9_ifPKiSB_iPKfiiiSD_SD_iiiii.uses_flat_scratch, 0
	.set _ZN4vllm25paged_attention_v1_kernelI14__hip_bfloat16S1_Li80ELi32ELi128ELNS_18Fp8KVCacheDataTypeE0ELb1EEEvPT_PKS3_PKT0_S9_ifPKiSB_iPKfiiiSD_SD_iiiii.has_dyn_sized_stack, 0
	.set _ZN4vllm25paged_attention_v1_kernelI14__hip_bfloat16S1_Li80ELi32ELi128ELNS_18Fp8KVCacheDataTypeE0ELb1EEEvPT_PKS3_PKT0_S9_ifPKiSB_iPKfiiiSD_SD_iiiii.has_recursion, 0
	.set _ZN4vllm25paged_attention_v1_kernelI14__hip_bfloat16S1_Li80ELi32ELi128ELNS_18Fp8KVCacheDataTypeE0ELb1EEEvPT_PKS3_PKT0_S9_ifPKiSB_iPKfiiiSD_SD_iiiii.has_indirect_call, 0
	.section	.AMDGPU.csdata,"",@progbits
; Kernel info:
; codeLenInByte = 6904
; TotalNumSgprs: 51
; NumVgprs: 93
; NumAgprs: 0
; TotalNumVgprs: 93
; ScratchSize: 0
; MemoryBound: 0
; FloatMode: 240
; IeeeMode: 1
; LDSByteSize: 176 bytes/workgroup (compile time only)
; SGPRBlocks: 6
; VGPRBlocks: 11
; NumSGPRsForWavesPerEU: 51
; NumVGPRsForWavesPerEU: 93
; AccumOffset: 96
; Occupancy: 5
; WaveLimiterHint : 1
; COMPUTE_PGM_RSRC2:SCRATCH_EN: 0
; COMPUTE_PGM_RSRC2:USER_SGPR: 2
; COMPUTE_PGM_RSRC2:TRAP_HANDLER: 0
; COMPUTE_PGM_RSRC2:TGID_X_EN: 1
; COMPUTE_PGM_RSRC2:TGID_Y_EN: 1
; COMPUTE_PGM_RSRC2:TGID_Z_EN: 1
; COMPUTE_PGM_RSRC2:TIDIG_COMP_CNT: 0
; COMPUTE_PGM_RSRC3_GFX90A:ACCUM_OFFSET: 23
; COMPUTE_PGM_RSRC3_GFX90A:TG_SPLIT: 0
	.section	.text._ZN4vllm25paged_attention_v1_kernelI14__hip_bfloat16S1_Li96ELi32ELi128ELNS_18Fp8KVCacheDataTypeE0ELb1EEEvPT_PKS3_PKT0_S9_ifPKiSB_iPKfiiiSD_SD_iiiii,"axG",@progbits,_ZN4vllm25paged_attention_v1_kernelI14__hip_bfloat16S1_Li96ELi32ELi128ELNS_18Fp8KVCacheDataTypeE0ELb1EEEvPT_PKS3_PKT0_S9_ifPKiSB_iPKfiiiSD_SD_iiiii,comdat
	.protected	_ZN4vllm25paged_attention_v1_kernelI14__hip_bfloat16S1_Li96ELi32ELi128ELNS_18Fp8KVCacheDataTypeE0ELb1EEEvPT_PKS3_PKT0_S9_ifPKiSB_iPKfiiiSD_SD_iiiii ; -- Begin function _ZN4vllm25paged_attention_v1_kernelI14__hip_bfloat16S1_Li96ELi32ELi128ELNS_18Fp8KVCacheDataTypeE0ELb1EEEvPT_PKS3_PKT0_S9_ifPKiSB_iPKfiiiSD_SD_iiiii
	.globl	_ZN4vllm25paged_attention_v1_kernelI14__hip_bfloat16S1_Li96ELi32ELi128ELNS_18Fp8KVCacheDataTypeE0ELb1EEEvPT_PKS3_PKT0_S9_ifPKiSB_iPKfiiiSD_SD_iiiii
	.p2align	8
	.type	_ZN4vllm25paged_attention_v1_kernelI14__hip_bfloat16S1_Li96ELi32ELi128ELNS_18Fp8KVCacheDataTypeE0ELb1EEEvPT_PKS3_PKT0_S9_ifPKiSB_iPKfiiiSD_SD_iiiii,@function
_ZN4vllm25paged_attention_v1_kernelI14__hip_bfloat16S1_Li96ELi32ELi128ELNS_18Fp8KVCacheDataTypeE0ELb1EEEvPT_PKS3_PKT0_S9_ifPKiSB_iPKfiiiSD_SD_iiiii: ; @_ZN4vllm25paged_attention_v1_kernelI14__hip_bfloat16S1_Li96ELi32ELi128ELNS_18Fp8KVCacheDataTypeE0ELb1EEEvPT_PKS3_PKT0_S9_ifPKiSB_iPKfiiiSD_SD_iiiii
; %bb.0:
	s_load_dword s5, s[0:1], 0x80
	s_load_dwordx2 s[6:7], s[0:1], 0x30
	s_load_dwordx2 s[30:31], s[0:1], 0x20
	s_mov_b32 s10, s3
	s_ashr_i32 s11, s3, 31
	s_lshl_b64 s[8:9], s[10:11], 2
	s_waitcnt lgkmcnt(0)
	s_add_u32 s6, s6, s8
	s_addc_u32 s7, s7, s9
	s_abs_i32 s3, s30
	v_cvt_f32_u32_e32 v1, s3
	s_sub_i32 s11, 0, s3
	s_abs_i32 s9, s5
	s_xor_b32 s8, s5, s30
	v_rcp_iflag_f32_e32 v1, v1
	s_ashr_i32 s8, s8, 31
	s_mov_b32 s42, 0
	v_mul_f32_e32 v1, 0x4f7ffffe, v1
	v_cvt_u32_f32_e32 v1, v1
	s_nop 0
	v_readfirstlane_b32 s12, v1
	s_mul_i32 s11, s11, s12
	s_mul_hi_u32 s11, s12, s11
	s_add_i32 s12, s12, s11
	s_mul_hi_u32 s11, s9, s12
	s_mul_i32 s12, s11, s3
	s_sub_i32 s9, s9, s12
	s_add_i32 s12, s11, 1
	s_sub_i32 s13, s9, s3
	s_cmp_ge_u32 s9, s3
	s_cselect_b32 s11, s12, s11
	s_cselect_b32 s9, s13, s9
	s_add_i32 s12, s11, 1
	s_cmp_ge_u32 s9, s3
	s_cselect_b32 s3, s12, s11
	s_xor_b32 s3, s3, s8
	s_sub_i32 s12, s3, s8
	s_abs_i32 s11, s12
	v_cvt_f32_u32_e32 v1, s11
	s_load_dwordx2 s[8:9], s[0:1], 0x40
	s_sub_i32 s3, 0, s11
	s_abs_i32 s22, s2
	v_rcp_iflag_f32_e32 v1, v1
	s_nop 0
	v_mul_f32_e32 v1, 0x4f7ffffe, v1
	v_cvt_u32_f32_e32 v1, v1
	s_nop 0
	v_readfirstlane_b32 s13, v1
	s_mul_i32 s3, s3, s13
	s_mul_hi_u32 s3, s13, s3
	s_add_i32 s13, s13, s3
	s_waitcnt lgkmcnt(0)
	s_cmp_eq_u64 s[8:9], 0
	s_mul_hi_u32 s23, s22, s13
	s_cbranch_scc1 .LBB147_2
; %bb.1:
	s_ashr_i32 s3, s2, 31
	s_lshl_b64 s[14:15], s[2:3], 2
	s_add_u32 s8, s8, s14
	s_addc_u32 s9, s9, s15
	s_load_dword s42, s[8:9], 0x0
.LBB147_2:
	s_load_dword s33, s[6:7], 0x0
	s_ashr_i32 s9, s12, 31
	s_load_dwordx4 s[12:15], s[0:1], 0x48
	s_ashr_i32 s3, s2, 31
	v_and_b32_e32 v4, 1, v0
	s_movk_i32 s8, 0x60
	s_mul_i32 s20, s2, 0x60
	v_cmp_gt_u32_e32 vcc, 24, v0
	v_lshlrev_b32_e32 v18, 3, v0
	s_and_saveexec_b64 s[6:7], vcc
	s_cbranch_execz .LBB147_4
; %bb.3:
	s_load_dwordx2 s[16:17], s[0:1], 0x8
	s_waitcnt lgkmcnt(0)
	s_mul_i32 s18, s12, s10
	s_ashr_i32 s19, s18, 31
	s_lshl_b64 s[18:19], s[18:19], 1
	v_lshlrev_b32_e32 v1, 2, v0
	s_add_u32 s12, s16, s18
	s_addc_u32 s15, s17, s19
	s_ashr_i32 s21, s20, 31
	s_lshl_b64 s[16:17], s[20:21], 1
	s_add_u32 s16, s12, s16
	s_addc_u32 s17, s15, s17
	global_load_dwordx2 v[2:3], v18, s[16:17]
	v_and_b32_e32 v1, 0xff8, v1
	v_mad_u32_u24 v1, v4, s8, v1
	s_waitcnt vmcnt(0)
	ds_write_b64 v1, v[2:3]
.LBB147_4:
	s_or_b64 exec, exec, s[6:7]
	s_mul_i32 s6, s23, s11
	s_sub_i32 s6, s22, s6
	s_xor_b32 s3, s3, s9
	s_add_i32 s7, s23, 1
	s_sub_i32 s9, s6, s11
	s_load_dwordx4 s[16:19], s[0:1], 0x68
	s_load_dword s8, s[0:1], 0x78
	s_cmp_ge_u32 s6, s11
	s_cselect_b32 s7, s7, s23
	s_cselect_b32 s6, s9, s6
	s_add_i32 s9, s7, 1
	s_cmp_ge_u32 s6, s11
	s_cselect_b32 s6, s9, s7
	s_waitcnt lgkmcnt(0)
	s_abs_i32 s21, s19
	v_cvt_f32_u32_e32 v1, s21
	s_xor_b32 s6, s6, s3
	s_sub_i32 s3, s6, s3
	s_sub_i32 s6, 0, s21
	v_rcp_iflag_f32_e32 v1, v1
	s_add_i32 s11, s33, -1
	s_abs_i32 s9, s11
	v_mul_f32_e32 v1, 0x4f7ffffe, v1
	v_cvt_u32_f32_e32 v1, v1
	s_barrier
	v_readfirstlane_b32 s40, v1
	s_mul_i32 s6, s6, s40
	s_mul_hi_u32 s6, s40, s6
	s_add_i32 s40, s40, s6
	s_cmp_lt_i32 s8, 0
	s_mul_hi_u32 s12, s9, s40
	s_cbranch_scc0 .LBB147_6
; %bb.5:
	s_mul_i32 s6, s16, s30
	s_add_i32 s6, s3, s6
	s_mul_i32 s6, s6, s8
	s_sub_i32 s41, 1, s6
	s_mov_b64 s[6:7], 0
	s_branch .LBB147_7
.LBB147_6:
	s_mov_b64 s[6:7], -1
                                        ; implicit-def: $sgpr41
.LBB147_7:
	s_load_dwordx2 s[24:25], s[0:1], 0x28
	s_ashr_i32 s15, s11, 31
	s_andn2_b64 vcc, exec, s[6:7]
	s_ashr_i32 s19, s19, 31
	s_cbranch_vccnz .LBB147_9
; %bb.8:
	s_mul_i32 s6, s5, s16
	s_add_i32 s2, s6, s2
	s_mul_i32 s2, s2, s8
	s_add_i32 s41, s2, 1
.LBB147_9:
	s_load_dword s2, s[0:1], 0x38
	s_load_dwordx2 s[22:23], s[0:1], 0x0
	s_load_dwordx2 s[28:29], s[0:1], 0x18
	s_load_dword s11, s[0:1], 0x88
	s_xor_b32 s6, s15, s19
	s_waitcnt lgkmcnt(0)
	s_mul_i32 s26, s2, s10
	s_mul_i32 s2, s12, s21
	s_sub_i32 s2, s9, s2
	s_ashr_i32 s27, s26, 31
	s_add_i32 s7, s12, 1
	s_sub_i32 s8, s2, s21
	s_cmp_ge_u32 s2, s21
	s_cselect_b32 s7, s7, s12
	s_cselect_b32 s2, s8, s2
	s_add_i32 s8, s7, 1
	s_cmp_ge_u32 s2, s21
	s_cselect_b32 s2, s8, s7
	s_xor_b32 s2, s2, s6
	s_sub_i32 s12, s2, s6
	s_add_i32 s2, s33, 31
	s_ashr_i32 s6, s2, 31
	s_lshr_b32 s6, s6, 27
	s_add_i32 s2, s2, s6
	s_ashr_i32 s16, s2, 5
	v_lshrrev_b32_e32 v1, 6, v0
	v_cmp_gt_i32_e64 s[6:7], s16, v1
	v_mov_b32_e32 v23, 0xff7fffff
	s_mul_i32 s14, s3, s14
	v_lshrrev_b32_e32 v19, 4, v0
	v_lshlrev_b32_e32 v46, 5, v1
	v_mbcnt_lo_u32_b32 v20, -1, 0
	s_and_saveexec_b64 s[34:35], s[6:7]
	s_cbranch_execz .LBB147_21
; %bb.10:
	s_load_dwordx2 s[0:1], s[0:1], 0x10
	s_ashr_i32 s15, s14, 31
	s_sub_i32 s30, s12, s17
	s_lshl_b64 s[2:3], s[14:15], 1
	v_bfe_u32 v21, v0, 1, 5
	s_waitcnt lgkmcnt(0)
	s_add_u32 s0, s0, s2
	s_addc_u32 s1, s1, s3
	s_abs_i32 s15, s18
	v_cvt_f32_u32_e32 v2, s15
	v_lshlrev_b32_e32 v6, 4, v21
	v_mov_b32_e32 v7, 0
	v_cmp_eq_u32_e32 vcc, 0, v4
	v_rcp_iflag_f32_e32 v5, v2
	v_lshl_add_u64 v[2:3], s[0:1], 0, v[6:7]
	s_sub_i32 s0, 0, s15
	v_mul_u32_u24_e32 v22, 0x60, v4
	v_mul_f32_e32 v5, 0x4f7ffffe, v5
	v_cvt_u32_f32_e32 v5, v5
	v_and_b32_e32 v6, 8, v18
	v_lshl_add_u64 v[2:3], v[2:3], 0, v[6:7]
	v_and_b32_e32 v6, 60, v19
	v_mul_lo_u32 v4, s0, v5
	s_lshl_b64 s[0:1], s[26:27], 2
	s_add_u32 s0, s24, s0
	v_mul_hi_u32 v4, v5, v4
	s_addc_u32 s1, s25, s1
	v_add_u32_e32 v24, v5, v4
	v_lshl_add_u64 v[4:5], s[0:1], 0, v[6:7]
	v_subrev_u32_e32 v6, s33, v21
	v_add_u32_e32 v26, 1, v6
	v_lshlrev_b32_e32 v6, 2, v21
	v_lshl_or_b32 v6, v1, 7, v6
	v_mbcnt_hi_u32_b32 v29, -1, v20
	v_add_u32_e32 v27, 0xd0, v6
	v_and_b32_e32 v6, 64, v29
	s_mov_b32 s43, s13
	v_cmp_neq_f32_e64 s[2:3], s42, 0
	v_lshlrev_b32_e32 v25, 5, v1
	v_mov_b32_e32 v28, 0xff7fffff
	s_mov_b64 s[36:37], 0
	s_movk_i32 s44, 0x1000
	v_xor_b32_e32 v30, 1, v29
	v_add_u32_e32 v31, 64, v6
	v_mov_b32_e32 v23, 0xff7fffff
	v_mov_b32_e32 v32, v1
	s_branch .LBB147_13
.LBB147_11:                             ;   in Loop: Header=BB147_13 Depth=1
	s_or_b64 exec, exec, s[38:39]
.LBB147_12:                             ;   in Loop: Header=BB147_13 Depth=1
	s_or_b64 exec, exec, s[8:9]
	v_add_u32_e32 v32, 2, v32
	v_cmp_le_i32_e64 s[0:1], s16, v32
	v_lshl_add_u64 v[4:5], v[4:5], 0, 8
	v_add_u32_e32 v25, 64, v25
	s_or_b64 s[36:37], s[0:1], s[36:37]
	v_add_u32_e32 v27, 0x100, v27
	s_andn2_b64 exec, exec, s[36:37]
	s_cbranch_execz .LBB147_20
.LBB147_13:                             ; =>This Inner Loop Header: Depth=1
	v_mul_hi_u32 v6, v25, s40
	s_waitcnt lgkmcnt(0)
	v_mul_lo_u32 v7, v6, s21
	v_sub_u32_e32 v7, v25, v7
	v_add_u32_e32 v8, 1, v6
	v_cmp_le_u32_e64 s[0:1], s21, v7
	s_nop 1
	v_cndmask_b32_e64 v6, v6, v8, s[0:1]
	v_subrev_u32_e32 v8, s21, v7
	v_cndmask_b32_e64 v7, v7, v8, s[0:1]
	v_add_u32_e32 v8, 1, v6
	v_cmp_le_u32_e64 s[0:1], s21, v7
	s_nop 1
	v_cndmask_b32_e64 v6, v6, v8, s[0:1]
	v_xor_b32_e32 v6, s19, v6
	v_subrev_u32_e32 v6, s19, v6
	v_add_u32_e32 v7, s41, v6
	v_sub_u32_e32 v9, 0, v7
	v_ashrrev_i32_e32 v8, 31, v7
	v_max_i32_e32 v7, v7, v9
	v_mul_hi_u32 v9, v7, v24
	v_mul_lo_u32 v9, v9, s15
	v_sub_u32_e32 v7, v7, v9
	v_subrev_u32_e32 v9, s15, v7
	v_cmp_le_u32_e64 s[0:1], s15, v7
	v_cmp_ge_i32_e64 s[8:9], s30, v6
	s_nop 0
	v_cndmask_b32_e64 v7, v7, v9, s[0:1]
	v_subrev_u32_e32 v9, s15, v7
	v_cmp_le_u32_e64 s[0:1], s15, v7
	s_nop 1
	v_cndmask_b32_e64 v7, v7, v9, s[0:1]
	v_xor_b32_e32 v7, v7, v8
	v_sub_u32_e32 v7, v7, v8
	v_cmp_ne_u32_e64 s[0:1], 0, v7
	s_and_b64 s[0:1], s[0:1], s[8:9]
	s_and_saveexec_b64 s[8:9], s[0:1]
	s_xor_b64 s[0:1], exec, s[8:9]
	s_cbranch_execz .LBB147_17
; %bb.14:                               ;   in Loop: Header=BB147_13 Depth=1
	s_and_saveexec_b64 s[8:9], vcc
; %bb.15:                               ;   in Loop: Header=BB147_13 Depth=1
	ds_write_b32 v27, v28
; %bb.16:                               ;   in Loop: Header=BB147_13 Depth=1
	s_or_b64 exec, exec, s[8:9]
.LBB147_17:                             ;   in Loop: Header=BB147_13 Depth=1
	s_andn2_saveexec_b64 s[8:9], s[0:1]
	s_cbranch_execz .LBB147_12
; %bb.18:                               ;   in Loop: Header=BB147_13 Depth=1
	global_load_dword v6, v[4:5], off
	s_waitcnt vmcnt(0)
	v_mad_i64_i32 v[6:7], s[0:1], v6, s43, 0
	v_lshl_add_u64 v[10:11], v[6:7], 1, v[2:3]
	global_load_dwordx2 v[8:9], v[10:11], off offset:512
	global_load_dwordx2 v[6:7], v[10:11], off offset:1024
	global_load_dwordx2 v[14:15], v[10:11], off offset:1536
	global_load_dwordx2 v[60:61], v[10:11], off
	global_load_dwordx2 v[62:63], v[10:11], off offset:2048
	global_load_dwordx2 v[64:65], v[10:11], off offset:2560
	ds_read_b128 v[34:37], v22
	ds_read_b128 v[38:41], v22 offset:16
	ds_read_b128 v[42:45], v22 offset:32
	;; [unrolled: 1-line block ×3, first 2 shown]
	global_load_dwordx2 v[16:17], v[10:11], off offset:3072
	ds_read_b128 v[52:55], v22 offset:64
	ds_read_b128 v[56:59], v22 offset:80
	global_load_dwordx2 v[12:13], v[10:11], off offset:3584
	v_add_co_u32_e64 v10, s[0:1], s44, v10
	s_waitcnt lgkmcnt(5)
	v_lshlrev_b32_e32 v66, 16, v36
	v_addc_co_u32_e64 v11, s[0:1], 0, v11, s[0:1]
	v_and_b32_e32 v36, 0xffff0000, v36
	v_lshlrev_b32_e32 v33, 16, v34
	v_lshlrev_b32_e32 v67, 16, v37
	v_and_b32_e32 v34, 0xffff0000, v34
	v_lshlrev_b32_e32 v47, 16, v35
	s_waitcnt lgkmcnt(4)
	v_lshlrev_b32_e32 v68, 16, v38
	v_and_b32_e32 v37, 0xffff0000, v37
	v_and_b32_e32 v38, 0xffff0000, v38
	v_lshlrev_b32_e32 v69, 16, v39
	v_lshlrev_b32_e32 v70, 16, v40
	v_and_b32_e32 v35, 0xffff0000, v35
	v_and_b32_e32 v40, 0xffff0000, v40
	v_lshlrev_b32_e32 v71, 16, v41
	s_waitcnt lgkmcnt(3)
	v_lshlrev_b32_e32 v72, 16, v42
	v_and_b32_e32 v39, 0xffff0000, v39
	v_and_b32_e32 v42, 0xffff0000, v42
	v_lshlrev_b32_e32 v73, 16, v43
	v_lshlrev_b32_e32 v74, 16, v44
	v_and_b32_e32 v41, 0xffff0000, v41
	;; [unrolled: 9-line block ×5, first 2 shown]
	v_and_b32_e32 v58, 0xffff0000, v58
	v_lshlrev_b32_e32 v87, 16, v59
	v_and_b32_e32 v57, 0xffff0000, v57
	v_and_b32_e32 v59, 0xffff0000, v59
	v_cmp_lt_i32_e64 s[0:1], v30, v31
	s_waitcnt vmcnt(7)
	v_lshlrev_b32_e32 v88, 16, v8
	v_and_b32_e32 v8, 0xffff0000, v8
	s_waitcnt vmcnt(6)
	v_lshlrev_b32_e32 v93, 16, v6
	v_and_b32_e32 v94, 0xffff0000, v6
	v_lshlrev_b32_e32 v95, 16, v7
	v_and_b32_e32 v96, 0xffff0000, v7
	global_load_dwordx2 v[6:7], v[10:11], off
	v_lshlrev_b32_e32 v91, 16, v9
	v_and_b32_e32 v92, 0xffff0000, v9
	v_mul_f32_e32 v36, v36, v8
	global_load_dwordx2 v[8:9], v[10:11], off offset:512
	s_waitcnt vmcnt(2)
	v_lshlrev_b32_e32 v105, 16, v12
	v_and_b32_e32 v106, 0xffff0000, v12
	v_lshlrev_b32_e32 v107, 16, v13
	v_and_b32_e32 v108, 0xffff0000, v13
	global_load_dwordx2 v[12:13], v[10:11], off offset:1024
	s_nop 0
	global_load_dwordx2 v[10:11], v[10:11], off offset:1536
	v_lshlrev_b32_e32 v89, 16, v60
	v_and_b32_e32 v60, 0xffff0000, v60
	v_mul_f32_e32 v66, v66, v88
	v_lshlrev_b32_e32 v90, 16, v61
	v_fmac_f32_e32 v66, v33, v89
	v_mul_f32_e32 v33, v67, v91
	v_fmac_f32_e32 v36, v34, v60
	v_and_b32_e32 v61, 0xffff0000, v61
	v_lshlrev_b32_e32 v97, 16, v14
	v_and_b32_e32 v14, 0xffff0000, v14
	v_mul_f32_e32 v37, v37, v92
	v_fmac_f32_e32 v33, v47, v90
	v_fmac_f32_e32 v66, v68, v93
	;; [unrolled: 1-line block ×3, first 2 shown]
	v_lshlrev_b32_e32 v98, 16, v15
	v_lshlrev_b32_e32 v99, 16, v62
	v_and_b32_e32 v62, 0xffff0000, v62
	v_fmac_f32_e32 v37, v35, v61
	v_fmac_f32_e32 v33, v69, v95
	v_fmac_f32_e32 v66, v70, v97
	v_fmac_f32_e32 v36, v40, v14
	v_and_b32_e32 v15, 0xffff0000, v15
	v_lshlrev_b32_e32 v100, 16, v63
	v_lshlrev_b32_e32 v101, 16, v64
	v_and_b32_e32 v64, 0xffff0000, v64
	v_fmac_f32_e32 v37, v39, v96
	v_fmac_f32_e32 v33, v71, v98
	v_fmac_f32_e32 v66, v72, v99
	v_fmac_f32_e32 v36, v42, v62
	v_and_b32_e32 v63, 0xffff0000, v63
	;; [unrolled: 8-line block ×3, first 2 shown]
	v_lshlrev_b32_e32 v104, 16, v17
	v_fmac_f32_e32 v37, v43, v63
	v_fmac_f32_e32 v33, v75, v102
	;; [unrolled: 1-line block ×4, first 2 shown]
	v_and_b32_e32 v17, 0xffff0000, v17
	v_fmac_f32_e32 v37, v45, v65
	v_fmac_f32_e32 v33, v77, v104
	;; [unrolled: 1-line block ×7, first 2 shown]
	v_cndmask_b32_e64 v67, v29, v30, s[0:1]
	v_lshlrev_b32_e32 v67, 2, v67
	s_waitcnt vmcnt(3)
	v_lshlrev_b32_e32 v88, 16, v6
	v_and_b32_e32 v6, 0xffff0000, v6
	v_lshlrev_b32_e32 v34, 16, v7
	v_fmac_f32_e32 v66, v80, v88
	s_waitcnt vmcnt(2)
	v_lshlrev_b32_e32 v60, 16, v8
	v_and_b32_e32 v8, 0xffff0000, v8
	v_fmac_f32_e32 v36, v52, v6
	v_and_b32_e32 v7, 0xffff0000, v7
	v_lshlrev_b32_e32 v47, 16, v9
	s_waitcnt vmcnt(1)
	v_lshlrev_b32_e32 v89, 16, v12
	v_and_b32_e32 v12, 0xffff0000, v12
	v_fmac_f32_e32 v33, v81, v34
	v_fmac_f32_e32 v66, v82, v60
	;; [unrolled: 1-line block ×3, first 2 shown]
	v_and_b32_e32 v9, 0xffff0000, v9
	v_lshlrev_b32_e32 v35, 16, v13
	s_waitcnt vmcnt(0)
	v_lshlrev_b32_e32 v61, 16, v10
	v_and_b32_e32 v10, 0xffff0000, v10
	v_fmac_f32_e32 v37, v53, v7
	v_fmac_f32_e32 v33, v83, v47
	;; [unrolled: 1-line block ×4, first 2 shown]
	v_and_b32_e32 v13, 0xffff0000, v13
	v_lshlrev_b32_e32 v68, 16, v11
	v_fmac_f32_e32 v37, v55, v9
	v_fmac_f32_e32 v33, v85, v35
	;; [unrolled: 1-line block ×4, first 2 shown]
	v_and_b32_e32 v11, 0xffff0000, v11
	v_fmac_f32_e32 v37, v57, v13
	v_fmac_f32_e32 v33, v87, v68
	v_add_f32_e32 v6, v66, v36
	v_fmac_f32_e32 v37, v59, v11
	v_add_f32_e32 v6, v6, v33
	v_add_f32_e32 v6, v37, v6
	ds_bpermute_b32 v7, v67, v6
	s_and_saveexec_b64 s[38:39], vcc
	s_cbranch_execz .LBB147_11
; %bb.19:                               ;   in Loop: Header=BB147_13 Depth=1
	v_add_u32_e32 v8, v26, v25
	v_cvt_f32_i32_e32 v8, v8
	s_waitcnt lgkmcnt(0)
	v_add_f32_e32 v6, v6, v7
	v_add_u32_e32 v9, v21, v25
	v_cmp_gt_i32_e64 s[0:1], s33, v9
	v_mul_f32_e32 v7, s42, v8
	v_cndmask_b32_e64 v7, 0, v7, s[2:3]
	v_fmac_f32_e32 v7, s31, v6
	v_cndmask_b32_e64 v6, 0, v7, s[0:1]
	ds_write_b32 v27, v6
	v_max_f32_e32 v6, v23, v23
	v_max_f32_e32 v6, v6, v7
	v_cndmask_b32_e64 v23, v23, v6, s[0:1]
	s_branch .LBB147_11
.LBB147_20:
	s_or_b64 exec, exec, s[36:37]
.LBB147_21:
	s_or_b64 exec, exec, s[34:35]
	v_mbcnt_hi_u32_b32 v2, -1, v20
	v_and_b32_e32 v9, 64, v2
	v_add_u32_e32 v10, 64, v9
	v_xor_b32_e32 v3, 32, v2
	v_cmp_lt_i32_e32 vcc, v3, v10
	v_xor_b32_e32 v6, 16, v2
	v_max_f32_e32 v5, v23, v23
	v_cndmask_b32_e32 v3, v2, v3, vcc
	v_lshlrev_b32_e32 v3, 2, v3
	ds_bpermute_b32 v4, v3, v23
	v_cmp_lt_i32_e32 vcc, v6, v10
	s_waitcnt lgkmcnt(1)
	v_xor_b32_e32 v7, 8, v2
	v_xor_b32_e32 v8, 4, v2
	;; [unrolled: 1-line block ×3, first 2 shown]
	s_waitcnt lgkmcnt(0)
	v_max_f32_e32 v4, v4, v4
	v_max_f32_e32 v5, v5, v4
	v_cndmask_b32_e32 v4, v2, v6, vcc
	v_lshlrev_b32_e32 v4, 2, v4
	ds_bpermute_b32 v6, v4, v5
	v_cmp_lt_i32_e32 vcc, v7, v10
	v_and_b32_e32 v47, 63, v0
	s_waitcnt lgkmcnt(0)
	v_max_f32_e32 v6, v6, v6
	v_max_f32_e32 v6, v5, v6
	v_cndmask_b32_e32 v5, v2, v7, vcc
	v_lshlrev_b32_e32 v5, 2, v5
	ds_bpermute_b32 v7, v5, v6
	v_cmp_lt_i32_e32 vcc, v8, v10
	s_waitcnt lgkmcnt(0)
	v_max_f32_e32 v7, v7, v7
	v_max_f32_e32 v7, v6, v7
	v_cndmask_b32_e32 v6, v2, v8, vcc
	v_lshlrev_b32_e32 v6, 2, v6
	ds_bpermute_b32 v8, v6, v7
	v_cmp_lt_i32_e32 vcc, v11, v10
	s_waitcnt lgkmcnt(0)
	v_max_f32_e32 v8, v8, v8
	v_max_f32_e32 v8, v7, v8
	v_cndmask_b32_e32 v7, v2, v11, vcc
	v_lshlrev_b32_e32 v48, 2, v7
	ds_bpermute_b32 v11, v48, v8
	v_cmp_eq_u32_e32 vcc, 0, v47
	v_lshlrev_b32_e32 v7, 2, v1
	s_and_saveexec_b64 s[0:1], vcc
	s_cbranch_execz .LBB147_23
; %bb.22:
	s_waitcnt lgkmcnt(0)
	v_max_f32_e32 v11, v11, v11
	v_max_f32_e32 v8, v8, v8
	;; [unrolled: 1-line block ×3, first 2 shown]
	ds_write_b32 v7, v8 offset:192
.LBB147_23:
	s_or_b64 exec, exec, s[0:1]
	v_cmp_gt_u32_e64 s[0:1], 2, v47
	s_waitcnt lgkmcnt(0)
	v_mov_b32_e32 v11, 0xff7fffff
	v_lshlrev_b32_e32 v8, 2, v47
	s_barrier
	s_and_saveexec_b64 s[2:3], s[0:1]
; %bb.24:
	ds_read_b32 v11, v8 offset:192
; %bb.25:
	s_or_b64 exec, exec, s[2:3]
	v_xor_b32_e32 v12, 1, v2
	v_cmp_lt_i32_e64 s[2:3], v12, v10
	v_lshlrev_b32_e32 v9, 2, v9
	s_nop 0
	v_cndmask_b32_e64 v10, v2, v12, s[2:3]
	v_lshlrev_b32_e32 v49, 2, v10
	s_waitcnt lgkmcnt(0)
	ds_bpermute_b32 v10, v49, v11
	v_max_f32_e32 v11, v11, v11
	s_lshl_b32 s2, s16, 5
	s_min_i32 s15, s2, s33
	v_cmp_gt_i32_e64 s[2:3], s15, v0
	s_waitcnt lgkmcnt(0)
	v_max_f32_e32 v10, v10, v10
	v_max_f32_e32 v10, v11, v10
	ds_bpermute_b32 v10, v9, v10
	v_mov_b32_e32 v9, 0
	s_and_saveexec_b64 s[30:31], s[2:3]
	s_cbranch_execz .LBB147_29
; %bb.26:
	v_mov_b32_e32 v9, 0xd0
	v_lshl_add_u32 v11, v0, 2, v9
	v_mov_b32_e32 v9, 0
	s_mov_b64 s[34:35], 0
	v_mov_b32_e32 v12, v0
.LBB147_27:                             ; =>This Inner Loop Header: Depth=1
	ds_read_b32 v13, v11
	v_add_u32_e32 v12, 0x80, v12
	v_cmp_le_i32_e64 s[8:9], s15, v12
	s_or_b64 s[34:35], s[8:9], s[34:35]
	s_waitcnt lgkmcnt(0)
	v_sub_f32_e32 v13, v13, v10
	v_mul_f32_e32 v13, 0x3fb8aa3b, v13
	v_exp_f32_e32 v13, v13
	ds_write_b32 v11, v13
	v_add_f32_e32 v9, v9, v13
	v_add_u32_e32 v11, 0x200, v11
	s_andn2_b64 exec, exec, s[34:35]
	s_cbranch_execnz .LBB147_27
; %bb.28:
	s_or_b64 exec, exec, s[34:35]
.LBB147_29:
	s_or_b64 exec, exec, s[30:31]
	ds_bpermute_b32 v3, v3, v9
	s_waitcnt lgkmcnt(0)
	v_add_f32_e32 v3, v9, v3
	ds_bpermute_b32 v4, v4, v3
	s_waitcnt lgkmcnt(0)
	v_add_f32_e32 v3, v3, v4
	;; [unrolled: 3-line block ×6, first 2 shown]
	s_and_saveexec_b64 s[8:9], vcc
; %bb.30:
	ds_write_b32 v7, v3 offset:200
; %bb.31:
	s_or_b64 exec, exec, s[8:9]
	s_waitcnt lgkmcnt(0)
	s_barrier
	s_and_saveexec_b64 s[8:9], s[0:1]
; %bb.32:
	ds_read_b32 v3, v8 offset:200
; %bb.33:
	s_or_b64 exec, exec, s[8:9]
	s_waitcnt lgkmcnt(0)
	ds_bpermute_b32 v4, v49, v3
	v_lshlrev_b32_e32 v2, 2, v2
	v_and_b32_e32 v2, 0x100, v2
	s_waitcnt lgkmcnt(0)
	v_add_f32_e32 v3, v3, v4
	ds_bpermute_b32 v2, v2, v3
	s_and_saveexec_b64 s[0:1], s[2:3]
	s_cbranch_execz .LBB147_46
; %bb.34:
	s_waitcnt lgkmcnt(0)
	v_add_f32_e32 v2, 0x358637bd, v2
	v_div_scale_f32 v3, s[2:3], v2, v2, 1.0
	v_rcp_f32_e32 v4, v3
	v_div_scale_f32 v5, vcc, 1.0, v2, 1.0
	s_movk_i32 s2, 0x7f
	v_fma_f32 v6, -v3, v4, 1.0
	v_fmac_f32_e32 v4, v6, v4
	v_mul_f32_e32 v6, v5, v4
	v_fma_f32 v7, -v3, v6, v5
	v_fmac_f32_e32 v6, v7, v4
	v_fma_f32 v3, -v3, v6, v5
	v_div_fmas_f32 v3, v3, v4, v6
	v_xad_u32 v4, v0, -1, s15
	v_div_fixup_f32 v2, v3, v2, 1.0
	v_cmp_lt_u32_e32 vcc, s2, v4
	s_mov_b64 s[8:9], -1
	v_mov_b32_e32 v3, v0
	s_and_saveexec_b64 s[2:3], vcc
	s_cbranch_execz .LBB147_43
; %bb.35:
	v_lshrrev_b32_e32 v4, 7, v4
	v_add_u32_e32 v6, -1, v4
	v_lshrrev_b32_e32 v5, 1, v6
	v_mov_b32_e32 v3, v2
	v_add_u32_e32 v5, 1, v5
	v_cmp_lt_u32_e32 vcc, 13, v6
	v_mov_b32_e32 v8, 0
	s_and_saveexec_b64 s[8:9], vcc
	s_cbranch_execz .LBB147_39
; %bb.36:
	v_mov_b32_e32 v7, 0xd0
	v_and_b32_e32 v6, -8, v5
	v_lshl_add_u32 v7, v0, 2, v7
	s_mov_b32 s34, 0
	s_mov_b64 s[30:31], 0
.LBB147_37:                             ; =>This Inner Loop Header: Depth=1
	ds_read2st64_b32 v[8:9], v7 offset1:2
	ds_read2st64_b32 v[10:11], v7 offset0:4 offset1:6
	ds_read2st64_b32 v[12:13], v7 offset0:8 offset1:10
	;; [unrolled: 1-line block ×3, first 2 shown]
	v_add_u32_e32 v6, -8, v6
	s_waitcnt lgkmcnt(3)
	v_pk_mul_f32 v[8:9], v[2:3], v[8:9]
	s_waitcnt lgkmcnt(2)
	v_pk_mul_f32 v[10:11], v[2:3], v[10:11]
	ds_write2st64_b32 v7, v8, v9 offset1:2
	ds_write2st64_b32 v7, v10, v11 offset0:4 offset1:6
	ds_read2st64_b32 v[10:11], v7 offset0:16 offset1:18
	s_waitcnt lgkmcnt(4)
	v_pk_mul_f32 v[8:9], v[2:3], v[12:13]
	ds_write2st64_b32 v7, v8, v9 offset0:8 offset1:10
	s_waitcnt lgkmcnt(4)
	v_pk_mul_f32 v[8:9], v[2:3], v[14:15]
	ds_write2st64_b32 v7, v8, v9 offset0:12 offset1:14
	ds_read2st64_b32 v[8:9], v7 offset0:20 offset1:22
	s_waitcnt lgkmcnt(3)
	v_pk_mul_f32 v[10:11], v[2:3], v[10:11]
	ds_read2st64_b32 v[12:13], v7 offset0:24 offset1:26
	ds_write2st64_b32 v7, v10, v11 offset0:16 offset1:18
	ds_read2st64_b32 v[10:11], v7 offset0:28 offset1:30
	s_waitcnt lgkmcnt(3)
	v_pk_mul_f32 v[8:9], v[2:3], v[8:9]
	ds_write2st64_b32 v7, v8, v9 offset0:20 offset1:22
	s_waitcnt lgkmcnt(3)
	v_pk_mul_f32 v[8:9], v[2:3], v[12:13]
	ds_write2st64_b32 v7, v8, v9 offset0:24 offset1:26
	s_waitcnt lgkmcnt(2)
	v_pk_mul_f32 v[8:9], v[2:3], v[10:11]
	s_add_i32 s34, s34, 16
	v_cmp_eq_u32_e32 vcc, 0, v6
	ds_write2st64_b32 v7, v8, v9 offset0:28 offset1:30
	v_add_u32_e32 v7, 0x2000, v7
	s_or_b64 s[30:31], vcc, s[30:31]
	v_mov_b32_e32 v8, s34
	s_andn2_b64 exec, exec, s[30:31]
	s_cbranch_execnz .LBB147_37
; %bb.38:
	s_or_b64 exec, exec, s[30:31]
.LBB147_39:
	s_or_b64 exec, exec, s[8:9]
	v_and_b32_e32 v5, 7, v5
	v_cmp_ne_u32_e32 vcc, 0, v5
	s_and_saveexec_b64 s[8:9], vcc
	s_cbranch_execz .LBB147_42
; %bb.40:
	v_lshlrev_b32_e32 v6, 9, v8
	v_lshlrev_b32_e32 v7, 2, v0
	s_movk_i32 s30, 0xd0
	v_add3_u32 v6, v6, v7, s30
	s_mov_b64 s[30:31], 0
.LBB147_41:                             ; =>This Inner Loop Header: Depth=1
	ds_read2st64_b32 v[8:9], v6 offset1:2
	v_add_u32_e32 v5, -1, v5
	v_cmp_eq_u32_e32 vcc, 0, v5
	s_or_b64 s[30:31], vcc, s[30:31]
	s_waitcnt lgkmcnt(0)
	v_pk_mul_f32 v[8:9], v[2:3], v[8:9]
	ds_write2st64_b32 v6, v8, v9 offset1:2
	v_add_u32_e32 v6, 0x400, v6
	s_andn2_b64 exec, exec, s[30:31]
	s_cbranch_execnz .LBB147_41
.LBB147_42:
	s_or_b64 exec, exec, s[8:9]
	v_add_u32_e32 v4, 1, v4
	v_and_b32_e32 v5, 0x3fffffe, v4
	v_cmp_ne_u32_e32 vcc, v4, v5
	v_lshl_add_u32 v3, v5, 7, v0
	s_orn2_b64 s[8:9], vcc, exec
.LBB147_43:
	s_or_b64 exec, exec, s[2:3]
	s_and_b64 exec, exec, s[8:9]
	s_cbranch_execz .LBB147_46
; %bb.44:
	v_mov_b32_e32 v4, 0xd0
	v_lshl_add_u32 v4, v3, 2, v4
	s_mov_b64 s[2:3], 0
.LBB147_45:                             ; =>This Inner Loop Header: Depth=1
	ds_read_b32 v5, v4
	v_add_u32_e32 v3, 0x80, v3
	v_cmp_le_i32_e32 vcc, s15, v3
	s_or_b64 s[2:3], vcc, s[2:3]
	s_waitcnt lgkmcnt(0)
	v_mul_f32_e32 v5, v2, v5
	ds_write_b32 v4, v5
	v_add_u32_e32 v4, 0x200, v4
	s_andn2_b64 exec, exec, s[2:3]
	s_cbranch_execnz .LBB147_45
.LBB147_46:
	s_or_b64 exec, exec, s[0:1]
	v_mov_b32_e32 v35, 0
	v_and_b32_e32 v50, 3, v0
	v_mov_b32_e32 v34, 0
	v_mov_b32_e32 v37, 0
	;; [unrolled: 1-line block ×5, first 2 shown]
	s_waitcnt lgkmcnt(0)
	s_barrier
	s_and_saveexec_b64 s[8:9], s[6:7]
	s_cbranch_execz .LBB147_64
; %bb.47:
	s_ashr_i32 s15, s14, 31
	s_sub_i32 s17, s12, s17
	s_lshl_b64 s[0:1], s[14:15], 1
	s_add_u32 s0, s28, s0
	s_addc_u32 s1, s29, s1
	s_abs_i32 s18, s18
	v_cvt_f32_u32_e32 v2, s18
	v_lshlrev_b32_e32 v3, 4, v0
	v_and_b32_e32 v40, 0x3f0, v3
	v_mov_b32_e32 v41, 0
	v_rcp_iflag_f32_e32 v2, v2
	v_lshl_add_u64 v[42:43], s[0:1], 0, v[40:41]
	s_sub_i32 s0, 0, s18
	s_add_i32 s29, s16, -1
	v_mul_f32_e32 v2, 0x4f7ffffe, v2
	v_cvt_u32_f32_e32 v2, v2
	v_and_b32_e32 v40, 60, v19
	v_and_b32_e32 v51, 24, v18
	s_mov_b32 s28, s13
	v_mul_lo_u32 v3, s0, v2
	v_mul_hi_u32 v3, v2, v3
	s_lshl_b64 s[0:1], s[26:27], 2
	v_add_u32_e32 v52, v2, v3
	s_add_u32 s0, s24, s0
	v_lshlrev_b32_e32 v2, 5, v50
	s_addc_u32 s1, s25, s1
	v_lshl_or_b32 v2, v1, 7, v2
	s_mov_b32 s30, s33
	v_lshl_add_u64 v[44:45], s[0:1], 0, v[40:41]
	v_add_u32_e32 v40, 0xd0, v2
	s_mov_b64 s[6:7], 0
	s_mov_b32 s24, 0x5040100
	v_mov_b32_e32 v38, 0
	v_mov_b32_e32 v39, 0
	;; [unrolled: 1-line block ×6, first 2 shown]
	s_branch .LBB147_50
.LBB147_48:                             ;   in Loop: Header=BB147_50 Depth=1
	s_or_b64 exec, exec, s[2:3]
	s_waitcnt lgkmcnt(1)
	v_cvt_pk_bf16_f32 v18, v18, s0
	v_cvt_pk_bf16_f32 v19, v19, s0
	;; [unrolled: 1-line block ×4, first 2 shown]
	s_waitcnt vmcnt(1)
	v_and_b32_e32 v53, 0xffff0000, v30
	v_lshlrev_b32_e32 v19, 16, v19
	v_lshlrev_b32_e32 v30, 16, v30
	;; [unrolled: 1-line block ×3, first 2 shown]
	v_mul_f32_e32 v53, v19, v53
	v_mul_f32_e32 v30, v18, v30
	v_and_b32_e32 v54, 0xffff0000, v31
	v_lshlrev_b32_e32 v21, 16, v21
	v_lshlrev_b32_e32 v31, 16, v31
	;; [unrolled: 1-line block ×3, first 2 shown]
	s_waitcnt lgkmcnt(0)
	v_cvt_pk_bf16_f32 v14, v14, s0
	v_cvt_pk_bf16_f32 v15, v15, s0
	;; [unrolled: 1-line block ×4, first 2 shown]
	v_mul_f32_e32 v54, v21, v54
	v_mul_f32_e32 v31, v20, v31
	v_cvt_pk_bf16_f32 v54, v54, s0
	v_cvt_pk_bf16_f32 v31, v31, s0
	v_and_b32_e32 v55, 0xffff0000, v32
	v_lshlrev_b32_e32 v15, 16, v15
	v_lshlrev_b32_e32 v32, 16, v32
	;; [unrolled: 1-line block ×5, first 2 shown]
	v_cvt_pk_bf16_f32 v16, v16, s0
	v_cvt_pk_bf16_f32 v17, v17, s0
	v_mul_f32_e32 v55, v15, v55
	v_mul_f32_e32 v32, v14, v32
	v_add_f32_e32 v30, v30, v53
	v_lshlrev_b32_e32 v31, 16, v31
	v_lshlrev_b32_e32 v53, 16, v54
	v_cvt_pk_bf16_f32 v55, v55, s0
	v_cvt_pk_bf16_f32 v32, v32, s0
	v_and_b32_e32 v56, 0xffff0000, v33
	v_lshlrev_b32_e32 v17, 16, v17
	v_lshlrev_b32_e32 v33, 16, v33
	;; [unrolled: 1-line block ×3, first 2 shown]
	v_add_f32_e32 v31, v31, v53
	v_mul_f32_e32 v56, v17, v56
	v_mul_f32_e32 v33, v16, v33
	v_add_f32_e32 v30, v31, v30
	v_lshlrev_b32_e32 v31, 16, v32
	v_lshlrev_b32_e32 v32, 16, v55
	v_cvt_pk_bf16_f32 v56, v56, s0
	v_cvt_pk_bf16_f32 v33, v33, s0
	v_add_f32_e32 v31, v31, v32
	v_add_f32_e32 v30, v31, v30
	v_lshlrev_b32_e32 v31, 16, v33
	v_lshlrev_b32_e32 v32, 16, v56
	v_add_f32_e32 v31, v31, v32
	v_add_f32_e32 v30, v31, v30
	v_add_f32_e32 v34, v34, v30
	v_and_b32_e32 v30, 0xffff0000, v26
	v_lshlrev_b32_e32 v26, 16, v26
	v_mul_f32_e32 v30, v19, v30
	v_mul_f32_e32 v26, v18, v26
	v_and_b32_e32 v31, 0xffff0000, v27
	v_lshlrev_b32_e32 v27, 16, v27
	v_cvt_pk_bf16_f32 v30, v30, s0
	v_cvt_pk_bf16_f32 v26, v26, s0
	v_mul_f32_e32 v31, v21, v31
	v_mul_f32_e32 v27, v20, v27
	v_cvt_pk_bf16_f32 v31, v31, s0
	v_cvt_pk_bf16_f32 v27, v27, s0
	v_and_b32_e32 v32, 0xffff0000, v28
	v_lshlrev_b32_e32 v28, 16, v28
	v_lshlrev_b32_e32 v26, 16, v26
	v_lshlrev_b32_e32 v30, 16, v30
	v_mul_f32_e32 v32, v15, v32
	v_mul_f32_e32 v28, v14, v28
	v_add_f32_e32 v26, v26, v30
	v_lshlrev_b32_e32 v27, 16, v27
	v_lshlrev_b32_e32 v30, 16, v31
	v_cvt_pk_bf16_f32 v32, v32, s0
	v_cvt_pk_bf16_f32 v28, v28, s0
	v_and_b32_e32 v33, 0xffff0000, v29
	v_lshlrev_b32_e32 v29, 16, v29
	v_add_f32_e32 v27, v27, v30
	v_mul_f32_e32 v33, v17, v33
	v_mul_f32_e32 v29, v16, v29
	v_add_f32_e32 v26, v27, v26
	v_lshlrev_b32_e32 v27, 16, v28
	v_lshlrev_b32_e32 v28, 16, v32
	v_cvt_pk_bf16_f32 v33, v33, s0
	v_cvt_pk_bf16_f32 v29, v29, s0
	v_add_f32_e32 v27, v27, v28
	v_add_f32_e32 v26, v27, v26
	v_lshlrev_b32_e32 v27, 16, v29
	v_lshlrev_b32_e32 v28, 16, v33
	v_add_f32_e32 v27, v27, v28
	v_add_f32_e32 v26, v27, v26
	v_add_f32_e32 v37, v37, v26
	v_and_b32_e32 v26, 0xffff0000, v10
	v_lshlrev_b32_e32 v10, 16, v10
	v_mul_f32_e32 v26, v19, v26
	v_mul_f32_e32 v10, v18, v10
	v_and_b32_e32 v27, 0xffff0000, v11
	v_lshlrev_b32_e32 v11, 16, v11
	v_cvt_pk_bf16_f32 v26, v26, s0
	v_cvt_pk_bf16_f32 v10, v10, s0
	v_mul_f32_e32 v27, v21, v27
	v_mul_f32_e32 v11, v20, v11
	v_cvt_pk_bf16_f32 v27, v27, s0
	v_cvt_pk_bf16_f32 v11, v11, s0
	v_and_b32_e32 v28, 0xffff0000, v12
	v_lshlrev_b32_e32 v12, 16, v12
	v_lshlrev_b32_e32 v10, 16, v10
	v_lshlrev_b32_e32 v26, 16, v26
	v_mul_f32_e32 v28, v15, v28
	v_mul_f32_e32 v12, v14, v12
	v_add_f32_e32 v10, v10, v26
	v_lshlrev_b32_e32 v11, 16, v11
	v_lshlrev_b32_e32 v26, 16, v27
	v_cvt_pk_bf16_f32 v28, v28, s0
	v_cvt_pk_bf16_f32 v12, v12, s0
	v_and_b32_e32 v29, 0xffff0000, v13
	v_lshlrev_b32_e32 v13, 16, v13
	;; [unrolled: 40-line block ×4, first 2 shown]
	v_add_f32_e32 v3, v3, v6
	v_mul_f32_e32 v5, v16, v5
	v_add_f32_e32 v2, v3, v2
	v_lshlrev_b32_e32 v3, 16, v4
	v_lshlrev_b32_e32 v4, 16, v8
	v_cvt_pk_bf16_f32 v5, v5, s0
	v_add_f32_e32 v3, v3, v4
	v_add_f32_e32 v2, v3, v2
	v_lshlrev_b32_e32 v3, 16, v5
	s_waitcnt vmcnt(0)
	v_and_b32_e32 v5, 0xffff0000, v23
	v_mul_f32_e32 v5, v21, v5
	v_mul_f32_e32 v9, v17, v9
	v_cvt_pk_bf16_f32 v6, v5, s0
	v_lshlrev_b32_e32 v5, 16, v24
	v_cvt_pk_bf16_f32 v9, v9, s0
	v_mul_f32_e32 v5, v14, v5
	v_lshlrev_b32_e32 v4, 16, v9
	v_cvt_pk_bf16_f32 v7, v5, s0
	v_and_b32_e32 v5, 0xffff0000, v24
	v_add_f32_e32 v3, v3, v4
	v_mul_f32_e32 v5, v15, v5
	v_add_f32_e32 v2, v3, v2
	v_cvt_pk_bf16_f32 v8, v5, s0
	v_lshlrev_b32_e32 v5, 16, v25
	v_add_f32_e32 v38, v38, v2
	v_lshlrev_b32_e32 v2, 16, v22
	v_and_b32_e32 v3, 0xffff0000, v22
	v_lshlrev_b32_e32 v4, 16, v23
	v_mul_f32_e32 v5, v16, v5
	v_mul_f32_e32 v2, v18, v2
	;; [unrolled: 1-line block ×4, first 2 shown]
	v_cvt_pk_bf16_f32 v9, v5, s0
	v_and_b32_e32 v5, 0xffff0000, v25
	v_cvt_pk_bf16_f32 v2, v2, s0
	v_cvt_pk_bf16_f32 v3, v3, s0
	v_cvt_pk_bf16_f32 v4, v4, s0
	v_mul_f32_e32 v5, v17, v5
	v_cvt_pk_bf16_f32 v10, v5, s0
	v_lshlrev_b32_e32 v3, 16, v3
	v_lshlrev_b32_e32 v5, 16, v2
	;; [unrolled: 1-line block ×4, first 2 shown]
	v_pk_add_f32 v[2:3], v[4:5], v[2:3]
	v_lshlrev_b32_e32 v5, 16, v8
	v_lshlrev_b32_e32 v7, 16, v7
	;; [unrolled: 1-line block ×4, first 2 shown]
	v_pk_add_f32 v[4:5], v[6:7], v[4:5]
	v_add_f32_e32 v2, v2, v3
	v_add_f32_e32 v2, v5, v2
	;; [unrolled: 1-line block ×4, first 2 shown]
.LBB147_49:                             ;   in Loop: Header=BB147_50 Depth=1
	s_or_b64 exec, exec, s[12:13]
	v_add_u32_e32 v1, 2, v1
	v_cmp_le_i32_e32 vcc, s16, v1
	v_lshl_add_u64 v[44:45], v[44:45], 0, 8
	v_add_u32_e32 v46, 64, v46
	s_or_b64 s[6:7], vcc, s[6:7]
	v_add_u32_e32 v40, 0x100, v40
	s_andn2_b64 exec, exec, s[6:7]
	s_cbranch_execz .LBB147_63
.LBB147_50:                             ; =>This Inner Loop Header: Depth=1
	v_mul_hi_u32 v2, v46, s40
	v_mul_lo_u32 v3, v2, s21
	v_sub_u32_e32 v3, v46, v3
	v_add_u32_e32 v4, 1, v2
	v_cmp_le_u32_e32 vcc, s21, v3
	s_nop 1
	v_cndmask_b32_e32 v2, v2, v4, vcc
	v_subrev_u32_e32 v4, s21, v3
	v_cndmask_b32_e32 v3, v3, v4, vcc
	v_add_u32_e32 v4, 1, v2
	v_cmp_le_u32_e32 vcc, s21, v3
	s_nop 1
	v_cndmask_b32_e32 v2, v2, v4, vcc
	v_xor_b32_e32 v2, s19, v2
	v_subrev_u32_e32 v2, s19, v2
	v_add_u32_e32 v3, s41, v2
	v_sub_u32_e32 v5, 0, v3
	v_ashrrev_i32_e32 v4, 31, v3
	v_max_i32_e32 v3, v3, v5
	v_mul_hi_u32 v5, v3, v52
	v_mul_lo_u32 v5, v5, s18
	v_sub_u32_e32 v3, v3, v5
	v_subrev_u32_e32 v5, s18, v3
	v_cmp_le_u32_e32 vcc, s18, v3
	v_cmp_lt_i32_e64 s[0:1], s17, v2
	s_nop 0
	v_cndmask_b32_e32 v3, v3, v5, vcc
	v_subrev_u32_e32 v5, s18, v3
	v_cmp_le_u32_e32 vcc, s18, v3
	s_nop 1
	v_cndmask_b32_e32 v3, v3, v5, vcc
	v_xor_b32_e32 v3, v3, v4
	v_sub_u32_e32 v3, v3, v4
	v_cmp_eq_u32_e32 vcc, 0, v3
	s_or_b64 s[0:1], vcc, s[0:1]
	s_and_saveexec_b64 s[12:13], s[0:1]
	s_cbranch_execz .LBB147_49
; %bb.51:                               ;   in Loop: Header=BB147_50 Depth=1
	global_load_dword v2, v[44:45], off
	v_add_u32_e32 v55, v51, v46
	v_add_u32_e32 v60, 1, v55
	v_or_b32_e32 v58, 3, v55
	v_or_b32_e32 v59, 2, v55
	;; [unrolled: 1-line block ×6, first 2 shown]
	s_waitcnt vmcnt(0)
	v_mad_i64_i32 v[2:3], s[0:1], v2, s28, 0
	v_lshl_add_u64 v[22:23], v[2:3], 1, v[42:43]
	global_load_dwordx4 v[2:5], v[22:23], off
	ds_read2_b64 v[18:21], v40 offset1:1
	ds_read2_b64 v[14:17], v40 offset0:2 offset1:3
	v_cmp_eq_u32_e64 s[0:1], s29, v1
	s_and_saveexec_b64 s[14:15], s[0:1]
	s_cbranch_execnz .LBB147_60
; %bb.52:                               ;   in Loop: Header=BB147_50 Depth=1
	s_or_b64 exec, exec, s[14:15]
	global_load_dwordx4 v[6:9], v[22:23], off offset:1024
	s_and_saveexec_b64 s[14:15], s[0:1]
	s_cbranch_execnz .LBB147_61
.LBB147_53:                             ;   in Loop: Header=BB147_50 Depth=1
	s_or_b64 exec, exec, s[14:15]
	global_load_dwordx4 v[10:13], v[22:23], off offset:2048
	s_and_saveexec_b64 s[14:15], s[0:1]
	s_cbranch_execnz .LBB147_62
.LBB147_54:                             ;   in Loop: Header=BB147_50 Depth=1
	s_or_b64 exec, exec, s[14:15]
	global_load_dwordx4 v[26:29], v[22:23], off offset:3072
	s_and_saveexec_b64 s[14:15], s[0:1]
	s_cbranch_execz .LBB147_56
.LBB147_55:                             ;   in Loop: Header=BB147_50 Depth=1
	v_cmp_gt_i32_e32 vcc, s30, v60
	v_cmp_gt_i32_e64 s[2:3], s33, v59
	s_waitcnt vmcnt(0)
	v_cndmask_b32_sdwa v24, v41, v26, vcc dst_sel:DWORD dst_unused:UNUSED_PAD src0_sel:DWORD src1_sel:WORD_1
	v_cmp_gt_i32_e32 vcc, s33, v55
	s_nop 1
	v_cndmask_b32_e32 v25, 0, v26, vcc
	v_cmp_gt_i32_e32 vcc, s30, v58
	v_perm_b32 v26, v24, v25, s24
	v_cndmask_b32_e64 v24, 0, v27, s[2:3]
	v_cndmask_b32_sdwa v25, v41, v27, vcc dst_sel:DWORD dst_unused:UNUSED_PAD src0_sel:DWORD src1_sel:WORD_1
	v_cmp_gt_i32_e32 vcc, s30, v56
	v_cmp_gt_i32_e64 s[2:3], s33, v57
	v_perm_b32 v27, v25, v24, s24
	v_cndmask_b32_sdwa v25, v41, v28, vcc dst_sel:DWORD dst_unused:UNUSED_PAD src0_sel:DWORD src1_sel:WORD_1
	v_cndmask_b32_e64 v24, 0, v28, s[2:3]
	v_cmp_gt_i32_e32 vcc, s30, v53
	v_cmp_gt_i32_e64 s[2:3], s33, v54
	v_perm_b32 v28, v25, v24, s24
	v_cndmask_b32_sdwa v25, v41, v29, vcc dst_sel:DWORD dst_unused:UNUSED_PAD src0_sel:DWORD src1_sel:WORD_1
	v_cndmask_b32_e64 v24, 0, v29, s[2:3]
	v_perm_b32 v29, v25, v24, s24
.LBB147_56:                             ;   in Loop: Header=BB147_50 Depth=1
	s_or_b64 exec, exec, s[14:15]
	v_add_co_u32_e32 v24, vcc, 0x1000, v22
	s_nop 1
	v_addc_co_u32_e32 v25, vcc, 0, v23, vcc
	global_load_dwordx4 v[30:33], v[24:25], off
	s_and_saveexec_b64 s[14:15], s[0:1]
	s_cbranch_execz .LBB147_58
; %bb.57:                               ;   in Loop: Header=BB147_50 Depth=1
	v_cmp_gt_i32_e32 vcc, s30, v60
	v_cmp_gt_i32_e64 s[2:3], s33, v59
	s_waitcnt vmcnt(0)
	v_cndmask_b32_sdwa v24, v41, v30, vcc dst_sel:DWORD dst_unused:UNUSED_PAD src0_sel:DWORD src1_sel:WORD_1
	v_cmp_gt_i32_e32 vcc, s33, v55
	s_nop 1
	v_cndmask_b32_e32 v25, 0, v30, vcc
	v_cmp_gt_i32_e32 vcc, s30, v58
	v_perm_b32 v30, v24, v25, s24
	v_cndmask_b32_e64 v24, 0, v31, s[2:3]
	v_cndmask_b32_sdwa v25, v41, v31, vcc dst_sel:DWORD dst_unused:UNUSED_PAD src0_sel:DWORD src1_sel:WORD_1
	v_cmp_gt_i32_e32 vcc, s30, v56
	v_cmp_gt_i32_e64 s[2:3], s33, v57
	v_perm_b32 v31, v25, v24, s24
	v_cndmask_b32_sdwa v25, v41, v32, vcc dst_sel:DWORD dst_unused:UNUSED_PAD src0_sel:DWORD src1_sel:WORD_1
	v_cndmask_b32_e64 v24, 0, v32, s[2:3]
	v_cmp_gt_i32_e32 vcc, s30, v53
	v_cmp_gt_i32_e64 s[2:3], s33, v54
	v_perm_b32 v32, v25, v24, s24
	v_cndmask_b32_sdwa v25, v41, v33, vcc dst_sel:DWORD dst_unused:UNUSED_PAD src0_sel:DWORD src1_sel:WORD_1
	v_cndmask_b32_e64 v24, 0, v33, s[2:3]
	v_perm_b32 v33, v25, v24, s24
.LBB147_58:                             ;   in Loop: Header=BB147_50 Depth=1
	s_or_b64 exec, exec, s[14:15]
	v_add_co_u32_e32 v22, vcc, 0x1000, v22
	s_nop 1
	v_addc_co_u32_e32 v23, vcc, 0, v23, vcc
	global_load_dwordx4 v[22:25], v[22:23], off offset:1024
	s_and_saveexec_b64 s[2:3], s[0:1]
	s_cbranch_execz .LBB147_48
; %bb.59:                               ;   in Loop: Header=BB147_50 Depth=1
	v_cmp_gt_i32_e32 vcc, s30, v60
	v_cmp_gt_i32_e64 s[0:1], s33, v59
	s_waitcnt vmcnt(0)
	v_cndmask_b32_sdwa v60, v41, v22, vcc dst_sel:DWORD dst_unused:UNUSED_PAD src0_sel:DWORD src1_sel:WORD_1
	v_cmp_gt_i32_e32 vcc, s33, v55
	v_cndmask_b32_e64 v55, 0, v23, s[0:1]
	v_cmp_gt_i32_e64 s[0:1], s33, v57
	v_cndmask_b32_e32 v22, 0, v22, vcc
	v_cmp_gt_i32_e32 vcc, s30, v58
	v_perm_b32 v22, v60, v22, s24
	s_nop 0
	v_cndmask_b32_sdwa v23, v41, v23, vcc dst_sel:DWORD dst_unused:UNUSED_PAD src0_sel:DWORD src1_sel:WORD_1
	v_cmp_gt_i32_e32 vcc, s30, v56
	v_perm_b32 v23, v23, v55, s24
	v_cndmask_b32_e64 v55, 0, v24, s[0:1]
	v_cndmask_b32_sdwa v24, v41, v24, vcc dst_sel:DWORD dst_unused:UNUSED_PAD src0_sel:DWORD src1_sel:WORD_1
	v_cmp_gt_i32_e32 vcc, s30, v53
	v_cmp_gt_i32_e64 s[0:1], s33, v54
	v_perm_b32 v24, v24, v55, s24
	s_nop 0
	v_cndmask_b32_e64 v53, 0, v25, s[0:1]
	v_cndmask_b32_sdwa v25, v41, v25, vcc dst_sel:DWORD dst_unused:UNUSED_PAD src0_sel:DWORD src1_sel:WORD_1
	v_perm_b32 v25, v25, v53, s24
	s_branch .LBB147_48
.LBB147_60:                             ;   in Loop: Header=BB147_50 Depth=1
	v_cmp_gt_i32_e32 vcc, s30, v60
	v_cmp_gt_i32_e64 s[2:3], s33, v59
	s_waitcnt vmcnt(0)
	v_cndmask_b32_sdwa v6, v41, v2, vcc dst_sel:DWORD dst_unused:UNUSED_PAD src0_sel:DWORD src1_sel:WORD_1
	v_cmp_gt_i32_e32 vcc, s33, v55
	s_nop 1
	v_cndmask_b32_e32 v2, 0, v2, vcc
	v_cmp_gt_i32_e32 vcc, s30, v58
	v_perm_b32 v2, v6, v2, s24
	v_cndmask_b32_e64 v6, 0, v3, s[2:3]
	v_cndmask_b32_sdwa v3, v41, v3, vcc dst_sel:DWORD dst_unused:UNUSED_PAD src0_sel:DWORD src1_sel:WORD_1
	v_cmp_gt_i32_e32 vcc, s30, v56
	v_cmp_gt_i32_e64 s[2:3], s33, v57
	v_perm_b32 v3, v3, v6, s24
	s_nop 0
	v_cndmask_b32_e64 v6, 0, v4, s[2:3]
	v_cndmask_b32_sdwa v4, v41, v4, vcc dst_sel:DWORD dst_unused:UNUSED_PAD src0_sel:DWORD src1_sel:WORD_1
	v_cmp_gt_i32_e32 vcc, s30, v53
	v_cmp_gt_i32_e64 s[2:3], s33, v54
	v_perm_b32 v4, v4, v6, s24
	s_nop 0
	v_cndmask_b32_e64 v6, 0, v5, s[2:3]
	v_cndmask_b32_sdwa v5, v41, v5, vcc dst_sel:DWORD dst_unused:UNUSED_PAD src0_sel:DWORD src1_sel:WORD_1
	v_perm_b32 v5, v5, v6, s24
	s_or_b64 exec, exec, s[14:15]
	global_load_dwordx4 v[6:9], v[22:23], off offset:1024
	s_and_saveexec_b64 s[14:15], s[0:1]
	s_cbranch_execz .LBB147_53
.LBB147_61:                             ;   in Loop: Header=BB147_50 Depth=1
	v_cmp_gt_i32_e32 vcc, s30, v60
	v_cmp_gt_i32_e64 s[2:3], s33, v59
	s_waitcnt vmcnt(0)
	v_cndmask_b32_sdwa v10, v41, v6, vcc dst_sel:DWORD dst_unused:UNUSED_PAD src0_sel:DWORD src1_sel:WORD_1
	v_cmp_gt_i32_e32 vcc, s33, v55
	s_nop 1
	v_cndmask_b32_e32 v6, 0, v6, vcc
	v_cmp_gt_i32_e32 vcc, s30, v58
	v_perm_b32 v6, v10, v6, s24
	v_cndmask_b32_e64 v10, 0, v7, s[2:3]
	v_cndmask_b32_sdwa v7, v41, v7, vcc dst_sel:DWORD dst_unused:UNUSED_PAD src0_sel:DWORD src1_sel:WORD_1
	v_cmp_gt_i32_e32 vcc, s30, v56
	v_cmp_gt_i32_e64 s[2:3], s33, v57
	v_perm_b32 v7, v7, v10, s24
	s_nop 0
	v_cndmask_b32_e64 v10, 0, v8, s[2:3]
	v_cndmask_b32_sdwa v8, v41, v8, vcc dst_sel:DWORD dst_unused:UNUSED_PAD src0_sel:DWORD src1_sel:WORD_1
	v_cmp_gt_i32_e32 vcc, s30, v53
	v_cmp_gt_i32_e64 s[2:3], s33, v54
	v_perm_b32 v8, v8, v10, s24
	s_nop 0
	v_cndmask_b32_e64 v10, 0, v9, s[2:3]
	v_cndmask_b32_sdwa v9, v41, v9, vcc dst_sel:DWORD dst_unused:UNUSED_PAD src0_sel:DWORD src1_sel:WORD_1
	v_perm_b32 v9, v9, v10, s24
	s_or_b64 exec, exec, s[14:15]
	global_load_dwordx4 v[10:13], v[22:23], off offset:2048
	s_and_saveexec_b64 s[14:15], s[0:1]
	s_cbranch_execz .LBB147_54
.LBB147_62:                             ;   in Loop: Header=BB147_50 Depth=1
	v_cmp_gt_i32_e32 vcc, s30, v60
	v_cmp_gt_i32_e64 s[2:3], s33, v59
	s_waitcnt vmcnt(0)
	v_cndmask_b32_sdwa v24, v41, v10, vcc dst_sel:DWORD dst_unused:UNUSED_PAD src0_sel:DWORD src1_sel:WORD_1
	v_cmp_gt_i32_e32 vcc, s33, v55
	s_nop 1
	v_cndmask_b32_e32 v10, 0, v10, vcc
	v_cmp_gt_i32_e32 vcc, s30, v58
	v_perm_b32 v10, v24, v10, s24
	v_cndmask_b32_e64 v24, 0, v11, s[2:3]
	v_cndmask_b32_sdwa v11, v41, v11, vcc dst_sel:DWORD dst_unused:UNUSED_PAD src0_sel:DWORD src1_sel:WORD_1
	v_cmp_gt_i32_e32 vcc, s30, v56
	v_cmp_gt_i32_e64 s[2:3], s33, v57
	v_perm_b32 v11, v11, v24, s24
	s_nop 0
	v_cndmask_b32_e64 v24, 0, v12, s[2:3]
	v_cndmask_b32_sdwa v12, v41, v12, vcc dst_sel:DWORD dst_unused:UNUSED_PAD src0_sel:DWORD src1_sel:WORD_1
	v_cmp_gt_i32_e32 vcc, s30, v53
	v_cmp_gt_i32_e64 s[2:3], s33, v54
	v_perm_b32 v12, v12, v24, s24
	s_nop 0
	v_cndmask_b32_e64 v24, 0, v13, s[2:3]
	v_cndmask_b32_sdwa v13, v41, v13, vcc dst_sel:DWORD dst_unused:UNUSED_PAD src0_sel:DWORD src1_sel:WORD_1
	v_perm_b32 v13, v13, v24, s24
	s_or_b64 exec, exec, s[14:15]
	global_load_dwordx4 v[26:29], v[22:23], off offset:3072
	s_and_saveexec_b64 s[14:15], s[0:1]
	s_cbranch_execnz .LBB147_55
	s_branch .LBB147_56
.LBB147_63:
	s_or_b64 exec, exec, s[6:7]
.LBB147_64:
	s_or_b64 exec, exec, s[8:9]
	ds_bpermute_b32 v2, v48, v38
	ds_bpermute_b32 v3, v48, v39
	;; [unrolled: 1-line block ×6, first 2 shown]
	s_waitcnt lgkmcnt(4)
	v_pk_add_f32 v[2:3], v[38:39], v[2:3]
	ds_bpermute_b32 v6, v49, v2
	ds_bpermute_b32 v7, v49, v3
	s_waitcnt lgkmcnt(4)
	v_pk_add_f32 v[8:9], v[36:37], v[4:5]
	ds_bpermute_b32 v10, v49, v8
	ds_bpermute_b32 v11, v49, v9
	v_and_b32_e32 v1, 0x3c3, v0
	s_waitcnt lgkmcnt(2)
	v_pk_add_f32 v[4:5], v[2:3], v[6:7]
	v_pk_add_f32 v[6:7], v[34:35], v[12:13]
	v_cmp_ne_u32_e32 vcc, 64, v1
	s_waitcnt lgkmcnt(0)
	v_pk_add_f32 v[2:3], v[8:9], v[10:11]
	ds_bpermute_b32 v8, v49, v6
	ds_bpermute_b32 v9, v49, v7
	s_waitcnt lgkmcnt(0)
	s_barrier
	s_and_saveexec_b64 s[0:1], vcc
	s_xor_b64 s[0:1], exec, s[0:1]
; %bb.65:
                                        ; implicit-def: $vgpr47
; %bb.66:
	s_or_saveexec_b64 s[0:1], s[0:1]
	v_pk_add_f32 v[6:7], v[6:7], v[8:9]
	s_xor_b64 exec, exec, s[0:1]
	s_cbranch_execz .LBB147_68
; %bb.67:
	v_add_u32_e32 v8, 0xd0, v47
	ds_write2_b32 v8, v4, v5 offset1:16
	ds_write2_b32 v8, v2, v3 offset0:32 offset1:48
	ds_write2_b32 v8, v6, v7 offset0:64 offset1:80
.LBB147_68:
	s_or_b64 exec, exec, s[0:1]
	v_cmp_gt_u32_e32 vcc, 64, v0
	v_lshrrev_b32_e32 v0, 2, v0
	s_waitcnt lgkmcnt(0)
	s_barrier
	s_and_saveexec_b64 s[0:1], vcc
	s_cbranch_execz .LBB147_77
; %bb.69:
	v_mov_b32_e32 v8, 0xd0
	v_cmp_eq_u32_e32 vcc, 0, v50
	v_lshl_add_u32 v8, v0, 2, v8
	s_and_saveexec_b64 s[2:3], vcc
	s_cbranch_execnz .LBB147_80
; %bb.70:
	s_or_b64 exec, exec, s[2:3]
	s_and_saveexec_b64 s[2:3], vcc
	s_cbranch_execnz .LBB147_81
.LBB147_71:
	s_or_b64 exec, exec, s[2:3]
	s_and_saveexec_b64 s[2:3], vcc
	s_cbranch_execnz .LBB147_82
.LBB147_72:
	s_or_b64 exec, exec, s[2:3]
	s_and_saveexec_b64 s[2:3], vcc
	s_cbranch_execnz .LBB147_83
.LBB147_73:
	s_or_b64 exec, exec, s[2:3]
	s_and_saveexec_b64 s[2:3], vcc
	s_cbranch_execnz .LBB147_84
.LBB147_74:
	s_or_b64 exec, exec, s[2:3]
	s_and_saveexec_b64 s[2:3], vcc
	s_cbranch_execz .LBB147_76
.LBB147_75:
	ds_read_b32 v8, v8 offset:320
	s_waitcnt lgkmcnt(0)
	v_add_f32_e32 v7, v7, v8
.LBB147_76:
	s_or_b64 exec, exec, s[2:3]
.LBB147_77:
	s_or_b64 exec, exec, s[0:1]
	v_cmp_eq_u32_e32 vcc, 0, v1
	s_barrier
	s_and_saveexec_b64 s[0:1], vcc
	s_cbranch_execz .LBB147_79
; %bb.78:
	s_mul_i32 s0, s10, s11
	s_mul_i32 s0, s0, s5
	s_mulk_i32 s0, 0x60
	s_ashr_i32 s1, s0, 31
	s_lshl_b64 s[0:1], s[0:1], 1
	s_add_u32 s2, s22, s0
	s_mul_i32 s0, s11, s20
	s_addc_u32 s3, s23, s1
	s_ashr_i32 s1, s0, 31
	s_lshl_b64 s[0:1], s[0:1], 1
	s_add_u32 s2, s2, s0
	s_mul_i32 s0, s4, 0x60
	s_addc_u32 s3, s3, s1
	s_ashr_i32 s1, s0, 31
	s_lshl_b64 s[0:1], s[0:1], 1
	s_add_u32 s0, s2, s0
	s_addc_u32 s1, s3, s1
	v_lshlrev_b32_e32 v0, 1, v0
	v_cvt_pk_bf16_f32 v1, v4, s0
	global_store_short v0, v1, s[0:1]
	v_cvt_pk_bf16_f32 v1, v5, s0
	global_store_short v0, v1, s[0:1] offset:32
	v_cvt_pk_bf16_f32 v1, v2, s0
	global_store_short v0, v1, s[0:1] offset:64
	;; [unrolled: 2-line block ×5, first 2 shown]
.LBB147_79:
	s_endpgm
.LBB147_80:
	ds_read_b32 v9, v8
	s_waitcnt lgkmcnt(0)
	v_add_f32_e32 v4, v4, v9
	s_or_b64 exec, exec, s[2:3]
	s_and_saveexec_b64 s[2:3], vcc
	s_cbranch_execz .LBB147_71
.LBB147_81:
	ds_read_b32 v9, v8 offset:64
	s_waitcnt lgkmcnt(0)
	v_add_f32_e32 v5, v5, v9
	s_or_b64 exec, exec, s[2:3]
	s_and_saveexec_b64 s[2:3], vcc
	s_cbranch_execz .LBB147_72
.LBB147_82:
	ds_read_b32 v9, v8 offset:128
	s_waitcnt lgkmcnt(0)
	v_add_f32_e32 v2, v2, v9
	s_or_b64 exec, exec, s[2:3]
	s_and_saveexec_b64 s[2:3], vcc
	s_cbranch_execz .LBB147_73
.LBB147_83:
	ds_read_b32 v9, v8 offset:192
	s_waitcnt lgkmcnt(0)
	v_add_f32_e32 v3, v3, v9
	s_or_b64 exec, exec, s[2:3]
	s_and_saveexec_b64 s[2:3], vcc
	s_cbranch_execz .LBB147_74
.LBB147_84:
	ds_read_b32 v9, v8 offset:256
	s_waitcnt lgkmcnt(0)
	v_add_f32_e32 v6, v6, v9
	s_or_b64 exec, exec, s[2:3]
	s_and_saveexec_b64 s[2:3], vcc
	s_cbranch_execnz .LBB147_75
	s_branch .LBB147_76
	.section	.rodata,"a",@progbits
	.p2align	6, 0x0
	.amdhsa_kernel _ZN4vllm25paged_attention_v1_kernelI14__hip_bfloat16S1_Li96ELi32ELi128ELNS_18Fp8KVCacheDataTypeE0ELb1EEEvPT_PKS3_PKT0_S9_ifPKiSB_iPKfiiiSD_SD_iiiii
		.amdhsa_group_segment_fixed_size 208
		.amdhsa_private_segment_fixed_size 0
		.amdhsa_kernarg_size 384
		.amdhsa_user_sgpr_count 2
		.amdhsa_user_sgpr_dispatch_ptr 0
		.amdhsa_user_sgpr_queue_ptr 0
		.amdhsa_user_sgpr_kernarg_segment_ptr 1
		.amdhsa_user_sgpr_dispatch_id 0
		.amdhsa_user_sgpr_kernarg_preload_length 0
		.amdhsa_user_sgpr_kernarg_preload_offset 0
		.amdhsa_user_sgpr_private_segment_size 0
		.amdhsa_uses_dynamic_stack 0
		.amdhsa_enable_private_segment 0
		.amdhsa_system_sgpr_workgroup_id_x 1
		.amdhsa_system_sgpr_workgroup_id_y 1
		.amdhsa_system_sgpr_workgroup_id_z 1
		.amdhsa_system_sgpr_workgroup_info 0
		.amdhsa_system_vgpr_workitem_id 0
		.amdhsa_next_free_vgpr 109
		.amdhsa_next_free_sgpr 45
		.amdhsa_accum_offset 112
		.amdhsa_reserve_vcc 1
		.amdhsa_float_round_mode_32 0
		.amdhsa_float_round_mode_16_64 0
		.amdhsa_float_denorm_mode_32 3
		.amdhsa_float_denorm_mode_16_64 3
		.amdhsa_dx10_clamp 1
		.amdhsa_ieee_mode 1
		.amdhsa_fp16_overflow 0
		.amdhsa_tg_split 0
		.amdhsa_exception_fp_ieee_invalid_op 0
		.amdhsa_exception_fp_denorm_src 0
		.amdhsa_exception_fp_ieee_div_zero 0
		.amdhsa_exception_fp_ieee_overflow 0
		.amdhsa_exception_fp_ieee_underflow 0
		.amdhsa_exception_fp_ieee_inexact 0
		.amdhsa_exception_int_div_zero 0
	.end_amdhsa_kernel
	.section	.text._ZN4vllm25paged_attention_v1_kernelI14__hip_bfloat16S1_Li96ELi32ELi128ELNS_18Fp8KVCacheDataTypeE0ELb1EEEvPT_PKS3_PKT0_S9_ifPKiSB_iPKfiiiSD_SD_iiiii,"axG",@progbits,_ZN4vllm25paged_attention_v1_kernelI14__hip_bfloat16S1_Li96ELi32ELi128ELNS_18Fp8KVCacheDataTypeE0ELb1EEEvPT_PKS3_PKT0_S9_ifPKiSB_iPKfiiiSD_SD_iiiii,comdat
.Lfunc_end147:
	.size	_ZN4vllm25paged_attention_v1_kernelI14__hip_bfloat16S1_Li96ELi32ELi128ELNS_18Fp8KVCacheDataTypeE0ELb1EEEvPT_PKS3_PKT0_S9_ifPKiSB_iPKfiiiSD_SD_iiiii, .Lfunc_end147-_ZN4vllm25paged_attention_v1_kernelI14__hip_bfloat16S1_Li96ELi32ELi128ELNS_18Fp8KVCacheDataTypeE0ELb1EEEvPT_PKS3_PKT0_S9_ifPKiSB_iPKfiiiSD_SD_iiiii
                                        ; -- End function
	.set _ZN4vllm25paged_attention_v1_kernelI14__hip_bfloat16S1_Li96ELi32ELi128ELNS_18Fp8KVCacheDataTypeE0ELb1EEEvPT_PKS3_PKT0_S9_ifPKiSB_iPKfiiiSD_SD_iiiii.num_vgpr, 109
	.set _ZN4vllm25paged_attention_v1_kernelI14__hip_bfloat16S1_Li96ELi32ELi128ELNS_18Fp8KVCacheDataTypeE0ELb1EEEvPT_PKS3_PKT0_S9_ifPKiSB_iPKfiiiSD_SD_iiiii.num_agpr, 0
	.set _ZN4vllm25paged_attention_v1_kernelI14__hip_bfloat16S1_Li96ELi32ELi128ELNS_18Fp8KVCacheDataTypeE0ELb1EEEvPT_PKS3_PKT0_S9_ifPKiSB_iPKfiiiSD_SD_iiiii.numbered_sgpr, 45
	.set _ZN4vllm25paged_attention_v1_kernelI14__hip_bfloat16S1_Li96ELi32ELi128ELNS_18Fp8KVCacheDataTypeE0ELb1EEEvPT_PKS3_PKT0_S9_ifPKiSB_iPKfiiiSD_SD_iiiii.num_named_barrier, 0
	.set _ZN4vllm25paged_attention_v1_kernelI14__hip_bfloat16S1_Li96ELi32ELi128ELNS_18Fp8KVCacheDataTypeE0ELb1EEEvPT_PKS3_PKT0_S9_ifPKiSB_iPKfiiiSD_SD_iiiii.private_seg_size, 0
	.set _ZN4vllm25paged_attention_v1_kernelI14__hip_bfloat16S1_Li96ELi32ELi128ELNS_18Fp8KVCacheDataTypeE0ELb1EEEvPT_PKS3_PKT0_S9_ifPKiSB_iPKfiiiSD_SD_iiiii.uses_vcc, 1
	.set _ZN4vllm25paged_attention_v1_kernelI14__hip_bfloat16S1_Li96ELi32ELi128ELNS_18Fp8KVCacheDataTypeE0ELb1EEEvPT_PKS3_PKT0_S9_ifPKiSB_iPKfiiiSD_SD_iiiii.uses_flat_scratch, 0
	.set _ZN4vllm25paged_attention_v1_kernelI14__hip_bfloat16S1_Li96ELi32ELi128ELNS_18Fp8KVCacheDataTypeE0ELb1EEEvPT_PKS3_PKT0_S9_ifPKiSB_iPKfiiiSD_SD_iiiii.has_dyn_sized_stack, 0
	.set _ZN4vllm25paged_attention_v1_kernelI14__hip_bfloat16S1_Li96ELi32ELi128ELNS_18Fp8KVCacheDataTypeE0ELb1EEEvPT_PKS3_PKT0_S9_ifPKiSB_iPKfiiiSD_SD_iiiii.has_recursion, 0
	.set _ZN4vllm25paged_attention_v1_kernelI14__hip_bfloat16S1_Li96ELi32ELi128ELNS_18Fp8KVCacheDataTypeE0ELb1EEEvPT_PKS3_PKT0_S9_ifPKiSB_iPKfiiiSD_SD_iiiii.has_indirect_call, 0
	.section	.AMDGPU.csdata,"",@progbits
; Kernel info:
; codeLenInByte = 7540
; TotalNumSgprs: 51
; NumVgprs: 109
; NumAgprs: 0
; TotalNumVgprs: 109
; ScratchSize: 0
; MemoryBound: 0
; FloatMode: 240
; IeeeMode: 1
; LDSByteSize: 208 bytes/workgroup (compile time only)
; SGPRBlocks: 6
; VGPRBlocks: 13
; NumSGPRsForWavesPerEU: 51
; NumVGPRsForWavesPerEU: 109
; AccumOffset: 112
; Occupancy: 4
; WaveLimiterHint : 1
; COMPUTE_PGM_RSRC2:SCRATCH_EN: 0
; COMPUTE_PGM_RSRC2:USER_SGPR: 2
; COMPUTE_PGM_RSRC2:TRAP_HANDLER: 0
; COMPUTE_PGM_RSRC2:TGID_X_EN: 1
; COMPUTE_PGM_RSRC2:TGID_Y_EN: 1
; COMPUTE_PGM_RSRC2:TGID_Z_EN: 1
; COMPUTE_PGM_RSRC2:TIDIG_COMP_CNT: 0
; COMPUTE_PGM_RSRC3_GFX90A:ACCUM_OFFSET: 27
; COMPUTE_PGM_RSRC3_GFX90A:TG_SPLIT: 0
	.section	.text._ZN4vllm25paged_attention_v1_kernelI14__hip_bfloat16S1_Li112ELi32ELi128ELNS_18Fp8KVCacheDataTypeE0ELb1EEEvPT_PKS3_PKT0_S9_ifPKiSB_iPKfiiiSD_SD_iiiii,"axG",@progbits,_ZN4vllm25paged_attention_v1_kernelI14__hip_bfloat16S1_Li112ELi32ELi128ELNS_18Fp8KVCacheDataTypeE0ELb1EEEvPT_PKS3_PKT0_S9_ifPKiSB_iPKfiiiSD_SD_iiiii,comdat
	.protected	_ZN4vllm25paged_attention_v1_kernelI14__hip_bfloat16S1_Li112ELi32ELi128ELNS_18Fp8KVCacheDataTypeE0ELb1EEEvPT_PKS3_PKT0_S9_ifPKiSB_iPKfiiiSD_SD_iiiii ; -- Begin function _ZN4vllm25paged_attention_v1_kernelI14__hip_bfloat16S1_Li112ELi32ELi128ELNS_18Fp8KVCacheDataTypeE0ELb1EEEvPT_PKS3_PKT0_S9_ifPKiSB_iPKfiiiSD_SD_iiiii
	.globl	_ZN4vllm25paged_attention_v1_kernelI14__hip_bfloat16S1_Li112ELi32ELi128ELNS_18Fp8KVCacheDataTypeE0ELb1EEEvPT_PKS3_PKT0_S9_ifPKiSB_iPKfiiiSD_SD_iiiii
	.p2align	8
	.type	_ZN4vllm25paged_attention_v1_kernelI14__hip_bfloat16S1_Li112ELi32ELi128ELNS_18Fp8KVCacheDataTypeE0ELb1EEEvPT_PKS3_PKT0_S9_ifPKiSB_iPKfiiiSD_SD_iiiii,@function
_ZN4vllm25paged_attention_v1_kernelI14__hip_bfloat16S1_Li112ELi32ELi128ELNS_18Fp8KVCacheDataTypeE0ELb1EEEvPT_PKS3_PKT0_S9_ifPKiSB_iPKfiiiSD_SD_iiiii: ; @_ZN4vllm25paged_attention_v1_kernelI14__hip_bfloat16S1_Li112ELi32ELi128ELNS_18Fp8KVCacheDataTypeE0ELb1EEEvPT_PKS3_PKT0_S9_ifPKiSB_iPKfiiiSD_SD_iiiii
; %bb.0:
	s_load_dword s5, s[0:1], 0x80
	s_load_dwordx2 s[6:7], s[0:1], 0x30
	s_load_dwordx2 s[30:31], s[0:1], 0x20
	s_mov_b32 s10, s3
	s_ashr_i32 s11, s3, 31
	s_lshl_b64 s[8:9], s[10:11], 2
	s_waitcnt lgkmcnt(0)
	s_add_u32 s6, s6, s8
	s_addc_u32 s7, s7, s9
	s_abs_i32 s3, s30
	v_cvt_f32_u32_e32 v1, s3
	s_sub_i32 s11, 0, s3
	s_abs_i32 s9, s5
	s_xor_b32 s8, s5, s30
	v_rcp_iflag_f32_e32 v1, v1
	s_ashr_i32 s8, s8, 31
	s_mov_b32 s42, 0
	v_mul_f32_e32 v1, 0x4f7ffffe, v1
	v_cvt_u32_f32_e32 v1, v1
	s_nop 0
	v_readfirstlane_b32 s12, v1
	s_mul_i32 s11, s11, s12
	s_mul_hi_u32 s11, s12, s11
	s_add_i32 s12, s12, s11
	s_mul_hi_u32 s11, s9, s12
	s_mul_i32 s12, s11, s3
	s_sub_i32 s9, s9, s12
	s_add_i32 s12, s11, 1
	s_sub_i32 s13, s9, s3
	s_cmp_ge_u32 s9, s3
	s_cselect_b32 s11, s12, s11
	s_cselect_b32 s9, s13, s9
	s_add_i32 s12, s11, 1
	s_cmp_ge_u32 s9, s3
	s_cselect_b32 s3, s12, s11
	s_xor_b32 s3, s3, s8
	s_sub_i32 s12, s3, s8
	s_abs_i32 s11, s12
	v_cvt_f32_u32_e32 v1, s11
	s_load_dwordx2 s[8:9], s[0:1], 0x40
	s_sub_i32 s3, 0, s11
	s_abs_i32 s22, s2
	v_rcp_iflag_f32_e32 v1, v1
	s_nop 0
	v_mul_f32_e32 v1, 0x4f7ffffe, v1
	v_cvt_u32_f32_e32 v1, v1
	s_nop 0
	v_readfirstlane_b32 s13, v1
	s_mul_i32 s3, s3, s13
	s_mul_hi_u32 s3, s13, s3
	s_add_i32 s13, s13, s3
	s_waitcnt lgkmcnt(0)
	s_cmp_eq_u64 s[8:9], 0
	s_mul_hi_u32 s23, s22, s13
	s_cbranch_scc1 .LBB148_2
; %bb.1:
	s_ashr_i32 s3, s2, 31
	s_lshl_b64 s[14:15], s[2:3], 2
	s_add_u32 s8, s8, s14
	s_addc_u32 s9, s9, s15
	s_load_dword s42, s[8:9], 0x0
.LBB148_2:
	s_load_dword s33, s[6:7], 0x0
	s_ashr_i32 s9, s12, 31
	s_load_dwordx4 s[12:15], s[0:1], 0x48
	s_ashr_i32 s3, s2, 31
	v_and_b32_e32 v2, 1, v0
	s_movk_i32 s8, 0x70
	s_mul_i32 s20, s2, 0x70
	v_cmp_gt_u32_e32 vcc, 28, v0
	v_lshlrev_b32_e32 v57, 3, v0
	s_and_saveexec_b64 s[6:7], vcc
	s_cbranch_execz .LBB148_4
; %bb.3:
	s_load_dwordx2 s[16:17], s[0:1], 0x8
	s_waitcnt lgkmcnt(0)
	s_mul_i32 s18, s12, s10
	s_ashr_i32 s19, s18, 31
	s_lshl_b64 s[18:19], s[18:19], 1
	v_lshlrev_b32_e32 v1, 2, v0
	s_add_u32 s12, s16, s18
	s_addc_u32 s15, s17, s19
	s_ashr_i32 s21, s20, 31
	s_lshl_b64 s[16:17], s[20:21], 1
	s_add_u32 s16, s12, s16
	s_addc_u32 s17, s15, s17
	global_load_dwordx2 v[4:5], v57, s[16:17]
	v_and_b32_e32 v1, 0xff8, v1
	v_mad_u32_u24 v1, v2, s8, v1
	s_waitcnt vmcnt(0)
	ds_write_b64 v1, v[4:5]
.LBB148_4:
	s_or_b64 exec, exec, s[6:7]
	s_mul_i32 s6, s23, s11
	s_sub_i32 s6, s22, s6
	s_xor_b32 s3, s3, s9
	s_add_i32 s7, s23, 1
	s_sub_i32 s9, s6, s11
	s_load_dwordx4 s[16:19], s[0:1], 0x68
	s_load_dword s8, s[0:1], 0x78
	s_cmp_ge_u32 s6, s11
	s_cselect_b32 s7, s7, s23
	s_cselect_b32 s6, s9, s6
	s_add_i32 s9, s7, 1
	s_cmp_ge_u32 s6, s11
	s_cselect_b32 s6, s9, s7
	s_waitcnt lgkmcnt(0)
	s_abs_i32 s21, s19
	v_cvt_f32_u32_e32 v1, s21
	s_xor_b32 s6, s6, s3
	s_sub_i32 s3, s6, s3
	s_sub_i32 s6, 0, s21
	v_rcp_iflag_f32_e32 v1, v1
	s_add_i32 s11, s33, -1
	s_abs_i32 s9, s11
	v_mul_f32_e32 v1, 0x4f7ffffe, v1
	v_cvt_u32_f32_e32 v1, v1
	s_barrier
	v_readfirstlane_b32 s40, v1
	s_mul_i32 s6, s6, s40
	s_mul_hi_u32 s6, s40, s6
	s_add_i32 s40, s40, s6
	s_cmp_lt_i32 s8, 0
	s_mul_hi_u32 s12, s9, s40
	s_cbranch_scc0 .LBB148_6
; %bb.5:
	s_mul_i32 s6, s16, s30
	s_add_i32 s6, s3, s6
	s_mul_i32 s6, s6, s8
	s_sub_i32 s41, 1, s6
	s_mov_b64 s[6:7], 0
	s_branch .LBB148_7
.LBB148_6:
	s_mov_b64 s[6:7], -1
                                        ; implicit-def: $sgpr41
.LBB148_7:
	s_load_dwordx2 s[24:25], s[0:1], 0x28
	s_ashr_i32 s15, s11, 31
	s_andn2_b64 vcc, exec, s[6:7]
	s_ashr_i32 s19, s19, 31
	s_cbranch_vccnz .LBB148_9
; %bb.8:
	s_mul_i32 s6, s5, s16
	s_add_i32 s2, s6, s2
	s_mul_i32 s2, s2, s8
	s_add_i32 s41, s2, 1
.LBB148_9:
	s_load_dword s2, s[0:1], 0x38
	s_load_dwordx2 s[22:23], s[0:1], 0x0
	s_load_dwordx2 s[28:29], s[0:1], 0x18
	s_load_dword s11, s[0:1], 0x88
	s_xor_b32 s6, s15, s19
	s_waitcnt lgkmcnt(0)
	s_mul_i32 s26, s2, s10
	s_mul_i32 s2, s12, s21
	s_sub_i32 s2, s9, s2
	s_ashr_i32 s27, s26, 31
	s_add_i32 s7, s12, 1
	s_sub_i32 s8, s2, s21
	s_cmp_ge_u32 s2, s21
	s_cselect_b32 s7, s7, s12
	s_cselect_b32 s2, s8, s2
	s_add_i32 s8, s7, 1
	s_cmp_ge_u32 s2, s21
	s_cselect_b32 s2, s8, s7
	s_xor_b32 s2, s2, s6
	s_sub_i32 s12, s2, s6
	s_add_i32 s2, s33, 31
	s_ashr_i32 s6, s2, 31
	s_lshr_b32 s6, s6, 27
	s_add_i32 s2, s2, s6
	s_ashr_i32 s16, s2, 5
	v_lshrrev_b32_e32 v1, 6, v0
	v_cmp_gt_i32_e64 s[6:7], s16, v1
	v_mov_b32_e32 v62, 0xff7fffff
	s_mul_i32 s14, s3, s14
	v_lshrrev_b32_e32 v58, 4, v0
	v_lshlrev_b32_e32 v56, 5, v1
	v_mbcnt_lo_u32_b32 v59, -1, 0
	s_and_saveexec_b64 s[34:35], s[6:7]
	s_cbranch_execz .LBB148_21
; %bb.10:
	s_load_dwordx2 s[0:1], s[0:1], 0x10
	s_ashr_i32 s15, s14, 31
	s_sub_i32 s30, s12, s17
	s_lshl_b64 s[2:3], s[14:15], 1
	v_bfe_u32 v60, v0, 1, 5
	s_waitcnt lgkmcnt(0)
	s_add_u32 s0, s0, s2
	s_addc_u32 s1, s1, s3
	s_abs_i32 s15, s18
	v_cvt_f32_u32_e32 v3, s15
	v_lshlrev_b32_e32 v4, 4, v60
	v_mov_b32_e32 v5, 0
	v_lshl_add_u64 v[6:7], s[0:1], 0, v[4:5]
	v_rcp_iflag_f32_e32 v3, v3
	s_sub_i32 s0, 0, s15
	v_cmp_eq_u32_e32 vcc, 0, v2
	v_mul_u32_u24_e32 v61, 0x70, v2
	v_mul_f32_e32 v3, 0x4f7ffffe, v3
	v_cvt_u32_f32_e32 v3, v3
	v_and_b32_e32 v4, 8, v57
	v_mbcnt_hi_u32_b32 v68, -1, v59
	v_lshl_add_u64 v[30:31], v[6:7], 0, v[4:5]
	v_mul_lo_u32 v2, s0, v3
	v_mul_hi_u32 v2, v3, v2
	v_add_u32_e32 v63, v3, v2
	v_subrev_u32_e32 v2, s33, v60
	s_lshl_b64 s[0:1], s[26:27], 2
	v_add_u32_e32 v65, 1, v2
	v_lshlrev_b32_e32 v2, 2, v60
	s_add_u32 s0, s24, s0
	v_lshl_or_b32 v2, v1, 7, v2
	v_and_b32_e32 v4, 60, v58
	s_addc_u32 s1, s25, s1
	v_add_u32_e32 v66, 0xf0, v2
	v_and_b32_e32 v2, 64, v68
	s_mov_b32 s43, s13
	v_cmp_neq_f32_e64 s[2:3], s42, 0
	v_lshl_add_u64 v[32:33], s[0:1], 0, v[4:5]
	v_lshlrev_b32_e32 v64, 5, v1
	v_mov_b32_e32 v67, 0xff7fffff
	s_mov_b64 s[36:37], 0
	s_movk_i32 s44, 0x1000
	v_xor_b32_e32 v69, 1, v68
	v_add_u32_e32 v70, 64, v2
	v_mov_b32_e32 v62, 0xff7fffff
	v_mov_b32_e32 v71, v1
	s_branch .LBB148_13
.LBB148_11:                             ;   in Loop: Header=BB148_13 Depth=1
	s_or_b64 exec, exec, s[38:39]
.LBB148_12:                             ;   in Loop: Header=BB148_13 Depth=1
	s_or_b64 exec, exec, s[8:9]
	v_add_u32_e32 v71, 2, v71
	v_cmp_le_i32_e64 s[0:1], s16, v71
	v_lshl_add_u64 v[32:33], v[32:33], 0, 8
	v_add_u32_e32 v64, 64, v64
	s_or_b64 s[36:37], s[0:1], s[36:37]
	v_add_u32_e32 v66, 0x100, v66
	s_andn2_b64 exec, exec, s[36:37]
	s_cbranch_execz .LBB148_20
.LBB148_13:                             ; =>This Inner Loop Header: Depth=1
	v_mul_hi_u32 v2, v64, s40
	s_waitcnt lgkmcnt(0)
	v_mul_lo_u32 v3, v2, s21
	v_sub_u32_e32 v3, v64, v3
	v_add_u32_e32 v4, 1, v2
	v_cmp_le_u32_e64 s[0:1], s21, v3
	s_nop 1
	v_cndmask_b32_e64 v2, v2, v4, s[0:1]
	v_subrev_u32_e32 v4, s21, v3
	v_cndmask_b32_e64 v3, v3, v4, s[0:1]
	v_add_u32_e32 v4, 1, v2
	v_cmp_le_u32_e64 s[0:1], s21, v3
	s_nop 1
	v_cndmask_b32_e64 v2, v2, v4, s[0:1]
	v_xor_b32_e32 v2, s19, v2
	v_subrev_u32_e32 v2, s19, v2
	v_add_u32_e32 v3, s41, v2
	v_sub_u32_e32 v5, 0, v3
	v_ashrrev_i32_e32 v4, 31, v3
	v_max_i32_e32 v3, v3, v5
	v_mul_hi_u32 v5, v3, v63
	v_mul_lo_u32 v5, v5, s15
	v_sub_u32_e32 v3, v3, v5
	v_subrev_u32_e32 v5, s15, v3
	v_cmp_le_u32_e64 s[0:1], s15, v3
	v_cmp_ge_i32_e64 s[8:9], s30, v2
	s_nop 0
	v_cndmask_b32_e64 v3, v3, v5, s[0:1]
	v_subrev_u32_e32 v5, s15, v3
	v_cmp_le_u32_e64 s[0:1], s15, v3
	s_nop 1
	v_cndmask_b32_e64 v3, v3, v5, s[0:1]
	v_xor_b32_e32 v3, v3, v4
	v_sub_u32_e32 v3, v3, v4
	v_cmp_ne_u32_e64 s[0:1], 0, v3
	s_and_b64 s[0:1], s[0:1], s[8:9]
	s_and_saveexec_b64 s[8:9], s[0:1]
	s_xor_b64 s[0:1], exec, s[8:9]
	s_cbranch_execz .LBB148_17
; %bb.14:                               ;   in Loop: Header=BB148_13 Depth=1
	s_and_saveexec_b64 s[8:9], vcc
; %bb.15:                               ;   in Loop: Header=BB148_13 Depth=1
	ds_write_b32 v66, v67
; %bb.16:                               ;   in Loop: Header=BB148_13 Depth=1
	s_or_b64 exec, exec, s[8:9]
.LBB148_17:                             ;   in Loop: Header=BB148_13 Depth=1
	s_andn2_saveexec_b64 s[8:9], s[0:1]
	s_cbranch_execz .LBB148_12
; %bb.18:                               ;   in Loop: Header=BB148_13 Depth=1
	global_load_dword v2, v[32:33], off
	s_waitcnt vmcnt(0)
	v_mad_i64_i32 v[2:3], s[0:1], v2, s43, 0
	v_lshl_add_u64 v[38:39], v[2:3], 1, v[30:31]
	global_load_dwordx2 v[34:35], v[38:39], off offset:512
	global_load_dwordx2 v[36:37], v[38:39], off offset:1024
	;; [unrolled: 1-line block ×3, first 2 shown]
	global_load_dwordx2 v[42:43], v[38:39], off
	ds_read_b128 v[26:29], v61
	ds_read_b128 v[22:25], v61 offset:16
	ds_read_b128 v[18:21], v61 offset:32
	;; [unrolled: 1-line block ×6, first 2 shown]
	global_load_dwordx2 v[46:47], v[38:39], off offset:2048
	global_load_dwordx2 v[48:49], v[38:39], off offset:2560
	;; [unrolled: 1-line block ×4, first 2 shown]
	v_cmp_lt_i32_e64 s[0:1], v69, v70
	s_waitcnt lgkmcnt(6)
	v_lshlrev_b32_e32 v73, 16, v26
	v_lshlrev_b32_e32 v74, 16, v27
	v_cndmask_b32_e64 v44, v68, v69, s[0:1]
	v_add_co_u32_e64 v54, s[0:1], s44, v38
	v_lshlrev_b32_e32 v72, 2, v44
	s_nop 0
	v_addc_co_u32_e64 v55, s[0:1], 0, v39, s[0:1]
	global_load_dwordx2 v[38:39], v[54:55], off
	global_load_dwordx2 v[44:45], v[54:55], off offset:512
	v_and_b32_e32 v97, 0xffff0000, v26
	v_and_b32_e32 v98, 0xffff0000, v27
	global_load_dwordx2 v[26:27], v[54:55], off offset:1024
	v_lshlrev_b32_e32 v75, 16, v28
	s_waitcnt lgkmcnt(5)
	v_lshlrev_b32_e32 v77, 16, v22
	v_lshlrev_b32_e32 v78, 16, v23
	s_waitcnt lgkmcnt(1)
	v_lshlrev_b32_e32 v93, 16, v6
	v_and_b32_e32 v99, 0xffff0000, v22
	v_and_b32_e32 v100, 0xffff0000, v23
	global_load_dwordx2 v[22:23], v[54:55], off offset:1536
	v_and_b32_e32 v101, 0xffff0000, v6
	v_lshlrev_b32_e32 v94, 16, v7
	v_and_b32_e32 v102, 0xffff0000, v7
	v_and_b32_e32 v28, 0xffff0000, v28
	s_waitcnt lgkmcnt(0)
	v_lshlrev_b32_e32 v105, 16, v2
	v_lshlrev_b32_e32 v107, 16, v3
	;; [unrolled: 1-line block ×3, first 2 shown]
	v_and_b32_e32 v29, 0xffff0000, v29
	v_lshlrev_b32_e32 v79, 16, v24
	v_and_b32_e32 v24, 0xffff0000, v24
	v_lshlrev_b32_e32 v80, 16, v25
	v_lshlrev_b32_e32 v81, 16, v18
	v_and_b32_e32 v18, 0xffff0000, v18
	v_lshlrev_b32_e32 v82, 16, v19
	v_lshlrev_b32_e32 v83, 16, v20
	v_and_b32_e32 v25, 0xffff0000, v25
	v_and_b32_e32 v20, 0xffff0000, v20
	v_lshlrev_b32_e32 v84, 16, v21
	v_lshlrev_b32_e32 v85, 16, v14
	v_and_b32_e32 v19, 0xffff0000, v19
	v_and_b32_e32 v14, 0xffff0000, v14
	v_lshlrev_b32_e32 v86, 16, v15
	v_lshlrev_b32_e32 v87, 16, v16
	v_and_b32_e32 v21, 0xffff0000, v21
	v_and_b32_e32 v16, 0xffff0000, v16
	v_lshlrev_b32_e32 v88, 16, v17
	v_lshlrev_b32_e32 v89, 16, v10
	v_and_b32_e32 v15, 0xffff0000, v15
	v_and_b32_e32 v10, 0xffff0000, v10
	v_lshlrev_b32_e32 v90, 16, v11
	v_lshlrev_b32_e32 v91, 16, v12
	v_and_b32_e32 v17, 0xffff0000, v17
	v_and_b32_e32 v12, 0xffff0000, v12
	v_lshlrev_b32_e32 v92, 16, v13
	v_and_b32_e32 v11, 0xffff0000, v11
	v_lshlrev_b32_e32 v95, 16, v8
	v_and_b32_e32 v13, 0xffff0000, v13
	v_and_b32_e32 v8, 0xffff0000, v8
	v_lshlrev_b32_e32 v96, 16, v9
	v_and_b32_e32 v9, 0xffff0000, v9
	s_waitcnt vmcnt(11)
	v_lshlrev_b32_e32 v6, 16, v34
	v_mul_f32_e32 v75, v75, v6
	v_and_b32_e32 v34, 0xffff0000, v34
	s_waitcnt vmcnt(8)
	v_lshlrev_b32_e32 v7, 16, v42
	v_fmac_f32_e32 v75, v73, v7
	global_load_dwordx2 v[6:7], v[54:55], off offset:2048
	v_and_b32_e32 v42, 0xffff0000, v42
	v_mul_f32_e32 v28, v28, v34
	v_and_b32_e32 v34, 0xffff0000, v2
	v_fmac_f32_e32 v28, v97, v42
	v_and_b32_e32 v97, 0xffff0000, v3
	global_load_dwordx2 v[2:3], v[54:55], off offset:2560
	v_lshlrev_b32_e32 v104, 16, v35
	v_lshlrev_b32_e32 v103, 16, v43
	v_and_b32_e32 v35, 0xffff0000, v35
	v_lshlrev_b32_e32 v106, 16, v36
	v_and_b32_e32 v36, 0xffff0000, v36
	v_mul_f32_e32 v42, v76, v104
	v_and_b32_e32 v43, 0xffff0000, v43
	v_lshlrev_b32_e32 v73, 16, v37
	v_lshlrev_b32_e32 v76, 16, v40
	v_fmac_f32_e32 v42, v74, v103
	v_and_b32_e32 v40, 0xffff0000, v40
	v_mul_f32_e32 v29, v29, v35
	v_fmac_f32_e32 v28, v99, v36
	v_and_b32_e32 v37, 0xffff0000, v37
	v_lshlrev_b32_e32 v74, 16, v41
	v_fmac_f32_e32 v29, v98, v43
	s_waitcnt vmcnt(9)
	v_and_b32_e32 v43, 0xffff0000, v46
	v_fmac_f32_e32 v42, v78, v73
	v_fmac_f32_e32 v28, v24, v40
	v_and_b32_e32 v41, 0xffff0000, v41
	v_lshlrev_b32_e32 v35, 16, v46
	v_lshlrev_b32_e32 v46, 16, v47
	s_waitcnt vmcnt(8)
	v_lshlrev_b32_e32 v54, 16, v48
	v_fmac_f32_e32 v75, v77, v106
	v_and_b32_e32 v48, 0xffff0000, v48
	v_fmac_f32_e32 v29, v100, v37
	v_fmac_f32_e32 v42, v80, v74
	v_fmac_f32_e32 v28, v18, v43
	v_and_b32_e32 v47, 0xffff0000, v47
	v_lshlrev_b32_e32 v55, 16, v49
	s_waitcnt vmcnt(7)
	v_and_b32_e32 v36, 0xffff0000, v50
	v_fmac_f32_e32 v75, v79, v76
	v_fmac_f32_e32 v29, v25, v41
	v_fmac_f32_e32 v42, v82, v46
	v_fmac_f32_e32 v28, v20, v48
	v_and_b32_e32 v49, 0xffff0000, v49
	v_lshlrev_b32_e32 v77, 16, v50
	v_lshlrev_b32_e32 v50, 16, v51
	s_waitcnt vmcnt(6)
	v_lshlrev_b32_e32 v98, 16, v52
	v_and_b32_e32 v52, 0xffff0000, v52
	v_fmac_f32_e32 v75, v81, v35
	v_fmac_f32_e32 v29, v19, v47
	v_fmac_f32_e32 v42, v84, v55
	v_fmac_f32_e32 v28, v14, v36
	v_and_b32_e32 v51, 0xffff0000, v51
	v_lshlrev_b32_e32 v73, 16, v53
	s_waitcnt vmcnt(5)
	v_and_b32_e32 v37, 0xffff0000, v38
	v_fmac_f32_e32 v75, v83, v54
	v_fmac_f32_e32 v29, v21, v49
	v_fmac_f32_e32 v42, v86, v50
	v_fmac_f32_e32 v28, v16, v52
	v_and_b32_e32 v53, 0xffff0000, v53
	v_lshlrev_b32_e32 v78, 16, v38
	v_lshlrev_b32_e32 v38, 16, v39
	s_waitcnt vmcnt(4)
	v_lshlrev_b32_e32 v99, 16, v44
	v_and_b32_e32 v44, 0xffff0000, v44
	v_fmac_f32_e32 v75, v85, v77
	;; [unrolled: 18-line block ×3, first 2 shown]
	v_fmac_f32_e32 v29, v11, v39
	v_fmac_f32_e32 v42, v92, v76
	;; [unrolled: 1-line block ×3, first 2 shown]
	v_and_b32_e32 v27, 0xffff0000, v27
	v_fmac_f32_e32 v75, v91, v99
	v_fmac_f32_e32 v29, v13, v45
	;; [unrolled: 1-line block ×4, first 2 shown]
	v_lshlrev_b32_e32 v8, 16, v23
	v_fmac_f32_e32 v75, v93, v79
	v_fmac_f32_e32 v29, v102, v27
	v_and_b32_e32 v10, 0xffff0000, v23
	v_fmac_f32_e32 v42, v96, v8
	s_waitcnt vmcnt(1)
	v_lshlrev_b32_e32 v8, 16, v6
	v_and_b32_e32 v6, 0xffff0000, v6
	v_fmac_f32_e32 v75, v95, v40
	v_fmac_f32_e32 v29, v9, v10
	;; [unrolled: 1-line block ×3, first 2 shown]
	v_lshlrev_b32_e32 v6, 16, v7
	v_and_b32_e32 v7, 0xffff0000, v7
	v_fmac_f32_e32 v75, v105, v8
	v_fmac_f32_e32 v42, v107, v6
	;; [unrolled: 1-line block ×3, first 2 shown]
	v_lshlrev_b32_e32 v6, 16, v4
	v_and_b32_e32 v4, 0xffff0000, v4
	s_waitcnt vmcnt(0)
	v_lshlrev_b32_e32 v7, 16, v2
	v_and_b32_e32 v2, 0xffff0000, v2
	v_fmac_f32_e32 v75, v7, v6
	v_fmac_f32_e32 v28, v2, v4
	v_lshlrev_b32_e32 v2, 16, v5
	v_and_b32_e32 v4, 0xffff0000, v5
	v_lshlrev_b32_e32 v5, 16, v3
	v_and_b32_e32 v3, 0xffff0000, v3
	v_fmac_f32_e32 v42, v5, v2
	v_add_f32_e32 v2, v75, v28
	v_fmac_f32_e32 v29, v3, v4
	v_add_f32_e32 v2, v2, v42
	v_add_f32_e32 v2, v29, v2
	ds_bpermute_b32 v3, v72, v2
	s_and_saveexec_b64 s[38:39], vcc
	s_cbranch_execz .LBB148_11
; %bb.19:                               ;   in Loop: Header=BB148_13 Depth=1
	v_add_u32_e32 v4, v65, v64
	v_cvt_f32_i32_e32 v4, v4
	s_waitcnt lgkmcnt(0)
	v_add_f32_e32 v2, v2, v3
	v_add_u32_e32 v5, v60, v64
	v_cmp_gt_i32_e64 s[0:1], s33, v5
	v_mul_f32_e32 v3, s42, v4
	v_cndmask_b32_e64 v3, 0, v3, s[2:3]
	v_fmac_f32_e32 v3, s31, v2
	v_cndmask_b32_e64 v2, 0, v3, s[0:1]
	ds_write_b32 v66, v2
	v_max_f32_e32 v2, v62, v62
	v_max_f32_e32 v2, v2, v3
	v_cndmask_b32_e64 v62, v62, v2, s[0:1]
	s_branch .LBB148_11
.LBB148_20:
	s_or_b64 exec, exec, s[36:37]
.LBB148_21:
	s_or_b64 exec, exec, s[34:35]
	v_mbcnt_hi_u32_b32 v2, -1, v59
	v_and_b32_e32 v9, 64, v2
	v_add_u32_e32 v10, 64, v9
	s_waitcnt lgkmcnt(0)
	v_xor_b32_e32 v3, 32, v2
	v_cmp_lt_i32_e32 vcc, v3, v10
	v_xor_b32_e32 v6, 16, v2
	v_max_f32_e32 v5, v62, v62
	v_cndmask_b32_e32 v3, v2, v3, vcc
	v_lshlrev_b32_e32 v3, 2, v3
	ds_bpermute_b32 v4, v3, v62
	v_cmp_lt_i32_e32 vcc, v6, v10
	v_xor_b32_e32 v7, 8, v2
	v_xor_b32_e32 v8, 4, v2
	v_xor_b32_e32 v11, 2, v2
	s_waitcnt lgkmcnt(0)
	v_max_f32_e32 v4, v4, v4
	v_max_f32_e32 v5, v5, v4
	v_cndmask_b32_e32 v4, v2, v6, vcc
	v_lshlrev_b32_e32 v4, 2, v4
	ds_bpermute_b32 v6, v4, v5
	v_cmp_lt_i32_e32 vcc, v7, v10
	v_and_b32_e32 v50, 63, v0
	s_waitcnt lgkmcnt(0)
	v_max_f32_e32 v6, v6, v6
	v_max_f32_e32 v6, v5, v6
	v_cndmask_b32_e32 v5, v2, v7, vcc
	v_lshlrev_b32_e32 v5, 2, v5
	ds_bpermute_b32 v7, v5, v6
	v_cmp_lt_i32_e32 vcc, v8, v10
	s_waitcnt lgkmcnt(0)
	v_max_f32_e32 v7, v7, v7
	v_max_f32_e32 v7, v6, v7
	v_cndmask_b32_e32 v6, v2, v8, vcc
	v_lshlrev_b32_e32 v6, 2, v6
	ds_bpermute_b32 v8, v6, v7
	v_cmp_lt_i32_e32 vcc, v11, v10
	s_waitcnt lgkmcnt(0)
	v_max_f32_e32 v8, v8, v8
	v_max_f32_e32 v8, v7, v8
	v_cndmask_b32_e32 v7, v2, v11, vcc
	v_lshlrev_b32_e32 v51, 2, v7
	ds_bpermute_b32 v11, v51, v8
	v_cmp_eq_u32_e32 vcc, 0, v50
	v_lshlrev_b32_e32 v7, 2, v1
	s_and_saveexec_b64 s[0:1], vcc
	s_cbranch_execz .LBB148_23
; %bb.22:
	s_waitcnt lgkmcnt(0)
	v_max_f32_e32 v11, v11, v11
	v_max_f32_e32 v8, v8, v8
	;; [unrolled: 1-line block ×3, first 2 shown]
	ds_write_b32 v7, v8 offset:224
.LBB148_23:
	s_or_b64 exec, exec, s[0:1]
	v_cmp_gt_u32_e64 s[0:1], 2, v50
	s_waitcnt lgkmcnt(0)
	v_mov_b32_e32 v11, 0xff7fffff
	v_lshlrev_b32_e32 v8, 2, v50
	s_barrier
	s_and_saveexec_b64 s[2:3], s[0:1]
; %bb.24:
	ds_read_b32 v11, v8 offset:224
; %bb.25:
	s_or_b64 exec, exec, s[2:3]
	v_xor_b32_e32 v12, 1, v2
	v_cmp_lt_i32_e64 s[2:3], v12, v10
	v_lshlrev_b32_e32 v9, 2, v9
	s_nop 0
	v_cndmask_b32_e64 v10, v2, v12, s[2:3]
	v_lshlrev_b32_e32 v52, 2, v10
	s_waitcnt lgkmcnt(0)
	ds_bpermute_b32 v10, v52, v11
	v_max_f32_e32 v11, v11, v11
	s_lshl_b32 s2, s16, 5
	s_min_i32 s15, s2, s33
	v_cmp_gt_i32_e64 s[2:3], s15, v0
	s_waitcnt lgkmcnt(0)
	v_max_f32_e32 v10, v10, v10
	v_max_f32_e32 v10, v11, v10
	ds_bpermute_b32 v10, v9, v10
	v_mov_b32_e32 v9, 0
	s_and_saveexec_b64 s[30:31], s[2:3]
	s_cbranch_execz .LBB148_29
; %bb.26:
	v_mov_b32_e32 v9, 0xf0
	v_lshl_add_u32 v11, v0, 2, v9
	v_mov_b32_e32 v9, 0
	s_mov_b64 s[34:35], 0
	v_mov_b32_e32 v12, v0
.LBB148_27:                             ; =>This Inner Loop Header: Depth=1
	ds_read_b32 v13, v11
	v_add_u32_e32 v12, 0x80, v12
	v_cmp_le_i32_e64 s[8:9], s15, v12
	s_or_b64 s[34:35], s[8:9], s[34:35]
	s_waitcnt lgkmcnt(0)
	v_sub_f32_e32 v13, v13, v10
	v_mul_f32_e32 v13, 0x3fb8aa3b, v13
	v_exp_f32_e32 v13, v13
	ds_write_b32 v11, v13
	v_add_f32_e32 v9, v9, v13
	v_add_u32_e32 v11, 0x200, v11
	s_andn2_b64 exec, exec, s[34:35]
	s_cbranch_execnz .LBB148_27
; %bb.28:
	s_or_b64 exec, exec, s[34:35]
.LBB148_29:
	s_or_b64 exec, exec, s[30:31]
	ds_bpermute_b32 v3, v3, v9
	s_waitcnt lgkmcnt(0)
	v_add_f32_e32 v3, v9, v3
	ds_bpermute_b32 v4, v4, v3
	s_waitcnt lgkmcnt(0)
	v_add_f32_e32 v3, v3, v4
	;; [unrolled: 3-line block ×6, first 2 shown]
	s_and_saveexec_b64 s[8:9], vcc
; %bb.30:
	ds_write_b32 v7, v3 offset:232
; %bb.31:
	s_or_b64 exec, exec, s[8:9]
	s_waitcnt lgkmcnt(0)
	s_barrier
	s_and_saveexec_b64 s[8:9], s[0:1]
; %bb.32:
	ds_read_b32 v3, v8 offset:232
; %bb.33:
	s_or_b64 exec, exec, s[8:9]
	s_waitcnt lgkmcnt(0)
	ds_bpermute_b32 v4, v52, v3
	v_lshlrev_b32_e32 v2, 2, v2
	v_and_b32_e32 v2, 0x100, v2
	s_waitcnt lgkmcnt(0)
	v_add_f32_e32 v3, v3, v4
	ds_bpermute_b32 v2, v2, v3
	s_and_saveexec_b64 s[0:1], s[2:3]
	s_cbranch_execz .LBB148_46
; %bb.34:
	s_waitcnt lgkmcnt(0)
	v_add_f32_e32 v2, 0x358637bd, v2
	v_div_scale_f32 v3, s[2:3], v2, v2, 1.0
	v_rcp_f32_e32 v4, v3
	v_div_scale_f32 v5, vcc, 1.0, v2, 1.0
	s_movk_i32 s2, 0x7f
	v_fma_f32 v6, -v3, v4, 1.0
	v_fmac_f32_e32 v4, v6, v4
	v_mul_f32_e32 v6, v5, v4
	v_fma_f32 v7, -v3, v6, v5
	v_fmac_f32_e32 v6, v7, v4
	v_fma_f32 v3, -v3, v6, v5
	v_div_fmas_f32 v3, v3, v4, v6
	v_xad_u32 v4, v0, -1, s15
	v_div_fixup_f32 v2, v3, v2, 1.0
	v_cmp_lt_u32_e32 vcc, s2, v4
	s_mov_b64 s[8:9], -1
	v_mov_b32_e32 v3, v0
	s_and_saveexec_b64 s[2:3], vcc
	s_cbranch_execz .LBB148_43
; %bb.35:
	v_lshrrev_b32_e32 v4, 7, v4
	v_add_u32_e32 v6, -1, v4
	v_lshrrev_b32_e32 v5, 1, v6
	v_mov_b32_e32 v3, v2
	v_add_u32_e32 v5, 1, v5
	v_cmp_lt_u32_e32 vcc, 13, v6
	v_mov_b32_e32 v8, 0
	s_and_saveexec_b64 s[8:9], vcc
	s_cbranch_execz .LBB148_39
; %bb.36:
	v_mov_b32_e32 v7, 0xf0
	v_and_b32_e32 v6, -8, v5
	v_lshl_add_u32 v7, v0, 2, v7
	s_mov_b32 s34, 0
	s_mov_b64 s[30:31], 0
.LBB148_37:                             ; =>This Inner Loop Header: Depth=1
	ds_read2st64_b32 v[8:9], v7 offset1:2
	ds_read2st64_b32 v[10:11], v7 offset0:4 offset1:6
	ds_read2st64_b32 v[12:13], v7 offset0:8 offset1:10
	;; [unrolled: 1-line block ×3, first 2 shown]
	v_add_u32_e32 v6, -8, v6
	s_waitcnt lgkmcnt(3)
	v_pk_mul_f32 v[8:9], v[2:3], v[8:9]
	s_waitcnt lgkmcnt(2)
	v_pk_mul_f32 v[10:11], v[2:3], v[10:11]
	ds_write2st64_b32 v7, v8, v9 offset1:2
	ds_write2st64_b32 v7, v10, v11 offset0:4 offset1:6
	ds_read2st64_b32 v[10:11], v7 offset0:16 offset1:18
	s_waitcnt lgkmcnt(4)
	v_pk_mul_f32 v[8:9], v[2:3], v[12:13]
	ds_write2st64_b32 v7, v8, v9 offset0:8 offset1:10
	s_waitcnt lgkmcnt(4)
	v_pk_mul_f32 v[8:9], v[2:3], v[14:15]
	ds_write2st64_b32 v7, v8, v9 offset0:12 offset1:14
	ds_read2st64_b32 v[8:9], v7 offset0:20 offset1:22
	s_waitcnt lgkmcnt(3)
	v_pk_mul_f32 v[10:11], v[2:3], v[10:11]
	ds_read2st64_b32 v[12:13], v7 offset0:24 offset1:26
	ds_write2st64_b32 v7, v10, v11 offset0:16 offset1:18
	ds_read2st64_b32 v[10:11], v7 offset0:28 offset1:30
	s_waitcnt lgkmcnt(3)
	v_pk_mul_f32 v[8:9], v[2:3], v[8:9]
	ds_write2st64_b32 v7, v8, v9 offset0:20 offset1:22
	s_waitcnt lgkmcnt(3)
	v_pk_mul_f32 v[8:9], v[2:3], v[12:13]
	ds_write2st64_b32 v7, v8, v9 offset0:24 offset1:26
	s_waitcnt lgkmcnt(2)
	v_pk_mul_f32 v[8:9], v[2:3], v[10:11]
	s_add_i32 s34, s34, 16
	v_cmp_eq_u32_e32 vcc, 0, v6
	ds_write2st64_b32 v7, v8, v9 offset0:28 offset1:30
	v_add_u32_e32 v7, 0x2000, v7
	s_or_b64 s[30:31], vcc, s[30:31]
	v_mov_b32_e32 v8, s34
	s_andn2_b64 exec, exec, s[30:31]
	s_cbranch_execnz .LBB148_37
; %bb.38:
	s_or_b64 exec, exec, s[30:31]
.LBB148_39:
	s_or_b64 exec, exec, s[8:9]
	v_and_b32_e32 v5, 7, v5
	v_cmp_ne_u32_e32 vcc, 0, v5
	s_and_saveexec_b64 s[8:9], vcc
	s_cbranch_execz .LBB148_42
; %bb.40:
	v_lshlrev_b32_e32 v6, 9, v8
	v_lshlrev_b32_e32 v7, 2, v0
	s_movk_i32 s30, 0xf0
	v_add3_u32 v6, v6, v7, s30
	s_mov_b64 s[30:31], 0
.LBB148_41:                             ; =>This Inner Loop Header: Depth=1
	ds_read2st64_b32 v[8:9], v6 offset1:2
	v_add_u32_e32 v5, -1, v5
	v_cmp_eq_u32_e32 vcc, 0, v5
	s_or_b64 s[30:31], vcc, s[30:31]
	s_waitcnt lgkmcnt(0)
	v_pk_mul_f32 v[8:9], v[2:3], v[8:9]
	ds_write2st64_b32 v6, v8, v9 offset1:2
	v_add_u32_e32 v6, 0x400, v6
	s_andn2_b64 exec, exec, s[30:31]
	s_cbranch_execnz .LBB148_41
.LBB148_42:
	s_or_b64 exec, exec, s[8:9]
	v_add_u32_e32 v4, 1, v4
	v_and_b32_e32 v5, 0x3fffffe, v4
	v_cmp_ne_u32_e32 vcc, v4, v5
	v_lshl_add_u32 v3, v5, 7, v0
	s_orn2_b64 s[8:9], vcc, exec
.LBB148_43:
	s_or_b64 exec, exec, s[2:3]
	s_and_b64 exec, exec, s[8:9]
	s_cbranch_execz .LBB148_46
; %bb.44:
	v_mov_b32_e32 v4, 0xf0
	v_lshl_add_u32 v4, v3, 2, v4
	s_mov_b64 s[2:3], 0
.LBB148_45:                             ; =>This Inner Loop Header: Depth=1
	ds_read_b32 v5, v4
	v_add_u32_e32 v3, 0x80, v3
	v_cmp_le_i32_e32 vcc, s15, v3
	s_or_b64 s[2:3], vcc, s[2:3]
	s_waitcnt lgkmcnt(0)
	v_mul_f32_e32 v5, v2, v5
	ds_write_b32 v4, v5
	v_add_u32_e32 v4, 0x200, v4
	s_andn2_b64 exec, exec, s[2:3]
	s_cbranch_execnz .LBB148_45
.LBB148_46:
	s_or_b64 exec, exec, s[0:1]
	v_mov_b32_e32 v39, 0
	v_and_b32_e32 v53, 3, v0
	v_mov_b32_e32 v38, 0
	v_mov_b32_e32 v41, 0
	;; [unrolled: 1-line block ×6, first 2 shown]
	s_waitcnt lgkmcnt(0)
	s_barrier
	s_and_saveexec_b64 s[8:9], s[6:7]
	s_cbranch_execz .LBB148_66
; %bb.47:
	s_ashr_i32 s15, s14, 31
	s_sub_i32 s17, s12, s17
	s_lshl_b64 s[0:1], s[14:15], 1
	s_add_u32 s0, s28, s0
	s_addc_u32 s1, s29, s1
	s_abs_i32 s18, s18
	v_cvt_f32_u32_e32 v2, s18
	v_lshlrev_b32_e32 v3, 4, v0
	v_and_b32_e32 v44, 0x3f0, v3
	v_mov_b32_e32 v45, 0
	v_rcp_iflag_f32_e32 v2, v2
	v_lshl_add_u64 v[46:47], s[0:1], 0, v[44:45]
	s_sub_i32 s0, 0, s18
	s_add_i32 s29, s16, -1
	v_mul_f32_e32 v2, 0x4f7ffffe, v2
	v_cvt_u32_f32_e32 v2, v2
	v_and_b32_e32 v44, 60, v58
	v_and_b32_e32 v54, 24, v57
	s_mov_b32 s28, s13
	v_mul_lo_u32 v3, s0, v2
	v_mul_hi_u32 v3, v2, v3
	s_lshl_b64 s[0:1], s[26:27], 2
	v_add_u32_e32 v55, v2, v3
	s_add_u32 s0, s24, s0
	v_lshlrev_b32_e32 v2, 5, v53
	s_addc_u32 s1, s25, s1
	v_lshl_or_b32 v2, v1, 7, v2
	s_mov_b32 s30, s33
	v_lshl_add_u64 v[48:49], s[0:1], 0, v[44:45]
	v_add_u32_e32 v57, 0xf0, v2
	s_mov_b64 s[6:7], 0
	s_mov_b32 s24, 0x5040100
	v_mov_b32_e32 v44, 0
	v_mov_b32_e32 v42, 0
	;; [unrolled: 1-line block ×7, first 2 shown]
	s_branch .LBB148_50
.LBB148_48:                             ;   in Loop: Header=BB148_50 Depth=1
	s_or_b64 exec, exec, s[2:3]
	s_waitcnt lgkmcnt(1)
	v_cvt_pk_bf16_f32 v18, v18, s0
	v_cvt_pk_bf16_f32 v19, v19, s0
	;; [unrolled: 1-line block ×4, first 2 shown]
	s_waitcnt vmcnt(1)
	v_and_b32_e32 v58, 0xffff0000, v34
	v_lshlrev_b32_e32 v19, 16, v19
	v_lshlrev_b32_e32 v34, 16, v34
	;; [unrolled: 1-line block ×3, first 2 shown]
	v_mul_f32_e32 v58, v19, v58
	v_mul_f32_e32 v34, v18, v34
	v_and_b32_e32 v59, 0xffff0000, v35
	v_lshlrev_b32_e32 v21, 16, v21
	v_lshlrev_b32_e32 v35, 16, v35
	;; [unrolled: 1-line block ×3, first 2 shown]
	s_waitcnt lgkmcnt(0)
	v_cvt_pk_bf16_f32 v14, v14, s0
	v_cvt_pk_bf16_f32 v15, v15, s0
	;; [unrolled: 1-line block ×4, first 2 shown]
	v_mul_f32_e32 v59, v21, v59
	v_mul_f32_e32 v35, v20, v35
	v_cvt_pk_bf16_f32 v59, v59, s0
	v_cvt_pk_bf16_f32 v35, v35, s0
	v_and_b32_e32 v60, 0xffff0000, v36
	v_lshlrev_b32_e32 v15, 16, v15
	v_lshlrev_b32_e32 v36, 16, v36
	;; [unrolled: 1-line block ×5, first 2 shown]
	v_cvt_pk_bf16_f32 v16, v16, s0
	v_cvt_pk_bf16_f32 v17, v17, s0
	v_mul_f32_e32 v60, v15, v60
	v_mul_f32_e32 v36, v14, v36
	v_add_f32_e32 v34, v34, v58
	v_lshlrev_b32_e32 v35, 16, v35
	v_lshlrev_b32_e32 v58, 16, v59
	v_cvt_pk_bf16_f32 v60, v60, s0
	v_cvt_pk_bf16_f32 v36, v36, s0
	v_and_b32_e32 v61, 0xffff0000, v37
	v_lshlrev_b32_e32 v17, 16, v17
	v_lshlrev_b32_e32 v37, 16, v37
	;; [unrolled: 1-line block ×3, first 2 shown]
	v_add_f32_e32 v35, v35, v58
	v_mul_f32_e32 v61, v17, v61
	v_mul_f32_e32 v37, v16, v37
	v_add_f32_e32 v34, v35, v34
	v_lshlrev_b32_e32 v35, 16, v36
	v_lshlrev_b32_e32 v36, 16, v60
	v_cvt_pk_bf16_f32 v61, v61, s0
	v_cvt_pk_bf16_f32 v37, v37, s0
	v_add_f32_e32 v35, v35, v36
	v_add_f32_e32 v34, v35, v34
	v_lshlrev_b32_e32 v35, 16, v37
	v_lshlrev_b32_e32 v36, 16, v61
	v_add_f32_e32 v35, v35, v36
	v_add_f32_e32 v34, v35, v34
	v_add_f32_e32 v39, v39, v34
	v_and_b32_e32 v34, 0xffff0000, v30
	v_lshlrev_b32_e32 v30, 16, v30
	v_mul_f32_e32 v34, v19, v34
	v_mul_f32_e32 v30, v18, v30
	v_and_b32_e32 v35, 0xffff0000, v31
	v_lshlrev_b32_e32 v31, 16, v31
	v_cvt_pk_bf16_f32 v34, v34, s0
	v_cvt_pk_bf16_f32 v30, v30, s0
	v_mul_f32_e32 v35, v21, v35
	v_mul_f32_e32 v31, v20, v31
	v_cvt_pk_bf16_f32 v35, v35, s0
	v_cvt_pk_bf16_f32 v31, v31, s0
	v_and_b32_e32 v36, 0xffff0000, v32
	v_lshlrev_b32_e32 v32, 16, v32
	v_lshlrev_b32_e32 v30, 16, v30
	v_lshlrev_b32_e32 v34, 16, v34
	v_mul_f32_e32 v36, v15, v36
	v_mul_f32_e32 v32, v14, v32
	v_add_f32_e32 v30, v30, v34
	v_lshlrev_b32_e32 v31, 16, v31
	v_lshlrev_b32_e32 v34, 16, v35
	v_cvt_pk_bf16_f32 v36, v36, s0
	v_cvt_pk_bf16_f32 v32, v32, s0
	v_and_b32_e32 v37, 0xffff0000, v33
	v_lshlrev_b32_e32 v33, 16, v33
	v_add_f32_e32 v31, v31, v34
	v_mul_f32_e32 v37, v17, v37
	v_mul_f32_e32 v33, v16, v33
	v_add_f32_e32 v30, v31, v30
	v_lshlrev_b32_e32 v31, 16, v32
	v_lshlrev_b32_e32 v32, 16, v36
	v_cvt_pk_bf16_f32 v37, v37, s0
	v_cvt_pk_bf16_f32 v33, v33, s0
	v_add_f32_e32 v31, v31, v32
	v_add_f32_e32 v30, v31, v30
	v_lshlrev_b32_e32 v31, 16, v33
	v_lshlrev_b32_e32 v32, 16, v37
	v_add_f32_e32 v31, v31, v32
	v_add_f32_e32 v30, v31, v30
	v_add_f32_e32 v38, v38, v30
	v_and_b32_e32 v30, 0xffff0000, v22
	v_lshlrev_b32_e32 v22, 16, v22
	v_mul_f32_e32 v30, v19, v30
	v_mul_f32_e32 v22, v18, v22
	v_and_b32_e32 v31, 0xffff0000, v23
	v_lshlrev_b32_e32 v23, 16, v23
	v_cvt_pk_bf16_f32 v30, v30, s0
	v_cvt_pk_bf16_f32 v22, v22, s0
	v_mul_f32_e32 v31, v21, v31
	v_mul_f32_e32 v23, v20, v23
	v_cvt_pk_bf16_f32 v31, v31, s0
	v_cvt_pk_bf16_f32 v23, v23, s0
	v_and_b32_e32 v32, 0xffff0000, v24
	v_lshlrev_b32_e32 v24, 16, v24
	v_lshlrev_b32_e32 v22, 16, v22
	v_lshlrev_b32_e32 v30, 16, v30
	v_mul_f32_e32 v32, v15, v32
	v_mul_f32_e32 v24, v14, v24
	v_add_f32_e32 v22, v22, v30
	v_lshlrev_b32_e32 v23, 16, v23
	v_lshlrev_b32_e32 v30, 16, v31
	v_cvt_pk_bf16_f32 v32, v32, s0
	v_cvt_pk_bf16_f32 v24, v24, s0
	v_and_b32_e32 v33, 0xffff0000, v25
	v_lshlrev_b32_e32 v25, 16, v25
	;; [unrolled: 40-line block ×5, first 2 shown]
	v_add_f32_e32 v3, v3, v6
	v_mul_f32_e32 v9, v17, v9
	v_mul_f32_e32 v5, v16, v5
	v_add_f32_e32 v2, v3, v2
	v_lshlrev_b32_e32 v3, 16, v4
	v_lshlrev_b32_e32 v4, 16, v8
	v_cvt_pk_bf16_f32 v9, v9, s0
	v_cvt_pk_bf16_f32 v5, v5, s0
	v_add_f32_e32 v3, v3, v4
	v_add_f32_e32 v2, v3, v2
	v_lshlrev_b32_e32 v3, 16, v5
	v_lshlrev_b32_e32 v4, 16, v9
	v_add_f32_e32 v3, v3, v4
	v_add_f32_e32 v2, v3, v2
	;; [unrolled: 1-line block ×3, first 2 shown]
	s_waitcnt vmcnt(0)
	v_and_b32_e32 v2, 0xffff0000, v26
	v_lshlrev_b32_e32 v3, 16, v26
	v_and_b32_e32 v4, 0xffff0000, v27
	v_lshlrev_b32_e32 v5, 16, v27
	v_mul_f32_e32 v2, v19, v2
	v_mul_f32_e32 v3, v18, v3
	;; [unrolled: 1-line block ×4, first 2 shown]
	v_and_b32_e32 v6, 0xffff0000, v28
	v_lshlrev_b32_e32 v7, 16, v28
	v_cvt_pk_bf16_f32 v2, v2, s0
	v_cvt_pk_bf16_f32 v3, v3, s0
	;; [unrolled: 1-line block ×4, first 2 shown]
	v_mul_f32_e32 v6, v15, v6
	v_mul_f32_e32 v7, v14, v7
	v_and_b32_e32 v8, 0xffff0000, v29
	v_lshlrev_b32_e32 v9, 16, v29
	v_cvt_pk_bf16_f32 v6, v6, s0
	v_cvt_pk_bf16_f32 v7, v7, s0
	v_mul_f32_e32 v8, v17, v8
	v_mul_f32_e32 v9, v16, v9
	v_lshlrev_b32_e32 v3, 16, v3
	v_lshlrev_b32_e32 v2, 16, v2
	;; [unrolled: 1-line block ×4, first 2 shown]
	v_cvt_pk_bf16_f32 v8, v8, s0
	v_cvt_pk_bf16_f32 v9, v9, s0
	v_lshlrev_b32_e32 v7, 16, v7
	v_lshlrev_b32_e32 v6, 16, v6
	v_add_f32_e32 v2, v2, v3
	v_add_f32_e32 v3, v4, v5
	v_lshlrev_b32_e32 v9, 16, v9
	v_lshlrev_b32_e32 v8, 16, v8
	v_add_f32_e32 v2, v3, v2
	v_add_f32_e32 v3, v6, v7
	;; [unrolled: 1-line block ×6, first 2 shown]
.LBB148_49:                             ;   in Loop: Header=BB148_50 Depth=1
	s_or_b64 exec, exec, s[12:13]
	v_add_u32_e32 v1, 2, v1
	v_cmp_le_i32_e32 vcc, s16, v1
	v_lshl_add_u64 v[48:49], v[48:49], 0, 8
	v_add_u32_e32 v56, 64, v56
	s_or_b64 s[6:7], vcc, s[6:7]
	v_add_u32_e32 v57, 0x100, v57
	s_andn2_b64 exec, exec, s[6:7]
	s_cbranch_execz .LBB148_65
.LBB148_50:                             ; =>This Inner Loop Header: Depth=1
	v_mul_hi_u32 v2, v56, s40
	v_mul_lo_u32 v3, v2, s21
	v_sub_u32_e32 v3, v56, v3
	v_add_u32_e32 v4, 1, v2
	v_cmp_le_u32_e32 vcc, s21, v3
	s_nop 1
	v_cndmask_b32_e32 v2, v2, v4, vcc
	v_subrev_u32_e32 v4, s21, v3
	v_cndmask_b32_e32 v3, v3, v4, vcc
	v_add_u32_e32 v4, 1, v2
	v_cmp_le_u32_e32 vcc, s21, v3
	s_nop 1
	v_cndmask_b32_e32 v2, v2, v4, vcc
	v_xor_b32_e32 v2, s19, v2
	v_subrev_u32_e32 v2, s19, v2
	v_add_u32_e32 v3, s41, v2
	v_sub_u32_e32 v5, 0, v3
	v_ashrrev_i32_e32 v4, 31, v3
	v_max_i32_e32 v3, v3, v5
	v_mul_hi_u32 v5, v3, v55
	v_mul_lo_u32 v5, v5, s18
	v_sub_u32_e32 v3, v3, v5
	v_subrev_u32_e32 v5, s18, v3
	v_cmp_le_u32_e32 vcc, s18, v3
	v_cmp_lt_i32_e64 s[0:1], s17, v2
	s_nop 0
	v_cndmask_b32_e32 v3, v3, v5, vcc
	v_subrev_u32_e32 v5, s18, v3
	v_cmp_le_u32_e32 vcc, s18, v3
	s_nop 1
	v_cndmask_b32_e32 v3, v3, v5, vcc
	v_xor_b32_e32 v3, v3, v4
	v_sub_u32_e32 v3, v3, v4
	v_cmp_eq_u32_e32 vcc, 0, v3
	s_or_b64 s[0:1], vcc, s[0:1]
	s_and_saveexec_b64 s[12:13], s[0:1]
	s_cbranch_execz .LBB148_49
; %bb.51:                               ;   in Loop: Header=BB148_50 Depth=1
	global_load_dword v2, v[48:49], off
	v_add_u32_e32 v60, v54, v56
	v_add_u32_e32 v65, 1, v60
	v_or_b32_e32 v63, 3, v60
	v_or_b32_e32 v64, 2, v60
	;; [unrolled: 1-line block ×6, first 2 shown]
	s_waitcnt vmcnt(0)
	v_mad_i64_i32 v[2:3], s[0:1], v2, s28, 0
	v_lshl_add_u64 v[26:27], v[2:3], 1, v[46:47]
	global_load_dwordx4 v[2:5], v[26:27], off
	ds_read2_b64 v[18:21], v57 offset1:1
	ds_read2_b64 v[14:17], v57 offset0:2 offset1:3
	v_cmp_eq_u32_e64 s[0:1], s29, v1
	s_and_saveexec_b64 s[14:15], s[0:1]
	s_cbranch_execnz .LBB148_62
; %bb.52:                               ;   in Loop: Header=BB148_50 Depth=1
	s_or_b64 exec, exec, s[14:15]
	global_load_dwordx4 v[6:9], v[26:27], off offset:1024
	s_and_saveexec_b64 s[14:15], s[0:1]
	s_cbranch_execnz .LBB148_63
.LBB148_53:                             ;   in Loop: Header=BB148_50 Depth=1
	s_or_b64 exec, exec, s[14:15]
	global_load_dwordx4 v[10:13], v[26:27], off offset:2048
	s_and_saveexec_b64 s[14:15], s[0:1]
	s_cbranch_execnz .LBB148_64
.LBB148_54:                             ;   in Loop: Header=BB148_50 Depth=1
	s_or_b64 exec, exec, s[14:15]
	global_load_dwordx4 v[22:25], v[26:27], off offset:3072
	s_and_saveexec_b64 s[14:15], s[0:1]
	s_cbranch_execz .LBB148_56
.LBB148_55:                             ;   in Loop: Header=BB148_50 Depth=1
	v_cmp_gt_i32_e32 vcc, s30, v65
	v_cmp_gt_i32_e64 s[2:3], s33, v64
	s_waitcnt vmcnt(0)
	v_cndmask_b32_sdwa v28, v45, v22, vcc dst_sel:DWORD dst_unused:UNUSED_PAD src0_sel:DWORD src1_sel:WORD_1
	v_cmp_gt_i32_e32 vcc, s33, v60
	s_nop 1
	v_cndmask_b32_e32 v22, 0, v22, vcc
	v_cmp_gt_i32_e32 vcc, s30, v63
	v_perm_b32 v22, v28, v22, s24
	v_cndmask_b32_e64 v28, 0, v23, s[2:3]
	v_cndmask_b32_sdwa v23, v45, v23, vcc dst_sel:DWORD dst_unused:UNUSED_PAD src0_sel:DWORD src1_sel:WORD_1
	v_cmp_gt_i32_e32 vcc, s30, v61
	v_cmp_gt_i32_e64 s[2:3], s33, v62
	v_perm_b32 v23, v23, v28, s24
	s_nop 0
	v_cndmask_b32_e64 v28, 0, v24, s[2:3]
	v_cndmask_b32_sdwa v24, v45, v24, vcc dst_sel:DWORD dst_unused:UNUSED_PAD src0_sel:DWORD src1_sel:WORD_1
	v_cmp_gt_i32_e32 vcc, s30, v58
	v_cmp_gt_i32_e64 s[2:3], s33, v59
	v_perm_b32 v24, v24, v28, s24
	s_nop 0
	v_cndmask_b32_e64 v28, 0, v25, s[2:3]
	v_cndmask_b32_sdwa v25, v45, v25, vcc dst_sel:DWORD dst_unused:UNUSED_PAD src0_sel:DWORD src1_sel:WORD_1
	v_perm_b32 v25, v25, v28, s24
.LBB148_56:                             ;   in Loop: Header=BB148_50 Depth=1
	s_or_b64 exec, exec, s[14:15]
	v_add_co_u32_e32 v28, vcc, 0x1000, v26
	s_nop 1
	v_addc_co_u32_e32 v29, vcc, 0, v27, vcc
	global_load_dwordx4 v[30:33], v[28:29], off
	s_and_saveexec_b64 s[14:15], s[0:1]
	s_cbranch_execz .LBB148_58
; %bb.57:                               ;   in Loop: Header=BB148_50 Depth=1
	v_cmp_gt_i32_e32 vcc, s30, v65
	v_cmp_gt_i32_e64 s[2:3], s33, v64
	s_waitcnt vmcnt(0)
	v_cndmask_b32_sdwa v28, v45, v30, vcc dst_sel:DWORD dst_unused:UNUSED_PAD src0_sel:DWORD src1_sel:WORD_1
	v_cmp_gt_i32_e32 vcc, s33, v60
	s_nop 1
	v_cndmask_b32_e32 v29, 0, v30, vcc
	v_cmp_gt_i32_e32 vcc, s30, v63
	v_perm_b32 v30, v28, v29, s24
	v_cndmask_b32_e64 v28, 0, v31, s[2:3]
	v_cndmask_b32_sdwa v29, v45, v31, vcc dst_sel:DWORD dst_unused:UNUSED_PAD src0_sel:DWORD src1_sel:WORD_1
	v_cmp_gt_i32_e32 vcc, s30, v61
	v_cmp_gt_i32_e64 s[2:3], s33, v62
	v_perm_b32 v31, v29, v28, s24
	v_cndmask_b32_sdwa v29, v45, v32, vcc dst_sel:DWORD dst_unused:UNUSED_PAD src0_sel:DWORD src1_sel:WORD_1
	v_cndmask_b32_e64 v28, 0, v32, s[2:3]
	v_cmp_gt_i32_e32 vcc, s30, v58
	v_cmp_gt_i32_e64 s[2:3], s33, v59
	v_perm_b32 v32, v29, v28, s24
	v_cndmask_b32_sdwa v29, v45, v33, vcc dst_sel:DWORD dst_unused:UNUSED_PAD src0_sel:DWORD src1_sel:WORD_1
	v_cndmask_b32_e64 v28, 0, v33, s[2:3]
	v_perm_b32 v33, v29, v28, s24
.LBB148_58:                             ;   in Loop: Header=BB148_50 Depth=1
	s_or_b64 exec, exec, s[14:15]
	v_add_co_u32_e32 v28, vcc, 0x1000, v26
	s_nop 1
	v_addc_co_u32_e32 v29, vcc, 0, v27, vcc
	global_load_dwordx4 v[34:37], v[28:29], off offset:1024
	s_and_saveexec_b64 s[14:15], s[0:1]
	s_cbranch_execz .LBB148_60
; %bb.59:                               ;   in Loop: Header=BB148_50 Depth=1
	v_cmp_gt_i32_e32 vcc, s30, v65
	v_cmp_gt_i32_e64 s[2:3], s33, v64
	s_waitcnt vmcnt(0)
	v_cndmask_b32_sdwa v28, v45, v34, vcc dst_sel:DWORD dst_unused:UNUSED_PAD src0_sel:DWORD src1_sel:WORD_1
	v_cmp_gt_i32_e32 vcc, s33, v60
	s_nop 1
	v_cndmask_b32_e32 v29, 0, v34, vcc
	v_cmp_gt_i32_e32 vcc, s30, v63
	v_perm_b32 v34, v28, v29, s24
	v_cndmask_b32_e64 v28, 0, v35, s[2:3]
	v_cndmask_b32_sdwa v29, v45, v35, vcc dst_sel:DWORD dst_unused:UNUSED_PAD src0_sel:DWORD src1_sel:WORD_1
	v_cmp_gt_i32_e32 vcc, s30, v61
	v_cmp_gt_i32_e64 s[2:3], s33, v62
	v_perm_b32 v35, v29, v28, s24
	v_cndmask_b32_sdwa v29, v45, v36, vcc dst_sel:DWORD dst_unused:UNUSED_PAD src0_sel:DWORD src1_sel:WORD_1
	v_cndmask_b32_e64 v28, 0, v36, s[2:3]
	v_cmp_gt_i32_e32 vcc, s30, v58
	v_cmp_gt_i32_e64 s[2:3], s33, v59
	v_perm_b32 v36, v29, v28, s24
	v_cndmask_b32_sdwa v29, v45, v37, vcc dst_sel:DWORD dst_unused:UNUSED_PAD src0_sel:DWORD src1_sel:WORD_1
	v_cndmask_b32_e64 v28, 0, v37, s[2:3]
	v_perm_b32 v37, v29, v28, s24
.LBB148_60:                             ;   in Loop: Header=BB148_50 Depth=1
	s_or_b64 exec, exec, s[14:15]
	v_add_co_u32_e32 v26, vcc, 0x1000, v26
	s_nop 1
	v_addc_co_u32_e32 v27, vcc, 0, v27, vcc
	global_load_dwordx4 v[26:29], v[26:27], off offset:2048
	s_and_saveexec_b64 s[2:3], s[0:1]
	s_cbranch_execz .LBB148_48
; %bb.61:                               ;   in Loop: Header=BB148_50 Depth=1
	v_cmp_gt_i32_e32 vcc, s30, v65
	v_cmp_gt_i32_e64 s[0:1], s33, v64
	s_waitcnt vmcnt(0)
	v_cndmask_b32_sdwa v65, v45, v26, vcc dst_sel:DWORD dst_unused:UNUSED_PAD src0_sel:DWORD src1_sel:WORD_1
	v_cmp_gt_i32_e32 vcc, s33, v60
	v_cndmask_b32_e64 v60, 0, v27, s[0:1]
	v_cmp_gt_i32_e64 s[0:1], s33, v62
	v_cndmask_b32_e32 v26, 0, v26, vcc
	v_cmp_gt_i32_e32 vcc, s30, v63
	v_perm_b32 v26, v65, v26, s24
	s_nop 0
	v_cndmask_b32_sdwa v27, v45, v27, vcc dst_sel:DWORD dst_unused:UNUSED_PAD src0_sel:DWORD src1_sel:WORD_1
	v_cmp_gt_i32_e32 vcc, s30, v61
	v_perm_b32 v27, v27, v60, s24
	v_cndmask_b32_e64 v60, 0, v28, s[0:1]
	v_cndmask_b32_sdwa v28, v45, v28, vcc dst_sel:DWORD dst_unused:UNUSED_PAD src0_sel:DWORD src1_sel:WORD_1
	v_cmp_gt_i32_e32 vcc, s30, v58
	v_cmp_gt_i32_e64 s[0:1], s33, v59
	v_perm_b32 v28, v28, v60, s24
	s_nop 0
	v_cndmask_b32_e64 v58, 0, v29, s[0:1]
	v_cndmask_b32_sdwa v29, v45, v29, vcc dst_sel:DWORD dst_unused:UNUSED_PAD src0_sel:DWORD src1_sel:WORD_1
	v_perm_b32 v29, v29, v58, s24
	s_branch .LBB148_48
.LBB148_62:                             ;   in Loop: Header=BB148_50 Depth=1
	v_cmp_gt_i32_e32 vcc, s30, v65
	v_cmp_gt_i32_e64 s[2:3], s33, v64
	s_waitcnt vmcnt(0)
	v_cndmask_b32_sdwa v6, v45, v2, vcc dst_sel:DWORD dst_unused:UNUSED_PAD src0_sel:DWORD src1_sel:WORD_1
	v_cmp_gt_i32_e32 vcc, s33, v60
	s_nop 1
	v_cndmask_b32_e32 v2, 0, v2, vcc
	v_cmp_gt_i32_e32 vcc, s30, v63
	v_perm_b32 v2, v6, v2, s24
	v_cndmask_b32_e64 v6, 0, v3, s[2:3]
	v_cndmask_b32_sdwa v3, v45, v3, vcc dst_sel:DWORD dst_unused:UNUSED_PAD src0_sel:DWORD src1_sel:WORD_1
	v_cmp_gt_i32_e32 vcc, s30, v61
	v_cmp_gt_i32_e64 s[2:3], s33, v62
	v_perm_b32 v3, v3, v6, s24
	s_nop 0
	v_cndmask_b32_e64 v6, 0, v4, s[2:3]
	v_cndmask_b32_sdwa v4, v45, v4, vcc dst_sel:DWORD dst_unused:UNUSED_PAD src0_sel:DWORD src1_sel:WORD_1
	v_cmp_gt_i32_e32 vcc, s30, v58
	v_cmp_gt_i32_e64 s[2:3], s33, v59
	v_perm_b32 v4, v4, v6, s24
	s_nop 0
	v_cndmask_b32_e64 v6, 0, v5, s[2:3]
	v_cndmask_b32_sdwa v5, v45, v5, vcc dst_sel:DWORD dst_unused:UNUSED_PAD src0_sel:DWORD src1_sel:WORD_1
	v_perm_b32 v5, v5, v6, s24
	s_or_b64 exec, exec, s[14:15]
	global_load_dwordx4 v[6:9], v[26:27], off offset:1024
	s_and_saveexec_b64 s[14:15], s[0:1]
	s_cbranch_execz .LBB148_53
.LBB148_63:                             ;   in Loop: Header=BB148_50 Depth=1
	v_cmp_gt_i32_e32 vcc, s30, v65
	v_cmp_gt_i32_e64 s[2:3], s33, v64
	s_waitcnt vmcnt(0)
	v_cndmask_b32_sdwa v10, v45, v6, vcc dst_sel:DWORD dst_unused:UNUSED_PAD src0_sel:DWORD src1_sel:WORD_1
	v_cmp_gt_i32_e32 vcc, s33, v60
	s_nop 1
	v_cndmask_b32_e32 v6, 0, v6, vcc
	v_cmp_gt_i32_e32 vcc, s30, v63
	v_perm_b32 v6, v10, v6, s24
	v_cndmask_b32_e64 v10, 0, v7, s[2:3]
	v_cndmask_b32_sdwa v7, v45, v7, vcc dst_sel:DWORD dst_unused:UNUSED_PAD src0_sel:DWORD src1_sel:WORD_1
	v_cmp_gt_i32_e32 vcc, s30, v61
	v_cmp_gt_i32_e64 s[2:3], s33, v62
	v_perm_b32 v7, v7, v10, s24
	s_nop 0
	v_cndmask_b32_e64 v10, 0, v8, s[2:3]
	v_cndmask_b32_sdwa v8, v45, v8, vcc dst_sel:DWORD dst_unused:UNUSED_PAD src0_sel:DWORD src1_sel:WORD_1
	v_cmp_gt_i32_e32 vcc, s30, v58
	v_cmp_gt_i32_e64 s[2:3], s33, v59
	v_perm_b32 v8, v8, v10, s24
	s_nop 0
	v_cndmask_b32_e64 v10, 0, v9, s[2:3]
	v_cndmask_b32_sdwa v9, v45, v9, vcc dst_sel:DWORD dst_unused:UNUSED_PAD src0_sel:DWORD src1_sel:WORD_1
	v_perm_b32 v9, v9, v10, s24
	s_or_b64 exec, exec, s[14:15]
	global_load_dwordx4 v[10:13], v[26:27], off offset:2048
	s_and_saveexec_b64 s[14:15], s[0:1]
	s_cbranch_execz .LBB148_54
.LBB148_64:                             ;   in Loop: Header=BB148_50 Depth=1
	v_cmp_gt_i32_e32 vcc, s30, v65
	v_cmp_gt_i32_e64 s[2:3], s33, v64
	s_waitcnt vmcnt(0)
	v_cndmask_b32_sdwa v22, v45, v10, vcc dst_sel:DWORD dst_unused:UNUSED_PAD src0_sel:DWORD src1_sel:WORD_1
	v_cmp_gt_i32_e32 vcc, s33, v60
	s_nop 1
	v_cndmask_b32_e32 v10, 0, v10, vcc
	v_cmp_gt_i32_e32 vcc, s30, v63
	v_perm_b32 v10, v22, v10, s24
	v_cndmask_b32_e64 v22, 0, v11, s[2:3]
	v_cndmask_b32_sdwa v11, v45, v11, vcc dst_sel:DWORD dst_unused:UNUSED_PAD src0_sel:DWORD src1_sel:WORD_1
	v_cmp_gt_i32_e32 vcc, s30, v61
	v_cmp_gt_i32_e64 s[2:3], s33, v62
	v_perm_b32 v11, v11, v22, s24
	s_nop 0
	v_cndmask_b32_e64 v22, 0, v12, s[2:3]
	v_cndmask_b32_sdwa v12, v45, v12, vcc dst_sel:DWORD dst_unused:UNUSED_PAD src0_sel:DWORD src1_sel:WORD_1
	v_cmp_gt_i32_e32 vcc, s30, v58
	v_cmp_gt_i32_e64 s[2:3], s33, v59
	v_perm_b32 v12, v12, v22, s24
	s_nop 0
	v_cndmask_b32_e64 v22, 0, v13, s[2:3]
	v_cndmask_b32_sdwa v13, v45, v13, vcc dst_sel:DWORD dst_unused:UNUSED_PAD src0_sel:DWORD src1_sel:WORD_1
	v_perm_b32 v13, v13, v22, s24
	s_or_b64 exec, exec, s[14:15]
	global_load_dwordx4 v[22:25], v[26:27], off offset:3072
	s_and_saveexec_b64 s[14:15], s[0:1]
	s_cbranch_execnz .LBB148_55
	s_branch .LBB148_56
.LBB148_65:
	s_or_b64 exec, exec, s[6:7]
.LBB148_66:
	s_or_b64 exec, exec, s[8:9]
	ds_bpermute_b32 v2, v51, v42
	ds_bpermute_b32 v3, v51, v43
	;; [unrolled: 1-line block ×6, first 2 shown]
	s_waitcnt lgkmcnt(4)
	v_pk_add_f32 v[2:3], v[42:43], v[2:3]
	ds_bpermute_b32 v8, v52, v2
	ds_bpermute_b32 v9, v52, v3
	;; [unrolled: 1-line block ×3, first 2 shown]
	s_waitcnt lgkmcnt(5)
	v_pk_add_f32 v[4:5], v[40:41], v[4:5]
	s_waitcnt lgkmcnt(3)
	v_pk_add_f32 v[12:13], v[38:39], v[6:7]
	ds_bpermute_b32 v10, v52, v4
	ds_bpermute_b32 v11, v52, v5
	;; [unrolled: 1-line block ×4, first 2 shown]
	s_waitcnt lgkmcnt(5)
	v_pk_add_f32 v[6:7], v[2:3], v[8:9]
	s_waitcnt lgkmcnt(4)
	v_add_f32_e32 v8, v44, v1
	ds_bpermute_b32 v9, v52, v8
	v_and_b32_e32 v1, 0x3c3, v0
	s_waitcnt lgkmcnt(3)
	v_pk_add_f32 v[4:5], v[4:5], v[10:11]
	s_waitcnt lgkmcnt(1)
	v_pk_add_f32 v[2:3], v[12:13], v[14:15]
	v_cmp_ne_u32_e32 vcc, 64, v1
	s_waitcnt lgkmcnt(0)
	s_barrier
	s_and_saveexec_b64 s[0:1], vcc
	s_xor_b64 s[0:1], exec, s[0:1]
; %bb.67:
                                        ; implicit-def: $vgpr50
; %bb.68:
	s_or_saveexec_b64 s[0:1], s[0:1]
	v_add_f32_e32 v8, v8, v9
	s_xor_b64 exec, exec, s[0:1]
	s_cbranch_execz .LBB148_70
; %bb.69:
	v_add_u32_e32 v9, 0xf0, v50
	ds_write2_b32 v9, v6, v7 offset1:16
	ds_write2_b32 v9, v4, v5 offset0:32 offset1:48
	ds_write2_b32 v9, v2, v3 offset0:64 offset1:80
	ds_write_b32 v9, v8 offset:384
.LBB148_70:
	s_or_b64 exec, exec, s[0:1]
	v_cmp_gt_u32_e32 vcc, 64, v0
	v_lshrrev_b32_e32 v0, 2, v0
	s_waitcnt lgkmcnt(0)
	s_barrier
	s_and_saveexec_b64 s[0:1], vcc
	s_cbranch_execz .LBB148_80
; %bb.71:
	v_mov_b32_e32 v9, 0xf0
	v_cmp_eq_u32_e32 vcc, 0, v53
	v_lshl_add_u32 v9, v0, 2, v9
	s_and_saveexec_b64 s[2:3], vcc
	s_cbranch_execnz .LBB148_83
; %bb.72:
	s_or_b64 exec, exec, s[2:3]
	s_and_saveexec_b64 s[2:3], vcc
	s_cbranch_execnz .LBB148_84
.LBB148_73:
	s_or_b64 exec, exec, s[2:3]
	s_and_saveexec_b64 s[2:3], vcc
	s_cbranch_execnz .LBB148_85
.LBB148_74:
	s_or_b64 exec, exec, s[2:3]
	s_and_saveexec_b64 s[2:3], vcc
	s_cbranch_execnz .LBB148_86
.LBB148_75:
	s_or_b64 exec, exec, s[2:3]
	s_and_saveexec_b64 s[2:3], vcc
	s_cbranch_execnz .LBB148_87
.LBB148_76:
	s_or_b64 exec, exec, s[2:3]
	s_and_saveexec_b64 s[2:3], vcc
	s_cbranch_execnz .LBB148_88
.LBB148_77:
	s_or_b64 exec, exec, s[2:3]
	s_and_saveexec_b64 s[2:3], vcc
	s_cbranch_execz .LBB148_79
.LBB148_78:
	ds_read_b32 v9, v9 offset:384
	s_waitcnt lgkmcnt(0)
	v_add_f32_e32 v8, v8, v9
.LBB148_79:
	s_or_b64 exec, exec, s[2:3]
.LBB148_80:
	s_or_b64 exec, exec, s[0:1]
	v_cmp_eq_u32_e32 vcc, 0, v1
	s_barrier
	s_and_saveexec_b64 s[0:1], vcc
	s_cbranch_execz .LBB148_82
; %bb.81:
	s_mul_i32 s0, s10, s11
	s_mul_i32 s0, s0, s5
	s_mulk_i32 s0, 0x70
	s_ashr_i32 s1, s0, 31
	s_lshl_b64 s[0:1], s[0:1], 1
	s_add_u32 s2, s22, s0
	s_mul_i32 s0, s11, s20
	s_addc_u32 s3, s23, s1
	s_ashr_i32 s1, s0, 31
	s_lshl_b64 s[0:1], s[0:1], 1
	s_add_u32 s2, s2, s0
	s_mul_i32 s0, s4, 0x70
	s_addc_u32 s3, s3, s1
	s_ashr_i32 s1, s0, 31
	s_lshl_b64 s[0:1], s[0:1], 1
	s_add_u32 s0, s2, s0
	s_addc_u32 s1, s3, s1
	v_lshlrev_b32_e32 v0, 1, v0
	v_cvt_pk_bf16_f32 v1, v6, s0
	global_store_short v0, v1, s[0:1]
	v_cvt_pk_bf16_f32 v1, v7, s0
	global_store_short v0, v1, s[0:1] offset:32
	v_cvt_pk_bf16_f32 v1, v4, s0
	global_store_short v0, v1, s[0:1] offset:64
	;; [unrolled: 2-line block ×6, first 2 shown]
.LBB148_82:
	s_endpgm
.LBB148_83:
	ds_read_b32 v10, v9
	s_waitcnt lgkmcnt(0)
	v_add_f32_e32 v6, v6, v10
	s_or_b64 exec, exec, s[2:3]
	s_and_saveexec_b64 s[2:3], vcc
	s_cbranch_execz .LBB148_73
.LBB148_84:
	ds_read_b32 v10, v9 offset:64
	s_waitcnt lgkmcnt(0)
	v_add_f32_e32 v7, v7, v10
	s_or_b64 exec, exec, s[2:3]
	s_and_saveexec_b64 s[2:3], vcc
	s_cbranch_execz .LBB148_74
.LBB148_85:
	ds_read_b32 v10, v9 offset:128
	s_waitcnt lgkmcnt(0)
	v_add_f32_e32 v4, v4, v10
	s_or_b64 exec, exec, s[2:3]
	s_and_saveexec_b64 s[2:3], vcc
	s_cbranch_execz .LBB148_75
.LBB148_86:
	ds_read_b32 v10, v9 offset:192
	s_waitcnt lgkmcnt(0)
	v_add_f32_e32 v5, v5, v10
	s_or_b64 exec, exec, s[2:3]
	s_and_saveexec_b64 s[2:3], vcc
	s_cbranch_execz .LBB148_76
.LBB148_87:
	ds_read_b32 v10, v9 offset:256
	s_waitcnt lgkmcnt(0)
	v_add_f32_e32 v2, v2, v10
	s_or_b64 exec, exec, s[2:3]
	s_and_saveexec_b64 s[2:3], vcc
	s_cbranch_execz .LBB148_77
.LBB148_88:
	ds_read_b32 v10, v9 offset:320
	s_waitcnt lgkmcnt(0)
	v_add_f32_e32 v3, v3, v10
	s_or_b64 exec, exec, s[2:3]
	s_and_saveexec_b64 s[2:3], vcc
	s_cbranch_execnz .LBB148_78
	s_branch .LBB148_79
	.section	.rodata,"a",@progbits
	.p2align	6, 0x0
	.amdhsa_kernel _ZN4vllm25paged_attention_v1_kernelI14__hip_bfloat16S1_Li112ELi32ELi128ELNS_18Fp8KVCacheDataTypeE0ELb1EEEvPT_PKS3_PKT0_S9_ifPKiSB_iPKfiiiSD_SD_iiiii
		.amdhsa_group_segment_fixed_size 240
		.amdhsa_private_segment_fixed_size 0
		.amdhsa_kernarg_size 384
		.amdhsa_user_sgpr_count 2
		.amdhsa_user_sgpr_dispatch_ptr 0
		.amdhsa_user_sgpr_queue_ptr 0
		.amdhsa_user_sgpr_kernarg_segment_ptr 1
		.amdhsa_user_sgpr_dispatch_id 0
		.amdhsa_user_sgpr_kernarg_preload_length 0
		.amdhsa_user_sgpr_kernarg_preload_offset 0
		.amdhsa_user_sgpr_private_segment_size 0
		.amdhsa_uses_dynamic_stack 0
		.amdhsa_enable_private_segment 0
		.amdhsa_system_sgpr_workgroup_id_x 1
		.amdhsa_system_sgpr_workgroup_id_y 1
		.amdhsa_system_sgpr_workgroup_id_z 1
		.amdhsa_system_sgpr_workgroup_info 0
		.amdhsa_system_vgpr_workitem_id 0
		.amdhsa_next_free_vgpr 108
		.amdhsa_next_free_sgpr 45
		.amdhsa_accum_offset 108
		.amdhsa_reserve_vcc 1
		.amdhsa_float_round_mode_32 0
		.amdhsa_float_round_mode_16_64 0
		.amdhsa_float_denorm_mode_32 3
		.amdhsa_float_denorm_mode_16_64 3
		.amdhsa_dx10_clamp 1
		.amdhsa_ieee_mode 1
		.amdhsa_fp16_overflow 0
		.amdhsa_tg_split 0
		.amdhsa_exception_fp_ieee_invalid_op 0
		.amdhsa_exception_fp_denorm_src 0
		.amdhsa_exception_fp_ieee_div_zero 0
		.amdhsa_exception_fp_ieee_overflow 0
		.amdhsa_exception_fp_ieee_underflow 0
		.amdhsa_exception_fp_ieee_inexact 0
		.amdhsa_exception_int_div_zero 0
	.end_amdhsa_kernel
	.section	.text._ZN4vllm25paged_attention_v1_kernelI14__hip_bfloat16S1_Li112ELi32ELi128ELNS_18Fp8KVCacheDataTypeE0ELb1EEEvPT_PKS3_PKT0_S9_ifPKiSB_iPKfiiiSD_SD_iiiii,"axG",@progbits,_ZN4vllm25paged_attention_v1_kernelI14__hip_bfloat16S1_Li112ELi32ELi128ELNS_18Fp8KVCacheDataTypeE0ELb1EEEvPT_PKS3_PKT0_S9_ifPKiSB_iPKfiiiSD_SD_iiiii,comdat
.Lfunc_end148:
	.size	_ZN4vllm25paged_attention_v1_kernelI14__hip_bfloat16S1_Li112ELi32ELi128ELNS_18Fp8KVCacheDataTypeE0ELb1EEEvPT_PKS3_PKT0_S9_ifPKiSB_iPKfiiiSD_SD_iiiii, .Lfunc_end148-_ZN4vllm25paged_attention_v1_kernelI14__hip_bfloat16S1_Li112ELi32ELi128ELNS_18Fp8KVCacheDataTypeE0ELb1EEEvPT_PKS3_PKT0_S9_ifPKiSB_iPKfiiiSD_SD_iiiii
                                        ; -- End function
	.set _ZN4vllm25paged_attention_v1_kernelI14__hip_bfloat16S1_Li112ELi32ELi128ELNS_18Fp8KVCacheDataTypeE0ELb1EEEvPT_PKS3_PKT0_S9_ifPKiSB_iPKfiiiSD_SD_iiiii.num_vgpr, 108
	.set _ZN4vllm25paged_attention_v1_kernelI14__hip_bfloat16S1_Li112ELi32ELi128ELNS_18Fp8KVCacheDataTypeE0ELb1EEEvPT_PKS3_PKT0_S9_ifPKiSB_iPKfiiiSD_SD_iiiii.num_agpr, 0
	.set _ZN4vllm25paged_attention_v1_kernelI14__hip_bfloat16S1_Li112ELi32ELi128ELNS_18Fp8KVCacheDataTypeE0ELb1EEEvPT_PKS3_PKT0_S9_ifPKiSB_iPKfiiiSD_SD_iiiii.numbered_sgpr, 45
	.set _ZN4vllm25paged_attention_v1_kernelI14__hip_bfloat16S1_Li112ELi32ELi128ELNS_18Fp8KVCacheDataTypeE0ELb1EEEvPT_PKS3_PKT0_S9_ifPKiSB_iPKfiiiSD_SD_iiiii.num_named_barrier, 0
	.set _ZN4vllm25paged_attention_v1_kernelI14__hip_bfloat16S1_Li112ELi32ELi128ELNS_18Fp8KVCacheDataTypeE0ELb1EEEvPT_PKS3_PKT0_S9_ifPKiSB_iPKfiiiSD_SD_iiiii.private_seg_size, 0
	.set _ZN4vllm25paged_attention_v1_kernelI14__hip_bfloat16S1_Li112ELi32ELi128ELNS_18Fp8KVCacheDataTypeE0ELb1EEEvPT_PKS3_PKT0_S9_ifPKiSB_iPKfiiiSD_SD_iiiii.uses_vcc, 1
	.set _ZN4vllm25paged_attention_v1_kernelI14__hip_bfloat16S1_Li112ELi32ELi128ELNS_18Fp8KVCacheDataTypeE0ELb1EEEvPT_PKS3_PKT0_S9_ifPKiSB_iPKfiiiSD_SD_iiiii.uses_flat_scratch, 0
	.set _ZN4vllm25paged_attention_v1_kernelI14__hip_bfloat16S1_Li112ELi32ELi128ELNS_18Fp8KVCacheDataTypeE0ELb1EEEvPT_PKS3_PKT0_S9_ifPKiSB_iPKfiiiSD_SD_iiiii.has_dyn_sized_stack, 0
	.set _ZN4vllm25paged_attention_v1_kernelI14__hip_bfloat16S1_Li112ELi32ELi128ELNS_18Fp8KVCacheDataTypeE0ELb1EEEvPT_PKS3_PKT0_S9_ifPKiSB_iPKfiiiSD_SD_iiiii.has_recursion, 0
	.set _ZN4vllm25paged_attention_v1_kernelI14__hip_bfloat16S1_Li112ELi32ELi128ELNS_18Fp8KVCacheDataTypeE0ELb1EEEvPT_PKS3_PKT0_S9_ifPKiSB_iPKfiiiSD_SD_iiiii.has_indirect_call, 0
	.section	.AMDGPU.csdata,"",@progbits
; Kernel info:
; codeLenInByte = 8208
; TotalNumSgprs: 51
; NumVgprs: 108
; NumAgprs: 0
; TotalNumVgprs: 108
; ScratchSize: 0
; MemoryBound: 0
; FloatMode: 240
; IeeeMode: 1
; LDSByteSize: 240 bytes/workgroup (compile time only)
; SGPRBlocks: 6
; VGPRBlocks: 13
; NumSGPRsForWavesPerEU: 51
; NumVGPRsForWavesPerEU: 108
; AccumOffset: 108
; Occupancy: 4
; WaveLimiterHint : 1
; COMPUTE_PGM_RSRC2:SCRATCH_EN: 0
; COMPUTE_PGM_RSRC2:USER_SGPR: 2
; COMPUTE_PGM_RSRC2:TRAP_HANDLER: 0
; COMPUTE_PGM_RSRC2:TGID_X_EN: 1
; COMPUTE_PGM_RSRC2:TGID_Y_EN: 1
; COMPUTE_PGM_RSRC2:TGID_Z_EN: 1
; COMPUTE_PGM_RSRC2:TIDIG_COMP_CNT: 0
; COMPUTE_PGM_RSRC3_GFX90A:ACCUM_OFFSET: 26
; COMPUTE_PGM_RSRC3_GFX90A:TG_SPLIT: 0
	.section	.text._ZN4vllm25paged_attention_v1_kernelI14__hip_bfloat16S1_Li120ELi32ELi128ELNS_18Fp8KVCacheDataTypeE0ELb1EEEvPT_PKS3_PKT0_S9_ifPKiSB_iPKfiiiSD_SD_iiiii,"axG",@progbits,_ZN4vllm25paged_attention_v1_kernelI14__hip_bfloat16S1_Li120ELi32ELi128ELNS_18Fp8KVCacheDataTypeE0ELb1EEEvPT_PKS3_PKT0_S9_ifPKiSB_iPKfiiiSD_SD_iiiii,comdat
	.protected	_ZN4vllm25paged_attention_v1_kernelI14__hip_bfloat16S1_Li120ELi32ELi128ELNS_18Fp8KVCacheDataTypeE0ELb1EEEvPT_PKS3_PKT0_S9_ifPKiSB_iPKfiiiSD_SD_iiiii ; -- Begin function _ZN4vllm25paged_attention_v1_kernelI14__hip_bfloat16S1_Li120ELi32ELi128ELNS_18Fp8KVCacheDataTypeE0ELb1EEEvPT_PKS3_PKT0_S9_ifPKiSB_iPKfiiiSD_SD_iiiii
	.globl	_ZN4vllm25paged_attention_v1_kernelI14__hip_bfloat16S1_Li120ELi32ELi128ELNS_18Fp8KVCacheDataTypeE0ELb1EEEvPT_PKS3_PKT0_S9_ifPKiSB_iPKfiiiSD_SD_iiiii
	.p2align	8
	.type	_ZN4vllm25paged_attention_v1_kernelI14__hip_bfloat16S1_Li120ELi32ELi128ELNS_18Fp8KVCacheDataTypeE0ELb1EEEvPT_PKS3_PKT0_S9_ifPKiSB_iPKfiiiSD_SD_iiiii,@function
_ZN4vllm25paged_attention_v1_kernelI14__hip_bfloat16S1_Li120ELi32ELi128ELNS_18Fp8KVCacheDataTypeE0ELb1EEEvPT_PKS3_PKT0_S9_ifPKiSB_iPKfiiiSD_SD_iiiii: ; @_ZN4vllm25paged_attention_v1_kernelI14__hip_bfloat16S1_Li120ELi32ELi128ELNS_18Fp8KVCacheDataTypeE0ELb1EEEvPT_PKS3_PKT0_S9_ifPKiSB_iPKfiiiSD_SD_iiiii
; %bb.0:
	s_load_dword s5, s[0:1], 0x80
	s_load_dwordx2 s[6:7], s[0:1], 0x30
	s_load_dwordx2 s[30:31], s[0:1], 0x20
	s_mov_b32 s10, s3
	s_ashr_i32 s11, s3, 31
	s_lshl_b64 s[8:9], s[10:11], 2
	s_waitcnt lgkmcnt(0)
	s_add_u32 s6, s6, s8
	s_addc_u32 s7, s7, s9
	s_abs_i32 s3, s30
	v_cvt_f32_u32_e32 v1, s3
	s_sub_i32 s11, 0, s3
	s_abs_i32 s9, s5
	s_xor_b32 s8, s5, s30
	v_rcp_iflag_f32_e32 v1, v1
	s_ashr_i32 s8, s8, 31
	s_mov_b32 s44, 0
	v_mul_f32_e32 v1, 0x4f7ffffe, v1
	v_cvt_u32_f32_e32 v1, v1
	s_nop 0
	v_readfirstlane_b32 s12, v1
	s_mul_i32 s11, s11, s12
	s_mul_hi_u32 s11, s12, s11
	s_add_i32 s12, s12, s11
	s_mul_hi_u32 s11, s9, s12
	s_mul_i32 s12, s11, s3
	s_sub_i32 s9, s9, s12
	s_add_i32 s12, s11, 1
	s_sub_i32 s13, s9, s3
	s_cmp_ge_u32 s9, s3
	s_cselect_b32 s11, s12, s11
	s_cselect_b32 s9, s13, s9
	s_add_i32 s12, s11, 1
	s_cmp_ge_u32 s9, s3
	s_cselect_b32 s3, s12, s11
	s_xor_b32 s3, s3, s8
	s_sub_i32 s12, s3, s8
	s_abs_i32 s11, s12
	v_cvt_f32_u32_e32 v1, s11
	s_load_dwordx2 s[8:9], s[0:1], 0x40
	s_sub_i32 s3, 0, s11
	s_abs_i32 s22, s2
	v_rcp_iflag_f32_e32 v1, v1
	s_nop 0
	v_mul_f32_e32 v1, 0x4f7ffffe, v1
	v_cvt_u32_f32_e32 v1, v1
	s_nop 0
	v_readfirstlane_b32 s13, v1
	s_mul_i32 s3, s3, s13
	s_mul_hi_u32 s3, s13, s3
	s_add_i32 s13, s13, s3
	s_waitcnt lgkmcnt(0)
	s_cmp_eq_u64 s[8:9], 0
	s_mul_hi_u32 s23, s22, s13
	s_cbranch_scc1 .LBB149_2
; %bb.1:
	s_ashr_i32 s3, s2, 31
	s_lshl_b64 s[14:15], s[2:3], 2
	s_add_u32 s8, s8, s14
	s_addc_u32 s9, s9, s15
	s_load_dword s44, s[8:9], 0x0
.LBB149_2:
	s_load_dword s33, s[6:7], 0x0
	s_ashr_i32 s9, s12, 31
	s_load_dwordx4 s[12:15], s[0:1], 0x48
	s_ashr_i32 s3, s2, 31
	v_and_b32_e32 v2, 1, v0
	s_movk_i32 s8, 0x78
	s_mul_i32 s20, s2, 0x78
	v_cmp_gt_u32_e32 vcc, 30, v0
	v_lshlrev_b32_e32 v46, 3, v0
	s_and_saveexec_b64 s[6:7], vcc
	s_cbranch_execz .LBB149_4
; %bb.3:
	s_load_dwordx2 s[16:17], s[0:1], 0x8
	s_waitcnt lgkmcnt(0)
	s_mul_i32 s18, s12, s10
	s_ashr_i32 s19, s18, 31
	s_lshl_b64 s[18:19], s[18:19], 1
	v_lshlrev_b32_e32 v1, 2, v0
	s_add_u32 s12, s16, s18
	s_addc_u32 s15, s17, s19
	s_ashr_i32 s21, s20, 31
	s_lshl_b64 s[16:17], s[20:21], 1
	s_add_u32 s16, s12, s16
	s_addc_u32 s17, s15, s17
	global_load_dwordx2 v[4:5], v46, s[16:17]
	v_and_b32_e32 v1, 0xff8, v1
	v_mad_u32_u24 v1, v2, s8, v1
	s_waitcnt vmcnt(0)
	ds_write_b64 v1, v[4:5]
.LBB149_4:
	s_or_b64 exec, exec, s[6:7]
	s_mul_i32 s6, s23, s11
	s_sub_i32 s6, s22, s6
	s_xor_b32 s3, s3, s9
	s_add_i32 s7, s23, 1
	s_sub_i32 s9, s6, s11
	s_load_dwordx4 s[16:19], s[0:1], 0x68
	s_load_dword s8, s[0:1], 0x78
	s_cmp_ge_u32 s6, s11
	s_cselect_b32 s7, s7, s23
	s_cselect_b32 s6, s9, s6
	s_add_i32 s9, s7, 1
	s_cmp_ge_u32 s6, s11
	s_cselect_b32 s6, s9, s7
	s_waitcnt lgkmcnt(0)
	s_abs_i32 s21, s19
	v_cvt_f32_u32_e32 v1, s21
	s_xor_b32 s6, s6, s3
	s_sub_i32 s3, s6, s3
	s_sub_i32 s6, 0, s21
	v_rcp_iflag_f32_e32 v1, v1
	s_add_i32 s11, s33, -1
	s_abs_i32 s9, s11
	v_mul_f32_e32 v1, 0x4f7ffffe, v1
	v_cvt_u32_f32_e32 v1, v1
	s_barrier
	v_readfirstlane_b32 s40, v1
	s_mul_i32 s6, s6, s40
	s_mul_hi_u32 s6, s40, s6
	s_add_i32 s40, s40, s6
	s_cmp_lt_i32 s8, 0
	s_mul_hi_u32 s12, s9, s40
	s_cbranch_scc0 .LBB149_6
; %bb.5:
	s_mul_i32 s6, s16, s30
	s_add_i32 s6, s3, s6
	s_mul_i32 s6, s6, s8
	s_sub_i32 s41, 1, s6
	s_mov_b64 s[6:7], 0
	s_branch .LBB149_7
.LBB149_6:
	s_mov_b64 s[6:7], -1
                                        ; implicit-def: $sgpr41
.LBB149_7:
	s_load_dwordx2 s[24:25], s[0:1], 0x28
	s_ashr_i32 s15, s11, 31
	s_andn2_b64 vcc, exec, s[6:7]
	s_ashr_i32 s42, s19, 31
	s_cbranch_vccnz .LBB149_9
; %bb.8:
	s_mul_i32 s6, s5, s16
	s_add_i32 s2, s6, s2
	s_mul_i32 s2, s2, s8
	s_add_i32 s41, s2, 1
.LBB149_9:
	s_load_dword s2, s[0:1], 0x38
	s_load_dwordx2 s[22:23], s[0:1], 0x0
	s_load_dwordx2 s[28:29], s[0:1], 0x18
	s_load_dword s11, s[0:1], 0x88
	s_xor_b32 s6, s15, s42
	s_waitcnt lgkmcnt(0)
	s_mul_i32 s26, s2, s10
	s_mul_i32 s2, s12, s21
	s_sub_i32 s2, s9, s2
	s_ashr_i32 s27, s26, 31
	s_add_i32 s7, s12, 1
	s_sub_i32 s8, s2, s21
	s_cmp_ge_u32 s2, s21
	s_cselect_b32 s7, s7, s12
	s_cselect_b32 s2, s8, s2
	s_add_i32 s8, s7, 1
	s_cmp_ge_u32 s2, s21
	s_cselect_b32 s2, s8, s7
	s_xor_b32 s2, s2, s6
	s_sub_i32 s12, s2, s6
	s_add_i32 s2, s33, 31
	s_ashr_i32 s6, s2, 31
	s_lshr_b32 s6, s6, 27
	s_add_i32 s2, s2, s6
	s_ashr_i32 s43, s2, 5
	v_lshrrev_b32_e32 v1, 6, v0
	v_cmp_le_i32_e64 s[6:7], s43, v1
	v_cmp_gt_i32_e32 vcc, s43, v1
	v_mov_b32_e32 v51, 0xff7fffff
	s_mul_i32 s14, s3, s14
	v_lshrrev_b32_e32 v48, 4, v0
	v_lshlrev_b32_e32 v54, 5, v1
	v_mbcnt_lo_u32_b32 v47, -1, 0
	s_and_saveexec_b64 s[34:35], vcc
	s_cbranch_execz .LBB149_21
; %bb.10:
	s_load_dwordx2 s[0:1], s[0:1], 0x10
	s_ashr_i32 s15, s14, 31
	s_sub_i32 s16, s12, s17
	s_lshl_b64 s[2:3], s[14:15], 1
	v_bfe_u32 v49, v0, 1, 5
	s_waitcnt lgkmcnt(0)
	s_add_u32 s0, s0, s2
	s_addc_u32 s1, s1, s3
	s_abs_i32 s15, s18
	v_cvt_f32_u32_e32 v3, s15
	v_lshlrev_b32_e32 v4, 4, v49
	v_mov_b32_e32 v5, 0
	v_lshl_add_u64 v[6:7], s[0:1], 0, v[4:5]
	v_rcp_iflag_f32_e32 v3, v3
	s_sub_i32 s0, 0, s15
	v_cmp_eq_u32_e32 vcc, 0, v2
	v_mul_u32_u24_e32 v50, 0x78, v2
	v_mul_f32_e32 v3, 0x4f7ffffe, v3
	v_cvt_u32_f32_e32 v3, v3
	v_and_b32_e32 v4, 8, v46
	v_mbcnt_hi_u32_b32 v58, -1, v47
	v_lshl_add_u64 v[30:31], v[6:7], 0, v[4:5]
	v_mul_lo_u32 v2, s0, v3
	v_mul_hi_u32 v2, v3, v2
	v_add_u32_e32 v52, v3, v2
	v_subrev_u32_e32 v2, s33, v49
	s_lshl_b64 s[0:1], s[26:27], 2
	v_add_u32_e32 v55, 1, v2
	v_lshlrev_b32_e32 v2, 2, v49
	s_add_u32 s0, s24, s0
	v_lshl_or_b32 v2, v1, 7, v2
	v_and_b32_e32 v4, 60, v48
	s_addc_u32 s1, s25, s1
	v_add_u32_e32 v56, 0x100, v2
	v_and_b32_e32 v2, 64, v58
	s_mov_b32 s19, s13
	v_cmp_neq_f32_e64 s[2:3], s44, 0
	v_lshl_add_u64 v[32:33], s[0:1], 0, v[4:5]
	v_lshlrev_b32_e32 v53, 5, v1
	v_mov_b32_e32 v57, 0xff7fffff
	s_mov_b64 s[36:37], 0
	s_movk_i32 s30, 0x1000
	v_xor_b32_e32 v59, 1, v58
	v_add_u32_e32 v60, 64, v2
	v_mov_b32_e32 v51, 0xff7fffff
	v_mov_b32_e32 v61, v1
	s_branch .LBB149_13
.LBB149_11:                             ;   in Loop: Header=BB149_13 Depth=1
	s_or_b64 exec, exec, s[38:39]
.LBB149_12:                             ;   in Loop: Header=BB149_13 Depth=1
	s_or_b64 exec, exec, s[8:9]
	v_add_u32_e32 v61, 2, v61
	v_cmp_le_i32_e64 s[0:1], s43, v61
	v_lshl_add_u64 v[32:33], v[32:33], 0, 8
	v_add_u32_e32 v53, 64, v53
	s_or_b64 s[36:37], s[0:1], s[36:37]
	v_add_u32_e32 v56, 0x100, v56
	s_andn2_b64 exec, exec, s[36:37]
	s_cbranch_execz .LBB149_20
.LBB149_13:                             ; =>This Inner Loop Header: Depth=1
	v_mul_hi_u32 v2, v53, s40
	s_waitcnt lgkmcnt(0)
	v_mul_lo_u32 v3, v2, s21
	v_sub_u32_e32 v3, v53, v3
	v_add_u32_e32 v4, 1, v2
	v_cmp_le_u32_e64 s[0:1], s21, v3
	s_nop 1
	v_cndmask_b32_e64 v2, v2, v4, s[0:1]
	v_subrev_u32_e32 v4, s21, v3
	v_cndmask_b32_e64 v3, v3, v4, s[0:1]
	v_add_u32_e32 v4, 1, v2
	v_cmp_le_u32_e64 s[0:1], s21, v3
	s_nop 1
	v_cndmask_b32_e64 v2, v2, v4, s[0:1]
	v_xor_b32_e32 v2, s42, v2
	v_subrev_u32_e32 v2, s42, v2
	v_add_u32_e32 v3, s41, v2
	v_sub_u32_e32 v5, 0, v3
	v_ashrrev_i32_e32 v4, 31, v3
	v_max_i32_e32 v3, v3, v5
	v_mul_hi_u32 v5, v3, v52
	v_mul_lo_u32 v5, v5, s15
	v_sub_u32_e32 v3, v3, v5
	v_subrev_u32_e32 v5, s15, v3
	v_cmp_le_u32_e64 s[0:1], s15, v3
	v_cmp_ge_i32_e64 s[8:9], s16, v2
	s_nop 0
	v_cndmask_b32_e64 v3, v3, v5, s[0:1]
	v_subrev_u32_e32 v5, s15, v3
	v_cmp_le_u32_e64 s[0:1], s15, v3
	s_nop 1
	v_cndmask_b32_e64 v3, v3, v5, s[0:1]
	v_xor_b32_e32 v3, v3, v4
	v_sub_u32_e32 v3, v3, v4
	v_cmp_ne_u32_e64 s[0:1], 0, v3
	s_and_b64 s[0:1], s[0:1], s[8:9]
	s_and_saveexec_b64 s[8:9], s[0:1]
	s_xor_b64 s[0:1], exec, s[8:9]
	s_cbranch_execz .LBB149_17
; %bb.14:                               ;   in Loop: Header=BB149_13 Depth=1
	s_and_saveexec_b64 s[8:9], vcc
; %bb.15:                               ;   in Loop: Header=BB149_13 Depth=1
	ds_write_b32 v56, v57
; %bb.16:                               ;   in Loop: Header=BB149_13 Depth=1
	s_or_b64 exec, exec, s[8:9]
.LBB149_17:                             ;   in Loop: Header=BB149_13 Depth=1
	s_andn2_saveexec_b64 s[8:9], s[0:1]
	s_cbranch_execz .LBB149_12
; %bb.18:                               ;   in Loop: Header=BB149_13 Depth=1
	global_load_dword v2, v[32:33], off
	s_waitcnt vmcnt(0)
	v_mad_i64_i32 v[2:3], s[0:1], v2, s19, 0
	v_lshl_add_u64 v[40:41], v[2:3], 1, v[30:31]
	global_load_dwordx2 v[36:37], v[40:41], off offset:512
	global_load_dwordx2 v[34:35], v[40:41], off offset:1024
	;; [unrolled: 1-line block ×3, first 2 shown]
	global_load_dwordx2 v[42:43], v[40:41], off
	v_cmp_lt_i32_e64 s[0:1], v59, v60
	ds_read2_b64 v[26:29], v50 offset1:1
	ds_read2_b64 v[22:25], v50 offset0:2 offset1:3
	ds_read2_b64 v[18:21], v50 offset0:4 offset1:5
	;; [unrolled: 1-line block ×6, first 2 shown]
	ds_read_b64 v[44:45], v50 offset:112
	v_cndmask_b32_e64 v62, v58, v59, s[0:1]
	v_lshlrev_b32_e32 v72, 2, v62
	global_load_dwordx2 v[62:63], v[40:41], off offset:2048
	global_load_dwordx2 v[64:65], v[40:41], off offset:2560
	;; [unrolled: 1-line block ×4, first 2 shown]
	v_add_co_u32_e64 v40, s[0:1], s30, v40
	s_waitcnt lgkmcnt(7)
	v_lshlrev_b32_e32 v73, 16, v26
	v_addc_co_u32_e64 v41, s[0:1], 0, v41, s[0:1]
	global_load_dwordx2 v[70:71], v[40:41], off
	v_lshlrev_b32_e32 v74, 16, v27
	v_and_b32_e32 v97, 0xffff0000, v26
	v_and_b32_e32 v98, 0xffff0000, v27
	global_load_dwordx2 v[26:27], v[40:41], off offset:512
	v_lshlrev_b32_e32 v75, 16, v28
	s_waitcnt lgkmcnt(6)
	v_lshlrev_b32_e32 v77, 16, v22
	v_lshlrev_b32_e32 v78, 16, v23
	s_waitcnt lgkmcnt(2)
	v_lshlrev_b32_e32 v93, 16, v6
	v_and_b32_e32 v99, 0xffff0000, v22
	v_and_b32_e32 v100, 0xffff0000, v23
	global_load_dwordx2 v[22:23], v[40:41], off offset:1024
	v_and_b32_e32 v103, 0xffff0000, v6
	v_lshlrev_b32_e32 v89, 16, v10
	v_lshlrev_b32_e32 v94, 16, v7
	v_lshlrev_b32_e32 v95, 16, v8
	v_lshlrev_b32_e32 v96, 16, v9
	v_and_b32_e32 v101, 0xffff0000, v10
	v_and_b32_e32 v104, 0xffff0000, v7
	;; [unrolled: 1-line block ×4, first 2 shown]
	s_waitcnt lgkmcnt(1)
	v_and_b32_e32 v107, 0xffff0000, v2
	v_and_b32_e32 v108, 0xffff0000, v3
	v_lshlrev_b32_e32 v76, 16, v29
	v_lshlrev_b32_e32 v90, 16, v11
	v_and_b32_e32 v28, 0xffff0000, v28
	v_and_b32_e32 v102, 0xffff0000, v11
	;; [unrolled: 1-line block ×3, first 2 shown]
	v_lshlrev_b32_e32 v79, 16, v24
	v_and_b32_e32 v24, 0xffff0000, v24
	v_lshlrev_b32_e32 v80, 16, v25
	v_lshlrev_b32_e32 v81, 16, v18
	v_and_b32_e32 v25, 0xffff0000, v25
	v_and_b32_e32 v18, 0xffff0000, v18
	v_lshlrev_b32_e32 v82, 16, v19
	v_lshlrev_b32_e32 v83, 16, v20
	v_and_b32_e32 v19, 0xffff0000, v19
	;; [unrolled: 4-line block ×4, first 2 shown]
	v_and_b32_e32 v16, 0xffff0000, v16
	v_lshlrev_b32_e32 v88, 16, v17
	v_and_b32_e32 v17, 0xffff0000, v17
	v_lshlrev_b32_e32 v91, 16, v12
	;; [unrolled: 2-line block ×3, first 2 shown]
	v_and_b32_e32 v13, 0xffff0000, v13
	s_waitcnt vmcnt(10)
	v_lshlrev_b32_e32 v6, 16, v36
	v_and_b32_e32 v8, 0xffff0000, v36
	v_lshlrev_b32_e32 v11, 16, v37
	s_waitcnt vmcnt(7)
	v_lshlrev_b32_e32 v7, 16, v42
	v_and_b32_e32 v9, 0xffff0000, v42
	v_lshlrev_b32_e32 v10, 16, v43
	v_and_b32_e32 v36, 0xffff0000, v43
	v_lshlrev_b32_e32 v42, 16, v2
	v_mul_f32_e32 v43, v75, v6
	v_lshlrev_b32_e32 v75, 16, v3
	global_load_dwordx2 v[2:3], v[40:41], off offset:1536
	v_mul_f32_e32 v28, v28, v8
	v_mul_f32_e32 v76, v76, v11
	v_fmac_f32_e32 v43, v73, v7
	v_fmac_f32_e32 v28, v97, v9
	;; [unrolled: 1-line block ×3, first 2 shown]
	global_load_dwordx2 v[6:7], v[40:41], off offset:2048
	global_load_dwordx2 v[8:9], v[40:41], off offset:2560
	;; [unrolled: 1-line block ×3, first 2 shown]
	v_and_b32_e32 v37, 0xffff0000, v37
	v_mul_f32_e32 v29, v29, v37
	v_lshlrev_b32_e32 v37, 16, v34
	v_and_b32_e32 v34, 0xffff0000, v34
	v_fmac_f32_e32 v29, v98, v36
	v_lshlrev_b32_e32 v36, 16, v35
	v_and_b32_e32 v35, 0xffff0000, v35
	v_fmac_f32_e32 v43, v77, v37
	v_and_b32_e32 v37, 0xffff0000, v38
	v_fmac_f32_e32 v28, v99, v34
	v_lshlrev_b32_e32 v40, 16, v38
	v_lshlrev_b32_e32 v38, 16, v39
	v_and_b32_e32 v39, 0xffff0000, v39
	s_waitcnt vmcnt(10)
	v_and_b32_e32 v34, 0xffff0000, v62
	v_fmac_f32_e32 v76, v78, v36
	v_fmac_f32_e32 v29, v100, v35
	v_fmac_f32_e32 v28, v24, v37
	v_lshlrev_b32_e32 v41, 16, v62
	v_lshlrev_b32_e32 v62, 16, v63
	v_and_b32_e32 v63, 0xffff0000, v63
	s_waitcnt vmcnt(9)
	v_and_b32_e32 v36, 0xffff0000, v64
	v_fmac_f32_e32 v43, v79, v40
	v_fmac_f32_e32 v76, v80, v38
	v_fmac_f32_e32 v29, v25, v39
	v_fmac_f32_e32 v28, v18, v34
	v_lshlrev_b32_e32 v73, 16, v64
	v_lshlrev_b32_e32 v64, 16, v65
	v_and_b32_e32 v65, 0xffff0000, v65
	s_waitcnt vmcnt(8)
	v_and_b32_e32 v35, 0xffff0000, v66
	v_fmac_f32_e32 v43, v81, v41
	v_fmac_f32_e32 v76, v82, v62
	v_fmac_f32_e32 v29, v19, v63
	v_fmac_f32_e32 v28, v20, v36
	v_lshlrev_b32_e32 v74, 16, v66
	v_lshlrev_b32_e32 v66, 16, v67
	v_and_b32_e32 v67, 0xffff0000, v67
	s_waitcnt vmcnt(7)
	v_and_b32_e32 v40, 0xffff0000, v68
	v_fmac_f32_e32 v43, v83, v73
	v_fmac_f32_e32 v76, v84, v64
	v_fmac_f32_e32 v29, v21, v65
	v_fmac_f32_e32 v28, v14, v35
	v_lshlrev_b32_e32 v77, 16, v68
	v_lshlrev_b32_e32 v68, 16, v69
	v_and_b32_e32 v69, 0xffff0000, v69
	s_waitcnt vmcnt(6)
	v_and_b32_e32 v24, 0xffff0000, v70
	v_fmac_f32_e32 v43, v85, v74
	v_fmac_f32_e32 v76, v86, v66
	v_fmac_f32_e32 v29, v15, v67
	;; [unrolled: 1-line block ×3, first 2 shown]
	v_lshlrev_b32_e32 v78, 16, v70
	v_lshlrev_b32_e32 v37, 16, v71
	v_and_b32_e32 v70, 0xffff0000, v71
	s_waitcnt vmcnt(5)
	v_lshlrev_b32_e32 v71, 16, v26
	v_and_b32_e32 v26, 0xffff0000, v26
	v_fmac_f32_e32 v43, v87, v77
	v_fmac_f32_e32 v76, v88, v68
	;; [unrolled: 1-line block ×4, first 2 shown]
	v_lshlrev_b32_e32 v38, 16, v27
	v_and_b32_e32 v27, 0xffff0000, v27
	s_waitcnt vmcnt(4)
	v_lshlrev_b32_e32 v79, 16, v22
	v_and_b32_e32 v22, 0xffff0000, v22
	v_fmac_f32_e32 v43, v89, v78
	v_fmac_f32_e32 v76, v90, v37
	;; [unrolled: 1-line block ×4, first 2 shown]
	v_lshlrev_b32_e32 v25, 16, v23
	v_and_b32_e32 v23, 0xffff0000, v23
	v_fmac_f32_e32 v43, v91, v71
	v_fmac_f32_e32 v76, v92, v38
	v_fmac_f32_e32 v29, v13, v27
	v_fmac_f32_e32 v28, v103, v22
	v_fmac_f32_e32 v43, v93, v79
	s_waitcnt vmcnt(3)
	v_lshlrev_b32_e32 v12, 16, v2
	v_and_b32_e32 v2, 0xffff0000, v2
	v_fmac_f32_e32 v76, v94, v25
	v_fmac_f32_e32 v29, v104, v23
	;; [unrolled: 1-line block ×3, first 2 shown]
	v_lshlrev_b32_e32 v2, 16, v3
	v_and_b32_e32 v3, 0xffff0000, v3
	v_fmac_f32_e32 v43, v95, v12
	v_fmac_f32_e32 v76, v96, v2
	;; [unrolled: 1-line block ×3, first 2 shown]
	s_waitcnt vmcnt(2)
	v_lshlrev_b32_e32 v2, 16, v6
	v_and_b32_e32 v3, 0xffff0000, v6
	v_fmac_f32_e32 v43, v42, v2
	v_fmac_f32_e32 v28, v107, v3
	v_lshlrev_b32_e32 v2, 16, v7
	v_and_b32_e32 v3, 0xffff0000, v7
	v_fmac_f32_e32 v76, v75, v2
	v_fmac_f32_e32 v29, v108, v3
	v_lshlrev_b32_e32 v2, 16, v4
	v_and_b32_e32 v3, 0xffff0000, v4
	s_waitcnt vmcnt(1)
	v_lshlrev_b32_e32 v4, 16, v8
	v_and_b32_e32 v6, 0xffff0000, v8
	v_fmac_f32_e32 v43, v4, v2
	v_fmac_f32_e32 v28, v6, v3
	v_lshlrev_b32_e32 v2, 16, v5
	v_and_b32_e32 v3, 0xffff0000, v5
	v_lshlrev_b32_e32 v4, 16, v9
	v_and_b32_e32 v5, 0xffff0000, v9
	v_fmac_f32_e32 v76, v4, v2
	v_fmac_f32_e32 v29, v5, v3
	s_waitcnt lgkmcnt(0)
	v_lshlrev_b32_e32 v2, 16, v44
	v_and_b32_e32 v3, 0xffff0000, v44
	s_waitcnt vmcnt(0)
	v_lshlrev_b32_e32 v4, 16, v10
	v_and_b32_e32 v5, 0xffff0000, v10
	v_fmac_f32_e32 v43, v4, v2
	v_fmac_f32_e32 v28, v5, v3
	v_lshlrev_b32_e32 v2, 16, v45
	v_lshlrev_b32_e32 v4, 16, v11
	v_and_b32_e32 v3, 0xffff0000, v45
	v_and_b32_e32 v5, 0xffff0000, v11
	v_fmac_f32_e32 v76, v4, v2
	v_add_f32_e32 v2, v43, v28
	v_fmac_f32_e32 v29, v5, v3
	v_add_f32_e32 v2, v2, v76
	v_add_f32_e32 v2, v29, v2
	ds_bpermute_b32 v3, v72, v2
	s_and_saveexec_b64 s[38:39], vcc
	s_cbranch_execz .LBB149_11
; %bb.19:                               ;   in Loop: Header=BB149_13 Depth=1
	v_add_u32_e32 v4, v55, v53
	v_cvt_f32_i32_e32 v4, v4
	s_waitcnt lgkmcnt(0)
	v_add_f32_e32 v2, v2, v3
	v_add_u32_e32 v5, v49, v53
	v_cmp_gt_i32_e64 s[0:1], s33, v5
	v_mul_f32_e32 v3, s44, v4
	v_cndmask_b32_e64 v3, 0, v3, s[2:3]
	v_fmac_f32_e32 v3, s31, v2
	v_cndmask_b32_e64 v2, 0, v3, s[0:1]
	ds_write_b32 v56, v2
	v_max_f32_e32 v2, v51, v51
	v_max_f32_e32 v2, v2, v3
	v_cndmask_b32_e64 v51, v51, v2, s[0:1]
	s_branch .LBB149_11
.LBB149_20:
	s_or_b64 exec, exec, s[36:37]
.LBB149_21:
	s_or_b64 exec, exec, s[34:35]
	v_mbcnt_hi_u32_b32 v2, -1, v47
	v_and_b32_e32 v10, 64, v2
	v_add_u32_e32 v11, 64, v10
	s_waitcnt lgkmcnt(0)
	v_xor_b32_e32 v3, 32, v2
	v_cmp_lt_i32_e32 vcc, v3, v11
	v_xor_b32_e32 v6, 16, v2
	v_max_f32_e32 v5, v51, v51
	v_cndmask_b32_e32 v3, v2, v3, vcc
	v_lshlrev_b32_e32 v3, 2, v3
	ds_bpermute_b32 v4, v3, v51
	v_cmp_lt_i32_e32 vcc, v6, v11
	v_xor_b32_e32 v7, 8, v2
	v_xor_b32_e32 v8, 4, v2
	;; [unrolled: 1-line block ×3, first 2 shown]
	s_waitcnt lgkmcnt(0)
	v_max_f32_e32 v4, v4, v4
	v_max_f32_e32 v4, v5, v4
	v_cndmask_b32_e32 v5, v2, v6, vcc
	v_lshlrev_b32_e32 v5, 2, v5
	ds_bpermute_b32 v6, v5, v4
	v_cmp_lt_i32_e32 vcc, v7, v11
	s_waitcnt lgkmcnt(0)
	v_max_f32_e32 v6, v6, v6
	v_max_f32_e32 v4, v4, v6
	v_cndmask_b32_e32 v6, v2, v7, vcc
	v_lshlrev_b32_e32 v6, 2, v6
	ds_bpermute_b32 v7, v6, v4
	v_cmp_lt_i32_e32 vcc, v8, v11
	;; [unrolled: 7-line block ×3, first 2 shown]
	s_waitcnt lgkmcnt(0)
	v_max_f32_e32 v8, v8, v8
	v_max_f32_e32 v9, v4, v8
	v_cndmask_b32_e32 v4, v2, v12, vcc
	v_lshlrev_b32_e32 v55, 2, v4
	ds_bpermute_b32 v12, v55, v9
	v_and_b32_e32 v4, 63, v0
	v_cmp_eq_u32_e32 vcc, 0, v4
	v_lshlrev_b32_e32 v8, 2, v1
	s_and_saveexec_b64 s[0:1], vcc
	s_cbranch_execz .LBB149_23
; %bb.22:
	s_waitcnt lgkmcnt(0)
	v_max_f32_e32 v12, v12, v12
	v_max_f32_e32 v9, v9, v9
	;; [unrolled: 1-line block ×3, first 2 shown]
	ds_write_b32 v8, v9 offset:240
.LBB149_23:
	s_or_b64 exec, exec, s[0:1]
	v_cmp_gt_u32_e64 s[0:1], 2, v4
	s_waitcnt lgkmcnt(0)
	v_mov_b32_e32 v12, 0xff7fffff
	v_lshlrev_b32_e32 v9, 2, v4
	s_barrier
	s_and_saveexec_b64 s[2:3], s[0:1]
; %bb.24:
	ds_read_b32 v12, v9 offset:240
; %bb.25:
	s_or_b64 exec, exec, s[2:3]
	v_xor_b32_e32 v13, 1, v2
	v_cmp_lt_i32_e64 s[2:3], v13, v11
	v_lshlrev_b32_e32 v10, 2, v10
	s_nop 0
	v_cndmask_b32_e64 v11, v2, v13, s[2:3]
	v_lshlrev_b32_e32 v56, 2, v11
	s_waitcnt lgkmcnt(0)
	ds_bpermute_b32 v11, v56, v12
	v_max_f32_e32 v12, v12, v12
	s_lshl_b32 s2, s43, 5
	s_min_i32 s15, s2, s33
	v_cmp_gt_i32_e64 s[2:3], s15, v0
	s_waitcnt lgkmcnt(0)
	v_max_f32_e32 v11, v11, v11
	v_max_f32_e32 v11, v12, v11
	ds_bpermute_b32 v11, v10, v11
	v_mov_b32_e32 v10, 0
	s_and_saveexec_b64 s[30:31], s[2:3]
	s_cbranch_execz .LBB149_29
; %bb.26:
	v_mov_b32_e32 v10, 0x100
	v_lshl_add_u32 v12, v0, 2, v10
	v_mov_b32_e32 v10, 0
	s_mov_b64 s[34:35], 0
	v_mov_b32_e32 v13, v0
.LBB149_27:                             ; =>This Inner Loop Header: Depth=1
	ds_read_b32 v14, v12
	v_add_u32_e32 v13, 0x80, v13
	v_cmp_le_i32_e64 s[8:9], s15, v13
	s_or_b64 s[34:35], s[8:9], s[34:35]
	s_waitcnt lgkmcnt(0)
	v_sub_f32_e32 v14, v14, v11
	v_mul_f32_e32 v14, 0x3fb8aa3b, v14
	v_exp_f32_e32 v14, v14
	ds_write_b32 v12, v14
	v_add_f32_e32 v10, v10, v14
	v_add_u32_e32 v12, 0x200, v12
	s_andn2_b64 exec, exec, s[34:35]
	s_cbranch_execnz .LBB149_27
; %bb.28:
	s_or_b64 exec, exec, s[34:35]
.LBB149_29:
	s_or_b64 exec, exec, s[30:31]
	ds_bpermute_b32 v3, v3, v10
	s_waitcnt lgkmcnt(0)
	v_add_f32_e32 v3, v10, v3
	ds_bpermute_b32 v5, v5, v3
	s_waitcnt lgkmcnt(0)
	v_add_f32_e32 v3, v3, v5
	;; [unrolled: 3-line block ×6, first 2 shown]
	s_and_saveexec_b64 s[8:9], vcc
; %bb.30:
	ds_write_b32 v8, v3 offset:248
; %bb.31:
	s_or_b64 exec, exec, s[8:9]
	s_waitcnt lgkmcnt(0)
	s_barrier
	s_and_saveexec_b64 s[8:9], s[0:1]
; %bb.32:
	ds_read_b32 v3, v9 offset:248
; %bb.33:
	s_or_b64 exec, exec, s[8:9]
	s_waitcnt lgkmcnt(0)
	ds_bpermute_b32 v5, v56, v3
	v_lshlrev_b32_e32 v2, 2, v2
	v_and_b32_e32 v2, 0x100, v2
	s_waitcnt lgkmcnt(0)
	v_add_f32_e32 v3, v3, v5
	ds_bpermute_b32 v2, v2, v3
	s_and_saveexec_b64 s[0:1], s[2:3]
	s_cbranch_execz .LBB149_46
; %bb.34:
	s_waitcnt lgkmcnt(0)
	v_add_f32_e32 v2, 0x358637bd, v2
	v_div_scale_f32 v3, s[2:3], v2, v2, 1.0
	v_rcp_f32_e32 v5, v3
	v_div_scale_f32 v6, vcc, 1.0, v2, 1.0
	s_movk_i32 s2, 0x7f
	v_fma_f32 v7, -v3, v5, 1.0
	v_fmac_f32_e32 v5, v7, v5
	v_mul_f32_e32 v7, v6, v5
	v_fma_f32 v8, -v3, v7, v6
	v_fmac_f32_e32 v7, v8, v5
	v_fma_f32 v3, -v3, v7, v6
	v_div_fmas_f32 v3, v3, v5, v7
	v_xad_u32 v5, v0, -1, s15
	v_div_fixup_f32 v2, v3, v2, 1.0
	v_cmp_lt_u32_e32 vcc, s2, v5
	s_mov_b64 s[8:9], -1
	v_mov_b32_e32 v3, v0
	s_and_saveexec_b64 s[2:3], vcc
	s_cbranch_execz .LBB149_43
; %bb.35:
	v_lshrrev_b32_e32 v5, 7, v5
	v_add_u32_e32 v7, -1, v5
	v_lshrrev_b32_e32 v6, 1, v7
	v_mov_b32_e32 v3, v2
	v_add_u32_e32 v6, 1, v6
	v_cmp_lt_u32_e32 vcc, 13, v7
	v_mov_b32_e32 v9, 0
	s_and_saveexec_b64 s[8:9], vcc
	s_cbranch_execz .LBB149_39
; %bb.36:
	v_mov_b32_e32 v8, 0x100
	v_and_b32_e32 v7, -8, v6
	v_lshl_add_u32 v8, v0, 2, v8
	s_mov_b32 s16, 0
	s_mov_b64 s[30:31], 0
.LBB149_37:                             ; =>This Inner Loop Header: Depth=1
	ds_read2st64_b32 v[10:11], v8 offset1:2
	ds_read2st64_b32 v[12:13], v8 offset0:4 offset1:6
	ds_read2st64_b32 v[14:15], v8 offset0:8 offset1:10
	;; [unrolled: 1-line block ×3, first 2 shown]
	v_add_u32_e32 v7, -8, v7
	s_waitcnt lgkmcnt(3)
	v_pk_mul_f32 v[10:11], v[2:3], v[10:11]
	s_waitcnt lgkmcnt(2)
	v_pk_mul_f32 v[12:13], v[2:3], v[12:13]
	ds_write2st64_b32 v8, v10, v11 offset1:2
	ds_write2st64_b32 v8, v12, v13 offset0:4 offset1:6
	ds_read2st64_b32 v[12:13], v8 offset0:16 offset1:18
	s_waitcnt lgkmcnt(4)
	v_pk_mul_f32 v[10:11], v[2:3], v[14:15]
	ds_write2st64_b32 v8, v10, v11 offset0:8 offset1:10
	s_waitcnt lgkmcnt(4)
	v_pk_mul_f32 v[10:11], v[2:3], v[16:17]
	ds_write2st64_b32 v8, v10, v11 offset0:12 offset1:14
	ds_read2st64_b32 v[10:11], v8 offset0:20 offset1:22
	s_waitcnt lgkmcnt(3)
	v_pk_mul_f32 v[12:13], v[2:3], v[12:13]
	ds_read2st64_b32 v[14:15], v8 offset0:24 offset1:26
	ds_write2st64_b32 v8, v12, v13 offset0:16 offset1:18
	ds_read2st64_b32 v[12:13], v8 offset0:28 offset1:30
	s_waitcnt lgkmcnt(3)
	v_pk_mul_f32 v[10:11], v[2:3], v[10:11]
	ds_write2st64_b32 v8, v10, v11 offset0:20 offset1:22
	s_waitcnt lgkmcnt(3)
	v_pk_mul_f32 v[10:11], v[2:3], v[14:15]
	ds_write2st64_b32 v8, v10, v11 offset0:24 offset1:26
	s_waitcnt lgkmcnt(2)
	v_pk_mul_f32 v[10:11], v[2:3], v[12:13]
	s_add_i32 s16, s16, 16
	v_cmp_eq_u32_e32 vcc, 0, v7
	ds_write2st64_b32 v8, v10, v11 offset0:28 offset1:30
	v_add_u32_e32 v8, 0x2000, v8
	s_or_b64 s[30:31], vcc, s[30:31]
	v_mov_b32_e32 v9, s16
	s_andn2_b64 exec, exec, s[30:31]
	s_cbranch_execnz .LBB149_37
; %bb.38:
	s_or_b64 exec, exec, s[30:31]
.LBB149_39:
	s_or_b64 exec, exec, s[8:9]
	v_and_b32_e32 v6, 7, v6
	v_cmp_ne_u32_e32 vcc, 0, v6
	s_and_saveexec_b64 s[8:9], vcc
	s_cbranch_execz .LBB149_42
; %bb.40:
	v_lshlrev_b32_e32 v7, 9, v9
	v_lshlrev_b32_e32 v8, 2, v0
	s_movk_i32 s16, 0x100
	v_add3_u32 v7, v7, v8, s16
	s_mov_b64 s[30:31], 0
.LBB149_41:                             ; =>This Inner Loop Header: Depth=1
	ds_read2st64_b32 v[8:9], v7 offset1:2
	v_add_u32_e32 v6, -1, v6
	v_cmp_eq_u32_e32 vcc, 0, v6
	s_or_b64 s[30:31], vcc, s[30:31]
	s_waitcnt lgkmcnt(0)
	v_pk_mul_f32 v[8:9], v[2:3], v[8:9]
	ds_write2st64_b32 v7, v8, v9 offset1:2
	v_add_u32_e32 v7, 0x400, v7
	s_andn2_b64 exec, exec, s[30:31]
	s_cbranch_execnz .LBB149_41
.LBB149_42:
	s_or_b64 exec, exec, s[8:9]
	v_add_u32_e32 v5, 1, v5
	v_and_b32_e32 v6, 0x3fffffe, v5
	v_cmp_ne_u32_e32 vcc, v5, v6
	v_lshl_add_u32 v3, v6, 7, v0
	s_orn2_b64 s[8:9], vcc, exec
.LBB149_43:
	s_or_b64 exec, exec, s[2:3]
	s_and_b64 exec, exec, s[8:9]
	s_cbranch_execz .LBB149_46
; %bb.44:
	v_mov_b32_e32 v5, 0x100
	v_lshl_add_u32 v5, v3, 2, v5
	s_mov_b64 s[2:3], 0
.LBB149_45:                             ; =>This Inner Loop Header: Depth=1
	ds_read_b32 v6, v5
	v_add_u32_e32 v3, 0x80, v3
	v_cmp_le_i32_e32 vcc, s15, v3
	s_or_b64 s[2:3], vcc, s[2:3]
	s_waitcnt lgkmcnt(0)
	v_mul_f32_e32 v6, v2, v6
	ds_write_b32 v5, v6
	v_add_u32_e32 v5, 0x200, v5
	s_andn2_b64 exec, exec, s[2:3]
	s_cbranch_execnz .LBB149_45
.LBB149_46:
	s_or_b64 exec, exec, s[0:1]
	v_lshrrev_b32_e32 v57, 2, v4
	s_waitcnt lgkmcnt(0)
	s_barrier
	s_and_saveexec_b64 s[0:1], s[6:7]
	s_xor_b64 s[0:1], exec, s[0:1]
; %bb.47:
	v_lshrrev_b32_e32 v57, 2, v4
                                        ; implicit-def: $vgpr54
                                        ; implicit-def: $vgpr1
                                        ; implicit-def: $vgpr46
                                        ; implicit-def: $vgpr48
; %bb.48:
	s_or_saveexec_b64 s[8:9], s[0:1]
	v_mov_b32_e32 v39, 0
	v_and_b32_e32 v58, 3, v0
	v_mov_b32_e32 v38, 0
	v_mov_b32_e32 v41, 0
	;; [unrolled: 1-line block ×7, first 2 shown]
	s_xor_b64 exec, exec, s[8:9]
	s_cbranch_execz .LBB149_72
; %bb.49:
	s_ashr_i32 s15, s14, 31
	s_sub_i32 s30, s12, s17
	s_lshl_b64 s[0:1], s[14:15], 1
	s_add_u32 s12, s28, s0
	s_mov_b32 s31, s13
	s_addc_u32 s13, s29, s1
	s_abs_i32 s28, s18
	v_cvt_f32_u32_e32 v3, s28
	s_sub_i32 s2, 0, s28
	s_add_i32 s29, s43, -1
	v_and_b32_e32 v59, 24, v46
	v_rcp_iflag_f32_e32 v3, v3
	v_or_b32_e32 v4, 0x70, v57
	s_movk_i32 s0, 0x78
	v_lshl_or_b32 v2, v57, 5, v59
	v_mul_f32_e32 v3, 0x4f7ffffe, v3
	v_cvt_u32_f32_e32 v3, v3
	v_mov_b32_e32 v47, 0
	v_cmp_gt_u32_e64 s[0:1], s0, v4
	v_lshl_or_b32 v4, v4, 5, v59
	v_mul_lo_u32 v5, s2, v3
	v_mul_hi_u32 v5, v3, v5
	s_lshl_b64 s[2:3], s[26:27], 2
	v_add_u32_e32 v60, v3, v5
	s_add_u32 s2, s24, s2
	v_lshlrev_b32_e32 v3, 5, v58
	v_and_b32_e32 v46, 60, v48
	s_addc_u32 s3, s25, s3
	v_lshl_or_b32 v3, v1, 7, v3
	s_mov_b32 s34, s33
	v_lshl_add_u64 v[48:49], s[2:3], 0, v[46:47]
	v_add_u32_e32 v61, 0x100, v3
	s_mov_b64 s[14:15], 0
	v_lshlrev_b32_e32 v46, 1, v2
	s_mov_b32 s24, 0x5040100
	v_lshlrev_b32_e32 v50, 1, v4
	v_mov_b32_e32 v44, v47
	v_mov_b32_e32 v45, v47
	;; [unrolled: 1-line block ×8, first 2 shown]
	s_branch .LBB149_53
.LBB149_50:                             ;   in Loop: Header=BB149_53 Depth=1
	s_or_b64 exec, exec, s[18:19]
	s_waitcnt vmcnt(0)
	v_and_b32_e32 v25, 0xffff0000, v18
	v_and_b32_e32 v51, 0xffff0000, v63
	v_mul_f32_e32 v25, v51, v25
	v_lshlrev_b32_e32 v18, 16, v18
	v_lshlrev_b32_e32 v51, 16, v63
	v_mul_f32_e32 v18, v51, v18
	v_and_b32_e32 v51, 0xffff0000, v19
	v_and_b32_e32 v52, 0xffff0000, v24
	v_mul_f32_e32 v51, v52, v51
	v_lshlrev_b32_e32 v19, 16, v19
	v_lshlrev_b32_e32 v52, 16, v24
	v_mul_f32_e32 v19, v52, v19
	;; [unrolled: 6-line block ×3, first 2 shown]
	v_and_b32_e32 v53, 0xffff0000, v21
	v_and_b32_e32 v62, 0xffff0000, v22
	v_cvt_pk_bf16_f32 v25, v25, s0
	v_cvt_pk_bf16_f32 v18, v18, s0
	;; [unrolled: 1-line block ×4, first 2 shown]
	v_mul_f32_e32 v53, v62, v53
	v_lshlrev_b32_e32 v21, 16, v21
	v_lshlrev_b32_e32 v62, 16, v22
	v_cvt_pk_bf16_f32 v52, v52, s0
	v_cvt_pk_bf16_f32 v20, v20, s0
	v_mul_f32_e32 v21, v62, v21
	v_lshlrev_b32_e32 v18, 16, v18
	v_lshlrev_b32_e32 v25, 16, v25
	;; [unrolled: 1-line block ×4, first 2 shown]
	v_cvt_pk_bf16_f32 v53, v53, s0
	v_cvt_pk_bf16_f32 v21, v21, s0
	v_lshlrev_b32_e32 v20, 16, v20
	v_lshlrev_b32_e32 v52, 16, v52
	v_add_f32_e32 v18, v25, v18
	v_add_f32_e32 v19, v51, v19
	v_lshlrev_b32_e32 v21, 16, v21
	v_lshlrev_b32_e32 v53, 16, v53
	v_add_f32_e32 v18, v19, v18
	v_add_f32_e32 v19, v52, v20
	;; [unrolled: 1-line block ×6, first 2 shown]
.LBB149_51:                             ;   in Loop: Header=BB149_53 Depth=1
	s_or_b64 exec, exec, s[6:7]
	s_waitcnt vmcnt(0)
	v_and_b32_e32 v18, 0xffff0000, v34
	v_and_b32_e32 v19, 0xffff0000, v63
	v_lshlrev_b32_e32 v20, 16, v34
	v_lshlrev_b32_e32 v21, 16, v63
	v_mul_f32_e32 v18, v19, v18
	v_mul_f32_e32 v20, v21, v20
	v_and_b32_e32 v25, 0xffff0000, v35
	v_and_b32_e32 v34, 0xffff0000, v24
	v_lshlrev_b32_e32 v35, 16, v35
	v_lshlrev_b32_e32 v24, 16, v24
	v_cvt_pk_bf16_f32 v18, v18, s0
	v_cvt_pk_bf16_f32 v20, v20, s0
	v_mul_f32_e32 v25, v34, v25
	v_mul_f32_e32 v35, v24, v35
	v_cvt_pk_bf16_f32 v25, v25, s0
	v_cvt_pk_bf16_f32 v35, v35, s0
	v_and_b32_e32 v51, 0xffff0000, v36
	v_and_b32_e32 v52, 0xffff0000, v23
	v_lshlrev_b32_e32 v36, 16, v36
	v_lshlrev_b32_e32 v23, 16, v23
	;; [unrolled: 1-line block ×4, first 2 shown]
	v_mul_f32_e32 v51, v52, v51
	v_mul_f32_e32 v36, v23, v36
	v_add_f32_e32 v18, v20, v18
	v_lshlrev_b32_e32 v20, 16, v35
	v_lshlrev_b32_e32 v25, 16, v25
	v_cvt_pk_bf16_f32 v51, v51, s0
	v_cvt_pk_bf16_f32 v36, v36, s0
	v_and_b32_e32 v53, 0xffff0000, v37
	v_and_b32_e32 v62, 0xffff0000, v22
	v_lshlrev_b32_e32 v37, 16, v37
	v_lshlrev_b32_e32 v22, 16, v22
	v_add_f32_e32 v20, v20, v25
	v_mul_f32_e32 v53, v62, v53
	v_mul_f32_e32 v37, v22, v37
	v_add_f32_e32 v18, v20, v18
	v_lshlrev_b32_e32 v20, 16, v36
	v_lshlrev_b32_e32 v25, 16, v51
	v_cvt_pk_bf16_f32 v53, v53, s0
	v_cvt_pk_bf16_f32 v37, v37, s0
	v_add_f32_e32 v20, v20, v25
	v_add_f32_e32 v18, v20, v18
	v_lshlrev_b32_e32 v20, 16, v37
	v_lshlrev_b32_e32 v25, 16, v53
	v_add_f32_e32 v20, v20, v25
	v_add_f32_e32 v18, v20, v18
	v_add_f32_e32 v38, v38, v18
	v_and_b32_e32 v18, 0xffff0000, v30
	v_lshlrev_b32_e32 v20, 16, v30
	v_mul_f32_e32 v18, v19, v18
	v_mul_f32_e32 v20, v21, v20
	v_and_b32_e32 v25, 0xffff0000, v31
	v_lshlrev_b32_e32 v30, 16, v31
	v_cvt_pk_bf16_f32 v18, v18, s0
	v_cvt_pk_bf16_f32 v20, v20, s0
	v_mul_f32_e32 v25, v34, v25
	v_mul_f32_e32 v30, v24, v30
	v_cvt_pk_bf16_f32 v25, v25, s0
	v_cvt_pk_bf16_f32 v30, v30, s0
	v_and_b32_e32 v31, 0xffff0000, v32
	v_lshlrev_b32_e32 v32, 16, v32
	v_lshlrev_b32_e32 v20, 16, v20
	v_lshlrev_b32_e32 v18, 16, v18
	v_mul_f32_e32 v31, v52, v31
	v_mul_f32_e32 v32, v23, v32
	v_add_f32_e32 v18, v20, v18
	v_lshlrev_b32_e32 v20, 16, v30
	v_lshlrev_b32_e32 v25, 16, v25
	v_cvt_pk_bf16_f32 v31, v31, s0
	v_cvt_pk_bf16_f32 v32, v32, s0
	v_and_b32_e32 v35, 0xffff0000, v33
	v_lshlrev_b32_e32 v33, 16, v33
	v_add_f32_e32 v20, v20, v25
	v_mul_f32_e32 v35, v62, v35
	v_mul_f32_e32 v33, v22, v33
	v_add_f32_e32 v18, v20, v18
	v_lshlrev_b32_e32 v20, 16, v32
	v_lshlrev_b32_e32 v25, 16, v31
	v_cvt_pk_bf16_f32 v35, v35, s0
	v_cvt_pk_bf16_f32 v33, v33, s0
	v_add_f32_e32 v20, v20, v25
	v_add_f32_e32 v18, v20, v18
	v_lshlrev_b32_e32 v20, 16, v33
	v_lshlrev_b32_e32 v25, 16, v35
	v_add_f32_e32 v20, v20, v25
	v_add_f32_e32 v18, v20, v18
	v_add_f32_e32 v41, v41, v18
	v_and_b32_e32 v18, 0xffff0000, v26
	v_lshlrev_b32_e32 v20, 16, v26
	v_mul_f32_e32 v18, v19, v18
	v_mul_f32_e32 v20, v21, v20
	v_and_b32_e32 v25, 0xffff0000, v27
	v_lshlrev_b32_e32 v26, 16, v27
	v_cvt_pk_bf16_f32 v18, v18, s0
	v_cvt_pk_bf16_f32 v20, v20, s0
	v_mul_f32_e32 v25, v34, v25
	v_mul_f32_e32 v26, v24, v26
	v_cvt_pk_bf16_f32 v25, v25, s0
	v_cvt_pk_bf16_f32 v26, v26, s0
	v_and_b32_e32 v27, 0xffff0000, v28
	v_lshlrev_b32_e32 v28, 16, v28
	v_lshlrev_b32_e32 v20, 16, v20
	v_lshlrev_b32_e32 v18, 16, v18
	v_mul_f32_e32 v27, v52, v27
	v_mul_f32_e32 v28, v23, v28
	v_add_f32_e32 v18, v20, v18
	v_lshlrev_b32_e32 v20, 16, v26
	v_lshlrev_b32_e32 v25, 16, v25
	v_cvt_pk_bf16_f32 v27, v27, s0
	v_cvt_pk_bf16_f32 v28, v28, s0
	v_and_b32_e32 v30, 0xffff0000, v29
	;; [unrolled: 40-line block ×6, first 2 shown]
	v_lshlrev_b32_e32 v5, 16, v5
	v_add_f32_e32 v3, v3, v6
	v_mul_f32_e32 v9, v62, v9
	v_mul_f32_e32 v5, v22, v5
	v_add_f32_e32 v2, v3, v2
	v_lshlrev_b32_e32 v3, 16, v4
	v_lshlrev_b32_e32 v4, 16, v8
	v_cvt_pk_bf16_f32 v9, v9, s0
	v_cvt_pk_bf16_f32 v5, v5, s0
	v_add_f32_e32 v3, v3, v4
	v_add_f32_e32 v2, v3, v2
	v_lshlrev_b32_e32 v3, 16, v5
	v_lshlrev_b32_e32 v4, 16, v9
	v_add_f32_e32 v3, v3, v4
	v_add_f32_e32 v2, v3, v2
	;; [unrolled: 1-line block ×3, first 2 shown]
.LBB149_52:                             ;   in Loop: Header=BB149_53 Depth=1
	s_or_b64 exec, exec, s[16:17]
	v_add_u32_e32 v1, 2, v1
	v_cmp_le_i32_e32 vcc, s43, v1
	v_lshl_add_u64 v[48:49], v[48:49], 0, 8
	v_add_u32_e32 v54, 64, v54
	s_or_b64 s[14:15], vcc, s[14:15]
	v_add_u32_e32 v61, 0x100, v61
	s_andn2_b64 exec, exec, s[14:15]
	s_cbranch_execz .LBB149_71
.LBB149_53:                             ; =>This Inner Loop Header: Depth=1
	v_mul_hi_u32 v2, v54, s40
	v_mul_lo_u32 v3, v2, s21
	v_sub_u32_e32 v3, v54, v3
	v_add_u32_e32 v4, 1, v2
	v_cmp_le_u32_e32 vcc, s21, v3
	s_nop 1
	v_cndmask_b32_e32 v2, v2, v4, vcc
	v_subrev_u32_e32 v4, s21, v3
	v_cndmask_b32_e32 v3, v3, v4, vcc
	v_add_u32_e32 v4, 1, v2
	v_cmp_le_u32_e32 vcc, s21, v3
	s_nop 1
	v_cndmask_b32_e32 v2, v2, v4, vcc
	v_xor_b32_e32 v2, s42, v2
	v_subrev_u32_e32 v2, s42, v2
	v_add_u32_e32 v3, s41, v2
	v_sub_u32_e32 v5, 0, v3
	v_ashrrev_i32_e32 v4, 31, v3
	v_max_i32_e32 v3, v3, v5
	v_mul_hi_u32 v5, v3, v60
	v_mul_lo_u32 v5, v5, s28
	v_sub_u32_e32 v3, v3, v5
	v_subrev_u32_e32 v5, s28, v3
	v_cmp_le_u32_e32 vcc, s28, v3
	v_cmp_lt_i32_e64 s[2:3], s30, v2
	s_nop 0
	v_cndmask_b32_e32 v3, v3, v5, vcc
	v_subrev_u32_e32 v5, s28, v3
	v_cmp_le_u32_e32 vcc, s28, v3
	s_nop 1
	v_cndmask_b32_e32 v3, v3, v5, vcc
	v_xor_b32_e32 v3, v3, v4
	v_sub_u32_e32 v3, v3, v4
	v_cmp_eq_u32_e32 vcc, 0, v3
	s_or_b64 s[2:3], vcc, s[2:3]
	s_and_saveexec_b64 s[16:17], s[2:3]
	s_cbranch_execz .LBB149_52
; %bb.54:                               ;   in Loop: Header=BB149_53 Depth=1
	global_load_dword v2, v[48:49], off
	v_add_u32_e32 v62, v59, v54
	s_waitcnt vmcnt(0)
	v_mad_i64_i32 v[2:3], s[2:3], v2, s31, 0
	v_lshl_add_u64 v[52:53], v[2:3], 1, s[12:13]
	v_lshl_add_u64 v[34:35], v[52:53], 0, v[46:47]
	global_load_dwordx4 v[2:5], v[34:35], off
	ds_read2_b64 v[22:25], v61 offset1:1
	ds_read2_b64 v[18:21], v61 offset0:2 offset1:3
	v_cmp_eq_u32_e64 s[2:3], s29, v1
	s_and_saveexec_b64 s[18:19], s[2:3]
	s_cbranch_execnz .LBB149_68
; %bb.55:                               ;   in Loop: Header=BB149_53 Depth=1
	s_or_b64 exec, exec, s[18:19]
	global_load_dwordx4 v[6:9], v[34:35], off offset:1024
	s_and_saveexec_b64 s[18:19], s[2:3]
	s_cbranch_execnz .LBB149_69
.LBB149_56:                             ;   in Loop: Header=BB149_53 Depth=1
	s_or_b64 exec, exec, s[18:19]
	global_load_dwordx4 v[10:13], v[34:35], off offset:2048
	s_and_saveexec_b64 s[18:19], s[2:3]
	s_cbranch_execnz .LBB149_70
.LBB149_57:                             ;   in Loop: Header=BB149_53 Depth=1
	s_or_b64 exec, exec, s[18:19]
	global_load_dwordx4 v[14:17], v[34:35], off offset:3072
	s_and_saveexec_b64 s[18:19], s[2:3]
	s_cbranch_execz .LBB149_59
.LBB149_58:                             ;   in Loop: Header=BB149_53 Depth=1
	v_add_u32_e32 v26, 1, v62
	v_cmp_gt_i32_e32 vcc, s34, v26
	v_or_b32_e32 v27, 2, v62
	v_cmp_gt_i32_e64 s[6:7], s33, v27
	s_waitcnt vmcnt(0)
	v_cndmask_b32_sdwa v26, v47, v14, vcc dst_sel:DWORD dst_unused:UNUSED_PAD src0_sel:DWORD src1_sel:WORD_1
	v_cmp_gt_i32_e32 vcc, s33, v62
	v_or_b32_e32 v27, 4, v62
	s_nop 0
	v_cndmask_b32_e32 v14, 0, v14, vcc
	v_perm_b32 v14, v26, v14, s24
	v_or_b32_e32 v26, 3, v62
	v_cmp_gt_i32_e32 vcc, s34, v26
	v_cndmask_b32_e64 v26, 0, v15, s[6:7]
	v_cmp_gt_i32_e64 s[6:7], s33, v27
	v_cndmask_b32_sdwa v15, v47, v15, vcc dst_sel:DWORD dst_unused:UNUSED_PAD src0_sel:DWORD src1_sel:WORD_1
	v_perm_b32 v15, v15, v26, s24
	v_or_b32_e32 v26, 5, v62
	v_cmp_gt_i32_e32 vcc, s34, v26
	v_cndmask_b32_e64 v26, 0, v16, s[6:7]
	v_or_b32_e32 v27, 6, v62
	v_cndmask_b32_sdwa v16, v47, v16, vcc dst_sel:DWORD dst_unused:UNUSED_PAD src0_sel:DWORD src1_sel:WORD_1
	v_perm_b32 v16, v16, v26, s24
	v_or_b32_e32 v26, 7, v62
	v_cmp_gt_i32_e32 vcc, s34, v26
	v_cmp_gt_i32_e64 s[6:7], s33, v27
	s_nop 1
	v_cndmask_b32_e64 v26, 0, v17, s[6:7]
	v_cndmask_b32_sdwa v17, v47, v17, vcc dst_sel:DWORD dst_unused:UNUSED_PAD src0_sel:DWORD src1_sel:WORD_1
	v_perm_b32 v17, v17, v26, s24
.LBB149_59:                             ;   in Loop: Header=BB149_53 Depth=1
	s_or_b64 exec, exec, s[18:19]
	v_add_co_u32_e32 v26, vcc, 0x1000, v34
	s_nop 1
	v_addc_co_u32_e32 v27, vcc, 0, v35, vcc
	global_load_dwordx4 v[26:29], v[26:27], off
	s_and_saveexec_b64 s[18:19], s[2:3]
	s_cbranch_execz .LBB149_61
; %bb.60:                               ;   in Loop: Header=BB149_53 Depth=1
	v_add_u32_e32 v30, 1, v62
	v_cmp_gt_i32_e32 vcc, s34, v30
	v_or_b32_e32 v31, 2, v62
	v_cmp_gt_i32_e64 s[6:7], s33, v31
	s_waitcnt vmcnt(0)
	v_cndmask_b32_sdwa v30, v47, v26, vcc dst_sel:DWORD dst_unused:UNUSED_PAD src0_sel:DWORD src1_sel:WORD_1
	v_cmp_gt_i32_e32 vcc, s33, v62
	v_or_b32_e32 v31, 4, v62
	s_nop 0
	v_cndmask_b32_e32 v26, 0, v26, vcc
	v_perm_b32 v26, v30, v26, s24
	v_or_b32_e32 v30, 3, v62
	v_cmp_gt_i32_e32 vcc, s34, v30
	v_cndmask_b32_e64 v30, 0, v27, s[6:7]
	v_cmp_gt_i32_e64 s[6:7], s33, v31
	v_cndmask_b32_sdwa v27, v47, v27, vcc dst_sel:DWORD dst_unused:UNUSED_PAD src0_sel:DWORD src1_sel:WORD_1
	v_perm_b32 v27, v27, v30, s24
	v_or_b32_e32 v30, 5, v62
	v_cmp_gt_i32_e32 vcc, s34, v30
	v_cndmask_b32_e64 v30, 0, v28, s[6:7]
	v_or_b32_e32 v31, 6, v62
	v_cndmask_b32_sdwa v28, v47, v28, vcc dst_sel:DWORD dst_unused:UNUSED_PAD src0_sel:DWORD src1_sel:WORD_1
	v_perm_b32 v28, v28, v30, s24
	v_or_b32_e32 v30, 7, v62
	v_cmp_gt_i32_e32 vcc, s34, v30
	v_cmp_gt_i32_e64 s[6:7], s33, v31
	s_nop 1
	v_cndmask_b32_e64 v30, 0, v29, s[6:7]
	v_cndmask_b32_sdwa v29, v47, v29, vcc dst_sel:DWORD dst_unused:UNUSED_PAD src0_sel:DWORD src1_sel:WORD_1
	v_perm_b32 v29, v29, v30, s24
.LBB149_61:                             ;   in Loop: Header=BB149_53 Depth=1
	s_or_b64 exec, exec, s[18:19]
	v_add_co_u32_e32 v30, vcc, 0x1000, v34
	s_nop 1
	v_addc_co_u32_e32 v31, vcc, 0, v35, vcc
	global_load_dwordx4 v[30:33], v[30:31], off offset:1024
	s_and_saveexec_b64 s[18:19], s[2:3]
	s_cbranch_execz .LBB149_63
; %bb.62:                               ;   in Loop: Header=BB149_53 Depth=1
	v_add_u32_e32 v36, 1, v62
	v_cmp_gt_i32_e32 vcc, s34, v36
	v_or_b32_e32 v37, 2, v62
	v_cmp_gt_i32_e64 s[6:7], s33, v37
	s_waitcnt vmcnt(0)
	v_cndmask_b32_sdwa v36, v47, v30, vcc dst_sel:DWORD dst_unused:UNUSED_PAD src0_sel:DWORD src1_sel:WORD_1
	v_cmp_gt_i32_e32 vcc, s33, v62
	v_or_b32_e32 v37, 4, v62
	s_nop 0
	v_cndmask_b32_e32 v30, 0, v30, vcc
	v_perm_b32 v30, v36, v30, s24
	v_or_b32_e32 v36, 3, v62
	v_cmp_gt_i32_e32 vcc, s34, v36
	v_cndmask_b32_e64 v36, 0, v31, s[6:7]
	v_cmp_gt_i32_e64 s[6:7], s33, v37
	v_cndmask_b32_sdwa v31, v47, v31, vcc dst_sel:DWORD dst_unused:UNUSED_PAD src0_sel:DWORD src1_sel:WORD_1
	v_perm_b32 v31, v31, v36, s24
	v_or_b32_e32 v36, 5, v62
	v_cmp_gt_i32_e32 vcc, s34, v36
	v_cndmask_b32_e64 v36, 0, v32, s[6:7]
	v_or_b32_e32 v37, 6, v62
	v_cndmask_b32_sdwa v32, v47, v32, vcc dst_sel:DWORD dst_unused:UNUSED_PAD src0_sel:DWORD src1_sel:WORD_1
	v_perm_b32 v32, v32, v36, s24
	v_or_b32_e32 v36, 7, v62
	v_cmp_gt_i32_e32 vcc, s34, v36
	v_cmp_gt_i32_e64 s[6:7], s33, v37
	s_nop 1
	v_cndmask_b32_e64 v36, 0, v33, s[6:7]
	v_cndmask_b32_sdwa v33, v47, v33, vcc dst_sel:DWORD dst_unused:UNUSED_PAD src0_sel:DWORD src1_sel:WORD_1
	v_perm_b32 v33, v33, v36, s24
.LBB149_63:                             ;   in Loop: Header=BB149_53 Depth=1
	s_or_b64 exec, exec, s[18:19]
	v_add_co_u32_e32 v34, vcc, 0x1000, v34
	s_nop 1
	v_addc_co_u32_e32 v35, vcc, 0, v35, vcc
	global_load_dwordx4 v[34:37], v[34:35], off offset:2048
	s_and_saveexec_b64 s[18:19], s[2:3]
	s_cbranch_execz .LBB149_65
; %bb.64:                               ;   in Loop: Header=BB149_53 Depth=1
	v_add_u32_e32 v51, 1, v62
	v_cmp_gt_i32_e32 vcc, s34, v51
	v_or_b32_e32 v63, 2, v62
	v_cmp_gt_i32_e64 s[6:7], s33, v63
	s_waitcnt vmcnt(0)
	v_cndmask_b32_sdwa v51, v47, v34, vcc dst_sel:DWORD dst_unused:UNUSED_PAD src0_sel:DWORD src1_sel:WORD_1
	v_cmp_gt_i32_e32 vcc, s33, v62
	v_or_b32_e32 v63, 4, v62
	s_nop 0
	v_cndmask_b32_e32 v34, 0, v34, vcc
	v_perm_b32 v34, v51, v34, s24
	v_or_b32_e32 v51, 3, v62
	v_cmp_gt_i32_e32 vcc, s34, v51
	v_cndmask_b32_e64 v51, 0, v35, s[6:7]
	v_cmp_gt_i32_e64 s[6:7], s33, v63
	v_cndmask_b32_sdwa v35, v47, v35, vcc dst_sel:DWORD dst_unused:UNUSED_PAD src0_sel:DWORD src1_sel:WORD_1
	v_perm_b32 v35, v35, v51, s24
	v_or_b32_e32 v51, 5, v62
	v_cmp_gt_i32_e32 vcc, s34, v51
	v_cndmask_b32_e64 v51, 0, v36, s[6:7]
	v_or_b32_e32 v63, 6, v62
	v_cndmask_b32_sdwa v36, v47, v36, vcc dst_sel:DWORD dst_unused:UNUSED_PAD src0_sel:DWORD src1_sel:WORD_1
	v_perm_b32 v36, v36, v51, s24
	v_or_b32_e32 v51, 7, v62
	v_cmp_gt_i32_e32 vcc, s34, v51
	v_cmp_gt_i32_e64 s[6:7], s33, v63
	s_nop 1
	v_cndmask_b32_e64 v51, 0, v37, s[6:7]
	v_cndmask_b32_sdwa v37, v47, v37, vcc dst_sel:DWORD dst_unused:UNUSED_PAD src0_sel:DWORD src1_sel:WORD_1
	v_perm_b32 v37, v37, v51, s24
.LBB149_65:                             ;   in Loop: Header=BB149_53 Depth=1
	s_or_b64 exec, exec, s[18:19]
	s_waitcnt lgkmcnt(1)
	v_cvt_pk_bf16_f32 v63, v22, v23
	v_cvt_pk_bf16_f32 v24, v24, v25
	s_waitcnt lgkmcnt(0)
	v_cvt_pk_bf16_f32 v23, v18, v19
	v_cvt_pk_bf16_f32 v22, v20, v21
	s_and_saveexec_b64 s[6:7], s[0:1]
	s_cbranch_execz .LBB149_51
; %bb.66:                               ;   in Loop: Header=BB149_53 Depth=1
	v_mov_b32_e32 v51, v47
	v_lshl_add_u64 v[18:19], v[52:53], 0, v[50:51]
	global_load_dwordx4 v[18:21], v[18:19], off
	s_and_saveexec_b64 s[18:19], s[2:3]
	s_cbranch_execz .LBB149_50
; %bb.67:                               ;   in Loop: Header=BB149_53 Depth=1
	v_add_u32_e32 v25, 1, v62
	v_cmp_gt_i32_e32 vcc, s34, v25
	v_or_b32_e32 v51, 2, v62
	v_cmp_gt_i32_e64 s[2:3], s33, v51
	s_waitcnt vmcnt(0)
	v_cndmask_b32_sdwa v25, v47, v18, vcc dst_sel:DWORD dst_unused:UNUSED_PAD src0_sel:DWORD src1_sel:WORD_1
	v_cmp_gt_i32_e32 vcc, s33, v62
	v_or_b32_e32 v51, 4, v62
	s_nop 0
	v_cndmask_b32_e32 v18, 0, v18, vcc
	v_perm_b32 v18, v25, v18, s24
	v_or_b32_e32 v25, 3, v62
	v_cmp_gt_i32_e32 vcc, s34, v25
	v_cndmask_b32_e64 v25, 0, v19, s[2:3]
	v_cmp_gt_i32_e64 s[2:3], s33, v51
	v_cndmask_b32_sdwa v19, v47, v19, vcc dst_sel:DWORD dst_unused:UNUSED_PAD src0_sel:DWORD src1_sel:WORD_1
	v_perm_b32 v19, v19, v25, s24
	v_or_b32_e32 v25, 5, v62
	v_cmp_gt_i32_e32 vcc, s34, v25
	v_cndmask_b32_e64 v25, 0, v20, s[2:3]
	v_or_b32_e32 v51, 6, v62
	v_cndmask_b32_sdwa v20, v47, v20, vcc dst_sel:DWORD dst_unused:UNUSED_PAD src0_sel:DWORD src1_sel:WORD_1
	v_perm_b32 v20, v20, v25, s24
	v_or_b32_e32 v25, 7, v62
	v_cmp_gt_i32_e32 vcc, s34, v25
	v_cmp_gt_i32_e64 s[2:3], s33, v51
	s_nop 1
	v_cndmask_b32_e64 v25, 0, v21, s[2:3]
	v_cndmask_b32_sdwa v21, v47, v21, vcc dst_sel:DWORD dst_unused:UNUSED_PAD src0_sel:DWORD src1_sel:WORD_1
	v_perm_b32 v21, v21, v25, s24
	s_branch .LBB149_50
.LBB149_68:                             ;   in Loop: Header=BB149_53 Depth=1
	v_add_u32_e32 v6, 1, v62
	v_cmp_gt_i32_e32 vcc, s34, v6
	v_or_b32_e32 v7, 2, v62
	v_cmp_gt_i32_e64 s[6:7], s33, v7
	s_waitcnt vmcnt(0)
	v_cndmask_b32_sdwa v6, v47, v2, vcc dst_sel:DWORD dst_unused:UNUSED_PAD src0_sel:DWORD src1_sel:WORD_1
	v_cmp_gt_i32_e32 vcc, s33, v62
	v_or_b32_e32 v7, 4, v62
	s_nop 0
	v_cndmask_b32_e32 v2, 0, v2, vcc
	v_perm_b32 v2, v6, v2, s24
	v_or_b32_e32 v6, 3, v62
	v_cmp_gt_i32_e32 vcc, s34, v6
	v_cndmask_b32_e64 v6, 0, v3, s[6:7]
	v_cmp_gt_i32_e64 s[6:7], s33, v7
	v_cndmask_b32_sdwa v3, v47, v3, vcc dst_sel:DWORD dst_unused:UNUSED_PAD src0_sel:DWORD src1_sel:WORD_1
	v_perm_b32 v3, v3, v6, s24
	v_or_b32_e32 v6, 5, v62
	v_cmp_gt_i32_e32 vcc, s34, v6
	v_cndmask_b32_e64 v6, 0, v4, s[6:7]
	v_or_b32_e32 v7, 6, v62
	v_cndmask_b32_sdwa v4, v47, v4, vcc dst_sel:DWORD dst_unused:UNUSED_PAD src0_sel:DWORD src1_sel:WORD_1
	v_perm_b32 v4, v4, v6, s24
	v_or_b32_e32 v6, 7, v62
	v_cmp_gt_i32_e32 vcc, s34, v6
	v_cmp_gt_i32_e64 s[6:7], s33, v7
	s_nop 1
	v_cndmask_b32_e64 v6, 0, v5, s[6:7]
	v_cndmask_b32_sdwa v5, v47, v5, vcc dst_sel:DWORD dst_unused:UNUSED_PAD src0_sel:DWORD src1_sel:WORD_1
	v_perm_b32 v5, v5, v6, s24
	s_or_b64 exec, exec, s[18:19]
	global_load_dwordx4 v[6:9], v[34:35], off offset:1024
	s_and_saveexec_b64 s[18:19], s[2:3]
	s_cbranch_execz .LBB149_56
.LBB149_69:                             ;   in Loop: Header=BB149_53 Depth=1
	v_add_u32_e32 v10, 1, v62
	v_cmp_gt_i32_e32 vcc, s34, v10
	v_or_b32_e32 v11, 2, v62
	v_cmp_gt_i32_e64 s[6:7], s33, v11
	s_waitcnt vmcnt(0)
	v_cndmask_b32_sdwa v10, v47, v6, vcc dst_sel:DWORD dst_unused:UNUSED_PAD src0_sel:DWORD src1_sel:WORD_1
	v_cmp_gt_i32_e32 vcc, s33, v62
	v_or_b32_e32 v11, 4, v62
	s_nop 0
	v_cndmask_b32_e32 v6, 0, v6, vcc
	v_perm_b32 v6, v10, v6, s24
	v_or_b32_e32 v10, 3, v62
	v_cmp_gt_i32_e32 vcc, s34, v10
	v_cndmask_b32_e64 v10, 0, v7, s[6:7]
	v_cmp_gt_i32_e64 s[6:7], s33, v11
	v_cndmask_b32_sdwa v7, v47, v7, vcc dst_sel:DWORD dst_unused:UNUSED_PAD src0_sel:DWORD src1_sel:WORD_1
	v_perm_b32 v7, v7, v10, s24
	v_or_b32_e32 v10, 5, v62
	v_cmp_gt_i32_e32 vcc, s34, v10
	v_cndmask_b32_e64 v10, 0, v8, s[6:7]
	v_or_b32_e32 v11, 6, v62
	v_cndmask_b32_sdwa v8, v47, v8, vcc dst_sel:DWORD dst_unused:UNUSED_PAD src0_sel:DWORD src1_sel:WORD_1
	v_perm_b32 v8, v8, v10, s24
	v_or_b32_e32 v10, 7, v62
	v_cmp_gt_i32_e32 vcc, s34, v10
	v_cmp_gt_i32_e64 s[6:7], s33, v11
	s_nop 1
	v_cndmask_b32_e64 v10, 0, v9, s[6:7]
	v_cndmask_b32_sdwa v9, v47, v9, vcc dst_sel:DWORD dst_unused:UNUSED_PAD src0_sel:DWORD src1_sel:WORD_1
	v_perm_b32 v9, v9, v10, s24
	s_or_b64 exec, exec, s[18:19]
	global_load_dwordx4 v[10:13], v[34:35], off offset:2048
	s_and_saveexec_b64 s[18:19], s[2:3]
	s_cbranch_execz .LBB149_57
.LBB149_70:                             ;   in Loop: Header=BB149_53 Depth=1
	v_add_u32_e32 v14, 1, v62
	v_cmp_gt_i32_e32 vcc, s34, v14
	v_or_b32_e32 v15, 2, v62
	v_cmp_gt_i32_e64 s[6:7], s33, v15
	s_waitcnt vmcnt(0)
	v_cndmask_b32_sdwa v14, v47, v10, vcc dst_sel:DWORD dst_unused:UNUSED_PAD src0_sel:DWORD src1_sel:WORD_1
	v_cmp_gt_i32_e32 vcc, s33, v62
	v_or_b32_e32 v15, 4, v62
	s_nop 0
	v_cndmask_b32_e32 v10, 0, v10, vcc
	v_perm_b32 v10, v14, v10, s24
	v_or_b32_e32 v14, 3, v62
	v_cmp_gt_i32_e32 vcc, s34, v14
	v_cndmask_b32_e64 v14, 0, v11, s[6:7]
	v_cmp_gt_i32_e64 s[6:7], s33, v15
	v_cndmask_b32_sdwa v11, v47, v11, vcc dst_sel:DWORD dst_unused:UNUSED_PAD src0_sel:DWORD src1_sel:WORD_1
	v_perm_b32 v11, v11, v14, s24
	v_or_b32_e32 v14, 5, v62
	v_cmp_gt_i32_e32 vcc, s34, v14
	v_cndmask_b32_e64 v14, 0, v12, s[6:7]
	v_or_b32_e32 v15, 6, v62
	v_cndmask_b32_sdwa v12, v47, v12, vcc dst_sel:DWORD dst_unused:UNUSED_PAD src0_sel:DWORD src1_sel:WORD_1
	v_perm_b32 v12, v12, v14, s24
	v_or_b32_e32 v14, 7, v62
	v_cmp_gt_i32_e32 vcc, s34, v14
	v_cmp_gt_i32_e64 s[6:7], s33, v15
	s_nop 1
	v_cndmask_b32_e64 v14, 0, v13, s[6:7]
	v_cndmask_b32_sdwa v13, v47, v13, vcc dst_sel:DWORD dst_unused:UNUSED_PAD src0_sel:DWORD src1_sel:WORD_1
	v_perm_b32 v13, v13, v14, s24
	s_or_b64 exec, exec, s[18:19]
	global_load_dwordx4 v[14:17], v[34:35], off offset:3072
	s_and_saveexec_b64 s[18:19], s[2:3]
	s_cbranch_execnz .LBB149_58
	s_branch .LBB149_59
.LBB149_71:
	s_or_b64 exec, exec, s[14:15]
.LBB149_72:
	s_or_b64 exec, exec, s[8:9]
	ds_bpermute_b32 v2, v55, v44
	ds_bpermute_b32 v3, v55, v45
	;; [unrolled: 1-line block ×8, first 2 shown]
	s_waitcnt lgkmcnt(6)
	v_pk_add_f32 v[2:3], v[44:45], v[2:3]
	s_waitcnt lgkmcnt(4)
	v_pk_add_f32 v[4:5], v[42:43], v[4:5]
	;; [unrolled: 2-line block ×3, first 2 shown]
	ds_bpermute_b32 v6, v56, v2
	s_waitcnt lgkmcnt(1)
	v_pk_add_f32 v[12:13], v[38:39], v[12:13]
	ds_bpermute_b32 v7, v56, v3
	ds_bpermute_b32 v10, v56, v4
	;; [unrolled: 1-line block ×7, first 2 shown]
	v_and_b32_e32 v1, 0x3c0, v0
	s_waitcnt lgkmcnt(6)
	v_pk_add_f32 v[8:9], v[2:3], v[6:7]
	s_waitcnt lgkmcnt(4)
	v_pk_add_f32 v[6:7], v[4:5], v[10:11]
	;; [unrolled: 2-line block ×4, first 2 shown]
	v_cmp_eq_u32_e64 s[0:1], 64, v1
	v_cmp_eq_u32_e32 vcc, 0, v58
	s_barrier
	s_and_saveexec_b64 s[2:3], s[0:1]
	s_cbranch_execz .LBB149_77
; %bb.73:
	s_and_saveexec_b64 s[0:1], vcc
	s_cbranch_execz .LBB149_75
; %bb.74:
	v_mov_b32_e32 v1, 0x100
	v_lshl_add_u32 v1, v57, 2, v1
	ds_write2_b32 v1, v8, v9 offset1:16
	ds_write2_b32 v1, v6, v7 offset0:32 offset1:48
	ds_write2_b32 v1, v4, v5 offset0:64 offset1:80
	ds_write_b32 v1, v2 offset:384
.LBB149_75:
	s_or_b64 exec, exec, s[0:1]
	v_or_b32_e32 v1, 0x70, v57
	s_movk_i32 s0, 0x78
	v_cmp_gt_u32_e64 s[0:1], s0, v1
	s_and_b64 s[0:1], vcc, s[0:1]
	s_and_b64 exec, exec, s[0:1]
; %bb.76:
	v_mov_b32_e32 v1, 0x100
	v_lshl_add_u32 v1, v57, 2, v1
	ds_write_b32 v1, v3 offset:448
.LBB149_77:
	s_or_b64 exec, exec, s[2:3]
	v_cmp_gt_u32_e64 s[0:1], 64, v0
	v_lshrrev_b32_e32 v0, 2, v0
	s_waitcnt lgkmcnt(0)
	s_barrier
	s_and_saveexec_b64 s[6:7], s[0:1]
	s_cbranch_execz .LBB149_95
; %bb.78:
	s_and_saveexec_b64 s[2:3], vcc
	s_cbranch_execz .LBB149_80
; %bb.79:
	v_mov_b32_e32 v1, 0x100
	v_lshl_add_u32 v1, v0, 2, v1
	ds_read_b32 v1, v1
	s_waitcnt lgkmcnt(0)
	v_add_f32_e32 v8, v8, v1
.LBB149_80:
	s_or_b64 exec, exec, s[2:3]
	v_or_b32_e32 v1, 16, v0
	s_movk_i32 s8, 0x78
	v_cmp_gt_u32_e64 s[2:3], s8, v1
	s_and_b64 s[12:13], vcc, s[2:3]
	s_and_saveexec_b64 s[2:3], s[12:13]
	s_cbranch_execz .LBB149_82
; %bb.81:
	v_mov_b32_e32 v1, 0x100
	v_lshl_add_u32 v1, v0, 2, v1
	ds_read_b32 v1, v1 offset:64
	s_waitcnt lgkmcnt(0)
	v_add_f32_e32 v9, v9, v1
.LBB149_82:
	s_or_b64 exec, exec, s[2:3]
	v_or_b32_e32 v1, 32, v0
	v_cmp_gt_u32_e64 s[2:3], s8, v1
	s_and_b64 s[8:9], vcc, s[2:3]
	s_and_saveexec_b64 s[2:3], s[8:9]
	s_cbranch_execz .LBB149_84
; %bb.83:
	v_mov_b32_e32 v1, 0x100
	v_lshl_add_u32 v1, v0, 2, v1
	ds_read_b32 v1, v1 offset:128
	s_waitcnt lgkmcnt(0)
	v_add_f32_e32 v6, v6, v1
.LBB149_84:
	s_or_b64 exec, exec, s[2:3]
	v_or_b32_e32 v1, 48, v0
	s_movk_i32 s8, 0x78
	v_cmp_gt_u32_e64 s[2:3], s8, v1
	s_and_b64 s[12:13], vcc, s[2:3]
	s_and_saveexec_b64 s[2:3], s[12:13]
	s_cbranch_execz .LBB149_86
; %bb.85:
	v_mov_b32_e32 v1, 0x100
	v_lshl_add_u32 v1, v0, 2, v1
	ds_read_b32 v1, v1 offset:192
	s_waitcnt lgkmcnt(0)
	v_add_f32_e32 v7, v7, v1
.LBB149_86:
	s_or_b64 exec, exec, s[2:3]
	v_or_b32_e32 v1, 64, v0
	v_cmp_gt_u32_e64 s[2:3], s8, v1
	s_and_b64 s[8:9], vcc, s[2:3]
	s_and_saveexec_b64 s[2:3], s[8:9]
	s_cbranch_execz .LBB149_88
; %bb.87:
	v_mov_b32_e32 v1, 0x100
	v_lshl_add_u32 v1, v0, 2, v1
	ds_read_b32 v1, v1 offset:256
	s_waitcnt lgkmcnt(0)
	v_add_f32_e32 v4, v4, v1
.LBB149_88:
	;; [unrolled: 27-line block ×3, first 2 shown]
	s_or_b64 exec, exec, s[2:3]
	v_or_b32_e32 v1, 0x70, v0
	s_movk_i32 s2, 0x78
	v_cmp_gt_u32_e64 s[2:3], s2, v1
	s_and_b64 s[8:9], vcc, s[2:3]
	s_and_saveexec_b64 s[2:3], s[8:9]
	s_cbranch_execz .LBB149_94
; %bb.93:
	v_mov_b32_e32 v1, 0x100
	v_lshl_add_u32 v1, v0, 2, v1
	ds_read_b32 v1, v1 offset:448
	s_waitcnt lgkmcnt(0)
	v_add_f32_e32 v3, v3, v1
.LBB149_94:
	s_or_b64 exec, exec, s[2:3]
.LBB149_95:
	s_or_b64 exec, exec, s[6:7]
	s_barrier
	s_and_saveexec_b64 s[2:3], s[0:1]
	s_cbranch_execz .LBB149_112
; %bb.96:
	s_mul_i32 s0, s10, s11
	s_mul_i32 s0, s0, s5
	s_mulk_i32 s0, 0x78
	s_ashr_i32 s1, s0, 31
	s_lshl_b64 s[0:1], s[0:1], 1
	s_add_u32 s2, s22, s0
	s_mul_i32 s0, s11, s20
	s_addc_u32 s3, s23, s1
	s_ashr_i32 s1, s0, 31
	s_lshl_b64 s[0:1], s[0:1], 1
	s_add_u32 s2, s2, s0
	s_mul_i32 s0, s4, 0x78
	s_addc_u32 s3, s3, s1
	s_ashr_i32 s1, s0, 31
	s_lshl_b64 s[0:1], s[0:1], 1
	s_add_u32 s2, s2, s0
	s_movk_i32 s5, 0x78
	s_addc_u32 s3, s3, s1
	v_lshlrev_b32_e32 v1, 1, v0
	s_and_saveexec_b64 s[0:1], vcc
	s_cbranch_execz .LBB149_98
; %bb.97:
	v_cvt_pk_bf16_f32 v8, v8, s0
	global_store_short v1, v8, s[2:3]
.LBB149_98:
	s_or_b64 exec, exec, s[0:1]
	v_or_b32_e32 v8, 16, v0
	v_cmp_gt_u32_e64 s[0:1], s5, v8
	s_and_b64 s[4:5], vcc, s[0:1]
	s_and_saveexec_b64 s[0:1], s[4:5]
	s_cbranch_execz .LBB149_100
; %bb.99:
	v_cvt_pk_bf16_f32 v8, v9, s0
	global_store_short v1, v8, s[2:3] offset:32
.LBB149_100:
	s_or_b64 exec, exec, s[0:1]
	v_or_b32_e32 v8, 32, v0
	s_movk_i32 s4, 0x78
	v_cmp_gt_u32_e64 s[0:1], s4, v8
	s_and_b64 s[6:7], vcc, s[0:1]
	s_and_saveexec_b64 s[0:1], s[6:7]
	s_cbranch_execz .LBB149_102
; %bb.101:
	v_cvt_pk_bf16_f32 v6, v6, s0
	global_store_short v1, v6, s[2:3] offset:64
.LBB149_102:
	s_or_b64 exec, exec, s[0:1]
	v_or_b32_e32 v6, 48, v0
	v_cmp_gt_u32_e64 s[0:1], s4, v6
	s_and_b64 s[4:5], vcc, s[0:1]
	s_and_saveexec_b64 s[0:1], s[4:5]
	s_cbranch_execz .LBB149_104
; %bb.103:
	v_cvt_pk_bf16_f32 v6, v7, s0
	global_store_short v1, v6, s[2:3] offset:96
.LBB149_104:
	s_or_b64 exec, exec, s[0:1]
	v_or_b32_e32 v6, 64, v0
	s_movk_i32 s4, 0x78
	v_cmp_gt_u32_e64 s[0:1], s4, v6
	s_and_b64 s[6:7], vcc, s[0:1]
	s_and_saveexec_b64 s[0:1], s[6:7]
	s_cbranch_execz .LBB149_106
; %bb.105:
	v_cvt_pk_bf16_f32 v4, v4, s0
	global_store_short v1, v4, s[2:3] offset:128
.LBB149_106:
	;; [unrolled: 21-line block ×3, first 2 shown]
	s_or_b64 exec, exec, s[0:1]
	v_or_b32_e32 v0, 0x70, v0
	v_cmp_gt_u32_e64 s[0:1], s4, v0
	s_and_b64 s[0:1], vcc, s[0:1]
	s_and_b64 exec, exec, s[0:1]
	s_cbranch_execz .LBB149_112
; %bb.111:
	v_cvt_pk_bf16_f32 v0, v3, s0
	global_store_short v1, v0, s[2:3] offset:224
.LBB149_112:
	s_endpgm
	.section	.rodata,"a",@progbits
	.p2align	6, 0x0
	.amdhsa_kernel _ZN4vllm25paged_attention_v1_kernelI14__hip_bfloat16S1_Li120ELi32ELi128ELNS_18Fp8KVCacheDataTypeE0ELb1EEEvPT_PKS3_PKT0_S9_ifPKiSB_iPKfiiiSD_SD_iiiii
		.amdhsa_group_segment_fixed_size 256
		.amdhsa_private_segment_fixed_size 0
		.amdhsa_kernarg_size 384
		.amdhsa_user_sgpr_count 2
		.amdhsa_user_sgpr_dispatch_ptr 0
		.amdhsa_user_sgpr_queue_ptr 0
		.amdhsa_user_sgpr_kernarg_segment_ptr 1
		.amdhsa_user_sgpr_dispatch_id 0
		.amdhsa_user_sgpr_kernarg_preload_length 0
		.amdhsa_user_sgpr_kernarg_preload_offset 0
		.amdhsa_user_sgpr_private_segment_size 0
		.amdhsa_uses_dynamic_stack 0
		.amdhsa_enable_private_segment 0
		.amdhsa_system_sgpr_workgroup_id_x 1
		.amdhsa_system_sgpr_workgroup_id_y 1
		.amdhsa_system_sgpr_workgroup_id_z 1
		.amdhsa_system_sgpr_workgroup_info 0
		.amdhsa_system_vgpr_workitem_id 0
		.amdhsa_next_free_vgpr 109
		.amdhsa_next_free_sgpr 45
		.amdhsa_accum_offset 112
		.amdhsa_reserve_vcc 1
		.amdhsa_float_round_mode_32 0
		.amdhsa_float_round_mode_16_64 0
		.amdhsa_float_denorm_mode_32 3
		.amdhsa_float_denorm_mode_16_64 3
		.amdhsa_dx10_clamp 1
		.amdhsa_ieee_mode 1
		.amdhsa_fp16_overflow 0
		.amdhsa_tg_split 0
		.amdhsa_exception_fp_ieee_invalid_op 0
		.amdhsa_exception_fp_denorm_src 0
		.amdhsa_exception_fp_ieee_div_zero 0
		.amdhsa_exception_fp_ieee_overflow 0
		.amdhsa_exception_fp_ieee_underflow 0
		.amdhsa_exception_fp_ieee_inexact 0
		.amdhsa_exception_int_div_zero 0
	.end_amdhsa_kernel
	.section	.text._ZN4vllm25paged_attention_v1_kernelI14__hip_bfloat16S1_Li120ELi32ELi128ELNS_18Fp8KVCacheDataTypeE0ELb1EEEvPT_PKS3_PKT0_S9_ifPKiSB_iPKfiiiSD_SD_iiiii,"axG",@progbits,_ZN4vllm25paged_attention_v1_kernelI14__hip_bfloat16S1_Li120ELi32ELi128ELNS_18Fp8KVCacheDataTypeE0ELb1EEEvPT_PKS3_PKT0_S9_ifPKiSB_iPKfiiiSD_SD_iiiii,comdat
.Lfunc_end149:
	.size	_ZN4vllm25paged_attention_v1_kernelI14__hip_bfloat16S1_Li120ELi32ELi128ELNS_18Fp8KVCacheDataTypeE0ELb1EEEvPT_PKS3_PKT0_S9_ifPKiSB_iPKfiiiSD_SD_iiiii, .Lfunc_end149-_ZN4vllm25paged_attention_v1_kernelI14__hip_bfloat16S1_Li120ELi32ELi128ELNS_18Fp8KVCacheDataTypeE0ELb1EEEvPT_PKS3_PKT0_S9_ifPKiSB_iPKfiiiSD_SD_iiiii
                                        ; -- End function
	.set _ZN4vllm25paged_attention_v1_kernelI14__hip_bfloat16S1_Li120ELi32ELi128ELNS_18Fp8KVCacheDataTypeE0ELb1EEEvPT_PKS3_PKT0_S9_ifPKiSB_iPKfiiiSD_SD_iiiii.num_vgpr, 109
	.set _ZN4vllm25paged_attention_v1_kernelI14__hip_bfloat16S1_Li120ELi32ELi128ELNS_18Fp8KVCacheDataTypeE0ELb1EEEvPT_PKS3_PKT0_S9_ifPKiSB_iPKfiiiSD_SD_iiiii.num_agpr, 0
	.set _ZN4vllm25paged_attention_v1_kernelI14__hip_bfloat16S1_Li120ELi32ELi128ELNS_18Fp8KVCacheDataTypeE0ELb1EEEvPT_PKS3_PKT0_S9_ifPKiSB_iPKfiiiSD_SD_iiiii.numbered_sgpr, 45
	.set _ZN4vllm25paged_attention_v1_kernelI14__hip_bfloat16S1_Li120ELi32ELi128ELNS_18Fp8KVCacheDataTypeE0ELb1EEEvPT_PKS3_PKT0_S9_ifPKiSB_iPKfiiiSD_SD_iiiii.num_named_barrier, 0
	.set _ZN4vllm25paged_attention_v1_kernelI14__hip_bfloat16S1_Li120ELi32ELi128ELNS_18Fp8KVCacheDataTypeE0ELb1EEEvPT_PKS3_PKT0_S9_ifPKiSB_iPKfiiiSD_SD_iiiii.private_seg_size, 0
	.set _ZN4vllm25paged_attention_v1_kernelI14__hip_bfloat16S1_Li120ELi32ELi128ELNS_18Fp8KVCacheDataTypeE0ELb1EEEvPT_PKS3_PKT0_S9_ifPKiSB_iPKfiiiSD_SD_iiiii.uses_vcc, 1
	.set _ZN4vllm25paged_attention_v1_kernelI14__hip_bfloat16S1_Li120ELi32ELi128ELNS_18Fp8KVCacheDataTypeE0ELb1EEEvPT_PKS3_PKT0_S9_ifPKiSB_iPKfiiiSD_SD_iiiii.uses_flat_scratch, 0
	.set _ZN4vllm25paged_attention_v1_kernelI14__hip_bfloat16S1_Li120ELi32ELi128ELNS_18Fp8KVCacheDataTypeE0ELb1EEEvPT_PKS3_PKT0_S9_ifPKiSB_iPKfiiiSD_SD_iiiii.has_dyn_sized_stack, 0
	.set _ZN4vllm25paged_attention_v1_kernelI14__hip_bfloat16S1_Li120ELi32ELi128ELNS_18Fp8KVCacheDataTypeE0ELb1EEEvPT_PKS3_PKT0_S9_ifPKiSB_iPKfiiiSD_SD_iiiii.has_recursion, 0
	.set _ZN4vllm25paged_attention_v1_kernelI14__hip_bfloat16S1_Li120ELi32ELi128ELNS_18Fp8KVCacheDataTypeE0ELb1EEEvPT_PKS3_PKT0_S9_ifPKiSB_iPKfiiiSD_SD_iiiii.has_indirect_call, 0
	.section	.AMDGPU.csdata,"",@progbits
; Kernel info:
; codeLenInByte = 9516
; TotalNumSgprs: 51
; NumVgprs: 109
; NumAgprs: 0
; TotalNumVgprs: 109
; ScratchSize: 0
; MemoryBound: 0
; FloatMode: 240
; IeeeMode: 1
; LDSByteSize: 256 bytes/workgroup (compile time only)
; SGPRBlocks: 6
; VGPRBlocks: 13
; NumSGPRsForWavesPerEU: 51
; NumVGPRsForWavesPerEU: 109
; AccumOffset: 112
; Occupancy: 4
; WaveLimiterHint : 1
; COMPUTE_PGM_RSRC2:SCRATCH_EN: 0
; COMPUTE_PGM_RSRC2:USER_SGPR: 2
; COMPUTE_PGM_RSRC2:TRAP_HANDLER: 0
; COMPUTE_PGM_RSRC2:TGID_X_EN: 1
; COMPUTE_PGM_RSRC2:TGID_Y_EN: 1
; COMPUTE_PGM_RSRC2:TGID_Z_EN: 1
; COMPUTE_PGM_RSRC2:TIDIG_COMP_CNT: 0
; COMPUTE_PGM_RSRC3_GFX90A:ACCUM_OFFSET: 27
; COMPUTE_PGM_RSRC3_GFX90A:TG_SPLIT: 0
	.section	.text._ZN4vllm25paged_attention_v1_kernelI14__hip_bfloat16S1_Li128ELi32ELi128ELNS_18Fp8KVCacheDataTypeE0ELb1EEEvPT_PKS3_PKT0_S9_ifPKiSB_iPKfiiiSD_SD_iiiii,"axG",@progbits,_ZN4vllm25paged_attention_v1_kernelI14__hip_bfloat16S1_Li128ELi32ELi128ELNS_18Fp8KVCacheDataTypeE0ELb1EEEvPT_PKS3_PKT0_S9_ifPKiSB_iPKfiiiSD_SD_iiiii,comdat
	.protected	_ZN4vllm25paged_attention_v1_kernelI14__hip_bfloat16S1_Li128ELi32ELi128ELNS_18Fp8KVCacheDataTypeE0ELb1EEEvPT_PKS3_PKT0_S9_ifPKiSB_iPKfiiiSD_SD_iiiii ; -- Begin function _ZN4vllm25paged_attention_v1_kernelI14__hip_bfloat16S1_Li128ELi32ELi128ELNS_18Fp8KVCacheDataTypeE0ELb1EEEvPT_PKS3_PKT0_S9_ifPKiSB_iPKfiiiSD_SD_iiiii
	.globl	_ZN4vllm25paged_attention_v1_kernelI14__hip_bfloat16S1_Li128ELi32ELi128ELNS_18Fp8KVCacheDataTypeE0ELb1EEEvPT_PKS3_PKT0_S9_ifPKiSB_iPKfiiiSD_SD_iiiii
	.p2align	8
	.type	_ZN4vllm25paged_attention_v1_kernelI14__hip_bfloat16S1_Li128ELi32ELi128ELNS_18Fp8KVCacheDataTypeE0ELb1EEEvPT_PKS3_PKT0_S9_ifPKiSB_iPKfiiiSD_SD_iiiii,@function
_ZN4vllm25paged_attention_v1_kernelI14__hip_bfloat16S1_Li128ELi32ELi128ELNS_18Fp8KVCacheDataTypeE0ELb1EEEvPT_PKS3_PKT0_S9_ifPKiSB_iPKfiiiSD_SD_iiiii: ; @_ZN4vllm25paged_attention_v1_kernelI14__hip_bfloat16S1_Li128ELi32ELi128ELNS_18Fp8KVCacheDataTypeE0ELb1EEEvPT_PKS3_PKT0_S9_ifPKiSB_iPKfiiiSD_SD_iiiii
; %bb.0:
	s_load_dword s5, s[0:1], 0x80
	s_load_dwordx2 s[6:7], s[0:1], 0x30
	s_load_dwordx2 s[30:31], s[0:1], 0x20
	s_mov_b32 s10, s3
	s_ashr_i32 s11, s3, 31
	s_lshl_b64 s[8:9], s[10:11], 2
	s_waitcnt lgkmcnt(0)
	s_add_u32 s6, s6, s8
	s_addc_u32 s7, s7, s9
	s_abs_i32 s3, s30
	v_cvt_f32_u32_e32 v1, s3
	s_sub_i32 s11, 0, s3
	s_abs_i32 s9, s5
	s_xor_b32 s8, s5, s30
	v_rcp_iflag_f32_e32 v1, v1
	s_ashr_i32 s8, s8, 31
	s_mov_b32 s42, 0
	v_mul_f32_e32 v1, 0x4f7ffffe, v1
	v_cvt_u32_f32_e32 v1, v1
	s_nop 0
	v_readfirstlane_b32 s12, v1
	s_mul_i32 s11, s11, s12
	s_mul_hi_u32 s11, s12, s11
	s_add_i32 s12, s12, s11
	s_mul_hi_u32 s11, s9, s12
	s_mul_i32 s12, s11, s3
	s_sub_i32 s9, s9, s12
	s_add_i32 s12, s11, 1
	s_sub_i32 s13, s9, s3
	s_cmp_ge_u32 s9, s3
	s_cselect_b32 s11, s12, s11
	s_cselect_b32 s9, s13, s9
	s_add_i32 s12, s11, 1
	s_cmp_ge_u32 s9, s3
	s_cselect_b32 s3, s12, s11
	s_xor_b32 s3, s3, s8
	s_sub_i32 s12, s3, s8
	s_abs_i32 s11, s12
	v_cvt_f32_u32_e32 v1, s11
	s_load_dwordx2 s[8:9], s[0:1], 0x40
	s_sub_i32 s3, 0, s11
	s_abs_i32 s22, s2
	v_rcp_iflag_f32_e32 v1, v1
	s_nop 0
	v_mul_f32_e32 v1, 0x4f7ffffe, v1
	v_cvt_u32_f32_e32 v1, v1
	s_nop 0
	v_readfirstlane_b32 s13, v1
	s_mul_i32 s3, s3, s13
	s_mul_hi_u32 s3, s13, s3
	s_add_i32 s13, s13, s3
	s_waitcnt lgkmcnt(0)
	s_cmp_eq_u64 s[8:9], 0
	s_mul_hi_u32 s23, s22, s13
	s_cbranch_scc1 .LBB150_2
; %bb.1:
	s_ashr_i32 s3, s2, 31
	s_lshl_b64 s[14:15], s[2:3], 2
	s_add_u32 s8, s8, s14
	s_addc_u32 s9, s9, s15
	s_load_dword s42, s[8:9], 0x0
.LBB150_2:
	s_load_dword s33, s[6:7], 0x0
	s_ashr_i32 s9, s12, 31
	s_load_dwordx4 s[12:15], s[0:1], 0x48
	s_ashr_i32 s3, s2, 31
	v_and_b32_e32 v2, 1, v0
	s_lshl_b32 s20, s2, 7
	v_cmp_gt_u32_e32 vcc, 32, v0
	v_lshlrev_b32_e32 v50, 3, v0
	s_and_saveexec_b64 s[6:7], vcc
	s_cbranch_execz .LBB150_4
; %bb.3:
	s_load_dwordx2 s[16:17], s[0:1], 0x8
	s_waitcnt lgkmcnt(0)
	s_mul_i32 s18, s12, s10
	s_ashr_i32 s19, s18, 31
	s_lshl_b64 s[18:19], s[18:19], 1
	v_lshlrev_b32_e32 v1, 2, v0
	s_add_u32 s8, s16, s18
	s_addc_u32 s12, s17, s19
	s_ashr_i32 s21, s20, 31
	s_lshl_b64 s[16:17], s[20:21], 1
	s_add_u32 s16, s8, s16
	s_addc_u32 s17, s12, s17
	global_load_dwordx2 v[4:5], v50, s[16:17]
	v_and_b32_e32 v1, 0xff8, v1
	v_lshl_add_u32 v1, v2, 7, v1
	s_waitcnt vmcnt(0)
	ds_write_b64 v1, v[4:5]
.LBB150_4:
	s_or_b64 exec, exec, s[6:7]
	s_mul_i32 s6, s23, s11
	s_sub_i32 s6, s22, s6
	s_xor_b32 s3, s3, s9
	s_add_i32 s7, s23, 1
	s_sub_i32 s9, s6, s11
	s_load_dwordx4 s[16:19], s[0:1], 0x68
	s_load_dword s8, s[0:1], 0x78
	s_cmp_ge_u32 s6, s11
	s_cselect_b32 s7, s7, s23
	s_cselect_b32 s6, s9, s6
	s_add_i32 s9, s7, 1
	s_cmp_ge_u32 s6, s11
	s_cselect_b32 s6, s9, s7
	s_waitcnt lgkmcnt(0)
	s_abs_i32 s21, s19
	v_cvt_f32_u32_e32 v1, s21
	s_xor_b32 s6, s6, s3
	s_sub_i32 s3, s6, s3
	s_sub_i32 s6, 0, s21
	v_rcp_iflag_f32_e32 v1, v1
	s_add_i32 s11, s33, -1
	s_abs_i32 s9, s11
	v_mul_f32_e32 v1, 0x4f7ffffe, v1
	v_cvt_u32_f32_e32 v1, v1
	s_barrier
	v_readfirstlane_b32 s40, v1
	s_mul_i32 s6, s6, s40
	s_mul_hi_u32 s6, s40, s6
	s_add_i32 s40, s40, s6
	s_cmp_lt_i32 s8, 0
	s_mul_hi_u32 s12, s9, s40
	s_cbranch_scc0 .LBB150_6
; %bb.5:
	s_mul_i32 s6, s16, s30
	s_add_i32 s6, s3, s6
	s_mul_i32 s6, s6, s8
	s_sub_i32 s41, 1, s6
	s_mov_b64 s[6:7], 0
	s_branch .LBB150_7
.LBB150_6:
	s_mov_b64 s[6:7], -1
                                        ; implicit-def: $sgpr41
.LBB150_7:
	s_load_dwordx2 s[24:25], s[0:1], 0x28
	s_ashr_i32 s15, s11, 31
	s_andn2_b64 vcc, exec, s[6:7]
	s_ashr_i32 s19, s19, 31
	s_cbranch_vccnz .LBB150_9
; %bb.8:
	s_mul_i32 s6, s5, s16
	s_add_i32 s2, s6, s2
	s_mul_i32 s2, s2, s8
	s_add_i32 s41, s2, 1
.LBB150_9:
	s_load_dword s2, s[0:1], 0x38
	s_load_dwordx2 s[22:23], s[0:1], 0x0
	s_load_dwordx2 s[28:29], s[0:1], 0x18
	s_load_dword s11, s[0:1], 0x88
	s_xor_b32 s6, s15, s19
	s_waitcnt lgkmcnt(0)
	s_mul_i32 s26, s2, s10
	s_mul_i32 s2, s12, s21
	s_sub_i32 s2, s9, s2
	s_ashr_i32 s27, s26, 31
	s_add_i32 s7, s12, 1
	s_sub_i32 s8, s2, s21
	s_cmp_ge_u32 s2, s21
	s_cselect_b32 s7, s7, s12
	s_cselect_b32 s2, s8, s2
	s_add_i32 s8, s7, 1
	s_cmp_ge_u32 s2, s21
	s_cselect_b32 s2, s8, s7
	s_xor_b32 s2, s2, s6
	s_sub_i32 s12, s2, s6
	s_add_i32 s2, s33, 31
	s_ashr_i32 s6, s2, 31
	s_lshr_b32 s6, s6, 27
	s_add_i32 s2, s2, s6
	s_ashr_i32 s16, s2, 5
	v_lshrrev_b32_e32 v1, 6, v0
	v_cmp_gt_i32_e64 s[6:7], s16, v1
	v_mov_b32_e32 v52, 0xff7fffff
	s_mul_i32 s14, s3, s14
	v_lshrrev_b32_e32 v54, 4, v0
	v_lshlrev_b32_e32 v56, 5, v1
	v_mbcnt_lo_u32_b32 v48, -1, 0
	s_and_saveexec_b64 s[34:35], s[6:7]
	s_cbranch_execz .LBB150_21
; %bb.10:
	s_load_dwordx2 s[0:1], s[0:1], 0x10
	s_ashr_i32 s15, s14, 31
	s_sub_i32 s30, s12, s17
	s_lshl_b64 s[2:3], s[14:15], 1
	v_bfe_u32 v49, v0, 1, 5
	s_waitcnt lgkmcnt(0)
	s_add_u32 s0, s0, s2
	s_addc_u32 s1, s1, s3
	s_abs_i32 s15, s18
	v_cvt_f32_u32_e32 v3, s15
	v_lshlrev_b32_e32 v4, 4, v49
	v_mov_b32_e32 v5, 0
	v_lshl_add_u64 v[6:7], s[0:1], 0, v[4:5]
	v_rcp_iflag_f32_e32 v3, v3
	s_sub_i32 s0, 0, s15
	v_cmp_eq_u32_e32 vcc, 0, v2
	v_lshlrev_b32_e32 v51, 7, v2
	v_mul_f32_e32 v3, 0x4f7ffffe, v3
	v_cvt_u32_f32_e32 v3, v3
	v_and_b32_e32 v4, 8, v50
	v_mbcnt_hi_u32_b32 v60, -1, v48
	v_lshl_add_u64 v[34:35], v[6:7], 0, v[4:5]
	v_mul_lo_u32 v2, s0, v3
	v_mul_hi_u32 v2, v3, v2
	v_add_u32_e32 v53, v3, v2
	v_subrev_u32_e32 v2, s33, v49
	s_lshl_b64 s[0:1], s[26:27], 2
	v_add_u32_e32 v57, 1, v2
	v_lshlrev_b32_e32 v2, 2, v49
	s_add_u32 s0, s24, s0
	v_lshl_or_b32 v2, v1, 7, v2
	v_and_b32_e32 v4, 60, v54
	s_addc_u32 s1, s25, s1
	v_add_u32_e32 v58, 0x110, v2
	v_and_b32_e32 v2, 64, v60
	s_mov_b32 s43, s13
	v_cmp_neq_f32_e64 s[2:3], s42, 0
	v_lshl_add_u64 v[36:37], s[0:1], 0, v[4:5]
	v_lshlrev_b32_e32 v55, 5, v1
	v_mov_b32_e32 v59, 0xff7fffff
	s_mov_b64 s[36:37], 0
	s_movk_i32 s44, 0x1000
	v_xor_b32_e32 v61, 1, v60
	v_add_u32_e32 v62, 64, v2
	v_mov_b32_e32 v52, 0xff7fffff
	v_mov_b32_e32 v63, v1
	s_branch .LBB150_13
.LBB150_11:                             ;   in Loop: Header=BB150_13 Depth=1
	s_or_b64 exec, exec, s[38:39]
.LBB150_12:                             ;   in Loop: Header=BB150_13 Depth=1
	s_or_b64 exec, exec, s[8:9]
	v_add_u32_e32 v63, 2, v63
	v_cmp_le_i32_e64 s[0:1], s16, v63
	v_lshl_add_u64 v[36:37], v[36:37], 0, 8
	v_add_u32_e32 v55, 64, v55
	s_or_b64 s[36:37], s[0:1], s[36:37]
	v_add_u32_e32 v58, 0x100, v58
	s_andn2_b64 exec, exec, s[36:37]
	s_cbranch_execz .LBB150_20
.LBB150_13:                             ; =>This Inner Loop Header: Depth=1
	v_mul_hi_u32 v2, v55, s40
	s_waitcnt lgkmcnt(0)
	v_mul_lo_u32 v3, v2, s21
	v_sub_u32_e32 v3, v55, v3
	v_add_u32_e32 v4, 1, v2
	v_cmp_le_u32_e64 s[0:1], s21, v3
	s_nop 1
	v_cndmask_b32_e64 v2, v2, v4, s[0:1]
	v_subrev_u32_e32 v4, s21, v3
	v_cndmask_b32_e64 v3, v3, v4, s[0:1]
	v_add_u32_e32 v4, 1, v2
	v_cmp_le_u32_e64 s[0:1], s21, v3
	s_nop 1
	v_cndmask_b32_e64 v2, v2, v4, s[0:1]
	v_xor_b32_e32 v2, s19, v2
	v_subrev_u32_e32 v2, s19, v2
	v_add_u32_e32 v3, s41, v2
	v_sub_u32_e32 v5, 0, v3
	v_ashrrev_i32_e32 v4, 31, v3
	v_max_i32_e32 v3, v3, v5
	v_mul_hi_u32 v5, v3, v53
	v_mul_lo_u32 v5, v5, s15
	v_sub_u32_e32 v3, v3, v5
	v_subrev_u32_e32 v5, s15, v3
	v_cmp_le_u32_e64 s[0:1], s15, v3
	v_cmp_ge_i32_e64 s[8:9], s30, v2
	s_nop 0
	v_cndmask_b32_e64 v3, v3, v5, s[0:1]
	v_subrev_u32_e32 v5, s15, v3
	v_cmp_le_u32_e64 s[0:1], s15, v3
	s_nop 1
	v_cndmask_b32_e64 v3, v3, v5, s[0:1]
	v_xor_b32_e32 v3, v3, v4
	v_sub_u32_e32 v3, v3, v4
	v_cmp_ne_u32_e64 s[0:1], 0, v3
	s_and_b64 s[0:1], s[0:1], s[8:9]
	s_and_saveexec_b64 s[8:9], s[0:1]
	s_xor_b64 s[0:1], exec, s[8:9]
	s_cbranch_execz .LBB150_17
; %bb.14:                               ;   in Loop: Header=BB150_13 Depth=1
	s_and_saveexec_b64 s[8:9], vcc
; %bb.15:                               ;   in Loop: Header=BB150_13 Depth=1
	ds_write_b32 v58, v59
; %bb.16:                               ;   in Loop: Header=BB150_13 Depth=1
	s_or_b64 exec, exec, s[8:9]
.LBB150_17:                             ;   in Loop: Header=BB150_13 Depth=1
	s_andn2_saveexec_b64 s[8:9], s[0:1]
	s_cbranch_execz .LBB150_12
; %bb.18:                               ;   in Loop: Header=BB150_13 Depth=1
	global_load_dword v2, v[36:37], off
	s_waitcnt vmcnt(0)
	v_mad_i64_i32 v[2:3], s[0:1], v2, s43, 0
	v_lshl_add_u64 v[44:45], v[2:3], 1, v[34:35]
	global_load_dwordx2 v[40:41], v[44:45], off offset:512
	global_load_dwordx2 v[38:39], v[44:45], off offset:1024
	;; [unrolled: 1-line block ×3, first 2 shown]
	global_load_dwordx2 v[46:47], v[44:45], off
	v_cmp_lt_i32_e64 s[0:1], v61, v62
	ds_read_b128 v[26:29], v51
	ds_read_b128 v[22:25], v51 offset:16
	ds_read_b128 v[18:21], v51 offset:32
	;; [unrolled: 1-line block ×7, first 2 shown]
	v_cndmask_b32_e64 v64, v60, v61, s[0:1]
	v_lshlrev_b32_e32 v72, 2, v64
	global_load_dwordx2 v[64:65], v[44:45], off offset:2048
	global_load_dwordx2 v[66:67], v[44:45], off offset:2560
	;; [unrolled: 1-line block ×3, first 2 shown]
	s_waitcnt lgkmcnt(7)
	v_lshlrev_b32_e32 v73, 16, v26
	v_lshlrev_b32_e32 v74, 16, v27
	v_and_b32_e32 v97, 0xffff0000, v26
	v_and_b32_e32 v98, 0xffff0000, v27
	global_load_dwordx2 v[26:27], v[44:45], off offset:3584
	v_add_co_u32_e64 v44, s[0:1], s44, v44
	s_waitcnt lgkmcnt(6)
	v_lshlrev_b32_e32 v77, 16, v22
	v_addc_co_u32_e64 v45, s[0:1], 0, v45, s[0:1]
	global_load_dwordx2 v[70:71], v[44:45], off
	v_lshlrev_b32_e32 v78, 16, v23
	v_and_b32_e32 v99, 0xffff0000, v22
	v_and_b32_e32 v100, 0xffff0000, v23
	global_load_dwordx2 v[22:23], v[44:45], off offset:512
	v_lshlrev_b32_e32 v75, 16, v28
	s_waitcnt lgkmcnt(5)
	v_lshlrev_b32_e32 v81, 16, v18
	v_lshlrev_b32_e32 v82, 16, v19
	s_waitcnt lgkmcnt(2)
	v_lshlrev_b32_e32 v93, 16, v6
	v_and_b32_e32 v101, 0xffff0000, v18
	v_and_b32_e32 v102, 0xffff0000, v19
	global_load_dwordx2 v[18:19], v[44:45], off offset:1024
	v_and_b32_e32 v107, 0xffff0000, v6
	v_lshlrev_b32_e32 v89, 16, v10
	v_lshlrev_b32_e32 v90, 16, v11
	;; [unrolled: 1-line block ×4, first 2 shown]
	v_and_b32_e32 v103, 0xffff0000, v10
	v_and_b32_e32 v104, 0xffff0000, v11
	;; [unrolled: 1-line block ×4, first 2 shown]
	s_waitcnt lgkmcnt(1)
	v_lshlrev_b32_e32 v111, 16, v2
	v_lshlrev_b32_e32 v94, 16, v7
	v_and_b32_e32 v28, 0xffff0000, v28
	v_and_b32_e32 v108, 0xffff0000, v7
	v_lshlrev_b32_e32 v76, 16, v29
	v_and_b32_e32 v29, 0xffff0000, v29
	v_lshlrev_b32_e32 v91, 16, v12
	v_lshlrev_b32_e32 v92, 16, v13
	v_and_b32_e32 v105, 0xffff0000, v12
	v_and_b32_e32 v106, 0xffff0000, v13
	v_lshlrev_b32_e32 v79, 16, v24
	v_and_b32_e32 v24, 0xffff0000, v24
	v_lshlrev_b32_e32 v80, 16, v25
	v_and_b32_e32 v25, 0xffff0000, v25
	v_lshlrev_b32_e32 v83, 16, v20
	v_and_b32_e32 v20, 0xffff0000, v20
	v_lshlrev_b32_e32 v84, 16, v21
	v_lshlrev_b32_e32 v85, 16, v14
	v_and_b32_e32 v21, 0xffff0000, v21
	v_and_b32_e32 v14, 0xffff0000, v14
	v_lshlrev_b32_e32 v86, 16, v15
	v_lshlrev_b32_e32 v87, 16, v16
	v_and_b32_e32 v15, 0xffff0000, v15
	v_and_b32_e32 v16, 0xffff0000, v16
	v_lshlrev_b32_e32 v88, 16, v17
	v_and_b32_e32 v17, 0xffff0000, v17
	s_waitcnt vmcnt(10)
	v_lshlrev_b32_e32 v6, 16, v40
	v_mul_f32_e32 v75, v75, v6
	v_and_b32_e32 v6, 0xffff0000, v40
	s_waitcnt vmcnt(7)
	v_lshlrev_b32_e32 v8, 16, v47
	v_and_b32_e32 v9, 0xffff0000, v47
	v_lshlrev_b32_e32 v10, 16, v41
	v_and_b32_e32 v11, 0xffff0000, v41
	;; [unrolled: 2-line block ×3, first 2 shown]
	v_and_b32_e32 v47, 0xffff0000, v3
	global_load_dwordx2 v[2:3], v[44:45], off offset:1536
	v_lshlrev_b32_e32 v7, 16, v46
	v_fmac_f32_e32 v75, v73, v7
	v_and_b32_e32 v7, 0xffff0000, v46
	v_mul_f32_e32 v28, v28, v6
	v_mul_f32_e32 v46, v76, v10
	v_fmac_f32_e32 v28, v97, v7
	v_lshlrev_b32_e32 v6, 16, v38
	v_and_b32_e32 v7, 0xffff0000, v38
	v_mul_f32_e32 v29, v29, v11
	v_fmac_f32_e32 v46, v74, v8
	v_fmac_f32_e32 v29, v98, v9
	;; [unrolled: 1-line block ×4, first 2 shown]
	global_load_dwordx2 v[6:7], v[44:45], off offset:2048
	global_load_dwordx2 v[8:9], v[44:45], off offset:2560
	;; [unrolled: 1-line block ×4, first 2 shown]
	v_lshlrev_b32_e32 v38, 16, v39
	v_and_b32_e32 v39, 0xffff0000, v39
	v_fmac_f32_e32 v46, v78, v38
	v_and_b32_e32 v38, 0xffff0000, v42
	v_lshlrev_b32_e32 v44, 16, v42
	v_lshlrev_b32_e32 v42, 16, v43
	v_and_b32_e32 v43, 0xffff0000, v43
	v_fmac_f32_e32 v29, v100, v39
	s_waitcnt vmcnt(11)
	v_and_b32_e32 v39, 0xffff0000, v64
	v_fmac_f32_e32 v28, v24, v38
	v_lshlrev_b32_e32 v45, 16, v64
	v_lshlrev_b32_e32 v64, 16, v65
	v_and_b32_e32 v65, 0xffff0000, v65
	v_fmac_f32_e32 v75, v79, v44
	s_waitcnt vmcnt(10)
	v_and_b32_e32 v44, 0xffff0000, v66
	v_fmac_f32_e32 v46, v80, v42
	v_fmac_f32_e32 v29, v25, v43
	;; [unrolled: 1-line block ×3, first 2 shown]
	v_lshlrev_b32_e32 v73, 16, v66
	v_lshlrev_b32_e32 v66, 16, v67
	v_and_b32_e32 v67, 0xffff0000, v67
	s_waitcnt vmcnt(9)
	v_and_b32_e32 v24, 0xffff0000, v68
	v_fmac_f32_e32 v75, v81, v45
	v_fmac_f32_e32 v46, v82, v64
	;; [unrolled: 1-line block ×4, first 2 shown]
	v_lshlrev_b32_e32 v74, 16, v68
	v_lshlrev_b32_e32 v38, 16, v69
	v_and_b32_e32 v68, 0xffff0000, v69
	s_waitcnt vmcnt(8)
	v_lshlrev_b32_e32 v69, 16, v26
	v_and_b32_e32 v26, 0xffff0000, v26
	v_fmac_f32_e32 v75, v83, v73
	v_fmac_f32_e32 v46, v84, v66
	;; [unrolled: 1-line block ×4, first 2 shown]
	v_lshlrev_b32_e32 v42, 16, v27
	v_and_b32_e32 v27, 0xffff0000, v27
	s_waitcnt vmcnt(7)
	v_and_b32_e32 v25, 0xffff0000, v70
	v_fmac_f32_e32 v75, v85, v74
	v_fmac_f32_e32 v46, v86, v38
	v_fmac_f32_e32 v29, v15, v68
	v_fmac_f32_e32 v28, v16, v26
	v_lshlrev_b32_e32 v76, 16, v70
	v_lshlrev_b32_e32 v43, 16, v71
	v_and_b32_e32 v70, 0xffff0000, v71
	s_waitcnt vmcnt(6)
	v_lshlrev_b32_e32 v71, 16, v22
	v_and_b32_e32 v22, 0xffff0000, v22
	v_fmac_f32_e32 v75, v87, v69
	v_fmac_f32_e32 v46, v88, v42
	;; [unrolled: 1-line block ×4, first 2 shown]
	v_lshlrev_b32_e32 v45, 16, v23
	v_and_b32_e32 v23, 0xffff0000, v23
	s_waitcnt vmcnt(5)
	v_lshlrev_b32_e32 v77, 16, v18
	v_and_b32_e32 v18, 0xffff0000, v18
	v_fmac_f32_e32 v75, v89, v76
	v_fmac_f32_e32 v46, v90, v43
	;; [unrolled: 1-line block ×4, first 2 shown]
	v_lshlrev_b32_e32 v39, 16, v19
	v_and_b32_e32 v19, 0xffff0000, v19
	v_fmac_f32_e32 v75, v91, v71
	v_fmac_f32_e32 v46, v92, v45
	v_fmac_f32_e32 v29, v106, v23
	v_fmac_f32_e32 v28, v107, v18
	s_waitcnt vmcnt(4)
	v_lshlrev_b32_e32 v14, 16, v2
	v_and_b32_e32 v2, 0xffff0000, v2
	v_fmac_f32_e32 v75, v93, v77
	v_fmac_f32_e32 v46, v94, v39
	;; [unrolled: 1-line block ×4, first 2 shown]
	v_lshlrev_b32_e32 v2, 16, v3
	v_and_b32_e32 v3, 0xffff0000, v3
	v_fmac_f32_e32 v75, v95, v14
	v_fmac_f32_e32 v46, v96, v2
	;; [unrolled: 1-line block ×3, first 2 shown]
	s_waitcnt vmcnt(3)
	v_lshlrev_b32_e32 v2, 16, v6
	v_and_b32_e32 v3, 0xffff0000, v6
	v_fmac_f32_e32 v75, v111, v2
	v_fmac_f32_e32 v28, v41, v3
	v_lshlrev_b32_e32 v2, 16, v7
	v_and_b32_e32 v3, 0xffff0000, v7
	v_fmac_f32_e32 v46, v40, v2
	v_fmac_f32_e32 v29, v47, v3
	v_lshlrev_b32_e32 v2, 16, v4
	v_and_b32_e32 v3, 0xffff0000, v4
	s_waitcnt vmcnt(2)
	v_lshlrev_b32_e32 v4, 16, v8
	v_and_b32_e32 v6, 0xffff0000, v8
	v_fmac_f32_e32 v75, v4, v2
	v_fmac_f32_e32 v28, v6, v3
	v_lshlrev_b32_e32 v2, 16, v5
	v_and_b32_e32 v3, 0xffff0000, v5
	v_lshlrev_b32_e32 v4, 16, v9
	v_and_b32_e32 v5, 0xffff0000, v9
	v_fmac_f32_e32 v46, v4, v2
	v_fmac_f32_e32 v29, v5, v3
	s_waitcnt lgkmcnt(0)
	v_lshlrev_b32_e32 v2, 16, v30
	v_and_b32_e32 v3, 0xffff0000, v30
	s_waitcnt vmcnt(1)
	v_lshlrev_b32_e32 v4, 16, v10
	v_and_b32_e32 v5, 0xffff0000, v10
	v_fmac_f32_e32 v75, v4, v2
	v_fmac_f32_e32 v28, v5, v3
	v_lshlrev_b32_e32 v2, 16, v31
	v_and_b32_e32 v3, 0xffff0000, v31
	v_lshlrev_b32_e32 v4, 16, v11
	v_and_b32_e32 v5, 0xffff0000, v11
	v_fmac_f32_e32 v46, v4, v2
	v_fmac_f32_e32 v29, v5, v3
	v_lshlrev_b32_e32 v2, 16, v32
	v_and_b32_e32 v3, 0xffff0000, v32
	s_waitcnt vmcnt(0)
	v_lshlrev_b32_e32 v4, 16, v12
	v_and_b32_e32 v5, 0xffff0000, v12
	v_fmac_f32_e32 v75, v4, v2
	v_fmac_f32_e32 v28, v5, v3
	v_lshlrev_b32_e32 v2, 16, v33
	v_lshlrev_b32_e32 v4, 16, v13
	v_and_b32_e32 v3, 0xffff0000, v33
	v_and_b32_e32 v5, 0xffff0000, v13
	v_fmac_f32_e32 v46, v4, v2
	v_add_f32_e32 v2, v75, v28
	v_fmac_f32_e32 v29, v5, v3
	v_add_f32_e32 v2, v2, v46
	v_add_f32_e32 v2, v29, v2
	ds_bpermute_b32 v3, v72, v2
	s_and_saveexec_b64 s[38:39], vcc
	s_cbranch_execz .LBB150_11
; %bb.19:                               ;   in Loop: Header=BB150_13 Depth=1
	v_add_u32_e32 v4, v57, v55
	v_cvt_f32_i32_e32 v4, v4
	s_waitcnt lgkmcnt(0)
	v_add_f32_e32 v2, v2, v3
	v_add_u32_e32 v5, v49, v55
	v_cmp_gt_i32_e64 s[0:1], s33, v5
	v_mul_f32_e32 v3, s42, v4
	v_cndmask_b32_e64 v3, 0, v3, s[2:3]
	v_fmac_f32_e32 v3, s31, v2
	v_cndmask_b32_e64 v2, 0, v3, s[0:1]
	ds_write_b32 v58, v2
	v_max_f32_e32 v2, v52, v52
	v_max_f32_e32 v2, v2, v3
	v_cndmask_b32_e64 v52, v52, v2, s[0:1]
	s_branch .LBB150_11
.LBB150_20:
	s_or_b64 exec, exec, s[36:37]
.LBB150_21:
	s_or_b64 exec, exec, s[34:35]
	v_mbcnt_hi_u32_b32 v2, -1, v48
	v_and_b32_e32 v9, 64, v2
	v_add_u32_e32 v10, 64, v9
	s_waitcnt lgkmcnt(0)
	v_xor_b32_e32 v3, 32, v2
	v_cmp_lt_i32_e32 vcc, v3, v10
	v_xor_b32_e32 v6, 16, v2
	v_max_f32_e32 v5, v52, v52
	v_cndmask_b32_e32 v3, v2, v3, vcc
	v_lshlrev_b32_e32 v3, 2, v3
	ds_bpermute_b32 v4, v3, v52
	v_cmp_lt_i32_e32 vcc, v6, v10
	v_xor_b32_e32 v7, 8, v2
	v_xor_b32_e32 v8, 4, v2
	;; [unrolled: 1-line block ×3, first 2 shown]
	s_waitcnt lgkmcnt(0)
	v_max_f32_e32 v4, v4, v4
	v_max_f32_e32 v5, v5, v4
	v_cndmask_b32_e32 v4, v2, v6, vcc
	v_lshlrev_b32_e32 v4, 2, v4
	ds_bpermute_b32 v6, v4, v5
	v_cmp_lt_i32_e32 vcc, v7, v10
	v_and_b32_e32 v57, 63, v0
	s_waitcnt lgkmcnt(0)
	v_max_f32_e32 v6, v6, v6
	v_max_f32_e32 v6, v5, v6
	v_cndmask_b32_e32 v5, v2, v7, vcc
	v_lshlrev_b32_e32 v5, 2, v5
	ds_bpermute_b32 v7, v5, v6
	v_cmp_lt_i32_e32 vcc, v8, v10
	s_waitcnt lgkmcnt(0)
	v_max_f32_e32 v7, v7, v7
	v_max_f32_e32 v7, v6, v7
	v_cndmask_b32_e32 v6, v2, v8, vcc
	v_lshlrev_b32_e32 v6, 2, v6
	ds_bpermute_b32 v8, v6, v7
	v_cmp_lt_i32_e32 vcc, v11, v10
	s_waitcnt lgkmcnt(0)
	v_max_f32_e32 v8, v8, v8
	v_max_f32_e32 v8, v7, v8
	v_cndmask_b32_e32 v7, v2, v11, vcc
	v_lshlrev_b32_e32 v58, 2, v7
	ds_bpermute_b32 v11, v58, v8
	v_cmp_eq_u32_e32 vcc, 0, v57
	v_lshlrev_b32_e32 v7, 2, v1
	s_and_saveexec_b64 s[0:1], vcc
	s_cbranch_execz .LBB150_23
; %bb.22:
	s_waitcnt lgkmcnt(0)
	v_max_f32_e32 v11, v11, v11
	v_max_f32_e32 v8, v8, v8
	;; [unrolled: 1-line block ×3, first 2 shown]
	ds_write_b32 v7, v8 offset:256
.LBB150_23:
	s_or_b64 exec, exec, s[0:1]
	v_cmp_gt_u32_e64 s[0:1], 2, v57
	s_waitcnt lgkmcnt(0)
	v_mov_b32_e32 v11, 0xff7fffff
	v_lshlrev_b32_e32 v8, 2, v57
	s_barrier
	s_and_saveexec_b64 s[2:3], s[0:1]
; %bb.24:
	ds_read_b32 v11, v8 offset:256
; %bb.25:
	s_or_b64 exec, exec, s[2:3]
	v_xor_b32_e32 v12, 1, v2
	v_cmp_lt_i32_e64 s[2:3], v12, v10
	v_lshlrev_b32_e32 v9, 2, v9
	s_nop 0
	v_cndmask_b32_e64 v10, v2, v12, s[2:3]
	v_lshlrev_b32_e32 v59, 2, v10
	s_waitcnt lgkmcnt(0)
	ds_bpermute_b32 v10, v59, v11
	v_max_f32_e32 v11, v11, v11
	s_lshl_b32 s2, s16, 5
	s_min_i32 s15, s2, s33
	v_cmp_gt_i32_e64 s[2:3], s15, v0
	s_waitcnt lgkmcnt(0)
	v_max_f32_e32 v10, v10, v10
	v_max_f32_e32 v10, v11, v10
	ds_bpermute_b32 v10, v9, v10
	v_mov_b32_e32 v9, 0
	s_and_saveexec_b64 s[30:31], s[2:3]
	s_cbranch_execz .LBB150_29
; %bb.26:
	v_mov_b32_e32 v9, 0x110
	v_lshl_add_u32 v11, v0, 2, v9
	v_mov_b32_e32 v9, 0
	s_mov_b64 s[34:35], 0
	v_mov_b32_e32 v12, v0
.LBB150_27:                             ; =>This Inner Loop Header: Depth=1
	ds_read_b32 v13, v11
	v_add_u32_e32 v12, 0x80, v12
	v_cmp_le_i32_e64 s[8:9], s15, v12
	s_or_b64 s[34:35], s[8:9], s[34:35]
	s_waitcnt lgkmcnt(0)
	v_sub_f32_e32 v13, v13, v10
	v_mul_f32_e32 v13, 0x3fb8aa3b, v13
	v_exp_f32_e32 v13, v13
	ds_write_b32 v11, v13
	v_add_f32_e32 v9, v9, v13
	v_add_u32_e32 v11, 0x200, v11
	s_andn2_b64 exec, exec, s[34:35]
	s_cbranch_execnz .LBB150_27
; %bb.28:
	s_or_b64 exec, exec, s[34:35]
.LBB150_29:
	s_or_b64 exec, exec, s[30:31]
	ds_bpermute_b32 v3, v3, v9
	s_waitcnt lgkmcnt(0)
	v_add_f32_e32 v3, v9, v3
	ds_bpermute_b32 v4, v4, v3
	s_waitcnt lgkmcnt(0)
	v_add_f32_e32 v3, v3, v4
	;; [unrolled: 3-line block ×6, first 2 shown]
	s_and_saveexec_b64 s[8:9], vcc
; %bb.30:
	ds_write_b32 v7, v3 offset:264
; %bb.31:
	s_or_b64 exec, exec, s[8:9]
	s_waitcnt lgkmcnt(0)
	s_barrier
	s_and_saveexec_b64 s[8:9], s[0:1]
; %bb.32:
	ds_read_b32 v3, v8 offset:264
; %bb.33:
	s_or_b64 exec, exec, s[8:9]
	s_waitcnt lgkmcnt(0)
	ds_bpermute_b32 v4, v59, v3
	v_lshlrev_b32_e32 v2, 2, v2
	v_and_b32_e32 v2, 0x100, v2
	s_waitcnt lgkmcnt(0)
	v_add_f32_e32 v3, v3, v4
	ds_bpermute_b32 v2, v2, v3
	s_and_saveexec_b64 s[0:1], s[2:3]
	s_cbranch_execz .LBB150_46
; %bb.34:
	s_waitcnt lgkmcnt(0)
	v_add_f32_e32 v2, 0x358637bd, v2
	v_div_scale_f32 v3, s[2:3], v2, v2, 1.0
	v_rcp_f32_e32 v4, v3
	v_div_scale_f32 v5, vcc, 1.0, v2, 1.0
	s_movk_i32 s2, 0x7f
	v_fma_f32 v6, -v3, v4, 1.0
	v_fmac_f32_e32 v4, v6, v4
	v_mul_f32_e32 v6, v5, v4
	v_fma_f32 v7, -v3, v6, v5
	v_fmac_f32_e32 v6, v7, v4
	v_fma_f32 v3, -v3, v6, v5
	v_div_fmas_f32 v3, v3, v4, v6
	v_xad_u32 v4, v0, -1, s15
	v_div_fixup_f32 v2, v3, v2, 1.0
	v_cmp_lt_u32_e32 vcc, s2, v4
	s_mov_b64 s[8:9], -1
	v_mov_b32_e32 v3, v0
	s_and_saveexec_b64 s[2:3], vcc
	s_cbranch_execz .LBB150_43
; %bb.35:
	v_lshrrev_b32_e32 v4, 7, v4
	v_add_u32_e32 v6, -1, v4
	v_lshrrev_b32_e32 v5, 1, v6
	v_mov_b32_e32 v3, v2
	v_add_u32_e32 v5, 1, v5
	v_cmp_lt_u32_e32 vcc, 13, v6
	v_mov_b32_e32 v8, 0
	s_and_saveexec_b64 s[8:9], vcc
	s_cbranch_execz .LBB150_39
; %bb.36:
	v_mov_b32_e32 v7, 0x110
	v_and_b32_e32 v6, -8, v5
	v_lshl_add_u32 v7, v0, 2, v7
	s_mov_b32 s34, 0
	s_mov_b64 s[30:31], 0
.LBB150_37:                             ; =>This Inner Loop Header: Depth=1
	ds_read2st64_b32 v[8:9], v7 offset1:2
	ds_read2st64_b32 v[10:11], v7 offset0:4 offset1:6
	ds_read2st64_b32 v[12:13], v7 offset0:8 offset1:10
	ds_read2st64_b32 v[14:15], v7 offset0:12 offset1:14
	v_add_u32_e32 v6, -8, v6
	s_waitcnt lgkmcnt(3)
	v_pk_mul_f32 v[8:9], v[2:3], v[8:9]
	s_waitcnt lgkmcnt(2)
	v_pk_mul_f32 v[10:11], v[2:3], v[10:11]
	ds_write2st64_b32 v7, v8, v9 offset1:2
	ds_write2st64_b32 v7, v10, v11 offset0:4 offset1:6
	ds_read2st64_b32 v[10:11], v7 offset0:16 offset1:18
	s_waitcnt lgkmcnt(4)
	v_pk_mul_f32 v[8:9], v[2:3], v[12:13]
	ds_write2st64_b32 v7, v8, v9 offset0:8 offset1:10
	s_waitcnt lgkmcnt(4)
	v_pk_mul_f32 v[8:9], v[2:3], v[14:15]
	ds_write2st64_b32 v7, v8, v9 offset0:12 offset1:14
	ds_read2st64_b32 v[8:9], v7 offset0:20 offset1:22
	s_waitcnt lgkmcnt(3)
	v_pk_mul_f32 v[10:11], v[2:3], v[10:11]
	ds_read2st64_b32 v[12:13], v7 offset0:24 offset1:26
	ds_write2st64_b32 v7, v10, v11 offset0:16 offset1:18
	ds_read2st64_b32 v[10:11], v7 offset0:28 offset1:30
	s_waitcnt lgkmcnt(3)
	v_pk_mul_f32 v[8:9], v[2:3], v[8:9]
	ds_write2st64_b32 v7, v8, v9 offset0:20 offset1:22
	s_waitcnt lgkmcnt(3)
	v_pk_mul_f32 v[8:9], v[2:3], v[12:13]
	ds_write2st64_b32 v7, v8, v9 offset0:24 offset1:26
	s_waitcnt lgkmcnt(2)
	v_pk_mul_f32 v[8:9], v[2:3], v[10:11]
	s_add_i32 s34, s34, 16
	v_cmp_eq_u32_e32 vcc, 0, v6
	ds_write2st64_b32 v7, v8, v9 offset0:28 offset1:30
	v_add_u32_e32 v7, 0x2000, v7
	s_or_b64 s[30:31], vcc, s[30:31]
	v_mov_b32_e32 v8, s34
	s_andn2_b64 exec, exec, s[30:31]
	s_cbranch_execnz .LBB150_37
; %bb.38:
	s_or_b64 exec, exec, s[30:31]
.LBB150_39:
	s_or_b64 exec, exec, s[8:9]
	v_and_b32_e32 v5, 7, v5
	v_cmp_ne_u32_e32 vcc, 0, v5
	s_and_saveexec_b64 s[8:9], vcc
	s_cbranch_execz .LBB150_42
; %bb.40:
	v_lshlrev_b32_e32 v6, 9, v8
	v_lshlrev_b32_e32 v7, 2, v0
	s_movk_i32 s30, 0x110
	v_add3_u32 v6, v6, v7, s30
	s_mov_b64 s[30:31], 0
.LBB150_41:                             ; =>This Inner Loop Header: Depth=1
	ds_read2st64_b32 v[8:9], v6 offset1:2
	v_add_u32_e32 v5, -1, v5
	v_cmp_eq_u32_e32 vcc, 0, v5
	s_or_b64 s[30:31], vcc, s[30:31]
	s_waitcnt lgkmcnt(0)
	v_pk_mul_f32 v[8:9], v[2:3], v[8:9]
	ds_write2st64_b32 v6, v8, v9 offset1:2
	v_add_u32_e32 v6, 0x400, v6
	s_andn2_b64 exec, exec, s[30:31]
	s_cbranch_execnz .LBB150_41
.LBB150_42:
	s_or_b64 exec, exec, s[8:9]
	v_add_u32_e32 v4, 1, v4
	v_and_b32_e32 v5, 0x3fffffe, v4
	v_cmp_ne_u32_e32 vcc, v4, v5
	v_lshl_add_u32 v3, v5, 7, v0
	s_orn2_b64 s[8:9], vcc, exec
.LBB150_43:
	s_or_b64 exec, exec, s[2:3]
	s_and_b64 exec, exec, s[8:9]
	s_cbranch_execz .LBB150_46
; %bb.44:
	v_mov_b32_e32 v4, 0x110
	v_lshl_add_u32 v4, v3, 2, v4
	s_mov_b64 s[2:3], 0
.LBB150_45:                             ; =>This Inner Loop Header: Depth=1
	ds_read_b32 v5, v4
	v_add_u32_e32 v3, 0x80, v3
	v_cmp_le_i32_e32 vcc, s15, v3
	s_or_b64 s[2:3], vcc, s[2:3]
	s_waitcnt lgkmcnt(0)
	v_mul_f32_e32 v5, v2, v5
	ds_write_b32 v4, v5
	v_add_u32_e32 v4, 0x200, v4
	s_andn2_b64 exec, exec, s[2:3]
	s_cbranch_execnz .LBB150_45
.LBB150_46:
	s_or_b64 exec, exec, s[0:1]
	v_mov_b32_e32 v43, 0
	v_and_b32_e32 v60, 3, v0
	v_mov_b32_e32 v42, 0
	v_mov_b32_e32 v45, 0
	;; [unrolled: 1-line block ×7, first 2 shown]
	s_waitcnt lgkmcnt(0)
	s_barrier
	s_and_saveexec_b64 s[8:9], s[6:7]
	s_cbranch_execz .LBB150_68
; %bb.47:
	s_ashr_i32 s15, s14, 31
	s_sub_i32 s17, s12, s17
	s_lshl_b64 s[0:1], s[14:15], 1
	s_add_u32 s0, s28, s0
	s_addc_u32 s1, s29, s1
	s_abs_i32 s18, s18
	v_cvt_f32_u32_e32 v2, s18
	v_lshlrev_b32_e32 v3, 4, v0
	v_and_b32_e32 v61, 24, v50
	v_and_b32_e32 v50, 0x3f0, v3
	v_rcp_iflag_f32_e32 v2, v2
	v_mov_b32_e32 v51, 0
	v_lshl_add_u64 v[52:53], s[0:1], 0, v[50:51]
	s_sub_i32 s0, 0, s18
	v_mul_f32_e32 v2, 0x4f7ffffe, v2
	v_cvt_u32_f32_e32 v2, v2
	s_add_i32 s29, s16, -1
	v_and_b32_e32 v50, 60, v54
	s_mov_b32 s28, s13
	v_mul_lo_u32 v3, s0, v2
	v_mul_hi_u32 v3, v2, v3
	s_lshl_b64 s[0:1], s[26:27], 2
	v_add_u32_e32 v62, v2, v3
	s_add_u32 s0, s24, s0
	v_lshlrev_b32_e32 v2, 5, v60
	s_addc_u32 s1, s25, s1
	v_lshl_or_b32 v2, v1, 7, v2
	s_mov_b32 s30, s33
	v_lshl_add_u64 v[54:55], s[0:1], 0, v[50:51]
	v_add_u32_e32 v50, 0x110, v2
	s_mov_b64 s[6:7], 0
	s_mov_b32 s24, 0x5040100
	v_mov_b32_e32 v48, 0
	v_mov_b32_e32 v49, 0
	;; [unrolled: 1-line block ×8, first 2 shown]
	s_branch .LBB150_50
.LBB150_48:                             ;   in Loop: Header=BB150_50 Depth=1
	s_or_b64 exec, exec, s[2:3]
	s_waitcnt lgkmcnt(1)
	v_cvt_pk_bf16_f32 v19, v19, s0
	s_waitcnt lgkmcnt(0)
	v_cvt_pk_bf16_f32 v63, v14, s0
	v_cvt_pk_bf16_f32 v64, v15, s0
	s_waitcnt vmcnt(1)
	v_and_b32_e32 v15, 0xffff0000, v38
	v_lshlrev_b32_e32 v14, 16, v19
	v_cvt_pk_bf16_f32 v18, v18, s0
	v_mul_f32_e32 v15, v14, v15
	v_cvt_pk_bf16_f32 v66, v15, s0
	v_lshlrev_b32_e32 v15, 16, v38
	v_lshlrev_b32_e32 v18, 16, v18
	v_cvt_pk_bf16_f32 v21, v21, s0
	v_mul_f32_e32 v15, v18, v15
	v_cvt_pk_bf16_f32 v65, v16, s0
	v_cvt_pk_bf16_f32 v38, v15, s0
	v_and_b32_e32 v16, 0xffff0000, v39
	v_lshlrev_b32_e32 v15, 16, v21
	v_cvt_pk_bf16_f32 v20, v20, s0
	v_mul_f32_e32 v16, v15, v16
	v_cvt_pk_bf16_f32 v67, v16, s0
	v_lshlrev_b32_e32 v16, 16, v39
	v_lshlrev_b32_e32 v19, 16, v20
	v_mul_f32_e32 v16, v19, v16
	v_cvt_pk_bf16_f32 v39, v16, s0
	v_and_b32_e32 v20, 0xffff0000, v40
	v_lshlrev_b32_e32 v16, 16, v64
	v_mul_f32_e32 v20, v16, v20
	v_cvt_pk_bf16_f32 v64, v20, s0
	v_lshlrev_b32_e32 v21, 16, v40
	v_lshlrev_b32_e32 v20, 16, v63
	v_cvt_pk_bf16_f32 v17, v17, s0
	v_mul_f32_e32 v21, v20, v21
	v_cvt_pk_bf16_f32 v40, v21, s0
	v_and_b32_e32 v21, 0xffff0000, v41
	v_lshlrev_b32_e32 v17, 16, v17
	v_mul_f32_e32 v21, v17, v21
	v_cvt_pk_bf16_f32 v63, v21, s0
	v_lshlrev_b32_e32 v21, 16, v65
	v_lshlrev_b32_e32 v38, 16, v38
	;; [unrolled: 1-line block ×3, first 2 shown]
	v_add_f32_e32 v38, v38, v65
	v_lshlrev_b32_e32 v39, 16, v39
	v_lshlrev_b32_e32 v65, 16, v67
	;; [unrolled: 1-line block ×3, first 2 shown]
	v_add_f32_e32 v39, v39, v65
	v_mul_f32_e32 v41, v21, v41
	v_add_f32_e32 v38, v39, v38
	v_lshlrev_b32_e32 v39, 16, v40
	v_lshlrev_b32_e32 v40, 16, v64
	v_cvt_pk_bf16_f32 v41, v41, s0
	v_add_f32_e32 v39, v39, v40
	v_add_f32_e32 v38, v39, v38
	v_lshlrev_b32_e32 v39, 16, v41
	v_lshlrev_b32_e32 v40, 16, v63
	v_add_f32_e32 v39, v39, v40
	v_add_f32_e32 v38, v39, v38
	v_add_f32_e32 v42, v42, v38
	v_and_b32_e32 v38, 0xffff0000, v34
	v_lshlrev_b32_e32 v34, 16, v34
	v_mul_f32_e32 v38, v14, v38
	v_mul_f32_e32 v34, v18, v34
	v_and_b32_e32 v39, 0xffff0000, v35
	v_lshlrev_b32_e32 v35, 16, v35
	v_cvt_pk_bf16_f32 v38, v38, s0
	v_cvt_pk_bf16_f32 v34, v34, s0
	v_mul_f32_e32 v39, v15, v39
	v_mul_f32_e32 v35, v19, v35
	v_cvt_pk_bf16_f32 v39, v39, s0
	v_cvt_pk_bf16_f32 v35, v35, s0
	v_and_b32_e32 v40, 0xffff0000, v36
	v_lshlrev_b32_e32 v36, 16, v36
	v_lshlrev_b32_e32 v34, 16, v34
	v_lshlrev_b32_e32 v38, 16, v38
	v_mul_f32_e32 v40, v16, v40
	v_mul_f32_e32 v36, v20, v36
	v_add_f32_e32 v34, v34, v38
	v_lshlrev_b32_e32 v35, 16, v35
	v_lshlrev_b32_e32 v38, 16, v39
	v_cvt_pk_bf16_f32 v40, v40, s0
	v_cvt_pk_bf16_f32 v36, v36, s0
	v_and_b32_e32 v41, 0xffff0000, v37
	v_lshlrev_b32_e32 v37, 16, v37
	v_add_f32_e32 v35, v35, v38
	v_mul_f32_e32 v41, v17, v41
	v_mul_f32_e32 v37, v21, v37
	v_add_f32_e32 v34, v35, v34
	v_lshlrev_b32_e32 v35, 16, v36
	v_lshlrev_b32_e32 v36, 16, v40
	v_cvt_pk_bf16_f32 v41, v41, s0
	v_cvt_pk_bf16_f32 v37, v37, s0
	v_add_f32_e32 v35, v35, v36
	v_add_f32_e32 v34, v35, v34
	v_lshlrev_b32_e32 v35, 16, v37
	v_lshlrev_b32_e32 v36, 16, v41
	v_add_f32_e32 v35, v35, v36
	v_add_f32_e32 v34, v35, v34
	v_add_f32_e32 v45, v45, v34
	v_and_b32_e32 v34, 0xffff0000, v30
	v_lshlrev_b32_e32 v30, 16, v30
	v_mul_f32_e32 v34, v14, v34
	v_mul_f32_e32 v30, v18, v30
	v_and_b32_e32 v35, 0xffff0000, v31
	v_lshlrev_b32_e32 v31, 16, v31
	v_cvt_pk_bf16_f32 v34, v34, s0
	v_cvt_pk_bf16_f32 v30, v30, s0
	v_mul_f32_e32 v35, v15, v35
	v_mul_f32_e32 v31, v19, v31
	v_cvt_pk_bf16_f32 v35, v35, s0
	v_cvt_pk_bf16_f32 v31, v31, s0
	v_and_b32_e32 v36, 0xffff0000, v32
	v_lshlrev_b32_e32 v32, 16, v32
	v_lshlrev_b32_e32 v30, 16, v30
	v_lshlrev_b32_e32 v34, 16, v34
	v_mul_f32_e32 v36, v16, v36
	v_mul_f32_e32 v32, v20, v32
	v_add_f32_e32 v30, v30, v34
	v_lshlrev_b32_e32 v31, 16, v31
	v_lshlrev_b32_e32 v34, 16, v35
	v_cvt_pk_bf16_f32 v36, v36, s0
	v_cvt_pk_bf16_f32 v32, v32, s0
	v_and_b32_e32 v37, 0xffff0000, v33
	v_lshlrev_b32_e32 v33, 16, v33
	v_add_f32_e32 v31, v31, v34
	v_mul_f32_e32 v37, v17, v37
	v_mul_f32_e32 v33, v21, v33
	v_add_f32_e32 v30, v31, v30
	v_lshlrev_b32_e32 v31, 16, v32
	v_lshlrev_b32_e32 v32, 16, v36
	v_cvt_pk_bf16_f32 v37, v37, s0
	;; [unrolled: 40-line block ×5, first 2 shown]
	v_cvt_pk_bf16_f32 v9, v9, s0
	v_add_f32_e32 v7, v7, v8
	v_add_f32_e32 v6, v7, v6
	v_lshlrev_b32_e32 v7, 16, v9
	v_lshlrev_b32_e32 v8, 16, v13
	v_add_f32_e32 v7, v7, v8
	v_add_f32_e32 v6, v7, v6
	;; [unrolled: 1-line block ×3, first 2 shown]
	v_and_b32_e32 v6, 0xffff0000, v2
	v_lshlrev_b32_e32 v2, 16, v2
	v_mul_f32_e32 v6, v14, v6
	v_mul_f32_e32 v2, v18, v2
	v_and_b32_e32 v7, 0xffff0000, v3
	v_lshlrev_b32_e32 v3, 16, v3
	v_cvt_pk_bf16_f32 v6, v6, s0
	v_cvt_pk_bf16_f32 v2, v2, s0
	v_mul_f32_e32 v7, v15, v7
	v_mul_f32_e32 v3, v19, v3
	v_cvt_pk_bf16_f32 v7, v7, s0
	v_cvt_pk_bf16_f32 v3, v3, s0
	v_and_b32_e32 v8, 0xffff0000, v4
	v_lshlrev_b32_e32 v4, 16, v4
	v_lshlrev_b32_e32 v2, 16, v2
	;; [unrolled: 1-line block ×3, first 2 shown]
	v_mul_f32_e32 v8, v16, v8
	v_mul_f32_e32 v4, v20, v4
	v_add_f32_e32 v2, v2, v6
	v_lshlrev_b32_e32 v3, 16, v3
	v_lshlrev_b32_e32 v6, 16, v7
	v_cvt_pk_bf16_f32 v8, v8, s0
	v_cvt_pk_bf16_f32 v4, v4, s0
	v_and_b32_e32 v9, 0xffff0000, v5
	v_lshlrev_b32_e32 v5, 16, v5
	v_add_f32_e32 v3, v3, v6
	v_mul_f32_e32 v5, v21, v5
	v_add_f32_e32 v2, v3, v2
	v_lshlrev_b32_e32 v3, 16, v4
	v_lshlrev_b32_e32 v4, 16, v8
	v_cvt_pk_bf16_f32 v5, v5, s0
	v_add_f32_e32 v3, v3, v4
	v_add_f32_e32 v2, v3, v2
	v_lshlrev_b32_e32 v3, 16, v5
	s_waitcnt vmcnt(0)
	v_and_b32_e32 v5, 0xffff0000, v27
	v_mul_f32_e32 v5, v15, v5
	v_mul_f32_e32 v9, v17, v9
	v_cvt_pk_bf16_f32 v6, v5, s0
	v_lshlrev_b32_e32 v5, 16, v28
	v_cvt_pk_bf16_f32 v9, v9, s0
	v_mul_f32_e32 v5, v20, v5
	v_lshlrev_b32_e32 v4, 16, v9
	v_cvt_pk_bf16_f32 v7, v5, s0
	v_and_b32_e32 v5, 0xffff0000, v28
	v_add_f32_e32 v3, v3, v4
	v_mul_f32_e32 v5, v16, v5
	v_add_f32_e32 v2, v3, v2
	v_cvt_pk_bf16_f32 v8, v5, s0
	v_lshlrev_b32_e32 v5, 16, v29
	v_add_f32_e32 v48, v48, v2
	v_lshlrev_b32_e32 v2, 16, v26
	v_and_b32_e32 v3, 0xffff0000, v26
	v_lshlrev_b32_e32 v4, 16, v27
	v_mul_f32_e32 v5, v21, v5
	v_mul_f32_e32 v2, v18, v2
	;; [unrolled: 1-line block ×4, first 2 shown]
	v_cvt_pk_bf16_f32 v9, v5, s0
	v_and_b32_e32 v5, 0xffff0000, v29
	v_cvt_pk_bf16_f32 v2, v2, s0
	v_cvt_pk_bf16_f32 v3, v3, s0
	v_cvt_pk_bf16_f32 v4, v4, s0
	v_mul_f32_e32 v5, v17, v5
	v_cvt_pk_bf16_f32 v10, v5, s0
	v_lshlrev_b32_e32 v3, 16, v3
	v_lshlrev_b32_e32 v5, 16, v2
	;; [unrolled: 1-line block ×4, first 2 shown]
	v_pk_add_f32 v[2:3], v[4:5], v[2:3]
	v_lshlrev_b32_e32 v5, 16, v8
	v_lshlrev_b32_e32 v7, 16, v7
	;; [unrolled: 1-line block ×4, first 2 shown]
	v_pk_add_f32 v[4:5], v[6:7], v[4:5]
	v_add_f32_e32 v2, v2, v3
	v_add_f32_e32 v2, v5, v2
	;; [unrolled: 1-line block ×4, first 2 shown]
.LBB150_49:                             ;   in Loop: Header=BB150_50 Depth=1
	s_or_b64 exec, exec, s[12:13]
	v_add_u32_e32 v1, 2, v1
	v_cmp_le_i32_e32 vcc, s16, v1
	v_lshl_add_u64 v[54:55], v[54:55], 0, 8
	v_add_u32_e32 v56, 64, v56
	s_or_b64 s[6:7], vcc, s[6:7]
	v_add_u32_e32 v50, 0x100, v50
	s_andn2_b64 exec, exec, s[6:7]
	s_cbranch_execz .LBB150_67
.LBB150_50:                             ; =>This Inner Loop Header: Depth=1
	v_mul_hi_u32 v2, v56, s40
	v_mul_lo_u32 v3, v2, s21
	v_sub_u32_e32 v3, v56, v3
	v_add_u32_e32 v4, 1, v2
	v_cmp_le_u32_e32 vcc, s21, v3
	s_nop 1
	v_cndmask_b32_e32 v2, v2, v4, vcc
	v_subrev_u32_e32 v4, s21, v3
	v_cndmask_b32_e32 v3, v3, v4, vcc
	v_add_u32_e32 v4, 1, v2
	v_cmp_le_u32_e32 vcc, s21, v3
	s_nop 1
	v_cndmask_b32_e32 v2, v2, v4, vcc
	v_xor_b32_e32 v2, s19, v2
	v_subrev_u32_e32 v2, s19, v2
	v_add_u32_e32 v3, s41, v2
	v_sub_u32_e32 v5, 0, v3
	v_ashrrev_i32_e32 v4, 31, v3
	v_max_i32_e32 v3, v3, v5
	v_mul_hi_u32 v5, v3, v62
	v_mul_lo_u32 v5, v5, s18
	v_sub_u32_e32 v3, v3, v5
	v_subrev_u32_e32 v5, s18, v3
	v_cmp_le_u32_e32 vcc, s18, v3
	v_cmp_lt_i32_e64 s[0:1], s17, v2
	s_nop 0
	v_cndmask_b32_e32 v3, v3, v5, vcc
	v_subrev_u32_e32 v5, s18, v3
	v_cmp_le_u32_e32 vcc, s18, v3
	s_nop 1
	v_cndmask_b32_e32 v3, v3, v5, vcc
	v_xor_b32_e32 v3, v3, v4
	v_sub_u32_e32 v3, v3, v4
	v_cmp_eq_u32_e32 vcc, 0, v3
	s_or_b64 s[0:1], vcc, s[0:1]
	s_and_saveexec_b64 s[12:13], s[0:1]
	s_cbranch_execz .LBB150_49
; %bb.51:                               ;   in Loop: Header=BB150_50 Depth=1
	global_load_dword v2, v[54:55], off
	v_add_u32_e32 v65, v61, v56
	v_add_u32_e32 v70, 1, v65
	v_or_b32_e32 v68, 3, v65
	v_or_b32_e32 v69, 2, v65
	;; [unrolled: 1-line block ×6, first 2 shown]
	s_waitcnt vmcnt(0)
	v_mad_i64_i32 v[2:3], s[0:1], v2, s28, 0
	v_lshl_add_u64 v[26:27], v[2:3], 1, v[52:53]
	global_load_dwordx4 v[2:5], v[26:27], off
	ds_read2_b64 v[18:21], v50 offset1:1
	ds_read2_b64 v[14:17], v50 offset0:2 offset1:3
	v_cmp_eq_u32_e64 s[0:1], s29, v1
	s_and_saveexec_b64 s[14:15], s[0:1]
	s_cbranch_execnz .LBB150_64
; %bb.52:                               ;   in Loop: Header=BB150_50 Depth=1
	s_or_b64 exec, exec, s[14:15]
	global_load_dwordx4 v[6:9], v[26:27], off offset:1024
	s_and_saveexec_b64 s[14:15], s[0:1]
	s_cbranch_execnz .LBB150_65
.LBB150_53:                             ;   in Loop: Header=BB150_50 Depth=1
	s_or_b64 exec, exec, s[14:15]
	global_load_dwordx4 v[10:13], v[26:27], off offset:2048
	s_and_saveexec_b64 s[14:15], s[0:1]
	s_cbranch_execnz .LBB150_66
.LBB150_54:                             ;   in Loop: Header=BB150_50 Depth=1
	s_or_b64 exec, exec, s[14:15]
	global_load_dwordx4 v[22:25], v[26:27], off offset:3072
	s_and_saveexec_b64 s[14:15], s[0:1]
	s_cbranch_execz .LBB150_56
.LBB150_55:                             ;   in Loop: Header=BB150_50 Depth=1
	v_cmp_gt_i32_e32 vcc, s30, v70
	v_cmp_gt_i32_e64 s[2:3], s33, v69
	s_waitcnt vmcnt(0)
	v_cndmask_b32_sdwa v28, v51, v22, vcc dst_sel:DWORD dst_unused:UNUSED_PAD src0_sel:DWORD src1_sel:WORD_1
	v_cmp_gt_i32_e32 vcc, s33, v65
	s_nop 1
	v_cndmask_b32_e32 v22, 0, v22, vcc
	v_cmp_gt_i32_e32 vcc, s30, v68
	v_perm_b32 v22, v28, v22, s24
	v_cndmask_b32_e64 v28, 0, v23, s[2:3]
	v_cndmask_b32_sdwa v23, v51, v23, vcc dst_sel:DWORD dst_unused:UNUSED_PAD src0_sel:DWORD src1_sel:WORD_1
	v_cmp_gt_i32_e32 vcc, s30, v66
	v_cmp_gt_i32_e64 s[2:3], s33, v67
	v_perm_b32 v23, v23, v28, s24
	s_nop 0
	v_cndmask_b32_e64 v28, 0, v24, s[2:3]
	v_cndmask_b32_sdwa v24, v51, v24, vcc dst_sel:DWORD dst_unused:UNUSED_PAD src0_sel:DWORD src1_sel:WORD_1
	v_cmp_gt_i32_e32 vcc, s30, v63
	v_cmp_gt_i32_e64 s[2:3], s33, v64
	v_perm_b32 v24, v24, v28, s24
	s_nop 0
	v_cndmask_b32_e64 v28, 0, v25, s[2:3]
	v_cndmask_b32_sdwa v25, v51, v25, vcc dst_sel:DWORD dst_unused:UNUSED_PAD src0_sel:DWORD src1_sel:WORD_1
	v_perm_b32 v25, v25, v28, s24
.LBB150_56:                             ;   in Loop: Header=BB150_50 Depth=1
	s_or_b64 exec, exec, s[14:15]
	v_add_co_u32_e32 v28, vcc, 0x1000, v26
	s_nop 1
	v_addc_co_u32_e32 v29, vcc, 0, v27, vcc
	global_load_dwordx4 v[30:33], v[28:29], off
	s_and_saveexec_b64 s[14:15], s[0:1]
	s_cbranch_execz .LBB150_58
; %bb.57:                               ;   in Loop: Header=BB150_50 Depth=1
	v_cmp_gt_i32_e32 vcc, s30, v70
	v_cmp_gt_i32_e64 s[2:3], s33, v69
	s_waitcnt vmcnt(0)
	v_cndmask_b32_sdwa v28, v51, v30, vcc dst_sel:DWORD dst_unused:UNUSED_PAD src0_sel:DWORD src1_sel:WORD_1
	v_cmp_gt_i32_e32 vcc, s33, v65
	s_nop 1
	v_cndmask_b32_e32 v29, 0, v30, vcc
	v_cmp_gt_i32_e32 vcc, s30, v68
	v_perm_b32 v30, v28, v29, s24
	v_cndmask_b32_e64 v28, 0, v31, s[2:3]
	v_cndmask_b32_sdwa v29, v51, v31, vcc dst_sel:DWORD dst_unused:UNUSED_PAD src0_sel:DWORD src1_sel:WORD_1
	v_cmp_gt_i32_e32 vcc, s30, v66
	v_cmp_gt_i32_e64 s[2:3], s33, v67
	v_perm_b32 v31, v29, v28, s24
	v_cndmask_b32_sdwa v29, v51, v32, vcc dst_sel:DWORD dst_unused:UNUSED_PAD src0_sel:DWORD src1_sel:WORD_1
	v_cndmask_b32_e64 v28, 0, v32, s[2:3]
	v_cmp_gt_i32_e32 vcc, s30, v63
	v_cmp_gt_i32_e64 s[2:3], s33, v64
	v_perm_b32 v32, v29, v28, s24
	v_cndmask_b32_sdwa v29, v51, v33, vcc dst_sel:DWORD dst_unused:UNUSED_PAD src0_sel:DWORD src1_sel:WORD_1
	v_cndmask_b32_e64 v28, 0, v33, s[2:3]
	v_perm_b32 v33, v29, v28, s24
.LBB150_58:                             ;   in Loop: Header=BB150_50 Depth=1
	s_or_b64 exec, exec, s[14:15]
	v_add_co_u32_e32 v28, vcc, 0x1000, v26
	s_nop 1
	v_addc_co_u32_e32 v29, vcc, 0, v27, vcc
	global_load_dwordx4 v[34:37], v[28:29], off offset:1024
	s_and_saveexec_b64 s[14:15], s[0:1]
	s_cbranch_execz .LBB150_60
; %bb.59:                               ;   in Loop: Header=BB150_50 Depth=1
	v_cmp_gt_i32_e32 vcc, s30, v70
	v_cmp_gt_i32_e64 s[2:3], s33, v69
	s_waitcnt vmcnt(0)
	v_cndmask_b32_sdwa v28, v51, v34, vcc dst_sel:DWORD dst_unused:UNUSED_PAD src0_sel:DWORD src1_sel:WORD_1
	v_cmp_gt_i32_e32 vcc, s33, v65
	s_nop 1
	v_cndmask_b32_e32 v29, 0, v34, vcc
	v_cmp_gt_i32_e32 vcc, s30, v68
	v_perm_b32 v34, v28, v29, s24
	v_cndmask_b32_e64 v28, 0, v35, s[2:3]
	v_cndmask_b32_sdwa v29, v51, v35, vcc dst_sel:DWORD dst_unused:UNUSED_PAD src0_sel:DWORD src1_sel:WORD_1
	v_cmp_gt_i32_e32 vcc, s30, v66
	v_cmp_gt_i32_e64 s[2:3], s33, v67
	v_perm_b32 v35, v29, v28, s24
	v_cndmask_b32_sdwa v29, v51, v36, vcc dst_sel:DWORD dst_unused:UNUSED_PAD src0_sel:DWORD src1_sel:WORD_1
	v_cndmask_b32_e64 v28, 0, v36, s[2:3]
	v_cmp_gt_i32_e32 vcc, s30, v63
	v_cmp_gt_i32_e64 s[2:3], s33, v64
	v_perm_b32 v36, v29, v28, s24
	v_cndmask_b32_sdwa v29, v51, v37, vcc dst_sel:DWORD dst_unused:UNUSED_PAD src0_sel:DWORD src1_sel:WORD_1
	v_cndmask_b32_e64 v28, 0, v37, s[2:3]
	v_perm_b32 v37, v29, v28, s24
.LBB150_60:                             ;   in Loop: Header=BB150_50 Depth=1
	s_or_b64 exec, exec, s[14:15]
	v_add_co_u32_e32 v28, vcc, 0x1000, v26
	s_nop 1
	v_addc_co_u32_e32 v29, vcc, 0, v27, vcc
	global_load_dwordx4 v[38:41], v[28:29], off offset:2048
	;; [unrolled: 31-line block ×3, first 2 shown]
	s_and_saveexec_b64 s[2:3], s[0:1]
	s_cbranch_execz .LBB150_48
; %bb.63:                               ;   in Loop: Header=BB150_50 Depth=1
	v_cmp_gt_i32_e32 vcc, s30, v70
	v_cmp_gt_i32_e64 s[0:1], s33, v69
	s_waitcnt vmcnt(0)
	v_cndmask_b32_sdwa v70, v51, v26, vcc dst_sel:DWORD dst_unused:UNUSED_PAD src0_sel:DWORD src1_sel:WORD_1
	v_cmp_gt_i32_e32 vcc, s33, v65
	v_cndmask_b32_e64 v65, 0, v27, s[0:1]
	v_cmp_gt_i32_e64 s[0:1], s33, v67
	v_cndmask_b32_e32 v26, 0, v26, vcc
	v_cmp_gt_i32_e32 vcc, s30, v68
	v_perm_b32 v26, v70, v26, s24
	s_nop 0
	v_cndmask_b32_sdwa v27, v51, v27, vcc dst_sel:DWORD dst_unused:UNUSED_PAD src0_sel:DWORD src1_sel:WORD_1
	v_cmp_gt_i32_e32 vcc, s30, v66
	v_perm_b32 v27, v27, v65, s24
	v_cndmask_b32_e64 v65, 0, v28, s[0:1]
	v_cndmask_b32_sdwa v28, v51, v28, vcc dst_sel:DWORD dst_unused:UNUSED_PAD src0_sel:DWORD src1_sel:WORD_1
	v_cmp_gt_i32_e32 vcc, s30, v63
	v_cmp_gt_i32_e64 s[0:1], s33, v64
	v_perm_b32 v28, v28, v65, s24
	s_nop 0
	v_cndmask_b32_e64 v63, 0, v29, s[0:1]
	v_cndmask_b32_sdwa v29, v51, v29, vcc dst_sel:DWORD dst_unused:UNUSED_PAD src0_sel:DWORD src1_sel:WORD_1
	v_perm_b32 v29, v29, v63, s24
	s_branch .LBB150_48
.LBB150_64:                             ;   in Loop: Header=BB150_50 Depth=1
	v_cmp_gt_i32_e32 vcc, s30, v70
	v_cmp_gt_i32_e64 s[2:3], s33, v69
	s_waitcnt vmcnt(0)
	v_cndmask_b32_sdwa v6, v51, v2, vcc dst_sel:DWORD dst_unused:UNUSED_PAD src0_sel:DWORD src1_sel:WORD_1
	v_cmp_gt_i32_e32 vcc, s33, v65
	s_nop 1
	v_cndmask_b32_e32 v2, 0, v2, vcc
	v_cmp_gt_i32_e32 vcc, s30, v68
	v_perm_b32 v2, v6, v2, s24
	v_cndmask_b32_e64 v6, 0, v3, s[2:3]
	v_cndmask_b32_sdwa v3, v51, v3, vcc dst_sel:DWORD dst_unused:UNUSED_PAD src0_sel:DWORD src1_sel:WORD_1
	v_cmp_gt_i32_e32 vcc, s30, v66
	v_cmp_gt_i32_e64 s[2:3], s33, v67
	v_perm_b32 v3, v3, v6, s24
	s_nop 0
	v_cndmask_b32_e64 v6, 0, v4, s[2:3]
	v_cndmask_b32_sdwa v4, v51, v4, vcc dst_sel:DWORD dst_unused:UNUSED_PAD src0_sel:DWORD src1_sel:WORD_1
	v_cmp_gt_i32_e32 vcc, s30, v63
	v_cmp_gt_i32_e64 s[2:3], s33, v64
	v_perm_b32 v4, v4, v6, s24
	s_nop 0
	v_cndmask_b32_e64 v6, 0, v5, s[2:3]
	v_cndmask_b32_sdwa v5, v51, v5, vcc dst_sel:DWORD dst_unused:UNUSED_PAD src0_sel:DWORD src1_sel:WORD_1
	v_perm_b32 v5, v5, v6, s24
	s_or_b64 exec, exec, s[14:15]
	global_load_dwordx4 v[6:9], v[26:27], off offset:1024
	s_and_saveexec_b64 s[14:15], s[0:1]
	s_cbranch_execz .LBB150_53
.LBB150_65:                             ;   in Loop: Header=BB150_50 Depth=1
	v_cmp_gt_i32_e32 vcc, s30, v70
	v_cmp_gt_i32_e64 s[2:3], s33, v69
	s_waitcnt vmcnt(0)
	v_cndmask_b32_sdwa v10, v51, v6, vcc dst_sel:DWORD dst_unused:UNUSED_PAD src0_sel:DWORD src1_sel:WORD_1
	v_cmp_gt_i32_e32 vcc, s33, v65
	s_nop 1
	v_cndmask_b32_e32 v6, 0, v6, vcc
	v_cmp_gt_i32_e32 vcc, s30, v68
	v_perm_b32 v6, v10, v6, s24
	v_cndmask_b32_e64 v10, 0, v7, s[2:3]
	v_cndmask_b32_sdwa v7, v51, v7, vcc dst_sel:DWORD dst_unused:UNUSED_PAD src0_sel:DWORD src1_sel:WORD_1
	v_cmp_gt_i32_e32 vcc, s30, v66
	v_cmp_gt_i32_e64 s[2:3], s33, v67
	v_perm_b32 v7, v7, v10, s24
	s_nop 0
	v_cndmask_b32_e64 v10, 0, v8, s[2:3]
	v_cndmask_b32_sdwa v8, v51, v8, vcc dst_sel:DWORD dst_unused:UNUSED_PAD src0_sel:DWORD src1_sel:WORD_1
	v_cmp_gt_i32_e32 vcc, s30, v63
	v_cmp_gt_i32_e64 s[2:3], s33, v64
	v_perm_b32 v8, v8, v10, s24
	s_nop 0
	v_cndmask_b32_e64 v10, 0, v9, s[2:3]
	v_cndmask_b32_sdwa v9, v51, v9, vcc dst_sel:DWORD dst_unused:UNUSED_PAD src0_sel:DWORD src1_sel:WORD_1
	v_perm_b32 v9, v9, v10, s24
	s_or_b64 exec, exec, s[14:15]
	global_load_dwordx4 v[10:13], v[26:27], off offset:2048
	s_and_saveexec_b64 s[14:15], s[0:1]
	s_cbranch_execz .LBB150_54
.LBB150_66:                             ;   in Loop: Header=BB150_50 Depth=1
	v_cmp_gt_i32_e32 vcc, s30, v70
	v_cmp_gt_i32_e64 s[2:3], s33, v69
	s_waitcnt vmcnt(0)
	v_cndmask_b32_sdwa v22, v51, v10, vcc dst_sel:DWORD dst_unused:UNUSED_PAD src0_sel:DWORD src1_sel:WORD_1
	v_cmp_gt_i32_e32 vcc, s33, v65
	s_nop 1
	v_cndmask_b32_e32 v10, 0, v10, vcc
	v_cmp_gt_i32_e32 vcc, s30, v68
	v_perm_b32 v10, v22, v10, s24
	v_cndmask_b32_e64 v22, 0, v11, s[2:3]
	v_cndmask_b32_sdwa v11, v51, v11, vcc dst_sel:DWORD dst_unused:UNUSED_PAD src0_sel:DWORD src1_sel:WORD_1
	v_cmp_gt_i32_e32 vcc, s30, v66
	v_cmp_gt_i32_e64 s[2:3], s33, v67
	v_perm_b32 v11, v11, v22, s24
	s_nop 0
	v_cndmask_b32_e64 v22, 0, v12, s[2:3]
	v_cndmask_b32_sdwa v12, v51, v12, vcc dst_sel:DWORD dst_unused:UNUSED_PAD src0_sel:DWORD src1_sel:WORD_1
	v_cmp_gt_i32_e32 vcc, s30, v63
	v_cmp_gt_i32_e64 s[2:3], s33, v64
	v_perm_b32 v12, v12, v22, s24
	s_nop 0
	v_cndmask_b32_e64 v22, 0, v13, s[2:3]
	v_cndmask_b32_sdwa v13, v51, v13, vcc dst_sel:DWORD dst_unused:UNUSED_PAD src0_sel:DWORD src1_sel:WORD_1
	v_perm_b32 v13, v13, v22, s24
	s_or_b64 exec, exec, s[14:15]
	global_load_dwordx4 v[22:25], v[26:27], off offset:3072
	s_and_saveexec_b64 s[14:15], s[0:1]
	s_cbranch_execnz .LBB150_55
	s_branch .LBB150_56
.LBB150_67:
	s_or_b64 exec, exec, s[6:7]
.LBB150_68:
	s_or_b64 exec, exec, s[8:9]
	ds_bpermute_b32 v2, v58, v48
	ds_bpermute_b32 v3, v58, v49
	;; [unrolled: 1-line block ×6, first 2 shown]
	s_waitcnt lgkmcnt(4)
	v_pk_add_f32 v[2:3], v[48:49], v[2:3]
	ds_bpermute_b32 v8, v59, v2
	ds_bpermute_b32 v9, v59, v3
	s_waitcnt lgkmcnt(4)
	v_pk_add_f32 v[4:5], v[46:47], v[4:5]
	ds_bpermute_b32 v16, v58, v42
	ds_bpermute_b32 v17, v58, v43
	;; [unrolled: 1-line block ×4, first 2 shown]
	s_waitcnt lgkmcnt(6)
	v_pk_add_f32 v[12:13], v[44:45], v[6:7]
	ds_bpermute_b32 v14, v59, v12
	ds_bpermute_b32 v15, v59, v13
	s_waitcnt lgkmcnt(6)
	v_pk_add_f32 v[6:7], v[2:3], v[8:9]
	s_waitcnt lgkmcnt(4)
	v_pk_add_f32 v[8:9], v[42:43], v[16:17]
	;; [unrolled: 2-line block ×3, first 2 shown]
	ds_bpermute_b32 v10, v59, v8
	ds_bpermute_b32 v11, v59, v9
	v_and_b32_e32 v1, 0x3c3, v0
	s_waitcnt lgkmcnt(2)
	v_pk_add_f32 v[2:3], v[12:13], v[14:15]
	v_cmp_ne_u32_e32 vcc, 64, v1
	s_waitcnt lgkmcnt(0)
	s_barrier
	s_and_saveexec_b64 s[0:1], vcc
	s_xor_b64 s[0:1], exec, s[0:1]
; %bb.69:
                                        ; implicit-def: $vgpr57
; %bb.70:
	s_or_saveexec_b64 s[0:1], s[0:1]
	v_pk_add_f32 v[8:9], v[8:9], v[10:11]
	s_xor_b64 exec, exec, s[0:1]
	s_cbranch_execz .LBB150_72
; %bb.71:
	v_add_u32_e32 v10, 0x110, v57
	ds_write2_b32 v10, v6, v7 offset1:16
	ds_write2_b32 v10, v4, v5 offset0:32 offset1:48
	ds_write2_b32 v10, v2, v3 offset0:64 offset1:80
	;; [unrolled: 1-line block ×3, first 2 shown]
.LBB150_72:
	s_or_b64 exec, exec, s[0:1]
	v_cmp_gt_u32_e32 vcc, 64, v0
	v_lshrrev_b32_e32 v0, 2, v0
	s_waitcnt lgkmcnt(0)
	s_barrier
	s_and_saveexec_b64 s[0:1], vcc
	s_cbranch_execz .LBB150_83
; %bb.73:
	v_mov_b32_e32 v10, 0x110
	v_cmp_eq_u32_e32 vcc, 0, v60
	v_lshl_add_u32 v10, v0, 2, v10
	s_and_saveexec_b64 s[2:3], vcc
	s_cbranch_execnz .LBB150_86
; %bb.74:
	s_or_b64 exec, exec, s[2:3]
	s_and_saveexec_b64 s[2:3], vcc
	s_cbranch_execnz .LBB150_87
.LBB150_75:
	s_or_b64 exec, exec, s[2:3]
	s_and_saveexec_b64 s[2:3], vcc
	s_cbranch_execnz .LBB150_88
.LBB150_76:
	s_or_b64 exec, exec, s[2:3]
	s_and_saveexec_b64 s[2:3], vcc
	s_cbranch_execnz .LBB150_89
.LBB150_77:
	s_or_b64 exec, exec, s[2:3]
	s_and_saveexec_b64 s[2:3], vcc
	s_cbranch_execnz .LBB150_90
.LBB150_78:
	s_or_b64 exec, exec, s[2:3]
	s_and_saveexec_b64 s[2:3], vcc
	s_cbranch_execnz .LBB150_91
.LBB150_79:
	s_or_b64 exec, exec, s[2:3]
	s_and_saveexec_b64 s[2:3], vcc
	s_cbranch_execnz .LBB150_92
.LBB150_80:
	s_or_b64 exec, exec, s[2:3]
	s_and_saveexec_b64 s[2:3], vcc
	s_cbranch_execz .LBB150_82
.LBB150_81:
	ds_read_b32 v10, v10 offset:448
	s_waitcnt lgkmcnt(0)
	v_add_f32_e32 v9, v9, v10
.LBB150_82:
	s_or_b64 exec, exec, s[2:3]
.LBB150_83:
	s_or_b64 exec, exec, s[0:1]
	v_cmp_eq_u32_e32 vcc, 0, v1
	s_barrier
	s_and_saveexec_b64 s[0:1], vcc
	s_cbranch_execz .LBB150_85
; %bb.84:
	s_mul_i32 s0, s10, s11
	s_mul_i32 s0, s0, s5
	s_lshl_b32 s0, s0, 7
	s_ashr_i32 s1, s0, 31
	s_lshl_b64 s[0:1], s[0:1], 1
	s_add_u32 s2, s22, s0
	s_mul_i32 s0, s11, s20
	s_addc_u32 s3, s23, s1
	s_ashr_i32 s1, s0, 31
	s_lshl_b64 s[0:1], s[0:1], 1
	s_add_u32 s2, s2, s0
	s_addc_u32 s3, s3, s1
	s_lshl_b32 s0, s4, 7
	s_ashr_i32 s1, s0, 31
	s_lshl_b64 s[0:1], s[0:1], 1
	s_add_u32 s0, s2, s0
	s_addc_u32 s1, s3, s1
	v_lshlrev_b32_e32 v0, 1, v0
	v_cvt_pk_bf16_f32 v1, v6, s0
	global_store_short v0, v1, s[0:1]
	v_cvt_pk_bf16_f32 v1, v7, s0
	global_store_short v0, v1, s[0:1] offset:32
	v_cvt_pk_bf16_f32 v1, v4, s0
	global_store_short v0, v1, s[0:1] offset:64
	;; [unrolled: 2-line block ×7, first 2 shown]
.LBB150_85:
	s_endpgm
.LBB150_86:
	ds_read_b32 v11, v10
	s_waitcnt lgkmcnt(0)
	v_add_f32_e32 v6, v6, v11
	s_or_b64 exec, exec, s[2:3]
	s_and_saveexec_b64 s[2:3], vcc
	s_cbranch_execz .LBB150_75
.LBB150_87:
	ds_read_b32 v11, v10 offset:64
	s_waitcnt lgkmcnt(0)
	v_add_f32_e32 v7, v7, v11
	s_or_b64 exec, exec, s[2:3]
	s_and_saveexec_b64 s[2:3], vcc
	s_cbranch_execz .LBB150_76
.LBB150_88:
	ds_read_b32 v11, v10 offset:128
	s_waitcnt lgkmcnt(0)
	v_add_f32_e32 v4, v4, v11
	s_or_b64 exec, exec, s[2:3]
	s_and_saveexec_b64 s[2:3], vcc
	s_cbranch_execz .LBB150_77
.LBB150_89:
	ds_read_b32 v11, v10 offset:192
	s_waitcnt lgkmcnt(0)
	v_add_f32_e32 v5, v5, v11
	s_or_b64 exec, exec, s[2:3]
	s_and_saveexec_b64 s[2:3], vcc
	s_cbranch_execz .LBB150_78
.LBB150_90:
	ds_read_b32 v11, v10 offset:256
	s_waitcnt lgkmcnt(0)
	v_add_f32_e32 v2, v2, v11
	s_or_b64 exec, exec, s[2:3]
	s_and_saveexec_b64 s[2:3], vcc
	s_cbranch_execz .LBB150_79
.LBB150_91:
	ds_read_b32 v11, v10 offset:320
	s_waitcnt lgkmcnt(0)
	v_add_f32_e32 v3, v3, v11
	s_or_b64 exec, exec, s[2:3]
	s_and_saveexec_b64 s[2:3], vcc
	s_cbranch_execz .LBB150_80
.LBB150_92:
	ds_read_b32 v11, v10 offset:384
	s_waitcnt lgkmcnt(0)
	v_add_f32_e32 v8, v8, v11
	s_or_b64 exec, exec, s[2:3]
	s_and_saveexec_b64 s[2:3], vcc
	s_cbranch_execnz .LBB150_81
	s_branch .LBB150_82
	.section	.rodata,"a",@progbits
	.p2align	6, 0x0
	.amdhsa_kernel _ZN4vllm25paged_attention_v1_kernelI14__hip_bfloat16S1_Li128ELi32ELi128ELNS_18Fp8KVCacheDataTypeE0ELb1EEEvPT_PKS3_PKT0_S9_ifPKiSB_iPKfiiiSD_SD_iiiii
		.amdhsa_group_segment_fixed_size 272
		.amdhsa_private_segment_fixed_size 0
		.amdhsa_kernarg_size 384
		.amdhsa_user_sgpr_count 2
		.amdhsa_user_sgpr_dispatch_ptr 0
		.amdhsa_user_sgpr_queue_ptr 0
		.amdhsa_user_sgpr_kernarg_segment_ptr 1
		.amdhsa_user_sgpr_dispatch_id 0
		.amdhsa_user_sgpr_kernarg_preload_length 0
		.amdhsa_user_sgpr_kernarg_preload_offset 0
		.amdhsa_user_sgpr_private_segment_size 0
		.amdhsa_uses_dynamic_stack 0
		.amdhsa_enable_private_segment 0
		.amdhsa_system_sgpr_workgroup_id_x 1
		.amdhsa_system_sgpr_workgroup_id_y 1
		.amdhsa_system_sgpr_workgroup_id_z 1
		.amdhsa_system_sgpr_workgroup_info 0
		.amdhsa_system_vgpr_workitem_id 0
		.amdhsa_next_free_vgpr 112
		.amdhsa_next_free_sgpr 45
		.amdhsa_accum_offset 112
		.amdhsa_reserve_vcc 1
		.amdhsa_float_round_mode_32 0
		.amdhsa_float_round_mode_16_64 0
		.amdhsa_float_denorm_mode_32 3
		.amdhsa_float_denorm_mode_16_64 3
		.amdhsa_dx10_clamp 1
		.amdhsa_ieee_mode 1
		.amdhsa_fp16_overflow 0
		.amdhsa_tg_split 0
		.amdhsa_exception_fp_ieee_invalid_op 0
		.amdhsa_exception_fp_denorm_src 0
		.amdhsa_exception_fp_ieee_div_zero 0
		.amdhsa_exception_fp_ieee_overflow 0
		.amdhsa_exception_fp_ieee_underflow 0
		.amdhsa_exception_fp_ieee_inexact 0
		.amdhsa_exception_int_div_zero 0
	.end_amdhsa_kernel
	.section	.text._ZN4vllm25paged_attention_v1_kernelI14__hip_bfloat16S1_Li128ELi32ELi128ELNS_18Fp8KVCacheDataTypeE0ELb1EEEvPT_PKS3_PKT0_S9_ifPKiSB_iPKfiiiSD_SD_iiiii,"axG",@progbits,_ZN4vllm25paged_attention_v1_kernelI14__hip_bfloat16S1_Li128ELi32ELi128ELNS_18Fp8KVCacheDataTypeE0ELb1EEEvPT_PKS3_PKT0_S9_ifPKiSB_iPKfiiiSD_SD_iiiii,comdat
.Lfunc_end150:
	.size	_ZN4vllm25paged_attention_v1_kernelI14__hip_bfloat16S1_Li128ELi32ELi128ELNS_18Fp8KVCacheDataTypeE0ELb1EEEvPT_PKS3_PKT0_S9_ifPKiSB_iPKfiiiSD_SD_iiiii, .Lfunc_end150-_ZN4vllm25paged_attention_v1_kernelI14__hip_bfloat16S1_Li128ELi32ELi128ELNS_18Fp8KVCacheDataTypeE0ELb1EEEvPT_PKS3_PKT0_S9_ifPKiSB_iPKfiiiSD_SD_iiiii
                                        ; -- End function
	.set _ZN4vllm25paged_attention_v1_kernelI14__hip_bfloat16S1_Li128ELi32ELi128ELNS_18Fp8KVCacheDataTypeE0ELb1EEEvPT_PKS3_PKT0_S9_ifPKiSB_iPKfiiiSD_SD_iiiii.num_vgpr, 112
	.set _ZN4vllm25paged_attention_v1_kernelI14__hip_bfloat16S1_Li128ELi32ELi128ELNS_18Fp8KVCacheDataTypeE0ELb1EEEvPT_PKS3_PKT0_S9_ifPKiSB_iPKfiiiSD_SD_iiiii.num_agpr, 0
	.set _ZN4vllm25paged_attention_v1_kernelI14__hip_bfloat16S1_Li128ELi32ELi128ELNS_18Fp8KVCacheDataTypeE0ELb1EEEvPT_PKS3_PKT0_S9_ifPKiSB_iPKfiiiSD_SD_iiiii.numbered_sgpr, 45
	.set _ZN4vllm25paged_attention_v1_kernelI14__hip_bfloat16S1_Li128ELi32ELi128ELNS_18Fp8KVCacheDataTypeE0ELb1EEEvPT_PKS3_PKT0_S9_ifPKiSB_iPKfiiiSD_SD_iiiii.num_named_barrier, 0
	.set _ZN4vllm25paged_attention_v1_kernelI14__hip_bfloat16S1_Li128ELi32ELi128ELNS_18Fp8KVCacheDataTypeE0ELb1EEEvPT_PKS3_PKT0_S9_ifPKiSB_iPKfiiiSD_SD_iiiii.private_seg_size, 0
	.set _ZN4vllm25paged_attention_v1_kernelI14__hip_bfloat16S1_Li128ELi32ELi128ELNS_18Fp8KVCacheDataTypeE0ELb1EEEvPT_PKS3_PKT0_S9_ifPKiSB_iPKfiiiSD_SD_iiiii.uses_vcc, 1
	.set _ZN4vllm25paged_attention_v1_kernelI14__hip_bfloat16S1_Li128ELi32ELi128ELNS_18Fp8KVCacheDataTypeE0ELb1EEEvPT_PKS3_PKT0_S9_ifPKiSB_iPKfiiiSD_SD_iiiii.uses_flat_scratch, 0
	.set _ZN4vllm25paged_attention_v1_kernelI14__hip_bfloat16S1_Li128ELi32ELi128ELNS_18Fp8KVCacheDataTypeE0ELb1EEEvPT_PKS3_PKT0_S9_ifPKiSB_iPKfiiiSD_SD_iiiii.has_dyn_sized_stack, 0
	.set _ZN4vllm25paged_attention_v1_kernelI14__hip_bfloat16S1_Li128ELi32ELi128ELNS_18Fp8KVCacheDataTypeE0ELb1EEEvPT_PKS3_PKT0_S9_ifPKiSB_iPKfiiiSD_SD_iiiii.has_recursion, 0
	.set _ZN4vllm25paged_attention_v1_kernelI14__hip_bfloat16S1_Li128ELi32ELi128ELNS_18Fp8KVCacheDataTypeE0ELb1EEEvPT_PKS3_PKT0_S9_ifPKiSB_iPKfiiiSD_SD_iiiii.has_indirect_call, 0
	.section	.AMDGPU.csdata,"",@progbits
; Kernel info:
; codeLenInByte = 8832
; TotalNumSgprs: 51
; NumVgprs: 112
; NumAgprs: 0
; TotalNumVgprs: 112
; ScratchSize: 0
; MemoryBound: 0
; FloatMode: 240
; IeeeMode: 1
; LDSByteSize: 272 bytes/workgroup (compile time only)
; SGPRBlocks: 6
; VGPRBlocks: 13
; NumSGPRsForWavesPerEU: 51
; NumVGPRsForWavesPerEU: 112
; AccumOffset: 112
; Occupancy: 4
; WaveLimiterHint : 1
; COMPUTE_PGM_RSRC2:SCRATCH_EN: 0
; COMPUTE_PGM_RSRC2:USER_SGPR: 2
; COMPUTE_PGM_RSRC2:TRAP_HANDLER: 0
; COMPUTE_PGM_RSRC2:TGID_X_EN: 1
; COMPUTE_PGM_RSRC2:TGID_Y_EN: 1
; COMPUTE_PGM_RSRC2:TGID_Z_EN: 1
; COMPUTE_PGM_RSRC2:TIDIG_COMP_CNT: 0
; COMPUTE_PGM_RSRC3_GFX90A:ACCUM_OFFSET: 27
; COMPUTE_PGM_RSRC3_GFX90A:TG_SPLIT: 0
	.section	.text._ZN4vllm25paged_attention_v1_kernelI14__hip_bfloat16S1_Li192ELi32ELi128ELNS_18Fp8KVCacheDataTypeE0ELb1EEEvPT_PKS3_PKT0_S9_ifPKiSB_iPKfiiiSD_SD_iiiii,"axG",@progbits,_ZN4vllm25paged_attention_v1_kernelI14__hip_bfloat16S1_Li192ELi32ELi128ELNS_18Fp8KVCacheDataTypeE0ELb1EEEvPT_PKS3_PKT0_S9_ifPKiSB_iPKfiiiSD_SD_iiiii,comdat
	.protected	_ZN4vllm25paged_attention_v1_kernelI14__hip_bfloat16S1_Li192ELi32ELi128ELNS_18Fp8KVCacheDataTypeE0ELb1EEEvPT_PKS3_PKT0_S9_ifPKiSB_iPKfiiiSD_SD_iiiii ; -- Begin function _ZN4vllm25paged_attention_v1_kernelI14__hip_bfloat16S1_Li192ELi32ELi128ELNS_18Fp8KVCacheDataTypeE0ELb1EEEvPT_PKS3_PKT0_S9_ifPKiSB_iPKfiiiSD_SD_iiiii
	.globl	_ZN4vllm25paged_attention_v1_kernelI14__hip_bfloat16S1_Li192ELi32ELi128ELNS_18Fp8KVCacheDataTypeE0ELb1EEEvPT_PKS3_PKT0_S9_ifPKiSB_iPKfiiiSD_SD_iiiii
	.p2align	8
	.type	_ZN4vllm25paged_attention_v1_kernelI14__hip_bfloat16S1_Li192ELi32ELi128ELNS_18Fp8KVCacheDataTypeE0ELb1EEEvPT_PKS3_PKT0_S9_ifPKiSB_iPKfiiiSD_SD_iiiii,@function
_ZN4vllm25paged_attention_v1_kernelI14__hip_bfloat16S1_Li192ELi32ELi128ELNS_18Fp8KVCacheDataTypeE0ELb1EEEvPT_PKS3_PKT0_S9_ifPKiSB_iPKfiiiSD_SD_iiiii: ; @_ZN4vllm25paged_attention_v1_kernelI14__hip_bfloat16S1_Li192ELi32ELi128ELNS_18Fp8KVCacheDataTypeE0ELb1EEEvPT_PKS3_PKT0_S9_ifPKiSB_iPKfiiiSD_SD_iiiii
; %bb.0:
	s_load_dword s5, s[0:1], 0x80
	s_load_dwordx2 s[6:7], s[0:1], 0x30
	s_load_dwordx2 s[30:31], s[0:1], 0x20
	s_mov_b32 s10, s3
	s_ashr_i32 s11, s3, 31
	s_lshl_b64 s[8:9], s[10:11], 2
	s_waitcnt lgkmcnt(0)
	s_add_u32 s6, s6, s8
	s_addc_u32 s7, s7, s9
	s_abs_i32 s3, s30
	v_cvt_f32_u32_e32 v1, s3
	s_sub_i32 s11, 0, s3
	s_abs_i32 s9, s5
	s_xor_b32 s8, s5, s30
	v_rcp_iflag_f32_e32 v1, v1
	s_ashr_i32 s8, s8, 31
	s_mov_b32 s42, 0
	v_mul_f32_e32 v1, 0x4f7ffffe, v1
	v_cvt_u32_f32_e32 v1, v1
	s_nop 0
	v_readfirstlane_b32 s12, v1
	s_mul_i32 s11, s11, s12
	s_mul_hi_u32 s11, s12, s11
	s_add_i32 s12, s12, s11
	s_mul_hi_u32 s11, s9, s12
	s_mul_i32 s12, s11, s3
	s_sub_i32 s9, s9, s12
	s_add_i32 s12, s11, 1
	s_sub_i32 s13, s9, s3
	s_cmp_ge_u32 s9, s3
	s_cselect_b32 s11, s12, s11
	s_cselect_b32 s9, s13, s9
	s_add_i32 s12, s11, 1
	s_cmp_ge_u32 s9, s3
	s_cselect_b32 s3, s12, s11
	s_xor_b32 s3, s3, s8
	s_sub_i32 s12, s3, s8
	s_abs_i32 s11, s12
	v_cvt_f32_u32_e32 v1, s11
	s_load_dwordx2 s[8:9], s[0:1], 0x40
	s_sub_i32 s3, 0, s11
	s_abs_i32 s22, s2
	v_rcp_iflag_f32_e32 v1, v1
	s_nop 0
	v_mul_f32_e32 v1, 0x4f7ffffe, v1
	v_cvt_u32_f32_e32 v1, v1
	s_nop 0
	v_readfirstlane_b32 s13, v1
	s_mul_i32 s3, s3, s13
	s_mul_hi_u32 s3, s13, s3
	s_add_i32 s13, s13, s3
	s_waitcnt lgkmcnt(0)
	s_cmp_eq_u64 s[8:9], 0
	s_mul_hi_u32 s23, s22, s13
	s_cbranch_scc1 .LBB151_2
; %bb.1:
	s_ashr_i32 s3, s2, 31
	s_lshl_b64 s[14:15], s[2:3], 2
	s_add_u32 s8, s8, s14
	s_addc_u32 s9, s9, s15
	s_load_dword s42, s[8:9], 0x0
.LBB151_2:
	s_load_dword s33, s[6:7], 0x0
	s_ashr_i32 s9, s12, 31
	s_load_dwordx4 s[12:15], s[0:1], 0x48
	s_ashr_i32 s3, s2, 31
	v_and_b32_e32 v2, 1, v0
	s_movk_i32 s8, 0xc0
	s_mul_i32 s20, s2, 0xc0
	v_cmp_gt_u32_e32 vcc, 48, v0
	v_lshlrev_b32_e32 v42, 3, v0
	s_and_saveexec_b64 s[6:7], vcc
	s_cbranch_execz .LBB151_4
; %bb.3:
	s_load_dwordx2 s[16:17], s[0:1], 0x8
	s_waitcnt lgkmcnt(0)
	s_mul_i32 s18, s12, s10
	s_ashr_i32 s19, s18, 31
	s_lshl_b64 s[18:19], s[18:19], 1
	v_lshlrev_b32_e32 v1, 2, v0
	s_add_u32 s12, s16, s18
	s_addc_u32 s15, s17, s19
	s_ashr_i32 s21, s20, 31
	s_lshl_b64 s[16:17], s[20:21], 1
	s_add_u32 s16, s12, s16
	s_addc_u32 s17, s15, s17
	global_load_dwordx2 v[4:5], v42, s[16:17]
	v_and_b32_e32 v1, 0xff8, v1
	v_mad_u32_u24 v1, v2, s8, v1
	s_waitcnt vmcnt(0)
	ds_write_b64 v1, v[4:5]
.LBB151_4:
	s_or_b64 exec, exec, s[6:7]
	s_mul_i32 s6, s23, s11
	s_sub_i32 s6, s22, s6
	s_xor_b32 s3, s3, s9
	s_add_i32 s7, s23, 1
	s_sub_i32 s9, s6, s11
	s_load_dwordx4 s[16:19], s[0:1], 0x68
	s_load_dword s8, s[0:1], 0x78
	s_cmp_ge_u32 s6, s11
	s_cselect_b32 s7, s7, s23
	s_cselect_b32 s6, s9, s6
	s_add_i32 s9, s7, 1
	s_cmp_ge_u32 s6, s11
	s_cselect_b32 s6, s9, s7
	s_waitcnt lgkmcnt(0)
	s_abs_i32 s21, s19
	v_cvt_f32_u32_e32 v1, s21
	s_xor_b32 s6, s6, s3
	s_sub_i32 s3, s6, s3
	s_sub_i32 s6, 0, s21
	v_rcp_iflag_f32_e32 v1, v1
	s_add_i32 s11, s33, -1
	s_abs_i32 s9, s11
	v_mul_f32_e32 v1, 0x4f7ffffe, v1
	v_cvt_u32_f32_e32 v1, v1
	s_barrier
	v_readfirstlane_b32 s40, v1
	s_mul_i32 s6, s6, s40
	s_mul_hi_u32 s6, s40, s6
	s_add_i32 s40, s40, s6
	s_cmp_lt_i32 s8, 0
	s_mul_hi_u32 s12, s9, s40
	s_cbranch_scc0 .LBB151_6
; %bb.5:
	s_mul_i32 s6, s16, s30
	s_add_i32 s6, s3, s6
	s_mul_i32 s6, s6, s8
	s_sub_i32 s41, 1, s6
	s_mov_b64 s[6:7], 0
	s_branch .LBB151_7
.LBB151_6:
	s_mov_b64 s[6:7], -1
                                        ; implicit-def: $sgpr41
.LBB151_7:
	s_load_dwordx2 s[24:25], s[0:1], 0x28
	s_ashr_i32 s15, s11, 31
	s_andn2_b64 vcc, exec, s[6:7]
	s_ashr_i32 s19, s19, 31
	s_cbranch_vccnz .LBB151_9
; %bb.8:
	s_mul_i32 s6, s5, s16
	s_add_i32 s2, s6, s2
	s_mul_i32 s2, s2, s8
	s_add_i32 s41, s2, 1
.LBB151_9:
	s_load_dword s2, s[0:1], 0x38
	s_load_dwordx2 s[22:23], s[0:1], 0x0
	s_load_dwordx2 s[28:29], s[0:1], 0x18
	s_load_dword s11, s[0:1], 0x88
	s_xor_b32 s6, s15, s19
	s_waitcnt lgkmcnt(0)
	s_mul_i32 s26, s2, s10
	s_mul_i32 s2, s12, s21
	s_sub_i32 s2, s9, s2
	s_ashr_i32 s27, s26, 31
	s_add_i32 s7, s12, 1
	s_sub_i32 s8, s2, s21
	s_cmp_ge_u32 s2, s21
	s_cselect_b32 s7, s7, s12
	s_cselect_b32 s2, s8, s2
	s_add_i32 s8, s7, 1
	s_cmp_ge_u32 s2, s21
	s_cselect_b32 s2, s8, s7
	s_xor_b32 s2, s2, s6
	s_sub_i32 s12, s2, s6
	s_add_i32 s2, s33, 31
	s_ashr_i32 s6, s2, 31
	s_lshr_b32 s6, s6, 27
	s_add_i32 s2, s2, s6
	s_ashr_i32 s16, s2, 5
	v_lshrrev_b32_e32 v1, 6, v0
	v_cmp_gt_i32_e64 s[6:7], s16, v1
	v_mov_b32_e32 v47, 0xff7fffff
	s_mul_i32 s14, s3, s14
	v_lshrrev_b32_e32 v43, 4, v0
	v_lshlrev_b32_e32 v76, 5, v1
	v_mbcnt_lo_u32_b32 v44, -1, 0
	s_and_saveexec_b64 s[34:35], s[6:7]
	s_cbranch_execz .LBB151_21
; %bb.10:
	s_load_dwordx2 s[0:1], s[0:1], 0x10
	s_ashr_i32 s15, s14, 31
	s_sub_i32 s30, s12, s17
	s_lshl_b64 s[2:3], s[14:15], 1
	v_bfe_u32 v45, v0, 1, 5
	s_waitcnt lgkmcnt(0)
	s_add_u32 s0, s0, s2
	s_addc_u32 s1, s1, s3
	s_abs_i32 s15, s18
	v_cvt_f32_u32_e32 v3, s15
	v_lshlrev_b32_e32 v4, 4, v45
	v_mov_b32_e32 v5, 0
	v_lshl_add_u64 v[6:7], s[0:1], 0, v[4:5]
	v_rcp_iflag_f32_e32 v3, v3
	s_sub_i32 s0, 0, s15
	v_cmp_eq_u32_e32 vcc, 0, v2
	v_mul_u32_u24_e32 v46, 0xc0, v2
	v_mul_f32_e32 v3, 0x4f7ffffe, v3
	v_cvt_u32_f32_e32 v3, v3
	v_and_b32_e32 v4, 8, v42
	v_mbcnt_hi_u32_b32 v53, -1, v44
	v_lshl_add_u64 v[10:11], v[6:7], 0, v[4:5]
	v_mul_lo_u32 v2, s0, v3
	v_mul_hi_u32 v2, v3, v2
	v_add_u32_e32 v48, v3, v2
	v_subrev_u32_e32 v2, s33, v45
	s_lshl_b64 s[0:1], s[26:27], 2
	v_add_u32_e32 v50, 1, v2
	v_lshlrev_b32_e32 v2, 2, v45
	s_add_u32 s0, s24, s0
	v_lshl_or_b32 v2, v1, 7, v2
	v_and_b32_e32 v4, 60, v43
	s_addc_u32 s1, s25, s1
	v_add_u32_e32 v51, 0x190, v2
	v_and_b32_e32 v2, 64, v53
	s_mov_b32 s43, s13
	v_cmp_neq_f32_e64 s[2:3], s42, 0
	v_lshl_add_u64 v[12:13], s[0:1], 0, v[4:5]
	v_lshlrev_b32_e32 v49, 5, v1
	v_mov_b32_e32 v52, 0xff7fffff
	s_mov_b64 s[36:37], 0
	s_movk_i32 s44, 0x1000
	s_movk_i32 s45, 0x2000
	v_xor_b32_e32 v54, 1, v53
	v_add_u32_e32 v55, 64, v2
	v_mov_b32_e32 v47, 0xff7fffff
	v_mov_b32_e32 v56, v1
	s_branch .LBB151_13
.LBB151_11:                             ;   in Loop: Header=BB151_13 Depth=1
	s_or_b64 exec, exec, s[38:39]
.LBB151_12:                             ;   in Loop: Header=BB151_13 Depth=1
	s_or_b64 exec, exec, s[8:9]
	v_add_u32_e32 v56, 2, v56
	v_cmp_le_i32_e64 s[0:1], s16, v56
	v_lshl_add_u64 v[12:13], v[12:13], 0, 8
	v_add_u32_e32 v49, 64, v49
	s_or_b64 s[36:37], s[0:1], s[36:37]
	v_add_u32_e32 v51, 0x100, v51
	s_andn2_b64 exec, exec, s[36:37]
	s_cbranch_execz .LBB151_20
.LBB151_13:                             ; =>This Inner Loop Header: Depth=1
	v_mul_hi_u32 v2, v49, s40
	s_waitcnt lgkmcnt(0)
	v_mul_lo_u32 v3, v2, s21
	v_sub_u32_e32 v3, v49, v3
	v_add_u32_e32 v4, 1, v2
	v_cmp_le_u32_e64 s[0:1], s21, v3
	s_nop 1
	v_cndmask_b32_e64 v2, v2, v4, s[0:1]
	v_subrev_u32_e32 v4, s21, v3
	v_cndmask_b32_e64 v3, v3, v4, s[0:1]
	v_add_u32_e32 v4, 1, v2
	v_cmp_le_u32_e64 s[0:1], s21, v3
	s_nop 1
	v_cndmask_b32_e64 v2, v2, v4, s[0:1]
	v_xor_b32_e32 v2, s19, v2
	v_subrev_u32_e32 v2, s19, v2
	v_add_u32_e32 v3, s41, v2
	v_sub_u32_e32 v5, 0, v3
	v_ashrrev_i32_e32 v4, 31, v3
	v_max_i32_e32 v3, v3, v5
	v_mul_hi_u32 v5, v3, v48
	v_mul_lo_u32 v5, v5, s15
	v_sub_u32_e32 v3, v3, v5
	v_subrev_u32_e32 v5, s15, v3
	v_cmp_le_u32_e64 s[0:1], s15, v3
	v_cmp_ge_i32_e64 s[8:9], s30, v2
	s_nop 0
	v_cndmask_b32_e64 v3, v3, v5, s[0:1]
	v_subrev_u32_e32 v5, s15, v3
	v_cmp_le_u32_e64 s[0:1], s15, v3
	s_nop 1
	v_cndmask_b32_e64 v3, v3, v5, s[0:1]
	v_xor_b32_e32 v3, v3, v4
	v_sub_u32_e32 v3, v3, v4
	v_cmp_ne_u32_e64 s[0:1], 0, v3
	s_and_b64 s[0:1], s[0:1], s[8:9]
	s_and_saveexec_b64 s[8:9], s[0:1]
	s_xor_b64 s[0:1], exec, s[8:9]
	s_cbranch_execz .LBB151_17
; %bb.14:                               ;   in Loop: Header=BB151_13 Depth=1
	s_and_saveexec_b64 s[8:9], vcc
; %bb.15:                               ;   in Loop: Header=BB151_13 Depth=1
	ds_write_b32 v51, v52
; %bb.16:                               ;   in Loop: Header=BB151_13 Depth=1
	s_or_b64 exec, exec, s[8:9]
.LBB151_17:                             ;   in Loop: Header=BB151_13 Depth=1
	s_andn2_saveexec_b64 s[8:9], s[0:1]
	s_cbranch_execz .LBB151_12
; %bb.18:                               ;   in Loop: Header=BB151_13 Depth=1
	global_load_dword v2, v[12:13], off
	s_waitcnt vmcnt(0)
	v_mad_i64_i32 v[2:3], s[0:1], v2, s43, 0
	v_lshl_add_u64 v[30:31], v[2:3], 1, v[10:11]
	global_load_dwordx2 v[32:33], v[30:31], off offset:512
	global_load_dwordx2 v[14:15], v[30:31], off offset:1024
	;; [unrolled: 1-line block ×3, first 2 shown]
	global_load_dwordx2 v[36:37], v[30:31], off
	ds_read_b128 v[18:21], v46
	ds_read_b128 v[22:25], v46 offset:16
	ds_read_b128 v[26:29], v46 offset:32
	;; [unrolled: 1-line block ×5, first 2 shown]
	s_waitcnt lgkmcnt(5)
	v_lshlrev_b32_e32 v64, 16, v20
	v_lshlrev_b32_e32 v71, 16, v21
	v_and_b32_e32 v67, 0xffff0000, v20
	v_and_b32_e32 v90, 0xffff0000, v21
	global_load_dwordx2 v[20:21], v[30:31], off offset:2048
	v_lshlrev_b32_e32 v78, 16, v18
	s_waitcnt lgkmcnt(4)
	v_lshlrev_b32_e32 v40, 16, v22
	v_lshlrev_b32_e32 v77, 16, v23
	v_and_b32_e32 v92, 0xffff0000, v18
	v_and_b32_e32 v89, 0xffff0000, v22
	;; [unrolled: 1-line block ×3, first 2 shown]
	global_load_dwordx2 v[22:23], v[30:31], off offset:2560
	v_add_co_u32_e64 v18, s[0:1], s45, v30
	v_lshlrev_b32_e32 v41, 16, v19
	v_lshlrev_b32_e32 v39, 16, v24
	;; [unrolled: 1-line block ×3, first 2 shown]
	v_and_b32_e32 v88, 0xffff0000, v19
	v_and_b32_e32 v97, 0xffff0000, v24
	;; [unrolled: 1-line block ×3, first 2 shown]
	global_load_dwordx2 v[24:25], v[30:31], off offset:3072
	v_addc_co_u32_e64 v19, s[0:1], 0, v31, s[0:1]
	s_waitcnt lgkmcnt(3)
	v_lshlrev_b32_e32 v75, 16, v26
	v_lshlrev_b32_e32 v74, 16, v27
	v_and_b32_e32 v87, 0xffff0000, v26
	v_and_b32_e32 v86, 0xffff0000, v27
	global_load_dwordx2 v[26:27], v[30:31], off offset:3584
	v_add_co_u32_e64 v34, s[0:1], s44, v30
	v_lshlrev_b32_e32 v73, 16, v28
	v_lshlrev_b32_e32 v72, 16, v29
	v_and_b32_e32 v84, 0xffff0000, v28
	v_and_b32_e32 v82, 0xffff0000, v29
	global_load_dwordx2 v[28:29], v[18:19], off offset:-4096
	v_addc_co_u32_e64 v35, s[0:1], 0, v31, s[0:1]
	global_load_dwordx2 v[30:31], v[34:35], off offset:512
	s_waitcnt lgkmcnt(2)
	v_lshlrev_b32_e32 v68, 16, v102
	v_and_b32_e32 v83, 0xffff0000, v102
	v_lshlrev_b32_e32 v66, 16, v103
	v_and_b32_e32 v81, 0xffff0000, v103
	v_lshlrev_b32_e32 v70, 16, v100
	v_lshlrev_b32_e32 v69, 16, v101
	s_waitcnt lgkmcnt(1)
	v_lshlrev_b32_e32 v65, 16, v6
	v_lshlrev_b32_e32 v63, 16, v7
	;; [unrolled: 1-line block ×4, first 2 shown]
	s_waitcnt lgkmcnt(0)
	v_lshlrev_b32_e32 v60, 16, v2
	v_lshlrev_b32_e32 v59, 16, v3
	;; [unrolled: 1-line block ×4, first 2 shown]
	v_and_b32_e32 v80, 0xffff0000, v100
	v_and_b32_e32 v85, 0xffff0000, v101
	;; [unrolled: 1-line block ×10, first 2 shown]
	ds_read_b128 v[2:5], v46 offset:96
	ds_read_b128 v[6:9], v46 offset:112
	v_cmp_lt_i32_e64 s[0:1], v54, v55
	s_waitcnt lgkmcnt(1)
	v_lshlrev_b32_e32 v111, 16, v2
	v_and_b32_e32 v2, 0xffff0000, v2
	v_lshlrev_b32_e32 v112, 16, v3
	v_and_b32_e32 v3, 0xffff0000, v3
	v_cndmask_b32_e64 v110, v53, v54, s[0:1]
	s_waitcnt vmcnt(9)
	v_lshlrev_b32_e32 v102, 16, v32
	v_lshlrev_b32_e32 v105, 16, v33
	v_mul_f32_e32 v64, v64, v102
	s_waitcnt vmcnt(6)
	v_lshlrev_b32_e32 v103, 16, v36
	v_lshlrev_b32_e32 v104, 16, v37
	v_mul_f32_e32 v71, v71, v105
	v_fmac_f32_e32 v64, v78, v103
	v_fmac_f32_e32 v71, v41, v104
	global_load_dwordx2 v[102:103], v[34:35], off offset:1024
	global_load_dwordx2 v[104:105], v[34:35], off offset:1536
	;; [unrolled: 1-line block ×3, first 2 shown]
	v_and_b32_e32 v32, 0xffff0000, v32
	v_and_b32_e32 v36, 0xffff0000, v36
	;; [unrolled: 1-line block ×3, first 2 shown]
	v_mul_f32_e32 v67, v67, v32
	v_and_b32_e32 v37, 0xffff0000, v37
	v_fmac_f32_e32 v67, v92, v36
	v_mul_f32_e32 v78, v90, v33
	v_lshlrev_b32_e32 v32, 16, v14
	v_and_b32_e32 v14, 0xffff0000, v14
	v_fmac_f32_e32 v78, v88, v37
	v_fmac_f32_e32 v64, v40, v32
	;; [unrolled: 1-line block ×3, first 2 shown]
	global_load_dwordx2 v[88:89], v[34:35], off offset:2560
	global_load_dwordx2 v[108:109], v[34:35], off offset:3072
	;; [unrolled: 1-line block ×3, first 2 shown]
	v_lshlrev_b32_e32 v14, 16, v15
	v_lshlrev_b32_e32 v32, 16, v16
	v_fmac_f32_e32 v71, v77, v14
	v_and_b32_e32 v14, 0xffff0000, v16
	v_lshlrev_b32_e32 v16, 16, v17
	v_fmac_f32_e32 v64, v39, v32
	v_fmac_f32_e32 v71, v38, v16
	global_load_dwordx2 v[38:39], v[18:19], off
	global_load_dwordx2 v[36:37], v[18:19], off offset:512
	global_load_dwordx2 v[34:35], v[18:19], off offset:1024
	global_load_dwordx2 v[32:33], v[18:19], off offset:1536
	v_and_b32_e32 v15, 0xffff0000, v15
	v_fmac_f32_e32 v78, v98, v15
	v_fmac_f32_e32 v67, v97, v14
	v_and_b32_e32 v14, 0xffff0000, v17
	s_waitcnt vmcnt(15)
	v_lshlrev_b32_e32 v15, 16, v20
	v_fmac_f32_e32 v78, v93, v14
	v_and_b32_e32 v14, 0xffff0000, v20
	v_fmac_f32_e32 v64, v75, v15
	s_waitcnt vmcnt(14)
	v_and_b32_e32 v15, 0xffff0000, v22
	v_fmac_f32_e32 v67, v87, v14
	v_lshlrev_b32_e32 v16, 16, v21
	s_waitcnt vmcnt(13)
	v_and_b32_e32 v14, 0xffff0000, v24
	v_fmac_f32_e32 v67, v84, v15
	v_and_b32_e32 v17, 0xffff0000, v21
	v_fmac_f32_e32 v71, v74, v16
	s_waitcnt vmcnt(12)
	v_and_b32_e32 v16, 0xffff0000, v26
	v_fmac_f32_e32 v67, v80, v14
	v_lshlrev_b32_e32 v20, 16, v22
	v_fmac_f32_e32 v78, v86, v17
	s_waitcnt vmcnt(11)
	v_and_b32_e32 v17, 0xffff0000, v28
	v_fmac_f32_e32 v67, v83, v16
	v_lshlrev_b32_e32 v21, 16, v23
	v_and_b32_e32 v22, 0xffff0000, v23
	v_lshlrev_b32_e32 v23, 16, v24
	v_fmac_f32_e32 v64, v73, v20
	s_waitcnt vmcnt(10)
	v_and_b32_e32 v20, 0xffff0000, v30
	v_fmac_f32_e32 v67, v79, v17
	v_fmac_f32_e32 v71, v72, v21
	v_fmac_f32_e32 v78, v82, v22
	v_fmac_f32_e32 v64, v70, v23
	v_fmac_f32_e32 v67, v100, v20
	global_load_dwordx2 v[22:23], v[18:19], off offset:2048
	global_load_dwordx2 v[20:21], v[18:19], off offset:2560
	;; [unrolled: 1-line block ×4, first 2 shown]
	v_lshlrev_b32_e32 v24, 16, v25
	v_and_b32_e32 v25, 0xffff0000, v25
	v_lshlrev_b32_e32 v75, 16, v26
	v_lshlrev_b32_e32 v26, 16, v27
	v_and_b32_e32 v27, 0xffff0000, v27
	v_lshlrev_b32_e32 v74, 16, v28
	v_fmac_f32_e32 v71, v69, v24
	v_fmac_f32_e32 v78, v85, v25
	;; [unrolled: 1-line block ×3, first 2 shown]
	v_lshlrev_b32_e32 v28, 16, v29
	v_and_b32_e32 v29, 0xffff0000, v29
	v_lshlrev_b32_e32 v77, 16, v30
	v_fmac_f32_e32 v71, v66, v26
	v_fmac_f32_e32 v78, v81, v27
	;; [unrolled: 1-line block ×3, first 2 shown]
	v_lshlrev_b32_e32 v30, 16, v31
	v_and_b32_e32 v31, 0xffff0000, v31
	v_fmac_f32_e32 v71, v63, v28
	v_fmac_f32_e32 v78, v101, v29
	;; [unrolled: 1-line block ×5, first 2 shown]
	s_waitcnt vmcnt(13)
	v_lshlrev_b32_e32 v18, 16, v102
	v_fmac_f32_e32 v64, v60, v18
	v_and_b32_e32 v18, 0xffff0000, v102
	v_lshlrev_b32_e32 v19, 16, v103
	v_and_b32_e32 v24, 0xffff0000, v103
	v_fmac_f32_e32 v67, v96, v18
	v_fmac_f32_e32 v71, v59, v19
	v_fmac_f32_e32 v78, v95, v24
	s_waitcnt vmcnt(12)
	v_lshlrev_b32_e32 v19, 16, v104
	v_and_b32_e32 v24, 0xffff0000, v104
	v_fmac_f32_e32 v64, v58, v19
	v_fmac_f32_e32 v67, v94, v24
	v_lshlrev_b32_e32 v19, 16, v105
	v_and_b32_e32 v24, 0xffff0000, v105
	v_fmac_f32_e32 v71, v57, v19
	v_fmac_f32_e32 v78, v91, v24
	s_waitcnt vmcnt(11)
	v_lshlrev_b32_e32 v19, 16, v106
	v_and_b32_e32 v24, 0xffff0000, v106
	v_fmac_f32_e32 v64, v111, v19
	v_fmac_f32_e32 v67, v2, v24
	v_lshlrev_b32_e32 v2, 16, v107
	v_and_b32_e32 v19, 0xffff0000, v107
	v_fmac_f32_e32 v71, v112, v2
	v_fmac_f32_e32 v78, v3, v19
	v_lshlrev_b32_e32 v2, 16, v4
	v_and_b32_e32 v3, 0xffff0000, v4
	s_waitcnt vmcnt(10)
	v_lshlrev_b32_e32 v4, 16, v88
	v_and_b32_e32 v19, 0xffff0000, v88
	v_fmac_f32_e32 v64, v4, v2
	v_fmac_f32_e32 v67, v19, v3
	v_lshlrev_b32_e32 v2, 16, v5
	v_and_b32_e32 v3, 0xffff0000, v5
	v_lshlrev_b32_e32 v4, 16, v89
	v_and_b32_e32 v5, 0xffff0000, v89
	v_fmac_f32_e32 v71, v4, v2
	v_fmac_f32_e32 v78, v5, v3
	s_waitcnt lgkmcnt(0)
	v_lshlrev_b32_e32 v2, 16, v6
	v_and_b32_e32 v3, 0xffff0000, v6
	s_waitcnt vmcnt(9)
	v_lshlrev_b32_e32 v4, 16, v108
	v_and_b32_e32 v5, 0xffff0000, v108
	v_fmac_f32_e32 v64, v4, v2
	v_fmac_f32_e32 v67, v5, v3
	v_lshlrev_b32_e32 v2, 16, v7
	v_and_b32_e32 v3, 0xffff0000, v7
	v_lshlrev_b32_e32 v4, 16, v109
	v_and_b32_e32 v5, 0xffff0000, v109
	v_fmac_f32_e32 v71, v4, v2
	v_fmac_f32_e32 v78, v5, v3
	v_lshlrev_b32_e32 v2, 16, v8
	v_and_b32_e32 v3, 0xffff0000, v8
	s_waitcnt vmcnt(8)
	v_lshlrev_b32_e32 v4, 16, v40
	v_and_b32_e32 v5, 0xffff0000, v40
	v_fmac_f32_e32 v64, v4, v2
	v_fmac_f32_e32 v67, v5, v3
	ds_read_b128 v[2:5], v46 offset:128
	v_lshlrev_b32_e32 v6, 16, v9
	v_and_b32_e32 v7, 0xffff0000, v9
	v_lshlrev_b32_e32 v8, 16, v41
	v_and_b32_e32 v9, 0xffff0000, v41
	v_fmac_f32_e32 v71, v8, v6
	v_fmac_f32_e32 v78, v9, v7
	ds_read_b128 v[6:9], v46 offset:144
	s_waitcnt lgkmcnt(1)
	v_lshlrev_b32_e32 v19, 16, v2
	v_and_b32_e32 v2, 0xffff0000, v2
	s_waitcnt vmcnt(7)
	v_lshlrev_b32_e32 v24, 16, v38
	v_and_b32_e32 v25, 0xffff0000, v38
	v_fmac_f32_e32 v64, v24, v19
	v_fmac_f32_e32 v67, v25, v2
	v_lshlrev_b32_e32 v2, 16, v3
	v_and_b32_e32 v3, 0xffff0000, v3
	v_lshlrev_b32_e32 v19, 16, v39
	v_and_b32_e32 v24, 0xffff0000, v39
	v_fmac_f32_e32 v71, v19, v2
	v_fmac_f32_e32 v78, v24, v3
	v_lshlrev_b32_e32 v2, 16, v4
	v_and_b32_e32 v3, 0xffff0000, v4
	s_waitcnt vmcnt(6)
	v_lshlrev_b32_e32 v4, 16, v36
	v_and_b32_e32 v19, 0xffff0000, v36
	v_fmac_f32_e32 v64, v4, v2
	v_fmac_f32_e32 v67, v19, v3
	v_lshlrev_b32_e32 v2, 16, v5
	v_and_b32_e32 v3, 0xffff0000, v5
	v_lshlrev_b32_e32 v4, 16, v37
	v_and_b32_e32 v5, 0xffff0000, v37
	v_fmac_f32_e32 v71, v4, v2
	v_fmac_f32_e32 v78, v5, v3
	s_waitcnt lgkmcnt(0)
	v_lshlrev_b32_e32 v2, 16, v6
	v_and_b32_e32 v3, 0xffff0000, v6
	s_waitcnt vmcnt(5)
	v_lshlrev_b32_e32 v4, 16, v34
	v_and_b32_e32 v5, 0xffff0000, v34
	v_fmac_f32_e32 v64, v4, v2
	v_fmac_f32_e32 v67, v5, v3
	v_lshlrev_b32_e32 v2, 16, v7
	v_and_b32_e32 v3, 0xffff0000, v7
	v_lshlrev_b32_e32 v4, 16, v35
	v_and_b32_e32 v5, 0xffff0000, v35
	v_fmac_f32_e32 v71, v4, v2
	v_fmac_f32_e32 v78, v5, v3
	v_lshlrev_b32_e32 v2, 16, v8
	v_and_b32_e32 v3, 0xffff0000, v8
	s_waitcnt vmcnt(4)
	v_lshlrev_b32_e32 v4, 16, v32
	v_and_b32_e32 v5, 0xffff0000, v32
	v_fmac_f32_e32 v64, v4, v2
	v_fmac_f32_e32 v67, v5, v3
	ds_read_b128 v[2:5], v46 offset:160
	v_lshlrev_b32_e32 v6, 16, v9
	v_and_b32_e32 v7, 0xffff0000, v9
	v_lshlrev_b32_e32 v8, 16, v33
	v_and_b32_e32 v9, 0xffff0000, v33
	v_fmac_f32_e32 v71, v8, v6
	v_fmac_f32_e32 v78, v9, v7
	ds_read_b128 v[6:9], v46 offset:176
	s_waitcnt lgkmcnt(1)
	v_lshlrev_b32_e32 v19, 16, v2
	v_and_b32_e32 v2, 0xffff0000, v2
	s_waitcnt vmcnt(3)
	v_lshlrev_b32_e32 v24, 16, v22
	v_and_b32_e32 v22, 0xffff0000, v22
	v_fmac_f32_e32 v64, v24, v19
	v_fmac_f32_e32 v67, v22, v2
	v_lshlrev_b32_e32 v2, 16, v3
	v_and_b32_e32 v3, 0xffff0000, v3
	v_lshlrev_b32_e32 v19, 16, v23
	v_and_b32_e32 v22, 0xffff0000, v23
	v_fmac_f32_e32 v71, v19, v2
	v_fmac_f32_e32 v78, v22, v3
	v_lshlrev_b32_e32 v2, 16, v4
	v_and_b32_e32 v3, 0xffff0000, v4
	s_waitcnt vmcnt(2)
	v_lshlrev_b32_e32 v4, 16, v20
	v_and_b32_e32 v19, 0xffff0000, v20
	v_fmac_f32_e32 v64, v4, v2
	v_fmac_f32_e32 v67, v19, v3
	v_lshlrev_b32_e32 v2, 16, v5
	v_and_b32_e32 v3, 0xffff0000, v5
	v_lshlrev_b32_e32 v4, 16, v21
	v_and_b32_e32 v5, 0xffff0000, v21
	v_fmac_f32_e32 v71, v4, v2
	v_fmac_f32_e32 v78, v5, v3
	s_waitcnt lgkmcnt(0)
	v_lshlrev_b32_e32 v2, 16, v6
	v_and_b32_e32 v3, 0xffff0000, v6
	s_waitcnt vmcnt(1)
	v_lshlrev_b32_e32 v4, 16, v16
	v_and_b32_e32 v5, 0xffff0000, v16
	v_fmac_f32_e32 v64, v4, v2
	v_fmac_f32_e32 v67, v5, v3
	v_lshlrev_b32_e32 v2, 16, v7
	v_and_b32_e32 v3, 0xffff0000, v7
	v_lshlrev_b32_e32 v4, 16, v17
	v_and_b32_e32 v5, 0xffff0000, v17
	v_fmac_f32_e32 v71, v4, v2
	v_fmac_f32_e32 v78, v5, v3
	v_lshlrev_b32_e32 v2, 16, v8
	v_and_b32_e32 v3, 0xffff0000, v8
	s_waitcnt vmcnt(0)
	v_lshlrev_b32_e32 v4, 16, v14
	v_and_b32_e32 v5, 0xffff0000, v14
	v_fmac_f32_e32 v64, v4, v2
	v_fmac_f32_e32 v67, v5, v3
	v_lshlrev_b32_e32 v2, 16, v9
	v_lshlrev_b32_e32 v4, 16, v15
	v_and_b32_e32 v3, 0xffff0000, v9
	v_and_b32_e32 v5, 0xffff0000, v15
	v_fmac_f32_e32 v71, v4, v2
	v_add_f32_e32 v2, v64, v67
	v_fmac_f32_e32 v78, v5, v3
	v_add_f32_e32 v2, v2, v71
	v_lshlrev_b32_e32 v18, 2, v110
	v_add_f32_e32 v2, v78, v2
	ds_bpermute_b32 v3, v18, v2
	s_and_saveexec_b64 s[38:39], vcc
	s_cbranch_execz .LBB151_11
; %bb.19:                               ;   in Loop: Header=BB151_13 Depth=1
	v_add_u32_e32 v4, v50, v49
	v_cvt_f32_i32_e32 v4, v4
	s_waitcnt lgkmcnt(0)
	v_add_f32_e32 v2, v2, v3
	v_add_u32_e32 v5, v45, v49
	v_cmp_gt_i32_e64 s[0:1], s33, v5
	v_mul_f32_e32 v3, s42, v4
	v_cndmask_b32_e64 v3, 0, v3, s[2:3]
	v_fmac_f32_e32 v3, s31, v2
	v_cndmask_b32_e64 v2, 0, v3, s[0:1]
	ds_write_b32 v51, v2
	v_max_f32_e32 v2, v47, v47
	v_max_f32_e32 v2, v2, v3
	v_cndmask_b32_e64 v47, v47, v2, s[0:1]
	s_branch .LBB151_11
.LBB151_20:
	s_or_b64 exec, exec, s[36:37]
.LBB151_21:
	s_or_b64 exec, exec, s[34:35]
	v_mbcnt_hi_u32_b32 v2, -1, v44
	v_and_b32_e32 v9, 64, v2
	v_add_u32_e32 v10, 64, v9
	s_waitcnt lgkmcnt(0)
	v_xor_b32_e32 v3, 32, v2
	v_cmp_lt_i32_e32 vcc, v3, v10
	v_xor_b32_e32 v6, 16, v2
	v_max_f32_e32 v5, v47, v47
	v_cndmask_b32_e32 v3, v2, v3, vcc
	v_lshlrev_b32_e32 v3, 2, v3
	ds_bpermute_b32 v4, v3, v47
	v_cmp_lt_i32_e32 vcc, v6, v10
	v_xor_b32_e32 v7, 8, v2
	v_xor_b32_e32 v8, 4, v2
	;; [unrolled: 1-line block ×3, first 2 shown]
	s_waitcnt lgkmcnt(0)
	v_max_f32_e32 v4, v4, v4
	v_max_f32_e32 v5, v5, v4
	v_cndmask_b32_e32 v4, v2, v6, vcc
	v_lshlrev_b32_e32 v4, 2, v4
	ds_bpermute_b32 v6, v4, v5
	v_cmp_lt_i32_e32 vcc, v7, v10
	v_and_b32_e32 v77, 63, v0
	s_waitcnt lgkmcnt(0)
	v_max_f32_e32 v6, v6, v6
	v_max_f32_e32 v6, v5, v6
	v_cndmask_b32_e32 v5, v2, v7, vcc
	v_lshlrev_b32_e32 v5, 2, v5
	ds_bpermute_b32 v7, v5, v6
	v_cmp_lt_i32_e32 vcc, v8, v10
	s_waitcnt lgkmcnt(0)
	v_max_f32_e32 v7, v7, v7
	v_max_f32_e32 v7, v6, v7
	v_cndmask_b32_e32 v6, v2, v8, vcc
	v_lshlrev_b32_e32 v6, 2, v6
	ds_bpermute_b32 v8, v6, v7
	v_cmp_lt_i32_e32 vcc, v11, v10
	s_waitcnt lgkmcnt(0)
	v_max_f32_e32 v8, v8, v8
	v_max_f32_e32 v8, v7, v8
	v_cndmask_b32_e32 v7, v2, v11, vcc
	v_lshlrev_b32_e32 v78, 2, v7
	ds_bpermute_b32 v11, v78, v8
	v_cmp_eq_u32_e32 vcc, 0, v77
	v_lshlrev_b32_e32 v7, 2, v1
	s_and_saveexec_b64 s[0:1], vcc
	s_cbranch_execz .LBB151_23
; %bb.22:
	s_waitcnt lgkmcnt(0)
	v_max_f32_e32 v11, v11, v11
	v_max_f32_e32 v8, v8, v8
	;; [unrolled: 1-line block ×3, first 2 shown]
	ds_write_b32 v7, v8 offset:384
.LBB151_23:
	s_or_b64 exec, exec, s[0:1]
	v_cmp_gt_u32_e64 s[0:1], 2, v77
	s_waitcnt lgkmcnt(0)
	v_mov_b32_e32 v11, 0xff7fffff
	v_lshlrev_b32_e32 v8, 2, v77
	s_barrier
	s_and_saveexec_b64 s[2:3], s[0:1]
; %bb.24:
	ds_read_b32 v11, v8 offset:384
; %bb.25:
	s_or_b64 exec, exec, s[2:3]
	v_xor_b32_e32 v12, 1, v2
	v_cmp_lt_i32_e64 s[2:3], v12, v10
	v_lshlrev_b32_e32 v9, 2, v9
	s_nop 0
	v_cndmask_b32_e64 v10, v2, v12, s[2:3]
	v_lshlrev_b32_e32 v79, 2, v10
	s_waitcnt lgkmcnt(0)
	ds_bpermute_b32 v10, v79, v11
	v_max_f32_e32 v11, v11, v11
	s_lshl_b32 s2, s16, 5
	s_min_i32 s15, s2, s33
	v_cmp_gt_i32_e64 s[2:3], s15, v0
	s_waitcnt lgkmcnt(0)
	v_max_f32_e32 v10, v10, v10
	v_max_f32_e32 v10, v11, v10
	ds_bpermute_b32 v10, v9, v10
	v_mov_b32_e32 v9, 0
	s_and_saveexec_b64 s[30:31], s[2:3]
	s_cbranch_execz .LBB151_29
; %bb.26:
	v_mov_b32_e32 v9, 0x190
	v_lshl_add_u32 v11, v0, 2, v9
	v_mov_b32_e32 v9, 0
	s_mov_b64 s[34:35], 0
	v_mov_b32_e32 v12, v0
.LBB151_27:                             ; =>This Inner Loop Header: Depth=1
	ds_read_b32 v13, v11
	v_add_u32_e32 v12, 0x80, v12
	v_cmp_le_i32_e64 s[8:9], s15, v12
	s_or_b64 s[34:35], s[8:9], s[34:35]
	s_waitcnt lgkmcnt(0)
	v_sub_f32_e32 v13, v13, v10
	v_mul_f32_e32 v13, 0x3fb8aa3b, v13
	v_exp_f32_e32 v13, v13
	ds_write_b32 v11, v13
	v_add_f32_e32 v9, v9, v13
	v_add_u32_e32 v11, 0x200, v11
	s_andn2_b64 exec, exec, s[34:35]
	s_cbranch_execnz .LBB151_27
; %bb.28:
	s_or_b64 exec, exec, s[34:35]
.LBB151_29:
	s_or_b64 exec, exec, s[30:31]
	ds_bpermute_b32 v3, v3, v9
	s_waitcnt lgkmcnt(0)
	v_add_f32_e32 v3, v9, v3
	ds_bpermute_b32 v4, v4, v3
	s_waitcnt lgkmcnt(0)
	v_add_f32_e32 v3, v3, v4
	;; [unrolled: 3-line block ×6, first 2 shown]
	s_and_saveexec_b64 s[8:9], vcc
; %bb.30:
	ds_write_b32 v7, v3 offset:392
; %bb.31:
	s_or_b64 exec, exec, s[8:9]
	s_waitcnt lgkmcnt(0)
	s_barrier
	s_and_saveexec_b64 s[8:9], s[0:1]
; %bb.32:
	ds_read_b32 v3, v8 offset:392
; %bb.33:
	s_or_b64 exec, exec, s[8:9]
	s_waitcnt lgkmcnt(0)
	ds_bpermute_b32 v4, v79, v3
	v_lshlrev_b32_e32 v2, 2, v2
	v_and_b32_e32 v2, 0x100, v2
	s_waitcnt lgkmcnt(0)
	v_add_f32_e32 v3, v3, v4
	ds_bpermute_b32 v2, v2, v3
	s_and_saveexec_b64 s[0:1], s[2:3]
	s_cbranch_execz .LBB151_46
; %bb.34:
	s_waitcnt lgkmcnt(0)
	v_add_f32_e32 v2, 0x358637bd, v2
	v_div_scale_f32 v3, s[2:3], v2, v2, 1.0
	v_rcp_f32_e32 v4, v3
	v_div_scale_f32 v5, vcc, 1.0, v2, 1.0
	s_movk_i32 s2, 0x7f
	v_fma_f32 v6, -v3, v4, 1.0
	v_fmac_f32_e32 v4, v6, v4
	v_mul_f32_e32 v6, v5, v4
	v_fma_f32 v7, -v3, v6, v5
	v_fmac_f32_e32 v6, v7, v4
	v_fma_f32 v3, -v3, v6, v5
	v_div_fmas_f32 v3, v3, v4, v6
	v_xad_u32 v4, v0, -1, s15
	v_div_fixup_f32 v2, v3, v2, 1.0
	v_cmp_lt_u32_e32 vcc, s2, v4
	s_mov_b64 s[8:9], -1
	v_mov_b32_e32 v3, v0
	s_and_saveexec_b64 s[2:3], vcc
	s_cbranch_execz .LBB151_43
; %bb.35:
	v_lshrrev_b32_e32 v4, 7, v4
	v_add_u32_e32 v6, -1, v4
	v_lshrrev_b32_e32 v5, 1, v6
	v_mov_b32_e32 v3, v2
	v_add_u32_e32 v5, 1, v5
	v_cmp_lt_u32_e32 vcc, 13, v6
	v_mov_b32_e32 v8, 0
	s_and_saveexec_b64 s[8:9], vcc
	s_cbranch_execz .LBB151_39
; %bb.36:
	v_mov_b32_e32 v7, 0x190
	v_and_b32_e32 v6, -8, v5
	v_lshl_add_u32 v7, v0, 2, v7
	s_mov_b32 s34, 0
	s_mov_b64 s[30:31], 0
.LBB151_37:                             ; =>This Inner Loop Header: Depth=1
	ds_read2st64_b32 v[8:9], v7 offset1:2
	ds_read2st64_b32 v[10:11], v7 offset0:4 offset1:6
	ds_read2st64_b32 v[12:13], v7 offset0:8 offset1:10
	ds_read2st64_b32 v[14:15], v7 offset0:12 offset1:14
	v_add_u32_e32 v6, -8, v6
	s_waitcnt lgkmcnt(3)
	v_pk_mul_f32 v[8:9], v[2:3], v[8:9]
	s_waitcnt lgkmcnt(2)
	v_pk_mul_f32 v[10:11], v[2:3], v[10:11]
	ds_write2st64_b32 v7, v8, v9 offset1:2
	ds_write2st64_b32 v7, v10, v11 offset0:4 offset1:6
	ds_read2st64_b32 v[10:11], v7 offset0:16 offset1:18
	s_waitcnt lgkmcnt(4)
	v_pk_mul_f32 v[8:9], v[2:3], v[12:13]
	ds_write2st64_b32 v7, v8, v9 offset0:8 offset1:10
	s_waitcnt lgkmcnt(4)
	v_pk_mul_f32 v[8:9], v[2:3], v[14:15]
	ds_write2st64_b32 v7, v8, v9 offset0:12 offset1:14
	ds_read2st64_b32 v[8:9], v7 offset0:20 offset1:22
	s_waitcnt lgkmcnt(3)
	v_pk_mul_f32 v[10:11], v[2:3], v[10:11]
	ds_read2st64_b32 v[12:13], v7 offset0:24 offset1:26
	ds_write2st64_b32 v7, v10, v11 offset0:16 offset1:18
	ds_read2st64_b32 v[10:11], v7 offset0:28 offset1:30
	s_waitcnt lgkmcnt(3)
	v_pk_mul_f32 v[8:9], v[2:3], v[8:9]
	ds_write2st64_b32 v7, v8, v9 offset0:20 offset1:22
	s_waitcnt lgkmcnt(3)
	v_pk_mul_f32 v[8:9], v[2:3], v[12:13]
	ds_write2st64_b32 v7, v8, v9 offset0:24 offset1:26
	s_waitcnt lgkmcnt(2)
	v_pk_mul_f32 v[8:9], v[2:3], v[10:11]
	s_add_i32 s34, s34, 16
	v_cmp_eq_u32_e32 vcc, 0, v6
	ds_write2st64_b32 v7, v8, v9 offset0:28 offset1:30
	v_add_u32_e32 v7, 0x2000, v7
	s_or_b64 s[30:31], vcc, s[30:31]
	v_mov_b32_e32 v8, s34
	s_andn2_b64 exec, exec, s[30:31]
	s_cbranch_execnz .LBB151_37
; %bb.38:
	s_or_b64 exec, exec, s[30:31]
.LBB151_39:
	s_or_b64 exec, exec, s[8:9]
	v_and_b32_e32 v5, 7, v5
	v_cmp_ne_u32_e32 vcc, 0, v5
	s_and_saveexec_b64 s[8:9], vcc
	s_cbranch_execz .LBB151_42
; %bb.40:
	v_lshlrev_b32_e32 v6, 9, v8
	v_lshlrev_b32_e32 v7, 2, v0
	s_movk_i32 s30, 0x190
	v_add3_u32 v6, v6, v7, s30
	s_mov_b64 s[30:31], 0
.LBB151_41:                             ; =>This Inner Loop Header: Depth=1
	ds_read2st64_b32 v[8:9], v6 offset1:2
	v_add_u32_e32 v5, -1, v5
	v_cmp_eq_u32_e32 vcc, 0, v5
	s_or_b64 s[30:31], vcc, s[30:31]
	s_waitcnt lgkmcnt(0)
	v_pk_mul_f32 v[8:9], v[2:3], v[8:9]
	ds_write2st64_b32 v6, v8, v9 offset1:2
	v_add_u32_e32 v6, 0x400, v6
	s_andn2_b64 exec, exec, s[30:31]
	s_cbranch_execnz .LBB151_41
.LBB151_42:
	s_or_b64 exec, exec, s[8:9]
	v_add_u32_e32 v4, 1, v4
	v_and_b32_e32 v5, 0x3fffffe, v4
	v_cmp_ne_u32_e32 vcc, v4, v5
	v_lshl_add_u32 v3, v5, 7, v0
	s_orn2_b64 s[8:9], vcc, exec
.LBB151_43:
	s_or_b64 exec, exec, s[2:3]
	s_and_b64 exec, exec, s[8:9]
	s_cbranch_execz .LBB151_46
; %bb.44:
	v_mov_b32_e32 v4, 0x190
	v_lshl_add_u32 v4, v3, 2, v4
	s_mov_b64 s[2:3], 0
.LBB151_45:                             ; =>This Inner Loop Header: Depth=1
	ds_read_b32 v5, v4
	v_add_u32_e32 v3, 0x80, v3
	v_cmp_le_i32_e32 vcc, s15, v3
	s_or_b64 s[2:3], vcc, s[2:3]
	s_waitcnt lgkmcnt(0)
	v_mul_f32_e32 v5, v2, v5
	ds_write_b32 v4, v5
	v_add_u32_e32 v4, 0x200, v4
	s_andn2_b64 exec, exec, s[2:3]
	s_cbranch_execnz .LBB151_45
.LBB151_46:
	s_or_b64 exec, exec, s[0:1]
	v_mov_b32_e32 v59, 0
	v_and_b32_e32 v80, 3, v0
	v_mov_b32_e32 v58, 0
	v_mov_b32_e32 v61, 0
	;; [unrolled: 1-line block ×11, first 2 shown]
	s_waitcnt lgkmcnt(0)
	s_barrier
	s_and_saveexec_b64 s[8:9], s[6:7]
	s_cbranch_execz .LBB151_76
; %bb.47:
	s_ashr_i32 s15, s14, 31
	s_sub_i32 s17, s12, s17
	s_lshl_b64 s[0:1], s[14:15], 1
	s_add_u32 s0, s28, s0
	s_addc_u32 s1, s29, s1
	s_abs_i32 s18, s18
	v_cvt_f32_u32_e32 v2, s18
	v_lshlrev_b32_e32 v3, 4, v0
	v_and_b32_e32 v70, 0x3f0, v3
	v_mov_b32_e32 v71, 0
	v_rcp_iflag_f32_e32 v2, v2
	v_lshl_add_u64 v[72:73], s[0:1], 0, v[70:71]
	s_sub_i32 s0, 0, s18
	s_add_i32 s29, s16, -1
	v_mul_f32_e32 v2, 0x4f7ffffe, v2
	v_cvt_u32_f32_e32 v2, v2
	v_and_b32_e32 v70, 60, v43
	v_and_b32_e32 v81, 24, v42
	s_mov_b32 s28, s13
	v_mul_lo_u32 v3, s0, v2
	v_mul_hi_u32 v3, v2, v3
	s_lshl_b64 s[0:1], s[26:27], 2
	v_add_u32_e32 v82, v2, v3
	s_add_u32 s0, s24, s0
	v_lshlrev_b32_e32 v2, 5, v80
	s_addc_u32 s1, s25, s1
	v_lshl_or_b32 v2, v1, 7, v2
	s_mov_b32 s30, s33
	v_lshl_add_u64 v[74:75], s[0:1], 0, v[70:71]
	v_add_u32_e32 v70, 0x190, v2
	s_mov_b64 s[6:7], 0
	s_mov_b32 s24, 0x5040100
	v_mov_b32_e32 v68, 0
	v_mov_b32_e32 v69, 0
	;; [unrolled: 1-line block ×12, first 2 shown]
	s_branch .LBB151_50
.LBB151_48:                             ;   in Loop: Header=BB151_50 Depth=1
	s_or_b64 exec, exec, s[2:3]
	s_waitcnt lgkmcnt(1)
	v_cvt_pk_bf16_f32 v27, v27, s0
	s_waitcnt lgkmcnt(0)
	v_cvt_pk_bf16_f32 v83, v22, s0
	v_cvt_pk_bf16_f32 v84, v23, s0
	s_waitcnt vmcnt(1)
	v_and_b32_e32 v23, 0xffff0000, v54
	v_lshlrev_b32_e32 v22, 16, v27
	v_cvt_pk_bf16_f32 v26, v26, s0
	v_mul_f32_e32 v23, v22, v23
	v_cvt_pk_bf16_f32 v86, v23, s0
	v_lshlrev_b32_e32 v23, 16, v54
	v_lshlrev_b32_e32 v26, 16, v26
	v_cvt_pk_bf16_f32 v29, v29, s0
	v_mul_f32_e32 v23, v26, v23
	v_cvt_pk_bf16_f32 v85, v24, s0
	v_cvt_pk_bf16_f32 v54, v23, s0
	v_and_b32_e32 v24, 0xffff0000, v55
	v_lshlrev_b32_e32 v23, 16, v29
	v_cvt_pk_bf16_f32 v28, v28, s0
	v_mul_f32_e32 v24, v23, v24
	v_cvt_pk_bf16_f32 v87, v24, s0
	v_lshlrev_b32_e32 v24, 16, v55
	v_lshlrev_b32_e32 v27, 16, v28
	v_mul_f32_e32 v24, v27, v24
	v_cvt_pk_bf16_f32 v55, v24, s0
	v_and_b32_e32 v28, 0xffff0000, v56
	v_lshlrev_b32_e32 v24, 16, v84
	v_mul_f32_e32 v28, v24, v28
	v_cvt_pk_bf16_f32 v84, v28, s0
	v_lshlrev_b32_e32 v29, 16, v56
	v_lshlrev_b32_e32 v28, 16, v83
	v_cvt_pk_bf16_f32 v25, v25, s0
	v_mul_f32_e32 v29, v28, v29
	v_cvt_pk_bf16_f32 v56, v29, s0
	v_and_b32_e32 v29, 0xffff0000, v57
	v_lshlrev_b32_e32 v25, 16, v25
	v_mul_f32_e32 v29, v25, v29
	v_cvt_pk_bf16_f32 v83, v29, s0
	v_lshlrev_b32_e32 v29, 16, v85
	v_lshlrev_b32_e32 v54, 16, v54
	;; [unrolled: 1-line block ×3, first 2 shown]
	v_add_f32_e32 v54, v54, v85
	v_lshlrev_b32_e32 v55, 16, v55
	v_lshlrev_b32_e32 v85, 16, v87
	;; [unrolled: 1-line block ×3, first 2 shown]
	v_add_f32_e32 v55, v55, v85
	v_mul_f32_e32 v57, v29, v57
	v_add_f32_e32 v54, v55, v54
	v_lshlrev_b32_e32 v55, 16, v56
	v_lshlrev_b32_e32 v56, 16, v84
	v_cvt_pk_bf16_f32 v57, v57, s0
	v_add_f32_e32 v55, v55, v56
	v_add_f32_e32 v54, v55, v54
	v_lshlrev_b32_e32 v55, 16, v57
	v_lshlrev_b32_e32 v56, 16, v83
	v_add_f32_e32 v55, v55, v56
	v_add_f32_e32 v54, v55, v54
	v_add_f32_e32 v58, v58, v54
	v_and_b32_e32 v54, 0xffff0000, v50
	v_lshlrev_b32_e32 v50, 16, v50
	v_mul_f32_e32 v54, v22, v54
	v_mul_f32_e32 v50, v26, v50
	v_and_b32_e32 v55, 0xffff0000, v51
	v_lshlrev_b32_e32 v51, 16, v51
	v_cvt_pk_bf16_f32 v54, v54, s0
	v_cvt_pk_bf16_f32 v50, v50, s0
	v_mul_f32_e32 v55, v23, v55
	v_mul_f32_e32 v51, v27, v51
	v_cvt_pk_bf16_f32 v55, v55, s0
	v_cvt_pk_bf16_f32 v51, v51, s0
	v_and_b32_e32 v56, 0xffff0000, v52
	v_lshlrev_b32_e32 v52, 16, v52
	v_lshlrev_b32_e32 v50, 16, v50
	v_lshlrev_b32_e32 v54, 16, v54
	v_mul_f32_e32 v56, v24, v56
	v_mul_f32_e32 v52, v28, v52
	v_add_f32_e32 v50, v50, v54
	v_lshlrev_b32_e32 v51, 16, v51
	v_lshlrev_b32_e32 v54, 16, v55
	v_cvt_pk_bf16_f32 v56, v56, s0
	v_cvt_pk_bf16_f32 v52, v52, s0
	v_and_b32_e32 v57, 0xffff0000, v53
	v_lshlrev_b32_e32 v53, 16, v53
	v_add_f32_e32 v51, v51, v54
	v_mul_f32_e32 v57, v25, v57
	v_mul_f32_e32 v53, v29, v53
	v_add_f32_e32 v50, v51, v50
	v_lshlrev_b32_e32 v51, 16, v52
	v_lshlrev_b32_e32 v52, 16, v56
	v_cvt_pk_bf16_f32 v57, v57, s0
	v_cvt_pk_bf16_f32 v53, v53, s0
	v_add_f32_e32 v51, v51, v52
	v_add_f32_e32 v50, v51, v50
	v_lshlrev_b32_e32 v51, 16, v53
	v_lshlrev_b32_e32 v52, 16, v57
	v_add_f32_e32 v51, v51, v52
	v_add_f32_e32 v50, v51, v50
	v_add_f32_e32 v61, v61, v50
	v_and_b32_e32 v50, 0xffff0000, v46
	v_lshlrev_b32_e32 v46, 16, v46
	v_mul_f32_e32 v50, v22, v50
	v_mul_f32_e32 v46, v26, v46
	v_and_b32_e32 v51, 0xffff0000, v47
	v_lshlrev_b32_e32 v47, 16, v47
	v_cvt_pk_bf16_f32 v50, v50, s0
	v_cvt_pk_bf16_f32 v46, v46, s0
	v_mul_f32_e32 v51, v23, v51
	v_mul_f32_e32 v47, v27, v47
	v_cvt_pk_bf16_f32 v51, v51, s0
	v_cvt_pk_bf16_f32 v47, v47, s0
	v_and_b32_e32 v52, 0xffff0000, v48
	v_lshlrev_b32_e32 v48, 16, v48
	v_lshlrev_b32_e32 v46, 16, v46
	v_lshlrev_b32_e32 v50, 16, v50
	v_mul_f32_e32 v52, v24, v52
	v_mul_f32_e32 v48, v28, v48
	v_add_f32_e32 v46, v46, v50
	v_lshlrev_b32_e32 v47, 16, v47
	v_lshlrev_b32_e32 v50, 16, v51
	v_cvt_pk_bf16_f32 v52, v52, s0
	v_cvt_pk_bf16_f32 v48, v48, s0
	v_and_b32_e32 v53, 0xffff0000, v49
	v_lshlrev_b32_e32 v49, 16, v49
	v_add_f32_e32 v47, v47, v50
	v_mul_f32_e32 v53, v25, v53
	v_mul_f32_e32 v49, v29, v49
	v_add_f32_e32 v46, v47, v46
	v_lshlrev_b32_e32 v47, 16, v48
	v_lshlrev_b32_e32 v48, 16, v52
	v_cvt_pk_bf16_f32 v53, v53, s0
	;; [unrolled: 40-line block ×9, first 2 shown]
	v_cvt_pk_bf16_f32 v9, v9, s0
	v_add_f32_e32 v7, v7, v8
	v_add_f32_e32 v6, v7, v6
	v_lshlrev_b32_e32 v7, 16, v9
	v_lshlrev_b32_e32 v8, 16, v13
	v_add_f32_e32 v7, v7, v8
	v_add_f32_e32 v6, v7, v6
	;; [unrolled: 1-line block ×3, first 2 shown]
	v_and_b32_e32 v6, 0xffff0000, v2
	v_lshlrev_b32_e32 v2, 16, v2
	v_mul_f32_e32 v6, v22, v6
	v_mul_f32_e32 v2, v26, v2
	v_and_b32_e32 v7, 0xffff0000, v3
	v_lshlrev_b32_e32 v3, 16, v3
	v_cvt_pk_bf16_f32 v6, v6, s0
	v_cvt_pk_bf16_f32 v2, v2, s0
	v_mul_f32_e32 v7, v23, v7
	v_mul_f32_e32 v3, v27, v3
	v_cvt_pk_bf16_f32 v7, v7, s0
	v_cvt_pk_bf16_f32 v3, v3, s0
	v_and_b32_e32 v8, 0xffff0000, v4
	v_lshlrev_b32_e32 v4, 16, v4
	v_lshlrev_b32_e32 v2, 16, v2
	;; [unrolled: 1-line block ×3, first 2 shown]
	v_mul_f32_e32 v8, v24, v8
	v_mul_f32_e32 v4, v28, v4
	v_add_f32_e32 v2, v2, v6
	v_lshlrev_b32_e32 v3, 16, v3
	v_lshlrev_b32_e32 v6, 16, v7
	v_cvt_pk_bf16_f32 v8, v8, s0
	v_cvt_pk_bf16_f32 v4, v4, s0
	v_and_b32_e32 v9, 0xffff0000, v5
	v_lshlrev_b32_e32 v5, 16, v5
	v_add_f32_e32 v3, v3, v6
	v_mul_f32_e32 v5, v29, v5
	v_add_f32_e32 v2, v3, v2
	v_lshlrev_b32_e32 v3, 16, v4
	v_lshlrev_b32_e32 v4, 16, v8
	v_cvt_pk_bf16_f32 v5, v5, s0
	v_add_f32_e32 v3, v3, v4
	v_add_f32_e32 v2, v3, v2
	v_lshlrev_b32_e32 v3, 16, v5
	s_waitcnt vmcnt(0)
	v_and_b32_e32 v5, 0xffff0000, v39
	v_mul_f32_e32 v5, v23, v5
	v_mul_f32_e32 v9, v25, v9
	v_cvt_pk_bf16_f32 v6, v5, s0
	v_lshlrev_b32_e32 v5, 16, v40
	v_cvt_pk_bf16_f32 v9, v9, s0
	v_mul_f32_e32 v5, v28, v5
	v_lshlrev_b32_e32 v4, 16, v9
	v_cvt_pk_bf16_f32 v7, v5, s0
	v_and_b32_e32 v5, 0xffff0000, v40
	v_add_f32_e32 v3, v3, v4
	v_mul_f32_e32 v5, v24, v5
	v_add_f32_e32 v2, v3, v2
	v_cvt_pk_bf16_f32 v8, v5, s0
	v_lshlrev_b32_e32 v5, 16, v41
	v_add_f32_e32 v68, v68, v2
	v_lshlrev_b32_e32 v2, 16, v38
	v_and_b32_e32 v3, 0xffff0000, v38
	v_lshlrev_b32_e32 v4, 16, v39
	v_mul_f32_e32 v5, v29, v5
	v_mul_f32_e32 v2, v26, v2
	;; [unrolled: 1-line block ×4, first 2 shown]
	v_cvt_pk_bf16_f32 v9, v5, s0
	v_and_b32_e32 v5, 0xffff0000, v41
	v_cvt_pk_bf16_f32 v2, v2, s0
	v_cvt_pk_bf16_f32 v3, v3, s0
	;; [unrolled: 1-line block ×3, first 2 shown]
	v_mul_f32_e32 v5, v25, v5
	v_cvt_pk_bf16_f32 v10, v5, s0
	v_lshlrev_b32_e32 v3, 16, v3
	v_lshlrev_b32_e32 v5, 16, v2
	;; [unrolled: 1-line block ×4, first 2 shown]
	v_pk_add_f32 v[2:3], v[4:5], v[2:3]
	v_lshlrev_b32_e32 v5, 16, v8
	v_lshlrev_b32_e32 v7, 16, v7
	;; [unrolled: 1-line block ×4, first 2 shown]
	v_pk_add_f32 v[4:5], v[6:7], v[4:5]
	v_add_f32_e32 v2, v2, v3
	v_add_f32_e32 v2, v5, v2
	;; [unrolled: 1-line block ×4, first 2 shown]
.LBB151_49:                             ;   in Loop: Header=BB151_50 Depth=1
	s_or_b64 exec, exec, s[12:13]
	v_add_u32_e32 v1, 2, v1
	v_cmp_le_i32_e32 vcc, s16, v1
	v_lshl_add_u64 v[74:75], v[74:75], 0, 8
	v_add_u32_e32 v76, 64, v76
	s_or_b64 s[6:7], vcc, s[6:7]
	v_add_u32_e32 v70, 0x100, v70
	s_andn2_b64 exec, exec, s[6:7]
	s_cbranch_execz .LBB151_75
.LBB151_50:                             ; =>This Inner Loop Header: Depth=1
	v_mul_hi_u32 v2, v76, s40
	v_mul_lo_u32 v3, v2, s21
	v_sub_u32_e32 v3, v76, v3
	v_add_u32_e32 v4, 1, v2
	v_cmp_le_u32_e32 vcc, s21, v3
	s_nop 1
	v_cndmask_b32_e32 v2, v2, v4, vcc
	v_subrev_u32_e32 v4, s21, v3
	v_cndmask_b32_e32 v3, v3, v4, vcc
	v_add_u32_e32 v4, 1, v2
	v_cmp_le_u32_e32 vcc, s21, v3
	s_nop 1
	v_cndmask_b32_e32 v2, v2, v4, vcc
	v_xor_b32_e32 v2, s19, v2
	v_subrev_u32_e32 v2, s19, v2
	v_add_u32_e32 v3, s41, v2
	v_sub_u32_e32 v5, 0, v3
	v_ashrrev_i32_e32 v4, 31, v3
	v_max_i32_e32 v3, v3, v5
	v_mul_hi_u32 v5, v3, v82
	v_mul_lo_u32 v5, v5, s18
	v_sub_u32_e32 v3, v3, v5
	v_subrev_u32_e32 v5, s18, v3
	v_cmp_le_u32_e32 vcc, s18, v3
	v_cmp_lt_i32_e64 s[0:1], s17, v2
	s_nop 0
	v_cndmask_b32_e32 v3, v3, v5, vcc
	v_subrev_u32_e32 v5, s18, v3
	v_cmp_le_u32_e32 vcc, s18, v3
	s_nop 1
	v_cndmask_b32_e32 v3, v3, v5, vcc
	v_xor_b32_e32 v3, v3, v4
	v_sub_u32_e32 v3, v3, v4
	v_cmp_eq_u32_e32 vcc, 0, v3
	s_or_b64 s[0:1], vcc, s[0:1]
	s_and_saveexec_b64 s[12:13], s[0:1]
	s_cbranch_execz .LBB151_49
; %bb.51:                               ;   in Loop: Header=BB151_50 Depth=1
	global_load_dword v2, v[74:75], off
	v_add_u32_e32 v85, v81, v76
	v_add_u32_e32 v90, 1, v85
	v_or_b32_e32 v88, 3, v85
	v_or_b32_e32 v89, 2, v85
	;; [unrolled: 1-line block ×6, first 2 shown]
	s_waitcnt vmcnt(0)
	v_mad_i64_i32 v[2:3], s[0:1], v2, s28, 0
	v_lshl_add_u64 v[38:39], v[2:3], 1, v[72:73]
	global_load_dwordx4 v[2:5], v[38:39], off
	ds_read2_b64 v[26:29], v70 offset1:1
	ds_read2_b64 v[22:25], v70 offset0:2 offset1:3
	v_cmp_eq_u32_e64 s[0:1], s29, v1
	s_and_saveexec_b64 s[14:15], s[0:1]
	s_cbranch_execnz .LBB151_72
; %bb.52:                               ;   in Loop: Header=BB151_50 Depth=1
	s_or_b64 exec, exec, s[14:15]
	global_load_dwordx4 v[6:9], v[38:39], off offset:1024
	s_and_saveexec_b64 s[14:15], s[0:1]
	s_cbranch_execnz .LBB151_73
.LBB151_53:                             ;   in Loop: Header=BB151_50 Depth=1
	s_or_b64 exec, exec, s[14:15]
	global_load_dwordx4 v[10:13], v[38:39], off offset:2048
	s_and_saveexec_b64 s[14:15], s[0:1]
	s_cbranch_execnz .LBB151_74
.LBB151_54:                             ;   in Loop: Header=BB151_50 Depth=1
	s_or_b64 exec, exec, s[14:15]
	global_load_dwordx4 v[14:17], v[38:39], off offset:3072
	s_and_saveexec_b64 s[14:15], s[0:1]
	s_cbranch_execz .LBB151_56
.LBB151_55:                             ;   in Loop: Header=BB151_50 Depth=1
	v_cmp_gt_i32_e32 vcc, s30, v90
	v_cmp_gt_i32_e64 s[2:3], s33, v89
	s_waitcnt vmcnt(0)
	v_cndmask_b32_sdwa v18, v71, v14, vcc dst_sel:DWORD dst_unused:UNUSED_PAD src0_sel:DWORD src1_sel:WORD_1
	v_cmp_gt_i32_e32 vcc, s33, v85
	s_nop 1
	v_cndmask_b32_e32 v14, 0, v14, vcc
	v_cmp_gt_i32_e32 vcc, s30, v88
	v_perm_b32 v14, v18, v14, s24
	v_cndmask_b32_e64 v18, 0, v15, s[2:3]
	v_cndmask_b32_sdwa v15, v71, v15, vcc dst_sel:DWORD dst_unused:UNUSED_PAD src0_sel:DWORD src1_sel:WORD_1
	v_cmp_gt_i32_e32 vcc, s30, v86
	v_cmp_gt_i32_e64 s[2:3], s33, v87
	v_perm_b32 v15, v15, v18, s24
	s_nop 0
	v_cndmask_b32_e64 v18, 0, v16, s[2:3]
	v_cndmask_b32_sdwa v16, v71, v16, vcc dst_sel:DWORD dst_unused:UNUSED_PAD src0_sel:DWORD src1_sel:WORD_1
	v_cmp_gt_i32_e32 vcc, s30, v83
	v_cmp_gt_i32_e64 s[2:3], s33, v84
	v_perm_b32 v16, v16, v18, s24
	s_nop 0
	v_cndmask_b32_e64 v18, 0, v17, s[2:3]
	v_cndmask_b32_sdwa v17, v71, v17, vcc dst_sel:DWORD dst_unused:UNUSED_PAD src0_sel:DWORD src1_sel:WORD_1
	v_perm_b32 v17, v17, v18, s24
.LBB151_56:                             ;   in Loop: Header=BB151_50 Depth=1
	s_or_b64 exec, exec, s[14:15]
	v_add_co_u32_e32 v18, vcc, 0x1000, v38
	s_nop 1
	v_addc_co_u32_e32 v19, vcc, 0, v39, vcc
	global_load_dwordx4 v[18:21], v[18:19], off
	s_and_saveexec_b64 s[14:15], s[0:1]
	s_cbranch_execz .LBB151_58
; %bb.57:                               ;   in Loop: Header=BB151_50 Depth=1
	v_cmp_gt_i32_e32 vcc, s30, v90
	v_cmp_gt_i32_e64 s[2:3], s33, v89
	s_waitcnt vmcnt(0)
	v_cndmask_b32_sdwa v30, v71, v18, vcc dst_sel:DWORD dst_unused:UNUSED_PAD src0_sel:DWORD src1_sel:WORD_1
	v_cmp_gt_i32_e32 vcc, s33, v85
	s_nop 1
	v_cndmask_b32_e32 v18, 0, v18, vcc
	v_cmp_gt_i32_e32 vcc, s30, v88
	v_perm_b32 v18, v30, v18, s24
	v_cndmask_b32_e64 v30, 0, v19, s[2:3]
	v_cndmask_b32_sdwa v19, v71, v19, vcc dst_sel:DWORD dst_unused:UNUSED_PAD src0_sel:DWORD src1_sel:WORD_1
	v_cmp_gt_i32_e32 vcc, s30, v86
	v_cmp_gt_i32_e64 s[2:3], s33, v87
	v_perm_b32 v19, v19, v30, s24
	s_nop 0
	v_cndmask_b32_e64 v30, 0, v20, s[2:3]
	v_cndmask_b32_sdwa v20, v71, v20, vcc dst_sel:DWORD dst_unused:UNUSED_PAD src0_sel:DWORD src1_sel:WORD_1
	v_cmp_gt_i32_e32 vcc, s30, v83
	v_cmp_gt_i32_e64 s[2:3], s33, v84
	v_perm_b32 v20, v20, v30, s24
	s_nop 0
	v_cndmask_b32_e64 v30, 0, v21, s[2:3]
	v_cndmask_b32_sdwa v21, v71, v21, vcc dst_sel:DWORD dst_unused:UNUSED_PAD src0_sel:DWORD src1_sel:WORD_1
	v_perm_b32 v21, v21, v30, s24
.LBB151_58:                             ;   in Loop: Header=BB151_50 Depth=1
	s_or_b64 exec, exec, s[14:15]
	v_add_co_u32_e32 v30, vcc, 0x1000, v38
	s_nop 1
	v_addc_co_u32_e32 v31, vcc, 0, v39, vcc
	global_load_dwordx4 v[30:33], v[30:31], off offset:1024
	s_and_saveexec_b64 s[14:15], s[0:1]
	s_cbranch_execz .LBB151_60
; %bb.59:                               ;   in Loop: Header=BB151_50 Depth=1
	v_cmp_gt_i32_e32 vcc, s30, v90
	v_cmp_gt_i32_e64 s[2:3], s33, v89
	s_waitcnt vmcnt(0)
	v_cndmask_b32_sdwa v34, v71, v30, vcc dst_sel:DWORD dst_unused:UNUSED_PAD src0_sel:DWORD src1_sel:WORD_1
	v_cmp_gt_i32_e32 vcc, s33, v85
	s_nop 1
	v_cndmask_b32_e32 v30, 0, v30, vcc
	v_cmp_gt_i32_e32 vcc, s30, v88
	v_perm_b32 v30, v34, v30, s24
	v_cndmask_b32_e64 v34, 0, v31, s[2:3]
	v_cndmask_b32_sdwa v31, v71, v31, vcc dst_sel:DWORD dst_unused:UNUSED_PAD src0_sel:DWORD src1_sel:WORD_1
	v_cmp_gt_i32_e32 vcc, s30, v86
	v_cmp_gt_i32_e64 s[2:3], s33, v87
	v_perm_b32 v31, v31, v34, s24
	s_nop 0
	v_cndmask_b32_e64 v34, 0, v32, s[2:3]
	v_cndmask_b32_sdwa v32, v71, v32, vcc dst_sel:DWORD dst_unused:UNUSED_PAD src0_sel:DWORD src1_sel:WORD_1
	v_cmp_gt_i32_e32 vcc, s30, v83
	v_cmp_gt_i32_e64 s[2:3], s33, v84
	v_perm_b32 v32, v32, v34, s24
	s_nop 0
	v_cndmask_b32_e64 v34, 0, v33, s[2:3]
	v_cndmask_b32_sdwa v33, v71, v33, vcc dst_sel:DWORD dst_unused:UNUSED_PAD src0_sel:DWORD src1_sel:WORD_1
	v_perm_b32 v33, v33, v34, s24
.LBB151_60:                             ;   in Loop: Header=BB151_50 Depth=1
	s_or_b64 exec, exec, s[14:15]
	v_add_co_u32_e32 v34, vcc, 0x1000, v38
	s_nop 1
	v_addc_co_u32_e32 v35, vcc, 0, v39, vcc
	global_load_dwordx4 v[34:37], v[34:35], off offset:2048
	;; [unrolled: 33-line block ×3, first 2 shown]
	s_and_saveexec_b64 s[14:15], s[0:1]
	s_cbranch_execz .LBB151_64
; %bb.63:                               ;   in Loop: Header=BB151_50 Depth=1
	v_cmp_gt_i32_e32 vcc, s30, v90
	v_cmp_gt_i32_e64 s[2:3], s33, v89
	s_waitcnt vmcnt(0)
	v_cndmask_b32_sdwa v40, v71, v42, vcc dst_sel:DWORD dst_unused:UNUSED_PAD src0_sel:DWORD src1_sel:WORD_1
	v_cmp_gt_i32_e32 vcc, s33, v85
	s_nop 1
	v_cndmask_b32_e32 v41, 0, v42, vcc
	v_cmp_gt_i32_e32 vcc, s30, v88
	v_perm_b32 v42, v40, v41, s24
	v_cndmask_b32_e64 v40, 0, v43, s[2:3]
	v_cndmask_b32_sdwa v41, v71, v43, vcc dst_sel:DWORD dst_unused:UNUSED_PAD src0_sel:DWORD src1_sel:WORD_1
	v_cmp_gt_i32_e32 vcc, s30, v86
	v_cmp_gt_i32_e64 s[2:3], s33, v87
	v_perm_b32 v43, v41, v40, s24
	v_cndmask_b32_sdwa v41, v71, v44, vcc dst_sel:DWORD dst_unused:UNUSED_PAD src0_sel:DWORD src1_sel:WORD_1
	v_cndmask_b32_e64 v40, 0, v44, s[2:3]
	v_cmp_gt_i32_e32 vcc, s30, v83
	v_cmp_gt_i32_e64 s[2:3], s33, v84
	v_perm_b32 v44, v41, v40, s24
	v_cndmask_b32_sdwa v41, v71, v45, vcc dst_sel:DWORD dst_unused:UNUSED_PAD src0_sel:DWORD src1_sel:WORD_1
	v_cndmask_b32_e64 v40, 0, v45, s[2:3]
	v_perm_b32 v45, v41, v40, s24
.LBB151_64:                             ;   in Loop: Header=BB151_50 Depth=1
	s_or_b64 exec, exec, s[14:15]
	v_add_co_u32_e32 v40, vcc, 0x2000, v38
	s_nop 1
	v_addc_co_u32_e32 v41, vcc, 0, v39, vcc
	global_load_dwordx4 v[46:49], v[40:41], off
	s_and_saveexec_b64 s[14:15], s[0:1]
	s_cbranch_execz .LBB151_66
; %bb.65:                               ;   in Loop: Header=BB151_50 Depth=1
	v_cmp_gt_i32_e32 vcc, s30, v90
	v_cmp_gt_i32_e64 s[2:3], s33, v89
	s_waitcnt vmcnt(0)
	v_cndmask_b32_sdwa v40, v71, v46, vcc dst_sel:DWORD dst_unused:UNUSED_PAD src0_sel:DWORD src1_sel:WORD_1
	v_cmp_gt_i32_e32 vcc, s33, v85
	s_nop 1
	v_cndmask_b32_e32 v41, 0, v46, vcc
	v_cmp_gt_i32_e32 vcc, s30, v88
	v_perm_b32 v46, v40, v41, s24
	v_cndmask_b32_e64 v40, 0, v47, s[2:3]
	v_cndmask_b32_sdwa v41, v71, v47, vcc dst_sel:DWORD dst_unused:UNUSED_PAD src0_sel:DWORD src1_sel:WORD_1
	v_cmp_gt_i32_e32 vcc, s30, v86
	v_cmp_gt_i32_e64 s[2:3], s33, v87
	v_perm_b32 v47, v41, v40, s24
	v_cndmask_b32_sdwa v41, v71, v48, vcc dst_sel:DWORD dst_unused:UNUSED_PAD src0_sel:DWORD src1_sel:WORD_1
	v_cndmask_b32_e64 v40, 0, v48, s[2:3]
	v_cmp_gt_i32_e32 vcc, s30, v83
	v_cmp_gt_i32_e64 s[2:3], s33, v84
	v_perm_b32 v48, v41, v40, s24
	v_cndmask_b32_sdwa v41, v71, v49, vcc dst_sel:DWORD dst_unused:UNUSED_PAD src0_sel:DWORD src1_sel:WORD_1
	v_cndmask_b32_e64 v40, 0, v49, s[2:3]
	v_perm_b32 v49, v41, v40, s24
.LBB151_66:                             ;   in Loop: Header=BB151_50 Depth=1
	s_or_b64 exec, exec, s[14:15]
	v_add_co_u32_e32 v40, vcc, 0x2000, v38
	s_nop 1
	v_addc_co_u32_e32 v41, vcc, 0, v39, vcc
	global_load_dwordx4 v[50:53], v[40:41], off offset:1024
	s_and_saveexec_b64 s[14:15], s[0:1]
	s_cbranch_execz .LBB151_68
; %bb.67:                               ;   in Loop: Header=BB151_50 Depth=1
	v_cmp_gt_i32_e32 vcc, s30, v90
	v_cmp_gt_i32_e64 s[2:3], s33, v89
	s_waitcnt vmcnt(0)
	v_cndmask_b32_sdwa v40, v71, v50, vcc dst_sel:DWORD dst_unused:UNUSED_PAD src0_sel:DWORD src1_sel:WORD_1
	v_cmp_gt_i32_e32 vcc, s33, v85
	s_nop 1
	v_cndmask_b32_e32 v41, 0, v50, vcc
	v_cmp_gt_i32_e32 vcc, s30, v88
	v_perm_b32 v50, v40, v41, s24
	v_cndmask_b32_e64 v40, 0, v51, s[2:3]
	v_cndmask_b32_sdwa v41, v71, v51, vcc dst_sel:DWORD dst_unused:UNUSED_PAD src0_sel:DWORD src1_sel:WORD_1
	v_cmp_gt_i32_e32 vcc, s30, v86
	v_cmp_gt_i32_e64 s[2:3], s33, v87
	v_perm_b32 v51, v41, v40, s24
	v_cndmask_b32_sdwa v41, v71, v52, vcc dst_sel:DWORD dst_unused:UNUSED_PAD src0_sel:DWORD src1_sel:WORD_1
	v_cndmask_b32_e64 v40, 0, v52, s[2:3]
	v_cmp_gt_i32_e32 vcc, s30, v83
	v_cmp_gt_i32_e64 s[2:3], s33, v84
	v_perm_b32 v52, v41, v40, s24
	v_cndmask_b32_sdwa v41, v71, v53, vcc dst_sel:DWORD dst_unused:UNUSED_PAD src0_sel:DWORD src1_sel:WORD_1
	v_cndmask_b32_e64 v40, 0, v53, s[2:3]
	v_perm_b32 v53, v41, v40, s24
.LBB151_68:                             ;   in Loop: Header=BB151_50 Depth=1
	s_or_b64 exec, exec, s[14:15]
	v_add_co_u32_e32 v40, vcc, 0x2000, v38
	s_nop 1
	v_addc_co_u32_e32 v41, vcc, 0, v39, vcc
	global_load_dwordx4 v[54:57], v[40:41], off offset:2048
	;; [unrolled: 31-line block ×3, first 2 shown]
	s_and_saveexec_b64 s[2:3], s[0:1]
	s_cbranch_execz .LBB151_48
; %bb.71:                               ;   in Loop: Header=BB151_50 Depth=1
	v_cmp_gt_i32_e32 vcc, s30, v90
	v_cmp_gt_i32_e64 s[0:1], s33, v89
	s_waitcnt vmcnt(0)
	v_cndmask_b32_sdwa v90, v71, v38, vcc dst_sel:DWORD dst_unused:UNUSED_PAD src0_sel:DWORD src1_sel:WORD_1
	v_cmp_gt_i32_e32 vcc, s33, v85
	v_cndmask_b32_e64 v85, 0, v39, s[0:1]
	v_cmp_gt_i32_e64 s[0:1], s33, v87
	v_cndmask_b32_e32 v38, 0, v38, vcc
	v_cmp_gt_i32_e32 vcc, s30, v88
	v_perm_b32 v38, v90, v38, s24
	s_nop 0
	v_cndmask_b32_sdwa v39, v71, v39, vcc dst_sel:DWORD dst_unused:UNUSED_PAD src0_sel:DWORD src1_sel:WORD_1
	v_cmp_gt_i32_e32 vcc, s30, v86
	v_perm_b32 v39, v39, v85, s24
	v_cndmask_b32_e64 v85, 0, v40, s[0:1]
	v_cndmask_b32_sdwa v40, v71, v40, vcc dst_sel:DWORD dst_unused:UNUSED_PAD src0_sel:DWORD src1_sel:WORD_1
	v_cmp_gt_i32_e32 vcc, s30, v83
	v_cmp_gt_i32_e64 s[0:1], s33, v84
	v_perm_b32 v40, v40, v85, s24
	s_nop 0
	v_cndmask_b32_e64 v83, 0, v41, s[0:1]
	v_cndmask_b32_sdwa v41, v71, v41, vcc dst_sel:DWORD dst_unused:UNUSED_PAD src0_sel:DWORD src1_sel:WORD_1
	v_perm_b32 v41, v41, v83, s24
	s_branch .LBB151_48
.LBB151_72:                             ;   in Loop: Header=BB151_50 Depth=1
	v_cmp_gt_i32_e32 vcc, s30, v90
	v_cmp_gt_i32_e64 s[2:3], s33, v89
	s_waitcnt vmcnt(0)
	v_cndmask_b32_sdwa v6, v71, v2, vcc dst_sel:DWORD dst_unused:UNUSED_PAD src0_sel:DWORD src1_sel:WORD_1
	v_cmp_gt_i32_e32 vcc, s33, v85
	s_nop 1
	v_cndmask_b32_e32 v2, 0, v2, vcc
	v_cmp_gt_i32_e32 vcc, s30, v88
	v_perm_b32 v2, v6, v2, s24
	v_cndmask_b32_e64 v6, 0, v3, s[2:3]
	v_cndmask_b32_sdwa v3, v71, v3, vcc dst_sel:DWORD dst_unused:UNUSED_PAD src0_sel:DWORD src1_sel:WORD_1
	v_cmp_gt_i32_e32 vcc, s30, v86
	v_cmp_gt_i32_e64 s[2:3], s33, v87
	v_perm_b32 v3, v3, v6, s24
	s_nop 0
	v_cndmask_b32_e64 v6, 0, v4, s[2:3]
	v_cndmask_b32_sdwa v4, v71, v4, vcc dst_sel:DWORD dst_unused:UNUSED_PAD src0_sel:DWORD src1_sel:WORD_1
	v_cmp_gt_i32_e32 vcc, s30, v83
	v_cmp_gt_i32_e64 s[2:3], s33, v84
	v_perm_b32 v4, v4, v6, s24
	s_nop 0
	v_cndmask_b32_e64 v6, 0, v5, s[2:3]
	v_cndmask_b32_sdwa v5, v71, v5, vcc dst_sel:DWORD dst_unused:UNUSED_PAD src0_sel:DWORD src1_sel:WORD_1
	v_perm_b32 v5, v5, v6, s24
	s_or_b64 exec, exec, s[14:15]
	global_load_dwordx4 v[6:9], v[38:39], off offset:1024
	s_and_saveexec_b64 s[14:15], s[0:1]
	s_cbranch_execz .LBB151_53
.LBB151_73:                             ;   in Loop: Header=BB151_50 Depth=1
	v_cmp_gt_i32_e32 vcc, s30, v90
	v_cmp_gt_i32_e64 s[2:3], s33, v89
	s_waitcnt vmcnt(0)
	v_cndmask_b32_sdwa v10, v71, v6, vcc dst_sel:DWORD dst_unused:UNUSED_PAD src0_sel:DWORD src1_sel:WORD_1
	v_cmp_gt_i32_e32 vcc, s33, v85
	s_nop 1
	v_cndmask_b32_e32 v6, 0, v6, vcc
	v_cmp_gt_i32_e32 vcc, s30, v88
	v_perm_b32 v6, v10, v6, s24
	v_cndmask_b32_e64 v10, 0, v7, s[2:3]
	v_cndmask_b32_sdwa v7, v71, v7, vcc dst_sel:DWORD dst_unused:UNUSED_PAD src0_sel:DWORD src1_sel:WORD_1
	v_cmp_gt_i32_e32 vcc, s30, v86
	v_cmp_gt_i32_e64 s[2:3], s33, v87
	v_perm_b32 v7, v7, v10, s24
	s_nop 0
	v_cndmask_b32_e64 v10, 0, v8, s[2:3]
	v_cndmask_b32_sdwa v8, v71, v8, vcc dst_sel:DWORD dst_unused:UNUSED_PAD src0_sel:DWORD src1_sel:WORD_1
	v_cmp_gt_i32_e32 vcc, s30, v83
	v_cmp_gt_i32_e64 s[2:3], s33, v84
	v_perm_b32 v8, v8, v10, s24
	s_nop 0
	v_cndmask_b32_e64 v10, 0, v9, s[2:3]
	v_cndmask_b32_sdwa v9, v71, v9, vcc dst_sel:DWORD dst_unused:UNUSED_PAD src0_sel:DWORD src1_sel:WORD_1
	v_perm_b32 v9, v9, v10, s24
	s_or_b64 exec, exec, s[14:15]
	global_load_dwordx4 v[10:13], v[38:39], off offset:2048
	s_and_saveexec_b64 s[14:15], s[0:1]
	s_cbranch_execz .LBB151_54
.LBB151_74:                             ;   in Loop: Header=BB151_50 Depth=1
	v_cmp_gt_i32_e32 vcc, s30, v90
	v_cmp_gt_i32_e64 s[2:3], s33, v89
	s_waitcnt vmcnt(0)
	v_cndmask_b32_sdwa v14, v71, v10, vcc dst_sel:DWORD dst_unused:UNUSED_PAD src0_sel:DWORD src1_sel:WORD_1
	v_cmp_gt_i32_e32 vcc, s33, v85
	s_nop 1
	v_cndmask_b32_e32 v10, 0, v10, vcc
	v_cmp_gt_i32_e32 vcc, s30, v88
	v_perm_b32 v10, v14, v10, s24
	v_cndmask_b32_e64 v14, 0, v11, s[2:3]
	v_cndmask_b32_sdwa v11, v71, v11, vcc dst_sel:DWORD dst_unused:UNUSED_PAD src0_sel:DWORD src1_sel:WORD_1
	v_cmp_gt_i32_e32 vcc, s30, v86
	v_cmp_gt_i32_e64 s[2:3], s33, v87
	v_perm_b32 v11, v11, v14, s24
	s_nop 0
	v_cndmask_b32_e64 v14, 0, v12, s[2:3]
	v_cndmask_b32_sdwa v12, v71, v12, vcc dst_sel:DWORD dst_unused:UNUSED_PAD src0_sel:DWORD src1_sel:WORD_1
	v_cmp_gt_i32_e32 vcc, s30, v83
	v_cmp_gt_i32_e64 s[2:3], s33, v84
	v_perm_b32 v12, v12, v14, s24
	s_nop 0
	v_cndmask_b32_e64 v14, 0, v13, s[2:3]
	v_cndmask_b32_sdwa v13, v71, v13, vcc dst_sel:DWORD dst_unused:UNUSED_PAD src0_sel:DWORD src1_sel:WORD_1
	v_perm_b32 v13, v13, v14, s24
	s_or_b64 exec, exec, s[14:15]
	global_load_dwordx4 v[14:17], v[38:39], off offset:3072
	s_and_saveexec_b64 s[14:15], s[0:1]
	s_cbranch_execnz .LBB151_55
	s_branch .LBB151_56
.LBB151_75:
	s_or_b64 exec, exec, s[6:7]
.LBB151_76:
	s_or_b64 exec, exec, s[8:9]
	ds_bpermute_b32 v2, v78, v68
	ds_bpermute_b32 v3, v78, v69
	;; [unrolled: 1-line block ×6, first 2 shown]
	s_waitcnt lgkmcnt(4)
	v_pk_add_f32 v[2:3], v[68:69], v[2:3]
	ds_bpermute_b32 v6, v79, v2
	ds_bpermute_b32 v7, v79, v3
	;; [unrolled: 1-line block ×4, first 2 shown]
	s_waitcnt lgkmcnt(4)
	v_pk_add_f32 v[4:5], v[66:67], v[4:5]
	ds_bpermute_b32 v22, v78, v58
	s_waitcnt lgkmcnt(3)
	v_pk_add_f32 v[2:3], v[2:3], v[6:7]
	v_pk_add_f32 v[6:7], v[64:65], v[8:9]
	ds_bpermute_b32 v8, v78, v62
	ds_bpermute_b32 v9, v78, v63
	;; [unrolled: 1-line block ×4, first 2 shown]
	s_waitcnt lgkmcnt(5)
	v_pk_add_f32 v[14:15], v[60:61], v[14:15]
	ds_bpermute_b32 v23, v78, v59
	ds_bpermute_b32 v10, v79, v4
	;; [unrolled: 1-line block ×5, first 2 shown]
	s_waitcnt lgkmcnt(7)
	v_pk_add_f32 v[16:17], v[62:63], v[8:9]
	ds_bpermute_b32 v18, v79, v16
	ds_bpermute_b32 v19, v79, v17
	s_waitcnt lgkmcnt(7)
	v_pk_add_f32 v[8:9], v[6:7], v[12:13]
	s_waitcnt lgkmcnt(6)
	v_pk_add_f32 v[12:13], v[58:59], v[22:23]
	;; [unrolled: 2-line block ×4, first 2 shown]
	ds_bpermute_b32 v14, v79, v12
	ds_bpermute_b32 v15, v79, v13
	v_and_b32_e32 v1, 0x3c3, v0
	s_waitcnt lgkmcnt(2)
	v_pk_add_f32 v[6:7], v[16:17], v[18:19]
	v_cmp_ne_u32_e32 vcc, 64, v1
	s_waitcnt lgkmcnt(0)
	s_barrier
	s_and_saveexec_b64 s[0:1], vcc
	s_xor_b64 s[0:1], exec, s[0:1]
; %bb.77:
                                        ; implicit-def: $vgpr77
; %bb.78:
	s_or_saveexec_b64 s[0:1], s[0:1]
	v_pk_add_f32 v[12:13], v[12:13], v[14:15]
	s_xor_b64 exec, exec, s[0:1]
	s_cbranch_execz .LBB151_80
; %bb.79:
	v_add_u32_e32 v14, 0x190, v77
	ds_write2_b32 v14, v2, v3 offset1:16
	ds_write2_b32 v14, v10, v11 offset0:32 offset1:48
	ds_write2_b32 v14, v8, v9 offset0:64 offset1:80
	;; [unrolled: 1-line block ×5, first 2 shown]
.LBB151_80:
	s_or_b64 exec, exec, s[0:1]
	v_cmp_gt_u32_e32 vcc, 64, v0
	v_lshrrev_b32_e32 v0, 2, v0
	s_waitcnt lgkmcnt(0)
	s_barrier
	s_and_saveexec_b64 s[0:1], vcc
	s_cbranch_execz .LBB151_95
; %bb.81:
	v_mov_b32_e32 v14, 0x190
	v_cmp_eq_u32_e32 vcc, 0, v80
	v_lshl_add_u32 v14, v0, 2, v14
	s_and_saveexec_b64 s[2:3], vcc
	s_cbranch_execnz .LBB151_98
; %bb.82:
	s_or_b64 exec, exec, s[2:3]
	s_and_saveexec_b64 s[2:3], vcc
	s_cbranch_execnz .LBB151_99
.LBB151_83:
	s_or_b64 exec, exec, s[2:3]
	s_and_saveexec_b64 s[2:3], vcc
	s_cbranch_execnz .LBB151_100
.LBB151_84:
	s_or_b64 exec, exec, s[2:3]
	s_and_saveexec_b64 s[2:3], vcc
	s_cbranch_execnz .LBB151_101
.LBB151_85:
	s_or_b64 exec, exec, s[2:3]
	s_and_saveexec_b64 s[2:3], vcc
	s_cbranch_execnz .LBB151_102
.LBB151_86:
	s_or_b64 exec, exec, s[2:3]
	s_and_saveexec_b64 s[2:3], vcc
	s_cbranch_execnz .LBB151_103
.LBB151_87:
	s_or_b64 exec, exec, s[2:3]
	s_and_saveexec_b64 s[2:3], vcc
	s_cbranch_execnz .LBB151_104
.LBB151_88:
	s_or_b64 exec, exec, s[2:3]
	s_and_saveexec_b64 s[2:3], vcc
	s_cbranch_execnz .LBB151_105
.LBB151_89:
	s_or_b64 exec, exec, s[2:3]
	s_and_saveexec_b64 s[2:3], vcc
	s_cbranch_execnz .LBB151_106
.LBB151_90:
	s_or_b64 exec, exec, s[2:3]
	s_and_saveexec_b64 s[2:3], vcc
	s_cbranch_execnz .LBB151_107
.LBB151_91:
	s_or_b64 exec, exec, s[2:3]
	s_and_saveexec_b64 s[2:3], vcc
	s_cbranch_execnz .LBB151_108
.LBB151_92:
	s_or_b64 exec, exec, s[2:3]
	s_and_saveexec_b64 s[2:3], vcc
	s_cbranch_execz .LBB151_94
.LBB151_93:
	ds_read_b32 v14, v14 offset:704
	s_waitcnt lgkmcnt(0)
	v_add_f32_e32 v13, v13, v14
.LBB151_94:
	s_or_b64 exec, exec, s[2:3]
.LBB151_95:
	s_or_b64 exec, exec, s[0:1]
	v_cmp_eq_u32_e32 vcc, 0, v1
	s_barrier
	s_and_saveexec_b64 s[0:1], vcc
	s_cbranch_execz .LBB151_97
; %bb.96:
	s_mul_i32 s0, s10, s11
	s_mul_i32 s0, s0, s5
	s_mulk_i32 s0, 0xc0
	s_ashr_i32 s1, s0, 31
	s_lshl_b64 s[0:1], s[0:1], 1
	s_add_u32 s2, s22, s0
	s_mul_i32 s0, s11, s20
	s_addc_u32 s3, s23, s1
	s_ashr_i32 s1, s0, 31
	s_lshl_b64 s[0:1], s[0:1], 1
	s_add_u32 s2, s2, s0
	s_mul_i32 s0, s4, 0xc0
	s_addc_u32 s3, s3, s1
	s_ashr_i32 s1, s0, 31
	s_lshl_b64 s[0:1], s[0:1], 1
	s_add_u32 s0, s2, s0
	s_addc_u32 s1, s3, s1
	v_lshlrev_b32_e32 v0, 1, v0
	v_cvt_pk_bf16_f32 v1, v2, s0
	global_store_short v0, v1, s[0:1]
	v_cvt_pk_bf16_f32 v1, v3, s0
	global_store_short v0, v1, s[0:1] offset:32
	v_cvt_pk_bf16_f32 v1, v10, s0
	global_store_short v0, v1, s[0:1] offset:64
	;; [unrolled: 2-line block ×11, first 2 shown]
.LBB151_97:
	s_endpgm
.LBB151_98:
	ds_read_b32 v15, v14
	s_waitcnt lgkmcnt(0)
	v_add_f32_e32 v2, v2, v15
	s_or_b64 exec, exec, s[2:3]
	s_and_saveexec_b64 s[2:3], vcc
	s_cbranch_execz .LBB151_83
.LBB151_99:
	ds_read_b32 v15, v14 offset:64
	s_waitcnt lgkmcnt(0)
	v_add_f32_e32 v3, v3, v15
	s_or_b64 exec, exec, s[2:3]
	s_and_saveexec_b64 s[2:3], vcc
	s_cbranch_execz .LBB151_84
.LBB151_100:
	ds_read_b32 v15, v14 offset:128
	s_waitcnt lgkmcnt(0)
	v_add_f32_e32 v10, v10, v15
	s_or_b64 exec, exec, s[2:3]
	s_and_saveexec_b64 s[2:3], vcc
	s_cbranch_execz .LBB151_85
.LBB151_101:
	ds_read_b32 v15, v14 offset:192
	s_waitcnt lgkmcnt(0)
	v_add_f32_e32 v11, v11, v15
	s_or_b64 exec, exec, s[2:3]
	s_and_saveexec_b64 s[2:3], vcc
	s_cbranch_execz .LBB151_86
.LBB151_102:
	ds_read_b32 v15, v14 offset:256
	s_waitcnt lgkmcnt(0)
	v_add_f32_e32 v8, v8, v15
	s_or_b64 exec, exec, s[2:3]
	s_and_saveexec_b64 s[2:3], vcc
	s_cbranch_execz .LBB151_87
.LBB151_103:
	ds_read_b32 v15, v14 offset:320
	s_waitcnt lgkmcnt(0)
	v_add_f32_e32 v9, v9, v15
	s_or_b64 exec, exec, s[2:3]
	s_and_saveexec_b64 s[2:3], vcc
	s_cbranch_execz .LBB151_88
.LBB151_104:
	ds_read_b32 v15, v14 offset:384
	s_waitcnt lgkmcnt(0)
	v_add_f32_e32 v6, v6, v15
	s_or_b64 exec, exec, s[2:3]
	s_and_saveexec_b64 s[2:3], vcc
	s_cbranch_execz .LBB151_89
.LBB151_105:
	ds_read_b32 v15, v14 offset:448
	s_waitcnt lgkmcnt(0)
	v_add_f32_e32 v7, v7, v15
	s_or_b64 exec, exec, s[2:3]
	s_and_saveexec_b64 s[2:3], vcc
	s_cbranch_execz .LBB151_90
.LBB151_106:
	ds_read_b32 v15, v14 offset:512
	s_waitcnt lgkmcnt(0)
	v_add_f32_e32 v4, v4, v15
	s_or_b64 exec, exec, s[2:3]
	s_and_saveexec_b64 s[2:3], vcc
	s_cbranch_execz .LBB151_91
.LBB151_107:
	ds_read_b32 v15, v14 offset:576
	s_waitcnt lgkmcnt(0)
	v_add_f32_e32 v5, v5, v15
	s_or_b64 exec, exec, s[2:3]
	s_and_saveexec_b64 s[2:3], vcc
	s_cbranch_execz .LBB151_92
.LBB151_108:
	ds_read_b32 v15, v14 offset:640
	s_waitcnt lgkmcnt(0)
	v_add_f32_e32 v12, v12, v15
	s_or_b64 exec, exec, s[2:3]
	s_and_saveexec_b64 s[2:3], vcc
	s_cbranch_execnz .LBB151_93
	s_branch .LBB151_94
	.section	.rodata,"a",@progbits
	.p2align	6, 0x0
	.amdhsa_kernel _ZN4vllm25paged_attention_v1_kernelI14__hip_bfloat16S1_Li192ELi32ELi128ELNS_18Fp8KVCacheDataTypeE0ELb1EEEvPT_PKS3_PKT0_S9_ifPKiSB_iPKfiiiSD_SD_iiiii
		.amdhsa_group_segment_fixed_size 400
		.amdhsa_private_segment_fixed_size 0
		.amdhsa_kernarg_size 384
		.amdhsa_user_sgpr_count 2
		.amdhsa_user_sgpr_dispatch_ptr 0
		.amdhsa_user_sgpr_queue_ptr 0
		.amdhsa_user_sgpr_kernarg_segment_ptr 1
		.amdhsa_user_sgpr_dispatch_id 0
		.amdhsa_user_sgpr_kernarg_preload_length 0
		.amdhsa_user_sgpr_kernarg_preload_offset 0
		.amdhsa_user_sgpr_private_segment_size 0
		.amdhsa_uses_dynamic_stack 0
		.amdhsa_enable_private_segment 0
		.amdhsa_system_sgpr_workgroup_id_x 1
		.amdhsa_system_sgpr_workgroup_id_y 1
		.amdhsa_system_sgpr_workgroup_id_z 1
		.amdhsa_system_sgpr_workgroup_info 0
		.amdhsa_system_vgpr_workitem_id 0
		.amdhsa_next_free_vgpr 113
		.amdhsa_next_free_sgpr 46
		.amdhsa_accum_offset 116
		.amdhsa_reserve_vcc 1
		.amdhsa_float_round_mode_32 0
		.amdhsa_float_round_mode_16_64 0
		.amdhsa_float_denorm_mode_32 3
		.amdhsa_float_denorm_mode_16_64 3
		.amdhsa_dx10_clamp 1
		.amdhsa_ieee_mode 1
		.amdhsa_fp16_overflow 0
		.amdhsa_tg_split 0
		.amdhsa_exception_fp_ieee_invalid_op 0
		.amdhsa_exception_fp_denorm_src 0
		.amdhsa_exception_fp_ieee_div_zero 0
		.amdhsa_exception_fp_ieee_overflow 0
		.amdhsa_exception_fp_ieee_underflow 0
		.amdhsa_exception_fp_ieee_inexact 0
		.amdhsa_exception_int_div_zero 0
	.end_amdhsa_kernel
	.section	.text._ZN4vllm25paged_attention_v1_kernelI14__hip_bfloat16S1_Li192ELi32ELi128ELNS_18Fp8KVCacheDataTypeE0ELb1EEEvPT_PKS3_PKT0_S9_ifPKiSB_iPKfiiiSD_SD_iiiii,"axG",@progbits,_ZN4vllm25paged_attention_v1_kernelI14__hip_bfloat16S1_Li192ELi32ELi128ELNS_18Fp8KVCacheDataTypeE0ELb1EEEvPT_PKS3_PKT0_S9_ifPKiSB_iPKfiiiSD_SD_iiiii,comdat
.Lfunc_end151:
	.size	_ZN4vllm25paged_attention_v1_kernelI14__hip_bfloat16S1_Li192ELi32ELi128ELNS_18Fp8KVCacheDataTypeE0ELb1EEEvPT_PKS3_PKT0_S9_ifPKiSB_iPKfiiiSD_SD_iiiii, .Lfunc_end151-_ZN4vllm25paged_attention_v1_kernelI14__hip_bfloat16S1_Li192ELi32ELi128ELNS_18Fp8KVCacheDataTypeE0ELb1EEEvPT_PKS3_PKT0_S9_ifPKiSB_iPKfiiiSD_SD_iiiii
                                        ; -- End function
	.set _ZN4vllm25paged_attention_v1_kernelI14__hip_bfloat16S1_Li192ELi32ELi128ELNS_18Fp8KVCacheDataTypeE0ELb1EEEvPT_PKS3_PKT0_S9_ifPKiSB_iPKfiiiSD_SD_iiiii.num_vgpr, 113
	.set _ZN4vllm25paged_attention_v1_kernelI14__hip_bfloat16S1_Li192ELi32ELi128ELNS_18Fp8KVCacheDataTypeE0ELb1EEEvPT_PKS3_PKT0_S9_ifPKiSB_iPKfiiiSD_SD_iiiii.num_agpr, 0
	.set _ZN4vllm25paged_attention_v1_kernelI14__hip_bfloat16S1_Li192ELi32ELi128ELNS_18Fp8KVCacheDataTypeE0ELb1EEEvPT_PKS3_PKT0_S9_ifPKiSB_iPKfiiiSD_SD_iiiii.numbered_sgpr, 46
	.set _ZN4vllm25paged_attention_v1_kernelI14__hip_bfloat16S1_Li192ELi32ELi128ELNS_18Fp8KVCacheDataTypeE0ELb1EEEvPT_PKS3_PKT0_S9_ifPKiSB_iPKfiiiSD_SD_iiiii.num_named_barrier, 0
	.set _ZN4vllm25paged_attention_v1_kernelI14__hip_bfloat16S1_Li192ELi32ELi128ELNS_18Fp8KVCacheDataTypeE0ELb1EEEvPT_PKS3_PKT0_S9_ifPKiSB_iPKfiiiSD_SD_iiiii.private_seg_size, 0
	.set _ZN4vllm25paged_attention_v1_kernelI14__hip_bfloat16S1_Li192ELi32ELi128ELNS_18Fp8KVCacheDataTypeE0ELb1EEEvPT_PKS3_PKT0_S9_ifPKiSB_iPKfiiiSD_SD_iiiii.uses_vcc, 1
	.set _ZN4vllm25paged_attention_v1_kernelI14__hip_bfloat16S1_Li192ELi32ELi128ELNS_18Fp8KVCacheDataTypeE0ELb1EEEvPT_PKS3_PKT0_S9_ifPKiSB_iPKfiiiSD_SD_iiiii.uses_flat_scratch, 0
	.set _ZN4vllm25paged_attention_v1_kernelI14__hip_bfloat16S1_Li192ELi32ELi128ELNS_18Fp8KVCacheDataTypeE0ELb1EEEvPT_PKS3_PKT0_S9_ifPKiSB_iPKfiiiSD_SD_iiiii.has_dyn_sized_stack, 0
	.set _ZN4vllm25paged_attention_v1_kernelI14__hip_bfloat16S1_Li192ELi32ELi128ELNS_18Fp8KVCacheDataTypeE0ELb1EEEvPT_PKS3_PKT0_S9_ifPKiSB_iPKfiiiSD_SD_iiiii.has_recursion, 0
	.set _ZN4vllm25paged_attention_v1_kernelI14__hip_bfloat16S1_Li192ELi32ELi128ELNS_18Fp8KVCacheDataTypeE0ELb1EEEvPT_PKS3_PKT0_S9_ifPKiSB_iPKfiiiSD_SD_iiiii.has_indirect_call, 0
	.section	.AMDGPU.csdata,"",@progbits
; Kernel info:
; codeLenInByte = 11488
; TotalNumSgprs: 52
; NumVgprs: 113
; NumAgprs: 0
; TotalNumVgprs: 113
; ScratchSize: 0
; MemoryBound: 0
; FloatMode: 240
; IeeeMode: 1
; LDSByteSize: 400 bytes/workgroup (compile time only)
; SGPRBlocks: 6
; VGPRBlocks: 14
; NumSGPRsForWavesPerEU: 52
; NumVGPRsForWavesPerEU: 113
; AccumOffset: 116
; Occupancy: 4
; WaveLimiterHint : 1
; COMPUTE_PGM_RSRC2:SCRATCH_EN: 0
; COMPUTE_PGM_RSRC2:USER_SGPR: 2
; COMPUTE_PGM_RSRC2:TRAP_HANDLER: 0
; COMPUTE_PGM_RSRC2:TGID_X_EN: 1
; COMPUTE_PGM_RSRC2:TGID_Y_EN: 1
; COMPUTE_PGM_RSRC2:TGID_Z_EN: 1
; COMPUTE_PGM_RSRC2:TIDIG_COMP_CNT: 0
; COMPUTE_PGM_RSRC3_GFX90A:ACCUM_OFFSET: 28
; COMPUTE_PGM_RSRC3_GFX90A:TG_SPLIT: 0
	.section	.text._ZN4vllm25paged_attention_v1_kernelI14__hip_bfloat16S1_Li256ELi32ELi128ELNS_18Fp8KVCacheDataTypeE0ELb1EEEvPT_PKS3_PKT0_S9_ifPKiSB_iPKfiiiSD_SD_iiiii,"axG",@progbits,_ZN4vllm25paged_attention_v1_kernelI14__hip_bfloat16S1_Li256ELi32ELi128ELNS_18Fp8KVCacheDataTypeE0ELb1EEEvPT_PKS3_PKT0_S9_ifPKiSB_iPKfiiiSD_SD_iiiii,comdat
	.protected	_ZN4vllm25paged_attention_v1_kernelI14__hip_bfloat16S1_Li256ELi32ELi128ELNS_18Fp8KVCacheDataTypeE0ELb1EEEvPT_PKS3_PKT0_S9_ifPKiSB_iPKfiiiSD_SD_iiiii ; -- Begin function _ZN4vllm25paged_attention_v1_kernelI14__hip_bfloat16S1_Li256ELi32ELi128ELNS_18Fp8KVCacheDataTypeE0ELb1EEEvPT_PKS3_PKT0_S9_ifPKiSB_iPKfiiiSD_SD_iiiii
	.globl	_ZN4vllm25paged_attention_v1_kernelI14__hip_bfloat16S1_Li256ELi32ELi128ELNS_18Fp8KVCacheDataTypeE0ELb1EEEvPT_PKS3_PKT0_S9_ifPKiSB_iPKfiiiSD_SD_iiiii
	.p2align	8
	.type	_ZN4vllm25paged_attention_v1_kernelI14__hip_bfloat16S1_Li256ELi32ELi128ELNS_18Fp8KVCacheDataTypeE0ELb1EEEvPT_PKS3_PKT0_S9_ifPKiSB_iPKfiiiSD_SD_iiiii,@function
_ZN4vllm25paged_attention_v1_kernelI14__hip_bfloat16S1_Li256ELi32ELi128ELNS_18Fp8KVCacheDataTypeE0ELb1EEEvPT_PKS3_PKT0_S9_ifPKiSB_iPKfiiiSD_SD_iiiii: ; @_ZN4vllm25paged_attention_v1_kernelI14__hip_bfloat16S1_Li256ELi32ELi128ELNS_18Fp8KVCacheDataTypeE0ELb1EEEvPT_PKS3_PKT0_S9_ifPKiSB_iPKfiiiSD_SD_iiiii
; %bb.0:
	s_load_dword s5, s[0:1], 0x80
	s_load_dwordx2 s[6:7], s[0:1], 0x30
	s_load_dwordx2 s[34:35], s[0:1], 0x20
	s_mov_b32 s20, s3
	s_ashr_i32 s21, s3, 31
	s_lshl_b64 s[8:9], s[20:21], 2
	s_waitcnt lgkmcnt(0)
	s_add_u32 s6, s6, s8
	s_addc_u32 s7, s7, s9
	s_abs_i32 s3, s34
	v_cvt_f32_u32_e32 v1, s3
	s_sub_i32 s10, 0, s3
	s_abs_i32 s9, s5
	s_xor_b32 s8, s5, s34
	v_rcp_iflag_f32_e32 v1, v1
	s_ashr_i32 s8, s8, 31
	s_mov_b32 s45, 0
	v_mul_f32_e32 v1, 0x4f7ffffe, v1
	v_cvt_u32_f32_e32 v1, v1
	s_nop 0
	v_readfirstlane_b32 s11, v1
	s_mul_i32 s10, s10, s11
	s_mul_hi_u32 s10, s11, s10
	s_add_i32 s11, s11, s10
	s_mul_hi_u32 s10, s9, s11
	s_mul_i32 s11, s10, s3
	s_sub_i32 s9, s9, s11
	s_add_i32 s11, s10, 1
	s_sub_i32 s12, s9, s3
	s_cmp_ge_u32 s9, s3
	s_cselect_b32 s10, s11, s10
	s_cselect_b32 s9, s12, s9
	s_add_i32 s11, s10, 1
	s_cmp_ge_u32 s9, s3
	s_cselect_b32 s3, s11, s10
	s_xor_b32 s3, s3, s8
	s_sub_i32 s12, s3, s8
	s_abs_i32 s10, s12
	v_cvt_f32_u32_e32 v1, s10
	s_load_dwordx2 s[8:9], s[0:1], 0x40
	s_sub_i32 s3, 0, s10
	s_abs_i32 s11, s2
	v_rcp_iflag_f32_e32 v1, v1
	s_nop 0
	v_mul_f32_e32 v1, 0x4f7ffffe, v1
	v_cvt_u32_f32_e32 v1, v1
	s_nop 0
	v_readfirstlane_b32 s13, v1
	s_mul_i32 s3, s3, s13
	s_mul_hi_u32 s3, s13, s3
	s_add_i32 s13, s13, s3
	s_waitcnt lgkmcnt(0)
	s_cmp_eq_u64 s[8:9], 0
	s_mul_hi_u32 s24, s11, s13
	s_cbranch_scc1 .LBB152_2
; %bb.1:
	s_ashr_i32 s3, s2, 31
	s_lshl_b64 s[14:15], s[2:3], 2
	s_add_u32 s8, s8, s14
	s_addc_u32 s9, s9, s15
	s_load_dword s45, s[8:9], 0x0
.LBB152_2:
	s_load_dword s21, s[6:7], 0x0
	s_ashr_i32 s26, s12, 31
	s_load_dwordx4 s[12:15], s[0:1], 0x48
	s_ashr_i32 s25, s2, 31
	v_and_b32_e32 v2, 1, v0
	s_lshl_b32 s22, s2, 8
	v_cmp_gt_u32_e64 s[6:7], 64, v0
	v_lshlrev_b32_e32 v52, 3, v0
	s_and_saveexec_b64 s[8:9], s[6:7]
	s_cbranch_execz .LBB152_4
; %bb.3:
	s_load_dwordx2 s[16:17], s[0:1], 0x8
	s_waitcnt lgkmcnt(0)
	s_mul_i32 s18, s12, s20
	s_ashr_i32 s19, s18, 31
	s_lshl_b64 s[18:19], s[18:19], 1
	v_lshlrev_b32_e32 v1, 2, v0
	s_add_u32 s3, s16, s18
	s_addc_u32 s12, s17, s19
	s_ashr_i32 s23, s22, 31
	s_lshl_b64 s[16:17], s[22:23], 1
	s_add_u32 s16, s3, s16
	s_addc_u32 s17, s12, s17
	global_load_dwordx2 v[4:5], v52, s[16:17]
	v_and_b32_e32 v1, 0xff8, v1
	v_lshl_add_u32 v1, v2, 8, v1
	s_waitcnt vmcnt(0)
	ds_write_b64 v1, v[4:5]
.LBB152_4:
	s_or_b64 exec, exec, s[8:9]
	s_mul_i32 s9, s24, s10
	s_sub_i32 s9, s11, s9
	s_xor_b32 s8, s25, s26
	s_add_i32 s11, s24, 1
	s_waitcnt lgkmcnt(0)
	s_sub_i32 s12, s9, s10
	s_load_dwordx4 s[16:19], s[0:1], 0x68
	s_load_dword s3, s[0:1], 0x78
	s_cmp_ge_u32 s9, s10
	s_cselect_b32 s11, s11, s24
	s_cselect_b32 s9, s12, s9
	s_add_i32 s12, s11, 1
	s_cmp_ge_u32 s9, s10
	s_cselect_b32 s9, s12, s11
	s_waitcnt lgkmcnt(0)
	s_abs_i32 s23, s19
	v_cvt_f32_u32_e32 v1, s23
	s_xor_b32 s9, s9, s8
	s_sub_i32 s10, s9, s8
	s_sub_i32 s8, 0, s23
	v_rcp_iflag_f32_e32 v1, v1
	s_add_i32 s15, s21, -1
	s_abs_i32 s11, s15
	v_mul_f32_e32 v1, 0x4f7ffffe, v1
	v_cvt_u32_f32_e32 v1, v1
	s_barrier
	v_readfirstlane_b32 s33, v1
	s_mul_i32 s8, s8, s33
	s_mul_hi_u32 s8, s33, s8
	s_add_i32 s33, s33, s8
	s_cmp_lt_i32 s3, 0
	s_mul_hi_u32 s12, s11, s33
	s_cbranch_scc0 .LBB152_6
; %bb.5:
	s_mul_i32 s8, s16, s34
	s_add_i32 s8, s10, s8
	s_mul_i32 s8, s8, s3
	s_sub_i32 s42, 1, s8
	s_mov_b64 s[8:9], 0
	s_branch .LBB152_7
.LBB152_6:
	s_mov_b64 s[8:9], -1
                                        ; implicit-def: $sgpr42
.LBB152_7:
	s_load_dwordx2 s[26:27], s[0:1], 0x28
	s_ashr_i32 s15, s15, 31
	s_andn2_b64 vcc, exec, s[8:9]
	s_ashr_i32 s43, s19, 31
	s_cbranch_vccnz .LBB152_9
; %bb.8:
	s_mul_i32 s8, s5, s16
	s_add_i32 s2, s8, s2
	s_mul_i32 s2, s2, s3
	s_add_i32 s42, s2, 1
.LBB152_9:
	s_load_dword s2, s[0:1], 0x38
	s_load_dwordx2 s[24:25], s[0:1], 0x0
	s_load_dwordx2 s[30:31], s[0:1], 0x18
	s_load_dword s19, s[0:1], 0x88
	s_xor_b32 s3, s15, s43
	s_waitcnt lgkmcnt(0)
	s_mul_i32 s28, s2, s20
	s_mul_i32 s2, s12, s23
	s_sub_i32 s2, s11, s2
	s_ashr_i32 s29, s28, 31
	s_add_i32 s8, s12, 1
	s_sub_i32 s9, s2, s23
	s_cmp_ge_u32 s2, s23
	s_cselect_b32 s8, s8, s12
	s_cselect_b32 s2, s9, s2
	s_add_i32 s9, s8, 1
	s_cmp_ge_u32 s2, s23
	s_cselect_b32 s2, s9, s8
	s_xor_b32 s2, s2, s3
	s_sub_i32 s12, s2, s3
	s_add_i32 s2, s21, 31
	s_ashr_i32 s3, s2, 31
	s_lshr_b32 s3, s3, 27
	s_add_i32 s2, s2, s3
	s_ashr_i32 s44, s2, 5
	v_lshrrev_b32_e32 v1, 6, v0
	v_cmp_gt_i32_e64 s[2:3], s44, v1
	v_mov_b32_e32 v57, 0xff7fffff
	s_mul_i32 s14, s10, s14
	v_lshrrev_b32_e32 v53, 4, v0
	v_lshlrev_b32_e32 v96, 5, v1
	v_mbcnt_lo_u32_b32 v54, -1, 0
	s_and_saveexec_b64 s[36:37], s[2:3]
	s_cbranch_execz .LBB152_21
; %bb.10:
	s_load_dwordx2 s[0:1], s[0:1], 0x10
	s_ashr_i32 s15, s14, 31
	s_sub_i32 s16, s12, s17
	s_lshl_b64 s[8:9], s[14:15], 1
	v_cmp_eq_u32_e32 vcc, 0, v2
	s_waitcnt lgkmcnt(0)
	s_add_u32 s0, s0, s8
	s_addc_u32 s1, s1, s9
	s_abs_i32 s15, s18
	v_cvt_f32_u32_e32 v3, s15
	s_sub_i32 s8, 0, s15
	v_lshlrev_b32_e32 v56, 8, v2
	v_bfe_u32 v55, v0, 1, 5
	v_rcp_iflag_f32_e32 v3, v3
	v_lshlrev_b32_e32 v4, 4, v55
	v_mov_b32_e32 v5, 0
	v_lshl_add_u64 v[6:7], s[0:1], 0, v[4:5]
	v_mul_f32_e32 v3, 0x4f7ffffe, v3
	v_cvt_u32_f32_e32 v3, v3
	v_and_b32_e32 v4, 8, v52
	v_mbcnt_hi_u32_b32 v63, -1, v54
	v_lshl_add_u64 v[10:11], v[6:7], 0, v[4:5]
	v_mul_lo_u32 v2, s8, v3
	v_mul_hi_u32 v2, v3, v2
	v_add_u32_e32 v58, v3, v2
	v_subrev_u32_e32 v2, s21, v55
	s_lshl_b64 s[8:9], s[28:29], 2
	v_add_u32_e32 v60, 1, v2
	v_lshlrev_b32_e32 v2, 2, v55
	s_add_u32 s8, s26, s8
	v_lshl_or_b32 v2, v1, 7, v2
	v_and_b32_e32 v4, 60, v53
	s_addc_u32 s9, s27, s9
	v_add_u32_e32 v61, 0x210, v2
	v_and_b32_e32 v2, 64, v63
	s_mov_b32 s34, s13
	v_cmp_neq_f32_e64 s[0:1], s45, 0
	v_lshl_add_u64 v[12:13], s[8:9], 0, v[4:5]
	v_lshlrev_b32_e32 v59, 5, v1
	v_mov_b32_e32 v62, 0xff7fffff
	s_mov_b64 s[38:39], 0
	s_movk_i32 s46, 0x1000
	s_movk_i32 s47, 0x2000
	;; [unrolled: 1-line block ×3, first 2 shown]
	v_xor_b32_e32 v64, 1, v63
	v_add_u32_e32 v65, 64, v2
	v_mov_b32_e32 v57, 0xff7fffff
	v_mov_b32_e32 v66, v1
	s_branch .LBB152_13
.LBB152_11:                             ;   in Loop: Header=BB152_13 Depth=1
	s_or_b64 exec, exec, s[40:41]
.LBB152_12:                             ;   in Loop: Header=BB152_13 Depth=1
	s_or_b64 exec, exec, s[10:11]
	v_add_u32_e32 v66, 2, v66
	v_cmp_le_i32_e64 s[8:9], s44, v66
	v_lshl_add_u64 v[12:13], v[12:13], 0, 8
	v_add_u32_e32 v59, 64, v59
	s_or_b64 s[38:39], s[8:9], s[38:39]
	v_add_u32_e32 v61, 0x100, v61
	s_andn2_b64 exec, exec, s[38:39]
	s_cbranch_execz .LBB152_20
.LBB152_13:                             ; =>This Inner Loop Header: Depth=1
	v_mul_hi_u32 v2, v59, s33
	s_waitcnt lgkmcnt(0)
	v_mul_lo_u32 v3, v2, s23
	v_sub_u32_e32 v3, v59, v3
	v_add_u32_e32 v4, 1, v2
	v_cmp_le_u32_e64 s[8:9], s23, v3
	s_nop 1
	v_cndmask_b32_e64 v2, v2, v4, s[8:9]
	v_subrev_u32_e32 v4, s23, v3
	v_cndmask_b32_e64 v3, v3, v4, s[8:9]
	v_add_u32_e32 v4, 1, v2
	v_cmp_le_u32_e64 s[8:9], s23, v3
	s_nop 1
	v_cndmask_b32_e64 v2, v2, v4, s[8:9]
	v_xor_b32_e32 v2, s43, v2
	v_subrev_u32_e32 v2, s43, v2
	v_add_u32_e32 v3, s42, v2
	v_sub_u32_e32 v5, 0, v3
	v_ashrrev_i32_e32 v4, 31, v3
	v_max_i32_e32 v3, v3, v5
	v_mul_hi_u32 v5, v3, v58
	v_mul_lo_u32 v5, v5, s15
	v_sub_u32_e32 v3, v3, v5
	v_subrev_u32_e32 v5, s15, v3
	v_cmp_le_u32_e64 s[8:9], s15, v3
	v_cmp_ge_i32_e64 s[10:11], s16, v2
	s_nop 0
	v_cndmask_b32_e64 v3, v3, v5, s[8:9]
	v_subrev_u32_e32 v5, s15, v3
	v_cmp_le_u32_e64 s[8:9], s15, v3
	s_nop 1
	v_cndmask_b32_e64 v3, v3, v5, s[8:9]
	v_xor_b32_e32 v3, v3, v4
	v_sub_u32_e32 v3, v3, v4
	v_cmp_ne_u32_e64 s[8:9], 0, v3
	s_and_b64 s[8:9], s[8:9], s[10:11]
	s_and_saveexec_b64 s[10:11], s[8:9]
	s_xor_b64 s[8:9], exec, s[10:11]
	s_cbranch_execz .LBB152_17
; %bb.14:                               ;   in Loop: Header=BB152_13 Depth=1
	s_and_saveexec_b64 s[10:11], vcc
; %bb.15:                               ;   in Loop: Header=BB152_13 Depth=1
	ds_write_b32 v61, v62
; %bb.16:                               ;   in Loop: Header=BB152_13 Depth=1
	s_or_b64 exec, exec, s[10:11]
.LBB152_17:                             ;   in Loop: Header=BB152_13 Depth=1
	s_andn2_saveexec_b64 s[10:11], s[8:9]
	s_cbranch_execz .LBB152_12
; %bb.18:                               ;   in Loop: Header=BB152_13 Depth=1
	global_load_dword v14, v[12:13], off
	ds_read_b128 v[2:5], v56
	ds_read_b128 v[6:9], v56 offset:16
	ds_read_b128 v[18:21], v56 offset:32
	;; [unrolled: 1-line block ×5, first 2 shown]
	s_waitcnt lgkmcnt(5)
	v_lshlrev_b32_e32 v35, 16, v2
	v_lshlrev_b32_e32 v36, 16, v3
	v_and_b32_e32 v69, 0xffff0000, v2
	v_and_b32_e32 v83, 0xffff0000, v3
	v_lshlrev_b32_e32 v15, 16, v4
	v_lshlrev_b32_e32 v37, 16, v5
	s_waitcnt lgkmcnt(4)
	v_lshlrev_b32_e32 v38, 16, v6
	v_lshlrev_b32_e32 v39, 16, v7
	;; [unrolled: 1-line block ×4, first 2 shown]
	v_and_b32_e32 v68, 0xffff0000, v4
	v_and_b32_e32 v70, 0xffff0000, v5
	;; [unrolled: 1-line block ×6, first 2 shown]
	s_waitcnt lgkmcnt(2)
	v_lshlrev_b32_e32 v81, 16, v22
	v_lshlrev_b32_e32 v82, 16, v23
	v_and_b32_e32 v92, 0xffff0000, v22
	v_and_b32_e32 v34, 0xffff0000, v23
	v_lshlrev_b32_e32 v79, 16, v20
	v_and_b32_e32 v90, 0xffff0000, v20
	s_waitcnt lgkmcnt(1)
	v_lshlrev_b32_e32 v50, 16, v26
	v_and_b32_e32 v51, 0xffff0000, v26
	v_lshlrev_b32_e32 v78, 16, v19
	v_lshlrev_b32_e32 v17, 16, v24
	v_and_b32_e32 v89, 0xffff0000, v19
	v_and_b32_e32 v19, 0xffff0000, v24
	v_lshlrev_b32_e32 v77, 16, v18
	v_lshlrev_b32_e32 v16, 16, v25
	v_and_b32_e32 v88, 0xffff0000, v18
	v_and_b32_e32 v18, 0xffff0000, v25
	s_waitcnt lgkmcnt(0)
	v_lshlrev_b32_e32 v40, 16, v32
	v_lshlrev_b32_e32 v71, 16, v33
	v_and_b32_e32 v73, 0xffff0000, v32
	v_and_b32_e32 v72, 0xffff0000, v33
	v_lshlrev_b32_e32 v42, 16, v30
	v_lshlrev_b32_e32 v41, 16, v31
	v_and_b32_e32 v46, 0xffff0000, v30
	v_and_b32_e32 v74, 0xffff0000, v31
	;; [unrolled: 4-line block ×3, first 2 shown]
	v_lshlrev_b32_e32 v49, 16, v27
	v_and_b32_e32 v48, 0xffff0000, v27
	v_lshlrev_b32_e32 v80, 16, v21
	v_and_b32_e32 v91, 0xffff0000, v21
	s_waitcnt vmcnt(0)
	v_mad_i64_i32 v[2:3], s[8:9], v14, s34, 0
	v_lshl_add_u64 v[2:3], v[2:3], 1, v[10:11]
	global_load_dwordx2 v[4:5], v[2:3], off offset:512
	global_load_dwordx2 v[6:7], v[2:3], off offset:1024
	;; [unrolled: 1-line block ×4, first 2 shown]
	s_waitcnt vmcnt(3)
	v_lshlrev_b32_e32 v14, 16, v4
	v_mul_f32_e32 v67, v15, v14
	global_load_dwordx2 v[14:15], v[2:3], off
	v_and_b32_e32 v4, 0xffff0000, v4
	v_mul_f32_e32 v68, v68, v4
	s_waitcnt vmcnt(2)
	v_and_b32_e32 v26, 0xffff0000, v9
	s_waitcnt vmcnt(0)
	v_and_b32_e32 v4, 0xffff0000, v14
	v_fmac_f32_e32 v68, v69, v4
	v_lshlrev_b32_e32 v4, 16, v5
	v_mul_f32_e32 v69, v37, v4
	v_lshlrev_b32_e32 v4, 16, v15
	v_and_b32_e32 v5, 0xffff0000, v5
	v_lshlrev_b32_e32 v20, 16, v14
	v_fmac_f32_e32 v69, v36, v4
	v_and_b32_e32 v4, 0xffff0000, v15
	v_mul_f32_e32 v70, v70, v5
	v_fmac_f32_e32 v67, v35, v20
	v_fmac_f32_e32 v70, v83, v4
	v_lshlrev_b32_e32 v4, 16, v6
	v_and_b32_e32 v5, 0xffff0000, v6
	v_fmac_f32_e32 v67, v38, v4
	v_fmac_f32_e32 v68, v84, v5
	global_load_dwordx2 v[4:5], v[2:3], off offset:2048
	v_lshlrev_b32_e32 v14, 16, v8
	v_and_b32_e32 v15, 0xffff0000, v8
	v_lshlrev_b32_e32 v20, 16, v9
	global_load_dwordx2 v[8:9], v[2:3], off offset:3072
	v_lshlrev_b32_e32 v6, 16, v7
	v_and_b32_e32 v7, 0xffff0000, v7
	v_fmac_f32_e32 v69, v39, v6
	v_add_co_u32_e64 v6, s[8:9], s46, v2
	v_fmac_f32_e32 v70, v85, v7
	s_nop 0
	v_addc_co_u32_e64 v7, s[8:9], 0, v3, s[8:9]
	v_fmac_f32_e32 v67, v75, v14
	v_fmac_f32_e32 v68, v86, v15
	v_add_co_u32_e64 v24, s[8:9], s47, v2
	global_load_dwordx2 v[14:15], v[2:3], off offset:3584
	global_load_dwordx2 v[32:33], v[6:7], off offset:512
	v_addc_co_u32_e64 v25, s[8:9], 0, v3, s[8:9]
	global_load_dwordx2 v[38:39], v[24:25], off offset:-4096
	global_load_dwordx2 v[30:31], v[6:7], off offset:1024
	global_load_dwordx2 v[28:29], v[6:7], off offset:1536
	v_fmac_f32_e32 v69, v76, v20
	v_add_co_u32_e64 v20, s[8:9], s48, v2
	v_fmac_f32_e32 v70, v87, v26
	global_load_dwordx2 v[26:27], v[6:7], off offset:2048
	v_addc_co_u32_e64 v21, s[8:9], 0, v3, s[8:9]
	v_lshlrev_b32_e32 v35, 16, v23
	v_and_b32_e32 v36, 0xffff0000, v23
	v_cmp_lt_i32_e64 s[8:9], v64, v65
	s_waitcnt vmcnt(7)
	v_lshlrev_b32_e32 v2, 16, v4
	v_and_b32_e32 v3, 0xffff0000, v4
	v_fmac_f32_e32 v67, v77, v2
	v_lshlrev_b32_e32 v2, 16, v22
	v_and_b32_e32 v22, 0xffff0000, v22
	v_fmac_f32_e32 v68, v88, v3
	v_fmac_f32_e32 v68, v90, v22
	global_load_dwordx2 v[22:23], v[6:7], off offset:2560
	v_lshlrev_b32_e32 v4, 16, v5
	v_and_b32_e32 v5, 0xffff0000, v5
	v_fmac_f32_e32 v69, v78, v4
	v_fmac_f32_e32 v70, v89, v5
	v_fmac_f32_e32 v67, v79, v2
	s_waitcnt vmcnt(7)
	v_lshlrev_b32_e32 v2, 16, v8
	v_fmac_f32_e32 v69, v80, v35
	v_fmac_f32_e32 v70, v91, v36
	v_and_b32_e32 v3, 0xffff0000, v8
	v_fmac_f32_e32 v67, v81, v2
	v_lshlrev_b32_e32 v2, 16, v9
	v_and_b32_e32 v8, 0xffff0000, v9
	v_fmac_f32_e32 v68, v92, v3
	v_fmac_f32_e32 v69, v82, v2
	ds_read_b128 v[2:5], v56 offset:96
	v_fmac_f32_e32 v70, v34, v8
	global_load_dwordx2 v[36:37], v[6:7], off offset:3072
	global_load_dwordx2 v[34:35], v[6:7], off offset:3584
	s_waitcnt vmcnt(8)
	v_lshlrev_b32_e32 v6, 16, v14
	v_fmac_f32_e32 v67, v17, v6
	v_and_b32_e32 v6, 0xffff0000, v14
	v_and_b32_e32 v8, 0xffff0000, v15
	v_fmac_f32_e32 v68, v19, v6
	s_waitcnt vmcnt(6)
	v_lshlrev_b32_e32 v6, 16, v38
	v_fmac_f32_e32 v70, v18, v8
	v_fmac_f32_e32 v67, v50, v6
	v_and_b32_e32 v6, 0xffff0000, v38
	v_and_b32_e32 v38, 0xffff0000, v39
	v_lshlrev_b32_e32 v7, 16, v15
	v_fmac_f32_e32 v68, v51, v6
	v_fmac_f32_e32 v70, v48, v38
	v_lshlrev_b32_e32 v38, 16, v32
	v_and_b32_e32 v32, 0xffff0000, v32
	v_fmac_f32_e32 v69, v16, v7
	global_load_dwordx2 v[18:19], v[20:21], off offset:2560
	global_load_dwordx2 v[16:17], v[20:21], off offset:3072
	;; [unrolled: 1-line block ×3, first 2 shown]
	v_fmac_f32_e32 v67, v44, v38
	v_fmac_f32_e32 v68, v45, v32
	global_load_dwordx2 v[44:45], v[24:25], off
	v_lshlrev_b32_e32 v7, 16, v39
	v_fmac_f32_e32 v69, v49, v7
	v_lshlrev_b32_e32 v32, 16, v33
	v_and_b32_e32 v33, 0xffff0000, v33
	v_fmac_f32_e32 v69, v43, v32
	s_waitcnt vmcnt(9)
	v_lshlrev_b32_e32 v32, 16, v30
	v_and_b32_e32 v30, 0xffff0000, v30
	ds_read_b128 v[6:9], v56 offset:112
	v_fmac_f32_e32 v70, v47, v33
	v_fmac_f32_e32 v68, v46, v30
	global_load_dwordx2 v[50:51], v[24:25], off offset:512
	global_load_dwordx2 v[48:49], v[24:25], off offset:1024
	;; [unrolled: 1-line block ×3, first 2 shown]
	v_lshlrev_b32_e32 v30, 16, v31
	v_fmac_f32_e32 v67, v42, v32
	v_fmac_f32_e32 v69, v41, v30
	s_waitcnt vmcnt(11)
	v_lshlrev_b32_e32 v30, 16, v28
	v_fmac_f32_e32 v67, v40, v30
	global_load_dwordx2 v[42:43], v[24:25], off offset:2048
	global_load_dwordx2 v[40:41], v[24:25], off offset:2560
	;; [unrolled: 1-line block ×4, first 2 shown]
	v_and_b32_e32 v31, 0xffff0000, v31
	v_lshlrev_b32_e32 v24, 16, v29
	v_fmac_f32_e32 v70, v74, v31
	v_fmac_f32_e32 v69, v71, v24
	global_load_dwordx2 v[30:31], v[20:21], off
	v_and_b32_e32 v24, 0xffff0000, v29
	s_waitcnt lgkmcnt(1)
	v_lshlrev_b32_e32 v76, 16, v2
	v_and_b32_e32 v28, 0xffff0000, v28
	v_fmac_f32_e32 v70, v72, v24
	s_waitcnt vmcnt(15)
	v_lshlrev_b32_e32 v24, 16, v26
	v_fmac_f32_e32 v68, v73, v28
	v_and_b32_e32 v2, 0xffff0000, v2
	v_fmac_f32_e32 v67, v76, v24
	v_and_b32_e32 v24, 0xffff0000, v26
	v_lshlrev_b32_e32 v77, 16, v3
	v_and_b32_e32 v3, 0xffff0000, v3
	v_fmac_f32_e32 v68, v2, v24
	v_lshlrev_b32_e32 v2, 16, v27
	v_and_b32_e32 v24, 0xffff0000, v27
	v_fmac_f32_e32 v69, v77, v2
	v_fmac_f32_e32 v70, v3, v24
	v_lshlrev_b32_e32 v2, 16, v4
	v_and_b32_e32 v3, 0xffff0000, v4
	v_cndmask_b32_e64 v75, v63, v64, s[8:9]
	s_waitcnt vmcnt(14)
	v_lshlrev_b32_e32 v4, 16, v22
	v_and_b32_e32 v22, 0xffff0000, v22
	v_fmac_f32_e32 v67, v4, v2
	v_fmac_f32_e32 v68, v22, v3
	global_load_dwordx2 v[28:29], v[20:21], off offset:512
	global_load_dwordx2 v[26:27], v[20:21], off offset:1024
	;; [unrolled: 1-line block ×4, first 2 shown]
	v_lshlrev_b32_e32 v20, 16, v5
	v_and_b32_e32 v5, 0xffff0000, v5
	v_lshlrev_b32_e32 v21, 16, v23
	v_and_b32_e32 v22, 0xffff0000, v23
	v_fmac_f32_e32 v69, v21, v20
	v_fmac_f32_e32 v70, v22, v5
	s_waitcnt lgkmcnt(0)
	v_lshlrev_b32_e32 v5, 16, v6
	v_and_b32_e32 v6, 0xffff0000, v6
	v_lshlrev_b32_e32 v4, 2, v75
	s_waitcnt vmcnt(17)
	v_lshlrev_b32_e32 v20, 16, v36
	v_and_b32_e32 v21, 0xffff0000, v36
	v_fmac_f32_e32 v67, v20, v5
	v_fmac_f32_e32 v68, v21, v6
	v_lshlrev_b32_e32 v5, 16, v7
	v_and_b32_e32 v6, 0xffff0000, v7
	v_lshlrev_b32_e32 v7, 16, v37
	v_and_b32_e32 v20, 0xffff0000, v37
	v_fmac_f32_e32 v69, v7, v5
	v_fmac_f32_e32 v70, v20, v6
	v_lshlrev_b32_e32 v5, 16, v8
	v_and_b32_e32 v6, 0xffff0000, v8
	s_waitcnt vmcnt(16)
	v_lshlrev_b32_e32 v7, 16, v34
	v_and_b32_e32 v8, 0xffff0000, v34
	v_fmac_f32_e32 v67, v7, v5
	v_fmac_f32_e32 v68, v8, v6
	v_lshlrev_b32_e32 v5, 16, v9
	v_and_b32_e32 v20, 0xffff0000, v9
	ds_read_b128 v[6:9], v56 offset:128
	v_lshlrev_b32_e32 v21, 16, v35
	v_and_b32_e32 v22, 0xffff0000, v35
	v_fmac_f32_e32 v69, v21, v5
	v_fmac_f32_e32 v70, v22, v20
	ds_read_b128 v[20:23], v56 offset:144
	s_waitcnt lgkmcnt(1)
	v_lshlrev_b32_e32 v5, 16, v6
	v_and_b32_e32 v6, 0xffff0000, v6
	s_waitcnt vmcnt(12)
	v_lshlrev_b32_e32 v34, 16, v44
	v_and_b32_e32 v35, 0xffff0000, v44
	v_fmac_f32_e32 v67, v34, v5
	v_fmac_f32_e32 v68, v35, v6
	v_lshlrev_b32_e32 v5, 16, v7
	v_and_b32_e32 v6, 0xffff0000, v7
	v_lshlrev_b32_e32 v7, 16, v45
	v_and_b32_e32 v34, 0xffff0000, v45
	v_fmac_f32_e32 v69, v7, v5
	v_fmac_f32_e32 v70, v34, v6
	v_lshlrev_b32_e32 v5, 16, v8
	v_and_b32_e32 v6, 0xffff0000, v8
	s_waitcnt vmcnt(11)
	v_lshlrev_b32_e32 v7, 16, v50
	v_and_b32_e32 v8, 0xffff0000, v50
	v_fmac_f32_e32 v67, v7, v5
	v_fmac_f32_e32 v68, v8, v6
	v_lshlrev_b32_e32 v5, 16, v9
	v_and_b32_e32 v6, 0xffff0000, v9
	v_lshlrev_b32_e32 v7, 16, v51
	v_and_b32_e32 v8, 0xffff0000, v51
	v_fmac_f32_e32 v69, v7, v5
	v_fmac_f32_e32 v70, v8, v6
	s_waitcnt lgkmcnt(0)
	v_lshlrev_b32_e32 v5, 16, v20
	v_and_b32_e32 v6, 0xffff0000, v20
	s_waitcnt vmcnt(10)
	v_lshlrev_b32_e32 v7, 16, v48
	v_and_b32_e32 v8, 0xffff0000, v48
	v_fmac_f32_e32 v67, v7, v5
	v_fmac_f32_e32 v68, v8, v6
	v_lshlrev_b32_e32 v5, 16, v21
	v_and_b32_e32 v6, 0xffff0000, v21
	v_lshlrev_b32_e32 v7, 16, v49
	v_and_b32_e32 v8, 0xffff0000, v49
	v_fmac_f32_e32 v69, v7, v5
	v_fmac_f32_e32 v70, v8, v6
	v_lshlrev_b32_e32 v5, 16, v22
	v_and_b32_e32 v6, 0xffff0000, v22
	s_waitcnt vmcnt(9)
	v_lshlrev_b32_e32 v7, 16, v46
	v_and_b32_e32 v8, 0xffff0000, v46
	v_fmac_f32_e32 v67, v7, v5
	v_fmac_f32_e32 v68, v8, v6
	ds_read_b128 v[6:9], v56 offset:160
	v_lshlrev_b32_e32 v5, 16, v23
	v_and_b32_e32 v20, 0xffff0000, v23
	v_lshlrev_b32_e32 v21, 16, v47
	v_and_b32_e32 v22, 0xffff0000, v47
	v_fmac_f32_e32 v69, v21, v5
	v_fmac_f32_e32 v70, v22, v20
	ds_read_b128 v[20:23], v56 offset:176
	s_waitcnt lgkmcnt(1)
	v_lshlrev_b32_e32 v5, 16, v6
	v_and_b32_e32 v6, 0xffff0000, v6
	s_waitcnt vmcnt(8)
	v_lshlrev_b32_e32 v34, 16, v42
	v_and_b32_e32 v35, 0xffff0000, v42
	v_fmac_f32_e32 v67, v34, v5
	v_fmac_f32_e32 v68, v35, v6
	v_lshlrev_b32_e32 v5, 16, v7
	v_and_b32_e32 v6, 0xffff0000, v7
	v_lshlrev_b32_e32 v7, 16, v43
	v_and_b32_e32 v34, 0xffff0000, v43
	v_fmac_f32_e32 v69, v7, v5
	v_fmac_f32_e32 v70, v34, v6
	v_lshlrev_b32_e32 v5, 16, v8
	v_and_b32_e32 v6, 0xffff0000, v8
	s_waitcnt vmcnt(7)
	v_lshlrev_b32_e32 v7, 16, v40
	v_and_b32_e32 v8, 0xffff0000, v40
	v_fmac_f32_e32 v67, v7, v5
	v_fmac_f32_e32 v68, v8, v6
	v_lshlrev_b32_e32 v5, 16, v9
	v_and_b32_e32 v6, 0xffff0000, v9
	v_lshlrev_b32_e32 v7, 16, v41
	v_and_b32_e32 v8, 0xffff0000, v41
	v_fmac_f32_e32 v69, v7, v5
	v_fmac_f32_e32 v70, v8, v6
	s_waitcnt lgkmcnt(0)
	v_lshlrev_b32_e32 v5, 16, v20
	v_and_b32_e32 v6, 0xffff0000, v20
	s_waitcnt vmcnt(6)
	v_lshlrev_b32_e32 v7, 16, v38
	v_and_b32_e32 v8, 0xffff0000, v38
	v_fmac_f32_e32 v67, v7, v5
	v_fmac_f32_e32 v68, v8, v6
	v_lshlrev_b32_e32 v5, 16, v21
	v_and_b32_e32 v6, 0xffff0000, v21
	v_lshlrev_b32_e32 v7, 16, v39
	v_and_b32_e32 v8, 0xffff0000, v39
	v_fmac_f32_e32 v69, v7, v5
	v_fmac_f32_e32 v70, v8, v6
	v_lshlrev_b32_e32 v5, 16, v22
	v_and_b32_e32 v6, 0xffff0000, v22
	s_waitcnt vmcnt(5)
	v_lshlrev_b32_e32 v7, 16, v32
	v_and_b32_e32 v8, 0xffff0000, v32
	v_fmac_f32_e32 v67, v7, v5
	v_fmac_f32_e32 v68, v8, v6
	ds_read_b128 v[6:9], v56 offset:192
	v_lshlrev_b32_e32 v5, 16, v23
	v_and_b32_e32 v20, 0xffff0000, v23
	;; [unrolled: 56-line block ×3, first 2 shown]
	v_lshlrev_b32_e32 v21, 16, v25
	v_and_b32_e32 v22, 0xffff0000, v25
	v_fmac_f32_e32 v69, v21, v5
	v_fmac_f32_e32 v70, v22, v20
	ds_read_b128 v[20:23], v56 offset:240
	s_waitcnt lgkmcnt(1)
	v_lshlrev_b32_e32 v5, 16, v6
	v_and_b32_e32 v6, 0xffff0000, v6
	s_waitcnt vmcnt(0)
	v_lshlrev_b32_e32 v24, 16, v2
	v_and_b32_e32 v2, 0xffff0000, v2
	v_fmac_f32_e32 v67, v24, v5
	v_fmac_f32_e32 v68, v2, v6
	v_lshlrev_b32_e32 v2, 16, v7
	v_and_b32_e32 v5, 0xffff0000, v7
	v_lshlrev_b32_e32 v6, 16, v3
	v_and_b32_e32 v3, 0xffff0000, v3
	v_fmac_f32_e32 v69, v6, v2
	v_fmac_f32_e32 v70, v3, v5
	v_lshlrev_b32_e32 v2, 16, v8
	v_and_b32_e32 v3, 0xffff0000, v8
	;; [unrolled: 6-line block ×3, first 2 shown]
	v_lshlrev_b32_e32 v5, 16, v19
	v_and_b32_e32 v6, 0xffff0000, v19
	v_fmac_f32_e32 v69, v5, v2
	v_fmac_f32_e32 v70, v6, v3
	s_waitcnt lgkmcnt(0)
	v_lshlrev_b32_e32 v2, 16, v20
	v_and_b32_e32 v3, 0xffff0000, v20
	v_lshlrev_b32_e32 v5, 16, v16
	v_and_b32_e32 v6, 0xffff0000, v16
	v_fmac_f32_e32 v67, v5, v2
	v_fmac_f32_e32 v68, v6, v3
	v_lshlrev_b32_e32 v2, 16, v21
	v_and_b32_e32 v3, 0xffff0000, v21
	v_lshlrev_b32_e32 v5, 16, v17
	v_and_b32_e32 v6, 0xffff0000, v17
	v_fmac_f32_e32 v69, v5, v2
	v_fmac_f32_e32 v70, v6, v3
	;; [unrolled: 6-line block ×3, first 2 shown]
	v_lshlrev_b32_e32 v2, 16, v23
	v_lshlrev_b32_e32 v5, 16, v15
	v_and_b32_e32 v3, 0xffff0000, v23
	v_and_b32_e32 v6, 0xffff0000, v15
	v_fmac_f32_e32 v69, v5, v2
	v_add_f32_e32 v2, v67, v68
	v_fmac_f32_e32 v70, v6, v3
	v_add_f32_e32 v2, v2, v69
	v_add_f32_e32 v2, v70, v2
	ds_bpermute_b32 v3, v4, v2
	s_and_saveexec_b64 s[40:41], vcc
	s_cbranch_execz .LBB152_11
; %bb.19:                               ;   in Loop: Header=BB152_13 Depth=1
	v_add_u32_e32 v4, v60, v59
	v_cvt_f32_i32_e32 v4, v4
	s_waitcnt lgkmcnt(0)
	v_add_f32_e32 v2, v2, v3
	v_add_u32_e32 v5, v55, v59
	v_cmp_gt_i32_e64 s[8:9], s21, v5
	v_mul_f32_e32 v3, s45, v4
	v_cndmask_b32_e64 v3, 0, v3, s[0:1]
	v_fmac_f32_e32 v3, s35, v2
	v_cndmask_b32_e64 v2, 0, v3, s[8:9]
	ds_write_b32 v61, v2
	v_max_f32_e32 v2, v57, v57
	v_max_f32_e32 v2, v2, v3
	v_cndmask_b32_e64 v57, v57, v2, s[8:9]
	s_branch .LBB152_11
.LBB152_20:
	s_or_b64 exec, exec, s[38:39]
.LBB152_21:
	s_or_b64 exec, exec, s[36:37]
	v_mbcnt_hi_u32_b32 v2, -1, v54
	v_and_b32_e32 v9, 64, v2
	v_add_u32_e32 v10, 64, v9
	s_waitcnt lgkmcnt(0)
	v_xor_b32_e32 v3, 32, v2
	v_cmp_lt_i32_e32 vcc, v3, v10
	v_xor_b32_e32 v6, 16, v2
	v_max_f32_e32 v5, v57, v57
	v_cndmask_b32_e32 v3, v2, v3, vcc
	v_lshlrev_b32_e32 v3, 2, v3
	ds_bpermute_b32 v4, v3, v57
	v_cmp_lt_i32_e32 vcc, v6, v10
	v_xor_b32_e32 v7, 8, v2
	v_xor_b32_e32 v8, 4, v2
	;; [unrolled: 1-line block ×3, first 2 shown]
	s_waitcnt lgkmcnt(0)
	v_max_f32_e32 v4, v4, v4
	v_max_f32_e32 v5, v5, v4
	v_cndmask_b32_e32 v4, v2, v6, vcc
	v_lshlrev_b32_e32 v4, 2, v4
	ds_bpermute_b32 v6, v4, v5
	v_cmp_lt_i32_e32 vcc, v7, v10
	v_and_b32_e32 v97, 63, v0
	s_waitcnt lgkmcnt(0)
	v_max_f32_e32 v6, v6, v6
	v_max_f32_e32 v6, v5, v6
	v_cndmask_b32_e32 v5, v2, v7, vcc
	v_lshlrev_b32_e32 v5, 2, v5
	ds_bpermute_b32 v7, v5, v6
	v_cmp_lt_i32_e32 vcc, v8, v10
	s_waitcnt lgkmcnt(0)
	v_max_f32_e32 v7, v7, v7
	v_max_f32_e32 v7, v6, v7
	v_cndmask_b32_e32 v6, v2, v8, vcc
	v_lshlrev_b32_e32 v6, 2, v6
	ds_bpermute_b32 v8, v6, v7
	v_cmp_lt_i32_e32 vcc, v11, v10
	s_waitcnt lgkmcnt(0)
	v_max_f32_e32 v8, v8, v8
	v_max_f32_e32 v8, v7, v8
	v_cndmask_b32_e32 v7, v2, v11, vcc
	v_lshlrev_b32_e32 v98, 2, v7
	ds_bpermute_b32 v11, v98, v8
	v_cmp_eq_u32_e32 vcc, 0, v97
	v_lshlrev_b32_e32 v7, 2, v1
	s_and_saveexec_b64 s[0:1], vcc
	s_cbranch_execz .LBB152_23
; %bb.22:
	s_waitcnt lgkmcnt(0)
	v_max_f32_e32 v11, v11, v11
	v_max_f32_e32 v8, v8, v8
	;; [unrolled: 1-line block ×3, first 2 shown]
	ds_write_b32 v7, v8 offset:512
.LBB152_23:
	s_or_b64 exec, exec, s[0:1]
	v_cmp_gt_u32_e64 s[0:1], 2, v97
	s_waitcnt lgkmcnt(0)
	v_mov_b32_e32 v11, 0xff7fffff
	v_lshlrev_b32_e32 v8, 2, v97
	s_barrier
	s_and_saveexec_b64 s[8:9], s[0:1]
; %bb.24:
	ds_read_b32 v11, v8 offset:512
; %bb.25:
	s_or_b64 exec, exec, s[8:9]
	v_xor_b32_e32 v12, 1, v2
	v_cmp_lt_i32_e64 s[8:9], v12, v10
	v_lshlrev_b32_e32 v9, 2, v9
	s_nop 0
	v_cndmask_b32_e64 v10, v2, v12, s[8:9]
	v_lshlrev_b32_e32 v99, 2, v10
	s_waitcnt lgkmcnt(0)
	ds_bpermute_b32 v10, v99, v11
	v_max_f32_e32 v11, v11, v11
	s_lshl_b32 s8, s44, 5
	s_min_i32 s15, s8, s21
	v_cmp_gt_i32_e64 s[8:9], s15, v0
	s_waitcnt lgkmcnt(0)
	v_max_f32_e32 v10, v10, v10
	v_max_f32_e32 v10, v11, v10
	ds_bpermute_b32 v10, v9, v10
	v_mov_b32_e32 v9, 0
	s_and_saveexec_b64 s[34:35], s[8:9]
	s_cbranch_execz .LBB152_29
; %bb.26:
	v_mov_b32_e32 v9, 0x210
	v_lshl_add_u32 v11, v0, 2, v9
	v_mov_b32_e32 v9, 0
	s_mov_b64 s[36:37], 0
	v_mov_b32_e32 v12, v0
.LBB152_27:                             ; =>This Inner Loop Header: Depth=1
	ds_read_b32 v13, v11
	v_add_u32_e32 v12, 0x80, v12
	v_cmp_le_i32_e64 s[10:11], s15, v12
	s_or_b64 s[36:37], s[10:11], s[36:37]
	s_waitcnt lgkmcnt(0)
	v_sub_f32_e32 v13, v13, v10
	v_mul_f32_e32 v13, 0x3fb8aa3b, v13
	v_exp_f32_e32 v13, v13
	ds_write_b32 v11, v13
	v_add_f32_e32 v9, v9, v13
	v_add_u32_e32 v11, 0x200, v11
	s_andn2_b64 exec, exec, s[36:37]
	s_cbranch_execnz .LBB152_27
; %bb.28:
	s_or_b64 exec, exec, s[36:37]
.LBB152_29:
	s_or_b64 exec, exec, s[34:35]
	ds_bpermute_b32 v3, v3, v9
	s_waitcnt lgkmcnt(0)
	v_add_f32_e32 v3, v9, v3
	ds_bpermute_b32 v4, v4, v3
	s_waitcnt lgkmcnt(0)
	v_add_f32_e32 v3, v3, v4
	;; [unrolled: 3-line block ×6, first 2 shown]
	s_and_saveexec_b64 s[10:11], vcc
; %bb.30:
	ds_write_b32 v7, v3 offset:520
; %bb.31:
	s_or_b64 exec, exec, s[10:11]
	s_waitcnt lgkmcnt(0)
	s_barrier
	s_and_saveexec_b64 s[10:11], s[0:1]
; %bb.32:
	ds_read_b32 v3, v8 offset:520
; %bb.33:
	s_or_b64 exec, exec, s[10:11]
	s_waitcnt lgkmcnt(0)
	ds_bpermute_b32 v4, v99, v3
	v_lshlrev_b32_e32 v2, 2, v2
	v_and_b32_e32 v2, 0x100, v2
	s_waitcnt lgkmcnt(0)
	v_add_f32_e32 v3, v3, v4
	ds_bpermute_b32 v2, v2, v3
	s_and_saveexec_b64 s[0:1], s[8:9]
	s_cbranch_execz .LBB152_46
; %bb.34:
	s_waitcnt lgkmcnt(0)
	v_add_f32_e32 v2, 0x358637bd, v2
	v_div_scale_f32 v3, s[8:9], v2, v2, 1.0
	v_rcp_f32_e32 v4, v3
	v_div_scale_f32 v5, vcc, 1.0, v2, 1.0
	s_movk_i32 s8, 0x7f
	v_fma_f32 v6, -v3, v4, 1.0
	v_fmac_f32_e32 v4, v6, v4
	v_mul_f32_e32 v6, v5, v4
	v_fma_f32 v7, -v3, v6, v5
	v_fmac_f32_e32 v6, v7, v4
	v_fma_f32 v3, -v3, v6, v5
	v_div_fmas_f32 v3, v3, v4, v6
	v_xad_u32 v4, v0, -1, s15
	v_div_fixup_f32 v2, v3, v2, 1.0
	v_cmp_lt_u32_e32 vcc, s8, v4
	s_mov_b64 s[10:11], -1
	v_mov_b32_e32 v3, v0
	s_and_saveexec_b64 s[8:9], vcc
	s_cbranch_execz .LBB152_43
; %bb.35:
	v_lshrrev_b32_e32 v4, 7, v4
	v_add_u32_e32 v6, -1, v4
	v_lshrrev_b32_e32 v5, 1, v6
	v_mov_b32_e32 v3, v2
	v_add_u32_e32 v5, 1, v5
	v_cmp_lt_u32_e32 vcc, 13, v6
	v_mov_b32_e32 v8, 0
	s_and_saveexec_b64 s[10:11], vcc
	s_cbranch_execz .LBB152_39
; %bb.36:
	v_mov_b32_e32 v7, 0x210
	v_and_b32_e32 v6, -8, v5
	v_lshl_add_u32 v7, v0, 2, v7
	s_mov_b32 s16, 0
	s_mov_b64 s[34:35], 0
.LBB152_37:                             ; =>This Inner Loop Header: Depth=1
	ds_read2st64_b32 v[8:9], v7 offset1:2
	ds_read2st64_b32 v[10:11], v7 offset0:4 offset1:6
	ds_read2st64_b32 v[12:13], v7 offset0:8 offset1:10
	;; [unrolled: 1-line block ×3, first 2 shown]
	v_add_u32_e32 v6, -8, v6
	s_waitcnt lgkmcnt(3)
	v_pk_mul_f32 v[8:9], v[2:3], v[8:9]
	s_waitcnt lgkmcnt(2)
	v_pk_mul_f32 v[10:11], v[2:3], v[10:11]
	ds_write2st64_b32 v7, v8, v9 offset1:2
	ds_write2st64_b32 v7, v10, v11 offset0:4 offset1:6
	ds_read2st64_b32 v[10:11], v7 offset0:16 offset1:18
	s_waitcnt lgkmcnt(4)
	v_pk_mul_f32 v[8:9], v[2:3], v[12:13]
	ds_write2st64_b32 v7, v8, v9 offset0:8 offset1:10
	s_waitcnt lgkmcnt(4)
	v_pk_mul_f32 v[8:9], v[2:3], v[14:15]
	ds_write2st64_b32 v7, v8, v9 offset0:12 offset1:14
	ds_read2st64_b32 v[8:9], v7 offset0:20 offset1:22
	s_waitcnt lgkmcnt(3)
	v_pk_mul_f32 v[10:11], v[2:3], v[10:11]
	ds_read2st64_b32 v[12:13], v7 offset0:24 offset1:26
	ds_write2st64_b32 v7, v10, v11 offset0:16 offset1:18
	ds_read2st64_b32 v[10:11], v7 offset0:28 offset1:30
	s_waitcnt lgkmcnt(3)
	v_pk_mul_f32 v[8:9], v[2:3], v[8:9]
	ds_write2st64_b32 v7, v8, v9 offset0:20 offset1:22
	s_waitcnt lgkmcnt(3)
	v_pk_mul_f32 v[8:9], v[2:3], v[12:13]
	ds_write2st64_b32 v7, v8, v9 offset0:24 offset1:26
	s_waitcnt lgkmcnt(2)
	v_pk_mul_f32 v[8:9], v[2:3], v[10:11]
	s_add_i32 s16, s16, 16
	v_cmp_eq_u32_e32 vcc, 0, v6
	ds_write2st64_b32 v7, v8, v9 offset0:28 offset1:30
	v_add_u32_e32 v7, 0x2000, v7
	s_or_b64 s[34:35], vcc, s[34:35]
	v_mov_b32_e32 v8, s16
	s_andn2_b64 exec, exec, s[34:35]
	s_cbranch_execnz .LBB152_37
; %bb.38:
	s_or_b64 exec, exec, s[34:35]
.LBB152_39:
	s_or_b64 exec, exec, s[10:11]
	v_and_b32_e32 v5, 7, v5
	v_cmp_ne_u32_e32 vcc, 0, v5
	s_and_saveexec_b64 s[10:11], vcc
	s_cbranch_execz .LBB152_42
; %bb.40:
	v_lshlrev_b32_e32 v6, 9, v8
	v_lshlrev_b32_e32 v7, 2, v0
	s_movk_i32 s16, 0x210
	v_add3_u32 v6, v6, v7, s16
	s_mov_b64 s[34:35], 0
.LBB152_41:                             ; =>This Inner Loop Header: Depth=1
	ds_read2st64_b32 v[8:9], v6 offset1:2
	v_add_u32_e32 v5, -1, v5
	v_cmp_eq_u32_e32 vcc, 0, v5
	s_or_b64 s[34:35], vcc, s[34:35]
	s_waitcnt lgkmcnt(0)
	v_pk_mul_f32 v[8:9], v[2:3], v[8:9]
	ds_write2st64_b32 v6, v8, v9 offset1:2
	v_add_u32_e32 v6, 0x400, v6
	s_andn2_b64 exec, exec, s[34:35]
	s_cbranch_execnz .LBB152_41
.LBB152_42:
	s_or_b64 exec, exec, s[10:11]
	v_add_u32_e32 v4, 1, v4
	v_and_b32_e32 v5, 0x3fffffe, v4
	v_cmp_ne_u32_e32 vcc, v4, v5
	v_lshl_add_u32 v3, v5, 7, v0
	s_orn2_b64 s[10:11], vcc, exec
.LBB152_43:
	s_or_b64 exec, exec, s[8:9]
	s_and_b64 exec, exec, s[10:11]
	s_cbranch_execz .LBB152_46
; %bb.44:
	v_mov_b32_e32 v4, 0x210
	v_lshl_add_u32 v4, v3, 2, v4
	s_mov_b64 s[8:9], 0
.LBB152_45:                             ; =>This Inner Loop Header: Depth=1
	ds_read_b32 v5, v4
	v_add_u32_e32 v3, 0x80, v3
	v_cmp_le_i32_e32 vcc, s15, v3
	s_or_b64 s[8:9], vcc, s[8:9]
	s_waitcnt lgkmcnt(0)
	v_mul_f32_e32 v5, v2, v5
	ds_write_b32 v4, v5
	v_add_u32_e32 v4, 0x200, v4
	s_andn2_b64 exec, exec, s[8:9]
	s_cbranch_execnz .LBB152_45
.LBB152_46:
	s_or_b64 exec, exec, s[0:1]
	v_mov_b32_e32 v75, 0
	v_and_b32_e32 v100, 3, v0
	v_mov_b32_e32 v74, 0
	v_mov_b32_e32 v77, 0
	;; [unrolled: 1-line block ×15, first 2 shown]
	s_waitcnt lgkmcnt(0)
	s_barrier
	s_and_saveexec_b64 s[8:9], s[2:3]
	s_cbranch_execz .LBB152_84
; %bb.47:
	s_ashr_i32 s15, s14, 31
	s_sub_i32 s34, s12, s17
	s_lshl_b64 s[0:1], s[14:15], 1
	s_add_u32 s10, s30, s0
	s_addc_u32 s11, s31, s1
	s_abs_i32 s18, s18
	v_cvt_f32_u32_e32 v2, s18
	s_sub_i32 s0, 0, s18
	s_add_i32 s31, s44, -1
	v_mov_b32_e32 v91, 0
	v_rcp_iflag_f32_e32 v3, v2
	v_and_b32_e32 v2, 0x1f8, v52
	v_or_b32_e32 v4, 0x1e00, v52
	v_and_b32_e32 v90, 60, v53
	v_mul_f32_e32 v3, 0x4f7ffffe, v3
	v_cvt_u32_f32_e32 v3, v3
	v_and_b32_e32 v101, 24, v52
	s_mov_b32 s30, s13
	s_mov_b32 s35, s21
	v_mul_lo_u32 v5, s0, v3
	v_mul_hi_u32 v5, v3, v5
	s_lshl_b64 s[0:1], s[28:29], 2
	v_add_u32_e32 v102, v3, v5
	s_add_u32 s0, s26, s0
	v_lshlrev_b32_e32 v3, 5, v100
	s_addc_u32 s1, s27, s1
	v_lshl_or_b32 v3, v1, 7, v3
	v_lshl_add_u64 v[92:93], s[0:1], 0, v[90:91]
	v_add_u32_e32 v103, 0x210, v3
	s_mov_b64 s[12:13], 0
	v_lshlrev_b32_e32 v94, 1, v2
	s_mov_b32 s26, 0x5040100
	v_lshlrev_b32_e32 v90, 1, v4
	v_mov_b32_e32 v88, v91
	v_mov_b32_e32 v89, v91
	;; [unrolled: 1-line block ×16, first 2 shown]
	s_branch .LBB152_50
.LBB152_48:                             ;   in Loop: Header=BB152_50 Depth=1
	s_or_b64 exec, exec, s[16:17]
	s_waitcnt lgkmcnt(1)
	v_cvt_pk_bf16_f32 v35, v35, s0
	s_waitcnt lgkmcnt(0)
	v_cvt_pk_bf16_f32 v95, v30, s0
	v_cvt_pk_bf16_f32 v104, v31, s0
	s_waitcnt vmcnt(1)
	v_and_b32_e32 v31, 0xffff0000, v70
	v_lshlrev_b32_e32 v30, 16, v35
	v_cvt_pk_bf16_f32 v34, v34, s0
	v_mul_f32_e32 v31, v30, v31
	v_cvt_pk_bf16_f32 v106, v31, s0
	v_lshlrev_b32_e32 v31, 16, v70
	v_lshlrev_b32_e32 v34, 16, v34
	v_cvt_pk_bf16_f32 v37, v37, s0
	v_mul_f32_e32 v31, v34, v31
	v_cvt_pk_bf16_f32 v105, v32, s0
	v_cvt_pk_bf16_f32 v70, v31, s0
	v_and_b32_e32 v32, 0xffff0000, v71
	v_lshlrev_b32_e32 v31, 16, v37
	v_cvt_pk_bf16_f32 v36, v36, s0
	v_mul_f32_e32 v32, v31, v32
	v_cvt_pk_bf16_f32 v107, v32, s0
	v_lshlrev_b32_e32 v32, 16, v71
	v_lshlrev_b32_e32 v35, 16, v36
	v_mul_f32_e32 v32, v35, v32
	v_cvt_pk_bf16_f32 v71, v32, s0
	v_and_b32_e32 v36, 0xffff0000, v72
	v_lshlrev_b32_e32 v32, 16, v104
	v_mul_f32_e32 v36, v32, v36
	v_cvt_pk_bf16_f32 v104, v36, s0
	v_lshlrev_b32_e32 v37, 16, v72
	v_lshlrev_b32_e32 v36, 16, v95
	v_cvt_pk_bf16_f32 v33, v33, s0
	v_mul_f32_e32 v37, v36, v37
	v_cvt_pk_bf16_f32 v72, v37, s0
	v_and_b32_e32 v37, 0xffff0000, v73
	v_lshlrev_b32_e32 v33, 16, v33
	v_mul_f32_e32 v37, v33, v37
	v_cvt_pk_bf16_f32 v95, v37, s0
	v_lshlrev_b32_e32 v37, 16, v105
	v_lshlrev_b32_e32 v70, 16, v70
	;; [unrolled: 1-line block ×3, first 2 shown]
	v_add_f32_e32 v70, v70, v105
	v_lshlrev_b32_e32 v71, 16, v71
	v_lshlrev_b32_e32 v105, 16, v107
	;; [unrolled: 1-line block ×3, first 2 shown]
	v_add_f32_e32 v71, v71, v105
	v_mul_f32_e32 v73, v37, v73
	v_add_f32_e32 v70, v71, v70
	v_lshlrev_b32_e32 v71, 16, v72
	v_lshlrev_b32_e32 v72, 16, v104
	v_cvt_pk_bf16_f32 v73, v73, s0
	v_add_f32_e32 v71, v71, v72
	v_add_f32_e32 v70, v71, v70
	v_lshlrev_b32_e32 v71, 16, v73
	v_lshlrev_b32_e32 v72, 16, v95
	v_add_f32_e32 v71, v71, v72
	v_add_f32_e32 v70, v71, v70
	v_add_f32_e32 v74, v74, v70
	v_and_b32_e32 v70, 0xffff0000, v66
	v_lshlrev_b32_e32 v66, 16, v66
	v_mul_f32_e32 v70, v30, v70
	v_mul_f32_e32 v66, v34, v66
	v_and_b32_e32 v71, 0xffff0000, v67
	v_lshlrev_b32_e32 v67, 16, v67
	v_cvt_pk_bf16_f32 v70, v70, s0
	v_cvt_pk_bf16_f32 v66, v66, s0
	v_mul_f32_e32 v71, v31, v71
	v_mul_f32_e32 v67, v35, v67
	v_cvt_pk_bf16_f32 v71, v71, s0
	v_cvt_pk_bf16_f32 v67, v67, s0
	v_and_b32_e32 v72, 0xffff0000, v68
	v_lshlrev_b32_e32 v68, 16, v68
	v_lshlrev_b32_e32 v66, 16, v66
	v_lshlrev_b32_e32 v70, 16, v70
	v_mul_f32_e32 v72, v32, v72
	v_mul_f32_e32 v68, v36, v68
	v_add_f32_e32 v66, v66, v70
	v_lshlrev_b32_e32 v67, 16, v67
	v_lshlrev_b32_e32 v70, 16, v71
	v_cvt_pk_bf16_f32 v72, v72, s0
	v_cvt_pk_bf16_f32 v68, v68, s0
	v_and_b32_e32 v73, 0xffff0000, v69
	v_lshlrev_b32_e32 v69, 16, v69
	v_add_f32_e32 v67, v67, v70
	v_mul_f32_e32 v73, v33, v73
	v_mul_f32_e32 v69, v37, v69
	v_add_f32_e32 v66, v67, v66
	v_lshlrev_b32_e32 v67, 16, v68
	v_lshlrev_b32_e32 v68, 16, v72
	v_cvt_pk_bf16_f32 v73, v73, s0
	v_cvt_pk_bf16_f32 v69, v69, s0
	v_add_f32_e32 v67, v67, v68
	v_add_f32_e32 v66, v67, v66
	v_lshlrev_b32_e32 v67, 16, v69
	v_lshlrev_b32_e32 v68, 16, v73
	v_add_f32_e32 v67, v67, v68
	v_add_f32_e32 v66, v67, v66
	v_add_f32_e32 v77, v77, v66
	v_and_b32_e32 v66, 0xffff0000, v62
	v_lshlrev_b32_e32 v62, 16, v62
	v_mul_f32_e32 v66, v30, v66
	v_mul_f32_e32 v62, v34, v62
	v_and_b32_e32 v67, 0xffff0000, v63
	v_lshlrev_b32_e32 v63, 16, v63
	v_cvt_pk_bf16_f32 v66, v66, s0
	v_cvt_pk_bf16_f32 v62, v62, s0
	v_mul_f32_e32 v67, v31, v67
	v_mul_f32_e32 v63, v35, v63
	v_cvt_pk_bf16_f32 v67, v67, s0
	v_cvt_pk_bf16_f32 v63, v63, s0
	v_and_b32_e32 v68, 0xffff0000, v64
	v_lshlrev_b32_e32 v64, 16, v64
	v_lshlrev_b32_e32 v62, 16, v62
	v_lshlrev_b32_e32 v66, 16, v66
	v_mul_f32_e32 v68, v32, v68
	v_mul_f32_e32 v64, v36, v64
	v_add_f32_e32 v62, v62, v66
	v_lshlrev_b32_e32 v63, 16, v63
	v_lshlrev_b32_e32 v66, 16, v67
	v_cvt_pk_bf16_f32 v68, v68, s0
	v_cvt_pk_bf16_f32 v64, v64, s0
	v_and_b32_e32 v69, 0xffff0000, v65
	v_lshlrev_b32_e32 v65, 16, v65
	v_add_f32_e32 v63, v63, v66
	v_mul_f32_e32 v69, v33, v69
	v_mul_f32_e32 v65, v37, v65
	v_add_f32_e32 v62, v63, v62
	v_lshlrev_b32_e32 v63, 16, v64
	v_lshlrev_b32_e32 v64, 16, v68
	v_cvt_pk_bf16_f32 v69, v69, s0
	;; [unrolled: 40-line block ×13, first 2 shown]
	v_cvt_pk_bf16_f32 v9, v9, s0
	v_add_f32_e32 v7, v7, v8
	v_add_f32_e32 v6, v7, v6
	v_lshlrev_b32_e32 v7, 16, v9
	v_lshlrev_b32_e32 v8, 16, v13
	v_add_f32_e32 v7, v7, v8
	v_add_f32_e32 v6, v7, v6
	;; [unrolled: 1-line block ×3, first 2 shown]
	v_and_b32_e32 v6, 0xffff0000, v2
	v_lshlrev_b32_e32 v2, 16, v2
	v_mul_f32_e32 v6, v30, v6
	v_mul_f32_e32 v2, v34, v2
	v_and_b32_e32 v7, 0xffff0000, v3
	v_lshlrev_b32_e32 v3, 16, v3
	v_cvt_pk_bf16_f32 v6, v6, s0
	v_cvt_pk_bf16_f32 v2, v2, s0
	v_mul_f32_e32 v7, v31, v7
	v_mul_f32_e32 v3, v35, v3
	v_cvt_pk_bf16_f32 v7, v7, s0
	v_cvt_pk_bf16_f32 v3, v3, s0
	v_and_b32_e32 v8, 0xffff0000, v4
	v_lshlrev_b32_e32 v4, 16, v4
	v_lshlrev_b32_e32 v2, 16, v2
	v_lshlrev_b32_e32 v6, 16, v6
	v_mul_f32_e32 v8, v32, v8
	v_mul_f32_e32 v4, v36, v4
	v_add_f32_e32 v2, v2, v6
	v_lshlrev_b32_e32 v3, 16, v3
	v_lshlrev_b32_e32 v6, 16, v7
	v_cvt_pk_bf16_f32 v8, v8, s0
	v_cvt_pk_bf16_f32 v4, v4, s0
	v_and_b32_e32 v9, 0xffff0000, v5
	v_lshlrev_b32_e32 v5, 16, v5
	v_add_f32_e32 v3, v3, v6
	v_mul_f32_e32 v5, v37, v5
	v_add_f32_e32 v2, v3, v2
	v_lshlrev_b32_e32 v3, 16, v4
	v_lshlrev_b32_e32 v4, 16, v8
	v_cvt_pk_bf16_f32 v5, v5, s0
	v_add_f32_e32 v3, v3, v4
	v_add_f32_e32 v2, v3, v2
	v_lshlrev_b32_e32 v3, 16, v5
	s_waitcnt vmcnt(0)
	v_and_b32_e32 v5, 0xffff0000, v47
	v_mul_f32_e32 v5, v31, v5
	v_mul_f32_e32 v9, v33, v9
	v_cvt_pk_bf16_f32 v6, v5, s0
	v_lshlrev_b32_e32 v5, 16, v48
	v_cvt_pk_bf16_f32 v9, v9, s0
	v_mul_f32_e32 v5, v36, v5
	v_lshlrev_b32_e32 v4, 16, v9
	v_cvt_pk_bf16_f32 v7, v5, s0
	v_and_b32_e32 v5, 0xffff0000, v48
	v_add_f32_e32 v3, v3, v4
	v_mul_f32_e32 v5, v32, v5
	v_add_f32_e32 v2, v3, v2
	v_cvt_pk_bf16_f32 v8, v5, s0
	v_lshlrev_b32_e32 v5, 16, v49
	v_add_f32_e32 v88, v88, v2
	v_lshlrev_b32_e32 v2, 16, v46
	v_and_b32_e32 v3, 0xffff0000, v46
	v_lshlrev_b32_e32 v4, 16, v47
	v_mul_f32_e32 v5, v37, v5
	v_mul_f32_e32 v2, v34, v2
	;; [unrolled: 1-line block ×4, first 2 shown]
	v_cvt_pk_bf16_f32 v9, v5, s0
	v_and_b32_e32 v5, 0xffff0000, v49
	v_cvt_pk_bf16_f32 v2, v2, s0
	v_cvt_pk_bf16_f32 v3, v3, s0
	;; [unrolled: 1-line block ×3, first 2 shown]
	v_mul_f32_e32 v5, v33, v5
	v_cvt_pk_bf16_f32 v10, v5, s0
	v_lshlrev_b32_e32 v3, 16, v3
	v_lshlrev_b32_e32 v5, 16, v2
	;; [unrolled: 1-line block ×4, first 2 shown]
	v_pk_add_f32 v[2:3], v[4:5], v[2:3]
	v_lshlrev_b32_e32 v5, 16, v8
	v_lshlrev_b32_e32 v7, 16, v7
	;; [unrolled: 1-line block ×4, first 2 shown]
	v_pk_add_f32 v[4:5], v[6:7], v[4:5]
	v_add_f32_e32 v2, v2, v3
	v_add_f32_e32 v2, v5, v2
	;; [unrolled: 1-line block ×4, first 2 shown]
.LBB152_49:                             ;   in Loop: Header=BB152_50 Depth=1
	s_or_b64 exec, exec, s[14:15]
	v_add_u32_e32 v1, 2, v1
	v_cmp_le_i32_e32 vcc, s44, v1
	v_lshl_add_u64 v[92:93], v[92:93], 0, 8
	v_add_u32_e32 v96, 64, v96
	s_or_b64 s[12:13], vcc, s[12:13]
	v_add_u32_e32 v103, 0x100, v103
	s_andn2_b64 exec, exec, s[12:13]
	s_cbranch_execz .LBB152_83
.LBB152_50:                             ; =>This Inner Loop Header: Depth=1
	v_mul_hi_u32 v2, v96, s33
	v_mul_lo_u32 v3, v2, s23
	v_sub_u32_e32 v3, v96, v3
	v_add_u32_e32 v4, 1, v2
	v_cmp_le_u32_e32 vcc, s23, v3
	s_nop 1
	v_cndmask_b32_e32 v2, v2, v4, vcc
	v_subrev_u32_e32 v4, s23, v3
	v_cndmask_b32_e32 v3, v3, v4, vcc
	v_add_u32_e32 v4, 1, v2
	v_cmp_le_u32_e32 vcc, s23, v3
	s_nop 1
	v_cndmask_b32_e32 v2, v2, v4, vcc
	v_xor_b32_e32 v2, s43, v2
	v_subrev_u32_e32 v2, s43, v2
	v_add_u32_e32 v3, s42, v2
	v_sub_u32_e32 v5, 0, v3
	v_ashrrev_i32_e32 v4, 31, v3
	v_max_i32_e32 v3, v3, v5
	v_mul_hi_u32 v5, v3, v102
	v_mul_lo_u32 v5, v5, s18
	v_sub_u32_e32 v3, v3, v5
	v_subrev_u32_e32 v5, s18, v3
	v_cmp_le_u32_e32 vcc, s18, v3
	v_cmp_lt_i32_e64 s[0:1], s34, v2
	s_nop 0
	v_cndmask_b32_e32 v3, v3, v5, vcc
	v_subrev_u32_e32 v5, s18, v3
	v_cmp_le_u32_e32 vcc, s18, v3
	s_nop 1
	v_cndmask_b32_e32 v3, v3, v5, vcc
	v_xor_b32_e32 v3, v3, v4
	v_sub_u32_e32 v3, v3, v4
	v_cmp_eq_u32_e32 vcc, 0, v3
	s_or_b64 s[0:1], vcc, s[0:1]
	s_and_saveexec_b64 s[14:15], s[0:1]
	s_cbranch_execz .LBB152_49
; %bb.51:                               ;   in Loop: Header=BB152_50 Depth=1
	global_load_dword v2, v[92:93], off
	v_mov_b32_e32 v95, v91
	v_add_u32_e32 v105, v101, v96
	v_cmp_eq_u32_e64 s[2:3], s31, v1
	v_add_u32_e32 v110, 1, v105
	v_or_b32_e32 v108, 3, v105
	v_or_b32_e32 v109, 2, v105
	;; [unrolled: 1-line block ×5, first 2 shown]
	s_waitcnt vmcnt(0)
	v_mad_i64_i32 v[2:3], s[0:1], v2, s30, 0
	v_lshl_add_u64 v[46:47], v[2:3], 1, s[10:11]
	v_lshl_add_u64 v[48:49], v[46:47], 0, v[94:95]
	global_load_dwordx4 v[2:5], v[48:49], off
	ds_read2_b64 v[34:37], v103 offset1:1
	ds_read2_b64 v[30:33], v103 offset0:2 offset1:3
	v_or_b32_e32 v95, 7, v105
	s_and_saveexec_b64 s[16:17], s[2:3]
	s_cbranch_execnz .LBB152_80
; %bb.52:                               ;   in Loop: Header=BB152_50 Depth=1
	s_or_b64 exec, exec, s[16:17]
	global_load_dwordx4 v[6:9], v[48:49], off offset:1024
	s_and_saveexec_b64 s[16:17], s[2:3]
	s_cbranch_execnz .LBB152_81
.LBB152_53:                             ;   in Loop: Header=BB152_50 Depth=1
	s_or_b64 exec, exec, s[16:17]
	global_load_dwordx4 v[10:13], v[48:49], off offset:2048
	s_and_saveexec_b64 s[16:17], s[2:3]
	s_cbranch_execnz .LBB152_82
.LBB152_54:                             ;   in Loop: Header=BB152_50 Depth=1
	s_or_b64 exec, exec, s[16:17]
	global_load_dwordx4 v[14:17], v[48:49], off offset:3072
	s_and_saveexec_b64 s[16:17], s[2:3]
	s_cbranch_execz .LBB152_56
.LBB152_55:                             ;   in Loop: Header=BB152_50 Depth=1
	v_cmp_gt_i32_e32 vcc, s35, v110
	v_cmp_gt_i32_e64 s[0:1], s21, v109
	s_waitcnt vmcnt(0)
	v_cndmask_b32_sdwa v18, v91, v14, vcc dst_sel:DWORD dst_unused:UNUSED_PAD src0_sel:DWORD src1_sel:WORD_1
	v_cmp_gt_i32_e32 vcc, s21, v105
	s_nop 1
	v_cndmask_b32_e32 v14, 0, v14, vcc
	v_cmp_gt_i32_e32 vcc, s35, v108
	v_perm_b32 v14, v18, v14, s26
	v_cndmask_b32_e64 v18, 0, v15, s[0:1]
	v_cndmask_b32_sdwa v15, v91, v15, vcc dst_sel:DWORD dst_unused:UNUSED_PAD src0_sel:DWORD src1_sel:WORD_1
	v_cmp_gt_i32_e32 vcc, s35, v106
	v_cmp_gt_i32_e64 s[0:1], s21, v107
	v_perm_b32 v15, v15, v18, s26
	s_nop 0
	v_cndmask_b32_e64 v18, 0, v16, s[0:1]
	v_cndmask_b32_sdwa v16, v91, v16, vcc dst_sel:DWORD dst_unused:UNUSED_PAD src0_sel:DWORD src1_sel:WORD_1
	v_cmp_gt_i32_e32 vcc, s35, v95
	v_cmp_gt_i32_e64 s[0:1], s21, v104
	v_perm_b32 v16, v16, v18, s26
	s_nop 0
	v_cndmask_b32_e64 v18, 0, v17, s[0:1]
	v_cndmask_b32_sdwa v17, v91, v17, vcc dst_sel:DWORD dst_unused:UNUSED_PAD src0_sel:DWORD src1_sel:WORD_1
	v_perm_b32 v17, v17, v18, s26
.LBB152_56:                             ;   in Loop: Header=BB152_50 Depth=1
	s_or_b64 exec, exec, s[16:17]
	v_add_co_u32_e32 v18, vcc, 0x1000, v48
	s_nop 1
	v_addc_co_u32_e32 v19, vcc, 0, v49, vcc
	global_load_dwordx4 v[18:21], v[18:19], off
	s_and_saveexec_b64 s[16:17], s[2:3]
	s_cbranch_execz .LBB152_58
; %bb.57:                               ;   in Loop: Header=BB152_50 Depth=1
	v_cmp_gt_i32_e32 vcc, s35, v110
	v_cmp_gt_i32_e64 s[0:1], s21, v109
	s_waitcnt vmcnt(0)
	v_cndmask_b32_sdwa v22, v91, v18, vcc dst_sel:DWORD dst_unused:UNUSED_PAD src0_sel:DWORD src1_sel:WORD_1
	v_cmp_gt_i32_e32 vcc, s21, v105
	s_nop 1
	v_cndmask_b32_e32 v18, 0, v18, vcc
	v_cmp_gt_i32_e32 vcc, s35, v108
	v_perm_b32 v18, v22, v18, s26
	v_cndmask_b32_e64 v22, 0, v19, s[0:1]
	v_cndmask_b32_sdwa v19, v91, v19, vcc dst_sel:DWORD dst_unused:UNUSED_PAD src0_sel:DWORD src1_sel:WORD_1
	v_cmp_gt_i32_e32 vcc, s35, v106
	v_cmp_gt_i32_e64 s[0:1], s21, v107
	v_perm_b32 v19, v19, v22, s26
	s_nop 0
	v_cndmask_b32_e64 v22, 0, v20, s[0:1]
	v_cndmask_b32_sdwa v20, v91, v20, vcc dst_sel:DWORD dst_unused:UNUSED_PAD src0_sel:DWORD src1_sel:WORD_1
	v_cmp_gt_i32_e32 vcc, s35, v95
	v_cmp_gt_i32_e64 s[0:1], s21, v104
	v_perm_b32 v20, v20, v22, s26
	s_nop 0
	v_cndmask_b32_e64 v22, 0, v21, s[0:1]
	v_cndmask_b32_sdwa v21, v91, v21, vcc dst_sel:DWORD dst_unused:UNUSED_PAD src0_sel:DWORD src1_sel:WORD_1
	v_perm_b32 v21, v21, v22, s26
.LBB152_58:                             ;   in Loop: Header=BB152_50 Depth=1
	s_or_b64 exec, exec, s[16:17]
	v_add_co_u32_e32 v22, vcc, 0x1000, v48
	s_nop 1
	v_addc_co_u32_e32 v23, vcc, 0, v49, vcc
	global_load_dwordx4 v[22:25], v[22:23], off offset:1024
	s_and_saveexec_b64 s[16:17], s[2:3]
	s_cbranch_execz .LBB152_60
; %bb.59:                               ;   in Loop: Header=BB152_50 Depth=1
	v_cmp_gt_i32_e32 vcc, s35, v110
	v_cmp_gt_i32_e64 s[0:1], s21, v109
	s_waitcnt vmcnt(0)
	v_cndmask_b32_sdwa v26, v91, v22, vcc dst_sel:DWORD dst_unused:UNUSED_PAD src0_sel:DWORD src1_sel:WORD_1
	v_cmp_gt_i32_e32 vcc, s21, v105
	s_nop 1
	v_cndmask_b32_e32 v22, 0, v22, vcc
	v_cmp_gt_i32_e32 vcc, s35, v108
	v_perm_b32 v22, v26, v22, s26
	v_cndmask_b32_e64 v26, 0, v23, s[0:1]
	v_cndmask_b32_sdwa v23, v91, v23, vcc dst_sel:DWORD dst_unused:UNUSED_PAD src0_sel:DWORD src1_sel:WORD_1
	v_cmp_gt_i32_e32 vcc, s35, v106
	v_cmp_gt_i32_e64 s[0:1], s21, v107
	v_perm_b32 v23, v23, v26, s26
	s_nop 0
	v_cndmask_b32_e64 v26, 0, v24, s[0:1]
	v_cndmask_b32_sdwa v24, v91, v24, vcc dst_sel:DWORD dst_unused:UNUSED_PAD src0_sel:DWORD src1_sel:WORD_1
	v_cmp_gt_i32_e32 vcc, s35, v95
	v_cmp_gt_i32_e64 s[0:1], s21, v104
	v_perm_b32 v24, v24, v26, s26
	s_nop 0
	v_cndmask_b32_e64 v26, 0, v25, s[0:1]
	v_cndmask_b32_sdwa v25, v91, v25, vcc dst_sel:DWORD dst_unused:UNUSED_PAD src0_sel:DWORD src1_sel:WORD_1
	v_perm_b32 v25, v25, v26, s26
.LBB152_60:                             ;   in Loop: Header=BB152_50 Depth=1
	s_or_b64 exec, exec, s[16:17]
	v_add_co_u32_e32 v26, vcc, 0x1000, v48
	s_nop 1
	v_addc_co_u32_e32 v27, vcc, 0, v49, vcc
	global_load_dwordx4 v[26:29], v[26:27], off offset:2048
	s_and_saveexec_b64 s[16:17], s[2:3]
	s_cbranch_execz .LBB152_62
; %bb.61:                               ;   in Loop: Header=BB152_50 Depth=1
	v_cmp_gt_i32_e32 vcc, s35, v110
	v_cmp_gt_i32_e64 s[0:1], s21, v109
	s_waitcnt vmcnt(0)
	v_cndmask_b32_sdwa v38, v91, v26, vcc dst_sel:DWORD dst_unused:UNUSED_PAD src0_sel:DWORD src1_sel:WORD_1
	v_cmp_gt_i32_e32 vcc, s21, v105
	s_nop 1
	v_cndmask_b32_e32 v26, 0, v26, vcc
	v_cmp_gt_i32_e32 vcc, s35, v108
	v_perm_b32 v26, v38, v26, s26
	v_cndmask_b32_e64 v38, 0, v27, s[0:1]
	v_cndmask_b32_sdwa v27, v91, v27, vcc dst_sel:DWORD dst_unused:UNUSED_PAD src0_sel:DWORD src1_sel:WORD_1
	v_cmp_gt_i32_e32 vcc, s35, v106
	v_cmp_gt_i32_e64 s[0:1], s21, v107
	v_perm_b32 v27, v27, v38, s26
	s_nop 0
	v_cndmask_b32_e64 v38, 0, v28, s[0:1]
	v_cndmask_b32_sdwa v28, v91, v28, vcc dst_sel:DWORD dst_unused:UNUSED_PAD src0_sel:DWORD src1_sel:WORD_1
	v_cmp_gt_i32_e32 vcc, s35, v95
	v_cmp_gt_i32_e64 s[0:1], s21, v104
	v_perm_b32 v28, v28, v38, s26
	s_nop 0
	v_cndmask_b32_e64 v38, 0, v29, s[0:1]
	v_cndmask_b32_sdwa v29, v91, v29, vcc dst_sel:DWORD dst_unused:UNUSED_PAD src0_sel:DWORD src1_sel:WORD_1
	v_perm_b32 v29, v29, v38, s26
.LBB152_62:                             ;   in Loop: Header=BB152_50 Depth=1
	s_or_b64 exec, exec, s[16:17]
	v_add_co_u32_e32 v38, vcc, 0x1000, v48
	s_nop 1
	v_addc_co_u32_e32 v39, vcc, 0, v49, vcc
	global_load_dwordx4 v[38:41], v[38:39], off offset:3072
	s_and_saveexec_b64 s[16:17], s[2:3]
	s_cbranch_execz .LBB152_64
; %bb.63:                               ;   in Loop: Header=BB152_50 Depth=1
	v_cmp_gt_i32_e32 vcc, s35, v110
	v_cmp_gt_i32_e64 s[0:1], s21, v109
	s_waitcnt vmcnt(0)
	v_cndmask_b32_sdwa v42, v91, v38, vcc dst_sel:DWORD dst_unused:UNUSED_PAD src0_sel:DWORD src1_sel:WORD_1
	v_cmp_gt_i32_e32 vcc, s21, v105
	s_nop 1
	v_cndmask_b32_e32 v38, 0, v38, vcc
	v_cmp_gt_i32_e32 vcc, s35, v108
	v_perm_b32 v38, v42, v38, s26
	v_cndmask_b32_e64 v42, 0, v39, s[0:1]
	v_cndmask_b32_sdwa v39, v91, v39, vcc dst_sel:DWORD dst_unused:UNUSED_PAD src0_sel:DWORD src1_sel:WORD_1
	v_cmp_gt_i32_e32 vcc, s35, v106
	v_cmp_gt_i32_e64 s[0:1], s21, v107
	v_perm_b32 v39, v39, v42, s26
	s_nop 0
	v_cndmask_b32_e64 v42, 0, v40, s[0:1]
	v_cndmask_b32_sdwa v40, v91, v40, vcc dst_sel:DWORD dst_unused:UNUSED_PAD src0_sel:DWORD src1_sel:WORD_1
	v_cmp_gt_i32_e32 vcc, s35, v95
	v_cmp_gt_i32_e64 s[0:1], s21, v104
	v_perm_b32 v40, v40, v42, s26
	s_nop 0
	v_cndmask_b32_e64 v42, 0, v41, s[0:1]
	v_cndmask_b32_sdwa v41, v91, v41, vcc dst_sel:DWORD dst_unused:UNUSED_PAD src0_sel:DWORD src1_sel:WORD_1
	v_perm_b32 v41, v41, v42, s26
.LBB152_64:                             ;   in Loop: Header=BB152_50 Depth=1
	s_or_b64 exec, exec, s[16:17]
	v_add_co_u32_e32 v42, vcc, 0x2000, v48
	s_nop 1
	v_addc_co_u32_e32 v43, vcc, 0, v49, vcc
	global_load_dwordx4 v[42:45], v[42:43], off
	s_and_saveexec_b64 s[16:17], s[2:3]
	s_cbranch_execz .LBB152_66
; %bb.65:                               ;   in Loop: Header=BB152_50 Depth=1
	v_cmp_gt_i32_e32 vcc, s35, v110
	v_cmp_gt_i32_e64 s[0:1], s21, v109
	s_waitcnt vmcnt(0)
	v_cndmask_b32_sdwa v50, v91, v42, vcc dst_sel:DWORD dst_unused:UNUSED_PAD src0_sel:DWORD src1_sel:WORD_1
	v_cmp_gt_i32_e32 vcc, s21, v105
	s_nop 1
	v_cndmask_b32_e32 v42, 0, v42, vcc
	v_cmp_gt_i32_e32 vcc, s35, v108
	v_perm_b32 v42, v50, v42, s26
	v_cndmask_b32_e64 v50, 0, v43, s[0:1]
	v_cndmask_b32_sdwa v43, v91, v43, vcc dst_sel:DWORD dst_unused:UNUSED_PAD src0_sel:DWORD src1_sel:WORD_1
	v_cmp_gt_i32_e32 vcc, s35, v106
	v_cmp_gt_i32_e64 s[0:1], s21, v107
	v_perm_b32 v43, v43, v50, s26
	s_nop 0
	v_cndmask_b32_e64 v50, 0, v44, s[0:1]
	v_cndmask_b32_sdwa v44, v91, v44, vcc dst_sel:DWORD dst_unused:UNUSED_PAD src0_sel:DWORD src1_sel:WORD_1
	v_cmp_gt_i32_e32 vcc, s35, v95
	v_cmp_gt_i32_e64 s[0:1], s21, v104
	v_perm_b32 v44, v44, v50, s26
	s_nop 0
	v_cndmask_b32_e64 v50, 0, v45, s[0:1]
	v_cndmask_b32_sdwa v45, v91, v45, vcc dst_sel:DWORD dst_unused:UNUSED_PAD src0_sel:DWORD src1_sel:WORD_1
	v_perm_b32 v45, v45, v50, s26
.LBB152_66:                             ;   in Loop: Header=BB152_50 Depth=1
	s_or_b64 exec, exec, s[16:17]
	v_add_co_u32_e32 v50, vcc, 0x2000, v48
	s_nop 1
	v_addc_co_u32_e32 v51, vcc, 0, v49, vcc
	global_load_dwordx4 v[50:53], v[50:51], off offset:1024
	s_and_saveexec_b64 s[16:17], s[2:3]
	s_cbranch_execz .LBB152_68
; %bb.67:                               ;   in Loop: Header=BB152_50 Depth=1
	v_cmp_gt_i32_e32 vcc, s35, v110
	v_cmp_gt_i32_e64 s[0:1], s21, v109
	s_waitcnt vmcnt(0)
	v_cndmask_b32_sdwa v54, v91, v50, vcc dst_sel:DWORD dst_unused:UNUSED_PAD src0_sel:DWORD src1_sel:WORD_1
	v_cmp_gt_i32_e32 vcc, s21, v105
	s_nop 1
	v_cndmask_b32_e32 v50, 0, v50, vcc
	v_cmp_gt_i32_e32 vcc, s35, v108
	v_perm_b32 v50, v54, v50, s26
	v_cndmask_b32_e64 v54, 0, v51, s[0:1]
	v_cndmask_b32_sdwa v51, v91, v51, vcc dst_sel:DWORD dst_unused:UNUSED_PAD src0_sel:DWORD src1_sel:WORD_1
	v_cmp_gt_i32_e32 vcc, s35, v106
	v_cmp_gt_i32_e64 s[0:1], s21, v107
	v_perm_b32 v51, v51, v54, s26
	s_nop 0
	v_cndmask_b32_e64 v54, 0, v52, s[0:1]
	v_cndmask_b32_sdwa v52, v91, v52, vcc dst_sel:DWORD dst_unused:UNUSED_PAD src0_sel:DWORD src1_sel:WORD_1
	v_cmp_gt_i32_e32 vcc, s35, v95
	v_cmp_gt_i32_e64 s[0:1], s21, v104
	v_perm_b32 v52, v52, v54, s26
	s_nop 0
	v_cndmask_b32_e64 v54, 0, v53, s[0:1]
	v_cndmask_b32_sdwa v53, v91, v53, vcc dst_sel:DWORD dst_unused:UNUSED_PAD src0_sel:DWORD src1_sel:WORD_1
	v_perm_b32 v53, v53, v54, s26
.LBB152_68:                             ;   in Loop: Header=BB152_50 Depth=1
	s_or_b64 exec, exec, s[16:17]
	v_add_co_u32_e32 v54, vcc, 0x2000, v48
	s_nop 1
	v_addc_co_u32_e32 v55, vcc, 0, v49, vcc
	global_load_dwordx4 v[54:57], v[54:55], off offset:2048
	;; [unrolled: 33-line block ×3, first 2 shown]
	s_and_saveexec_b64 s[16:17], s[2:3]
	s_cbranch_execz .LBB152_72
; %bb.71:                               ;   in Loop: Header=BB152_50 Depth=1
	v_cmp_gt_i32_e32 vcc, s35, v110
	v_cmp_gt_i32_e64 s[0:1], s21, v109
	s_waitcnt vmcnt(0)
	v_cndmask_b32_sdwa v62, v91, v58, vcc dst_sel:DWORD dst_unused:UNUSED_PAD src0_sel:DWORD src1_sel:WORD_1
	v_cmp_gt_i32_e32 vcc, s21, v105
	s_nop 1
	v_cndmask_b32_e32 v58, 0, v58, vcc
	v_cmp_gt_i32_e32 vcc, s35, v108
	v_perm_b32 v58, v62, v58, s26
	v_cndmask_b32_e64 v62, 0, v59, s[0:1]
	v_cndmask_b32_sdwa v59, v91, v59, vcc dst_sel:DWORD dst_unused:UNUSED_PAD src0_sel:DWORD src1_sel:WORD_1
	v_cmp_gt_i32_e32 vcc, s35, v106
	v_cmp_gt_i32_e64 s[0:1], s21, v107
	v_perm_b32 v59, v59, v62, s26
	s_nop 0
	v_cndmask_b32_e64 v62, 0, v60, s[0:1]
	v_cndmask_b32_sdwa v60, v91, v60, vcc dst_sel:DWORD dst_unused:UNUSED_PAD src0_sel:DWORD src1_sel:WORD_1
	v_cmp_gt_i32_e32 vcc, s35, v95
	v_cmp_gt_i32_e64 s[0:1], s21, v104
	v_perm_b32 v60, v60, v62, s26
	s_nop 0
	v_cndmask_b32_e64 v62, 0, v61, s[0:1]
	v_cndmask_b32_sdwa v61, v91, v61, vcc dst_sel:DWORD dst_unused:UNUSED_PAD src0_sel:DWORD src1_sel:WORD_1
	v_perm_b32 v61, v61, v62, s26
.LBB152_72:                             ;   in Loop: Header=BB152_50 Depth=1
	s_or_b64 exec, exec, s[16:17]
	v_add_co_u32_e32 v62, vcc, 0x3000, v48
	s_nop 1
	v_addc_co_u32_e32 v63, vcc, 0, v49, vcc
	global_load_dwordx4 v[62:65], v[62:63], off
	s_and_saveexec_b64 s[16:17], s[2:3]
	s_cbranch_execz .LBB152_74
; %bb.73:                               ;   in Loop: Header=BB152_50 Depth=1
	v_cmp_gt_i32_e32 vcc, s35, v110
	v_cmp_gt_i32_e64 s[0:1], s21, v109
	s_waitcnt vmcnt(0)
	v_cndmask_b32_sdwa v66, v91, v62, vcc dst_sel:DWORD dst_unused:UNUSED_PAD src0_sel:DWORD src1_sel:WORD_1
	v_cmp_gt_i32_e32 vcc, s21, v105
	s_nop 1
	v_cndmask_b32_e32 v62, 0, v62, vcc
	v_cmp_gt_i32_e32 vcc, s35, v108
	v_perm_b32 v62, v66, v62, s26
	v_cndmask_b32_e64 v66, 0, v63, s[0:1]
	v_cndmask_b32_sdwa v63, v91, v63, vcc dst_sel:DWORD dst_unused:UNUSED_PAD src0_sel:DWORD src1_sel:WORD_1
	v_cmp_gt_i32_e32 vcc, s35, v106
	v_cmp_gt_i32_e64 s[0:1], s21, v107
	v_perm_b32 v63, v63, v66, s26
	s_nop 0
	v_cndmask_b32_e64 v66, 0, v64, s[0:1]
	v_cndmask_b32_sdwa v64, v91, v64, vcc dst_sel:DWORD dst_unused:UNUSED_PAD src0_sel:DWORD src1_sel:WORD_1
	v_cmp_gt_i32_e32 vcc, s35, v95
	v_cmp_gt_i32_e64 s[0:1], s21, v104
	v_perm_b32 v64, v64, v66, s26
	s_nop 0
	v_cndmask_b32_e64 v66, 0, v65, s[0:1]
	v_cndmask_b32_sdwa v65, v91, v65, vcc dst_sel:DWORD dst_unused:UNUSED_PAD src0_sel:DWORD src1_sel:WORD_1
	v_perm_b32 v65, v65, v66, s26
.LBB152_74:                             ;   in Loop: Header=BB152_50 Depth=1
	s_or_b64 exec, exec, s[16:17]
	v_add_co_u32_e32 v66, vcc, 0x3000, v48
	s_nop 1
	v_addc_co_u32_e32 v67, vcc, 0, v49, vcc
	global_load_dwordx4 v[66:69], v[66:67], off offset:1024
	s_and_saveexec_b64 s[16:17], s[2:3]
	s_cbranch_execz .LBB152_76
; %bb.75:                               ;   in Loop: Header=BB152_50 Depth=1
	v_cmp_gt_i32_e32 vcc, s35, v110
	v_cmp_gt_i32_e64 s[0:1], s21, v109
	s_waitcnt vmcnt(0)
	v_cndmask_b32_sdwa v70, v91, v66, vcc dst_sel:DWORD dst_unused:UNUSED_PAD src0_sel:DWORD src1_sel:WORD_1
	v_cmp_gt_i32_e32 vcc, s21, v105
	s_nop 1
	v_cndmask_b32_e32 v66, 0, v66, vcc
	v_cmp_gt_i32_e32 vcc, s35, v108
	v_perm_b32 v66, v70, v66, s26
	v_cndmask_b32_e64 v70, 0, v67, s[0:1]
	v_cndmask_b32_sdwa v67, v91, v67, vcc dst_sel:DWORD dst_unused:UNUSED_PAD src0_sel:DWORD src1_sel:WORD_1
	v_cmp_gt_i32_e32 vcc, s35, v106
	v_cmp_gt_i32_e64 s[0:1], s21, v107
	v_perm_b32 v67, v67, v70, s26
	s_nop 0
	v_cndmask_b32_e64 v70, 0, v68, s[0:1]
	v_cndmask_b32_sdwa v68, v91, v68, vcc dst_sel:DWORD dst_unused:UNUSED_PAD src0_sel:DWORD src1_sel:WORD_1
	v_cmp_gt_i32_e32 vcc, s35, v95
	v_cmp_gt_i32_e64 s[0:1], s21, v104
	v_perm_b32 v68, v68, v70, s26
	s_nop 0
	v_cndmask_b32_e64 v70, 0, v69, s[0:1]
	v_cndmask_b32_sdwa v69, v91, v69, vcc dst_sel:DWORD dst_unused:UNUSED_PAD src0_sel:DWORD src1_sel:WORD_1
	v_perm_b32 v69, v69, v70, s26
.LBB152_76:                             ;   in Loop: Header=BB152_50 Depth=1
	s_or_b64 exec, exec, s[16:17]
	v_add_co_u32_e32 v48, vcc, 0x3000, v48
	s_nop 1
	v_addc_co_u32_e32 v49, vcc, 0, v49, vcc
	global_load_dwordx4 v[70:73], v[48:49], off offset:2048
	s_and_saveexec_b64 s[16:17], s[2:3]
	s_cbranch_execz .LBB152_78
; %bb.77:                               ;   in Loop: Header=BB152_50 Depth=1
	v_cmp_gt_i32_e32 vcc, s35, v110
	v_cmp_gt_i32_e64 s[0:1], s21, v109
	s_waitcnt vmcnt(0)
	v_cndmask_b32_sdwa v48, v91, v70, vcc dst_sel:DWORD dst_unused:UNUSED_PAD src0_sel:DWORD src1_sel:WORD_1
	v_cmp_gt_i32_e32 vcc, s21, v105
	s_nop 1
	v_cndmask_b32_e32 v49, 0, v70, vcc
	v_cmp_gt_i32_e32 vcc, s35, v108
	v_perm_b32 v70, v48, v49, s26
	v_cndmask_b32_e64 v48, 0, v71, s[0:1]
	v_cndmask_b32_sdwa v49, v91, v71, vcc dst_sel:DWORD dst_unused:UNUSED_PAD src0_sel:DWORD src1_sel:WORD_1
	v_cmp_gt_i32_e32 vcc, s35, v106
	v_cmp_gt_i32_e64 s[0:1], s21, v107
	v_perm_b32 v71, v49, v48, s26
	v_cndmask_b32_sdwa v49, v91, v72, vcc dst_sel:DWORD dst_unused:UNUSED_PAD src0_sel:DWORD src1_sel:WORD_1
	v_cndmask_b32_e64 v48, 0, v72, s[0:1]
	v_cmp_gt_i32_e32 vcc, s35, v95
	v_cmp_gt_i32_e64 s[0:1], s21, v104
	v_perm_b32 v72, v49, v48, s26
	v_cndmask_b32_sdwa v49, v91, v73, vcc dst_sel:DWORD dst_unused:UNUSED_PAD src0_sel:DWORD src1_sel:WORD_1
	v_cndmask_b32_e64 v48, 0, v73, s[0:1]
	v_perm_b32 v73, v49, v48, s26
.LBB152_78:                             ;   in Loop: Header=BB152_50 Depth=1
	s_or_b64 exec, exec, s[16:17]
	v_lshl_add_u64 v[46:47], v[46:47], 0, v[90:91]
	global_load_dwordx4 v[46:49], v[46:47], off
	s_and_saveexec_b64 s[16:17], s[2:3]
	s_cbranch_execz .LBB152_48
; %bb.79:                               ;   in Loop: Header=BB152_50 Depth=1
	v_cmp_gt_i32_e32 vcc, s35, v110
	v_cmp_gt_i32_e64 s[0:1], s21, v109
	s_waitcnt vmcnt(0)
	v_cndmask_b32_sdwa v110, v91, v46, vcc dst_sel:DWORD dst_unused:UNUSED_PAD src0_sel:DWORD src1_sel:WORD_1
	v_cmp_gt_i32_e32 vcc, s21, v105
	v_cndmask_b32_e64 v105, 0, v47, s[0:1]
	v_cmp_gt_i32_e64 s[0:1], s21, v107
	v_cndmask_b32_e32 v46, 0, v46, vcc
	v_cmp_gt_i32_e32 vcc, s35, v108
	v_perm_b32 v46, v110, v46, s26
	s_nop 0
	v_cndmask_b32_sdwa v47, v91, v47, vcc dst_sel:DWORD dst_unused:UNUSED_PAD src0_sel:DWORD src1_sel:WORD_1
	v_cmp_gt_i32_e32 vcc, s35, v106
	v_perm_b32 v47, v47, v105, s26
	v_cndmask_b32_e64 v105, 0, v48, s[0:1]
	v_cndmask_b32_sdwa v48, v91, v48, vcc dst_sel:DWORD dst_unused:UNUSED_PAD src0_sel:DWORD src1_sel:WORD_1
	v_cmp_gt_i32_e32 vcc, s35, v95
	v_cmp_gt_i32_e64 s[0:1], s21, v104
	v_perm_b32 v48, v48, v105, s26
	s_nop 0
	v_cndmask_b32_e64 v95, 0, v49, s[0:1]
	v_cndmask_b32_sdwa v49, v91, v49, vcc dst_sel:DWORD dst_unused:UNUSED_PAD src0_sel:DWORD src1_sel:WORD_1
	v_perm_b32 v49, v49, v95, s26
	s_branch .LBB152_48
.LBB152_80:                             ;   in Loop: Header=BB152_50 Depth=1
	v_cmp_gt_i32_e32 vcc, s35, v110
	v_cmp_gt_i32_e64 s[0:1], s21, v109
	s_waitcnt vmcnt(0)
	v_cndmask_b32_sdwa v6, v91, v2, vcc dst_sel:DWORD dst_unused:UNUSED_PAD src0_sel:DWORD src1_sel:WORD_1
	v_cmp_gt_i32_e32 vcc, s21, v105
	s_nop 1
	v_cndmask_b32_e32 v2, 0, v2, vcc
	v_cmp_gt_i32_e32 vcc, s35, v108
	v_perm_b32 v2, v6, v2, s26
	v_cndmask_b32_e64 v6, 0, v3, s[0:1]
	v_cndmask_b32_sdwa v3, v91, v3, vcc dst_sel:DWORD dst_unused:UNUSED_PAD src0_sel:DWORD src1_sel:WORD_1
	v_cmp_gt_i32_e32 vcc, s35, v106
	v_cmp_gt_i32_e64 s[0:1], s21, v107
	v_perm_b32 v3, v3, v6, s26
	s_nop 0
	v_cndmask_b32_e64 v6, 0, v4, s[0:1]
	v_cndmask_b32_sdwa v4, v91, v4, vcc dst_sel:DWORD dst_unused:UNUSED_PAD src0_sel:DWORD src1_sel:WORD_1
	v_cmp_gt_i32_e32 vcc, s35, v95
	v_cmp_gt_i32_e64 s[0:1], s21, v104
	v_perm_b32 v4, v4, v6, s26
	s_nop 0
	v_cndmask_b32_e64 v6, 0, v5, s[0:1]
	v_cndmask_b32_sdwa v5, v91, v5, vcc dst_sel:DWORD dst_unused:UNUSED_PAD src0_sel:DWORD src1_sel:WORD_1
	v_perm_b32 v5, v5, v6, s26
	s_or_b64 exec, exec, s[16:17]
	global_load_dwordx4 v[6:9], v[48:49], off offset:1024
	s_and_saveexec_b64 s[16:17], s[2:3]
	s_cbranch_execz .LBB152_53
.LBB152_81:                             ;   in Loop: Header=BB152_50 Depth=1
	v_cmp_gt_i32_e32 vcc, s35, v110
	v_cmp_gt_i32_e64 s[0:1], s21, v109
	s_waitcnt vmcnt(0)
	v_cndmask_b32_sdwa v10, v91, v6, vcc dst_sel:DWORD dst_unused:UNUSED_PAD src0_sel:DWORD src1_sel:WORD_1
	v_cmp_gt_i32_e32 vcc, s21, v105
	s_nop 1
	v_cndmask_b32_e32 v6, 0, v6, vcc
	v_cmp_gt_i32_e32 vcc, s35, v108
	v_perm_b32 v6, v10, v6, s26
	v_cndmask_b32_e64 v10, 0, v7, s[0:1]
	v_cndmask_b32_sdwa v7, v91, v7, vcc dst_sel:DWORD dst_unused:UNUSED_PAD src0_sel:DWORD src1_sel:WORD_1
	v_cmp_gt_i32_e32 vcc, s35, v106
	v_cmp_gt_i32_e64 s[0:1], s21, v107
	v_perm_b32 v7, v7, v10, s26
	s_nop 0
	v_cndmask_b32_e64 v10, 0, v8, s[0:1]
	v_cndmask_b32_sdwa v8, v91, v8, vcc dst_sel:DWORD dst_unused:UNUSED_PAD src0_sel:DWORD src1_sel:WORD_1
	v_cmp_gt_i32_e32 vcc, s35, v95
	v_cmp_gt_i32_e64 s[0:1], s21, v104
	v_perm_b32 v8, v8, v10, s26
	s_nop 0
	v_cndmask_b32_e64 v10, 0, v9, s[0:1]
	v_cndmask_b32_sdwa v9, v91, v9, vcc dst_sel:DWORD dst_unused:UNUSED_PAD src0_sel:DWORD src1_sel:WORD_1
	v_perm_b32 v9, v9, v10, s26
	s_or_b64 exec, exec, s[16:17]
	global_load_dwordx4 v[10:13], v[48:49], off offset:2048
	s_and_saveexec_b64 s[16:17], s[2:3]
	s_cbranch_execz .LBB152_54
.LBB152_82:                             ;   in Loop: Header=BB152_50 Depth=1
	v_cmp_gt_i32_e32 vcc, s35, v110
	v_cmp_gt_i32_e64 s[0:1], s21, v109
	s_waitcnt vmcnt(0)
	v_cndmask_b32_sdwa v14, v91, v10, vcc dst_sel:DWORD dst_unused:UNUSED_PAD src0_sel:DWORD src1_sel:WORD_1
	v_cmp_gt_i32_e32 vcc, s21, v105
	s_nop 1
	v_cndmask_b32_e32 v10, 0, v10, vcc
	v_cmp_gt_i32_e32 vcc, s35, v108
	v_perm_b32 v10, v14, v10, s26
	v_cndmask_b32_e64 v14, 0, v11, s[0:1]
	v_cndmask_b32_sdwa v11, v91, v11, vcc dst_sel:DWORD dst_unused:UNUSED_PAD src0_sel:DWORD src1_sel:WORD_1
	v_cmp_gt_i32_e32 vcc, s35, v106
	v_cmp_gt_i32_e64 s[0:1], s21, v107
	v_perm_b32 v11, v11, v14, s26
	s_nop 0
	v_cndmask_b32_e64 v14, 0, v12, s[0:1]
	v_cndmask_b32_sdwa v12, v91, v12, vcc dst_sel:DWORD dst_unused:UNUSED_PAD src0_sel:DWORD src1_sel:WORD_1
	v_cmp_gt_i32_e32 vcc, s35, v95
	v_cmp_gt_i32_e64 s[0:1], s21, v104
	v_perm_b32 v12, v12, v14, s26
	s_nop 0
	v_cndmask_b32_e64 v14, 0, v13, s[0:1]
	v_cndmask_b32_sdwa v13, v91, v13, vcc dst_sel:DWORD dst_unused:UNUSED_PAD src0_sel:DWORD src1_sel:WORD_1
	v_perm_b32 v13, v13, v14, s26
	s_or_b64 exec, exec, s[16:17]
	global_load_dwordx4 v[14:17], v[48:49], off offset:3072
	s_and_saveexec_b64 s[16:17], s[2:3]
	s_cbranch_execnz .LBB152_55
	s_branch .LBB152_56
.LBB152_83:
	s_or_b64 exec, exec, s[12:13]
.LBB152_84:
	s_or_b64 exec, exec, s[8:9]
	ds_bpermute_b32 v2, v98, v88
	ds_bpermute_b32 v3, v98, v89
	;; [unrolled: 1-line block ×6, first 2 shown]
	s_waitcnt lgkmcnt(4)
	v_pk_add_f32 v[2:3], v[88:89], v[2:3]
	ds_bpermute_b32 v6, v99, v2
	ds_bpermute_b32 v7, v99, v3
	s_waitcnt lgkmcnt(4)
	v_pk_add_f32 v[4:5], v[86:87], v[4:5]
	ds_bpermute_b32 v10, v99, v4
	ds_bpermute_b32 v11, v99, v5
	;; [unrolled: 1-line block ×3, first 2 shown]
	s_waitcnt lgkmcnt(3)
	v_pk_add_f32 v[2:3], v[2:3], v[6:7]
	v_pk_add_f32 v[6:7], v[84:85], v[8:9]
	ds_bpermute_b32 v8, v99, v6
	ds_bpermute_b32 v9, v99, v7
	;; [unrolled: 1-line block ×3, first 2 shown]
	s_waitcnt lgkmcnt(4)
	v_pk_add_f32 v[4:5], v[4:5], v[10:11]
	ds_bpermute_b32 v10, v98, v80
	ds_bpermute_b32 v11, v98, v81
	;; [unrolled: 1-line block ×4, first 2 shown]
	s_waitcnt lgkmcnt(5)
	v_pk_add_f32 v[6:7], v[6:7], v[8:9]
	s_waitcnt lgkmcnt(4)
	v_pk_add_f32 v[8:9], v[82:83], v[12:13]
	;; [unrolled: 2-line block ×3, first 2 shown]
	ds_bpermute_b32 v14, v98, v78
	ds_bpermute_b32 v15, v98, v79
	;; [unrolled: 1-line block ×6, first 2 shown]
	s_waitcnt lgkmcnt(6)
	v_pk_add_f32 v[18:19], v[76:77], v[18:19]
	ds_bpermute_b32 v26, v98, v74
	ds_bpermute_b32 v27, v98, v75
	;; [unrolled: 1-line block ×4, first 2 shown]
	s_waitcnt lgkmcnt(8)
	v_pk_add_f32 v[20:21], v[78:79], v[14:15]
	ds_bpermute_b32 v22, v99, v20
	ds_bpermute_b32 v23, v99, v21
	s_waitcnt lgkmcnt(8)
	v_pk_add_f32 v[14:15], v[8:9], v[12:13]
	s_waitcnt lgkmcnt(6)
	v_pk_add_f32 v[12:13], v[10:11], v[16:17]
	;; [unrolled: 2-line block ×4, first 2 shown]
	ds_bpermute_b32 v18, v99, v16
	ds_bpermute_b32 v19, v99, v17
	v_and_b32_e32 v1, 0x3c3, v0
	s_waitcnt lgkmcnt(2)
	v_pk_add_f32 v[10:11], v[20:21], v[22:23]
	v_cmp_ne_u32_e32 vcc, 64, v1
	s_waitcnt lgkmcnt(0)
	s_barrier
	s_and_saveexec_b64 s[0:1], vcc
	s_xor_b64 s[0:1], exec, s[0:1]
; %bb.85:
                                        ; implicit-def: $vgpr97
; %bb.86:
	s_or_saveexec_b64 s[0:1], s[0:1]
	v_pk_add_f32 v[16:17], v[16:17], v[18:19]
	s_xor_b64 exec, exec, s[0:1]
	s_cbranch_execz .LBB152_88
; %bb.87:
	v_add_u32_e32 v18, 0x210, v97
	ds_write2_b32 v18, v2, v3 offset1:16
	ds_write2_b32 v18, v4, v5 offset0:32 offset1:48
	ds_write2_b32 v18, v6, v7 offset0:64 offset1:80
	;; [unrolled: 1-line block ×7, first 2 shown]
.LBB152_88:
	s_or_b64 exec, exec, s[0:1]
	v_lshrrev_b32_e32 v0, 2, v0
	s_waitcnt lgkmcnt(0)
	s_barrier
	s_and_saveexec_b64 s[0:1], s[6:7]
	s_cbranch_execz .LBB152_107
; %bb.89:
	v_mov_b32_e32 v18, 0x210
	v_cmp_eq_u32_e32 vcc, 0, v100
	v_lshl_add_u32 v18, v0, 2, v18
	s_and_saveexec_b64 s[2:3], vcc
	s_cbranch_execnz .LBB152_110
; %bb.90:
	s_or_b64 exec, exec, s[2:3]
	s_and_saveexec_b64 s[2:3], vcc
	s_cbranch_execnz .LBB152_111
.LBB152_91:
	s_or_b64 exec, exec, s[2:3]
	s_and_saveexec_b64 s[2:3], vcc
	s_cbranch_execnz .LBB152_112
.LBB152_92:
	s_or_b64 exec, exec, s[2:3]
	s_and_saveexec_b64 s[2:3], vcc
	s_cbranch_execnz .LBB152_113
.LBB152_93:
	s_or_b64 exec, exec, s[2:3]
	s_and_saveexec_b64 s[2:3], vcc
	s_cbranch_execnz .LBB152_114
.LBB152_94:
	s_or_b64 exec, exec, s[2:3]
	s_and_saveexec_b64 s[2:3], vcc
	s_cbranch_execnz .LBB152_115
.LBB152_95:
	s_or_b64 exec, exec, s[2:3]
	s_and_saveexec_b64 s[2:3], vcc
	s_cbranch_execnz .LBB152_116
.LBB152_96:
	s_or_b64 exec, exec, s[2:3]
	s_and_saveexec_b64 s[2:3], vcc
	s_cbranch_execnz .LBB152_117
.LBB152_97:
	s_or_b64 exec, exec, s[2:3]
	s_and_saveexec_b64 s[2:3], vcc
	s_cbranch_execnz .LBB152_118
.LBB152_98:
	s_or_b64 exec, exec, s[2:3]
	s_and_saveexec_b64 s[2:3], vcc
	s_cbranch_execnz .LBB152_119
.LBB152_99:
	s_or_b64 exec, exec, s[2:3]
	s_and_saveexec_b64 s[2:3], vcc
	s_cbranch_execnz .LBB152_120
.LBB152_100:
	s_or_b64 exec, exec, s[2:3]
	s_and_saveexec_b64 s[2:3], vcc
	s_cbranch_execnz .LBB152_121
.LBB152_101:
	s_or_b64 exec, exec, s[2:3]
	s_and_saveexec_b64 s[2:3], vcc
	s_cbranch_execnz .LBB152_122
.LBB152_102:
	s_or_b64 exec, exec, s[2:3]
	s_and_saveexec_b64 s[2:3], vcc
	s_cbranch_execnz .LBB152_123
.LBB152_103:
	s_or_b64 exec, exec, s[2:3]
	s_and_saveexec_b64 s[2:3], vcc
	s_cbranch_execnz .LBB152_124
.LBB152_104:
	s_or_b64 exec, exec, s[2:3]
	s_and_saveexec_b64 s[2:3], vcc
	s_cbranch_execz .LBB152_106
.LBB152_105:
	ds_read_b32 v18, v18 offset:960
	s_waitcnt lgkmcnt(0)
	v_add_f32_e32 v17, v17, v18
.LBB152_106:
	s_or_b64 exec, exec, s[2:3]
.LBB152_107:
	s_or_b64 exec, exec, s[0:1]
	v_cmp_eq_u32_e32 vcc, 0, v1
	s_barrier
	s_and_saveexec_b64 s[0:1], vcc
	s_cbranch_execz .LBB152_109
; %bb.108:
	s_mul_i32 s0, s20, s19
	s_mul_i32 s0, s0, s5
	s_lshl_b32 s0, s0, 8
	s_ashr_i32 s1, s0, 31
	s_lshl_b64 s[0:1], s[0:1], 1
	s_add_u32 s2, s24, s0
	s_mul_i32 s0, s19, s22
	s_addc_u32 s3, s25, s1
	s_ashr_i32 s1, s0, 31
	s_lshl_b64 s[0:1], s[0:1], 1
	s_add_u32 s2, s2, s0
	s_addc_u32 s3, s3, s1
	s_lshl_b32 s0, s4, 8
	s_ashr_i32 s1, s0, 31
	s_lshl_b64 s[0:1], s[0:1], 1
	s_add_u32 s0, s2, s0
	s_addc_u32 s1, s3, s1
	v_lshlrev_b32_e32 v0, 1, v0
	v_cvt_pk_bf16_f32 v1, v2, s0
	global_store_short v0, v1, s[0:1]
	v_cvt_pk_bf16_f32 v1, v3, s0
	global_store_short v0, v1, s[0:1] offset:32
	v_cvt_pk_bf16_f32 v1, v4, s0
	global_store_short v0, v1, s[0:1] offset:64
	;; [unrolled: 2-line block ×15, first 2 shown]
.LBB152_109:
	s_endpgm
.LBB152_110:
	ds_read_b32 v19, v18
	s_waitcnt lgkmcnt(0)
	v_add_f32_e32 v2, v2, v19
	s_or_b64 exec, exec, s[2:3]
	s_and_saveexec_b64 s[2:3], vcc
	s_cbranch_execz .LBB152_91
.LBB152_111:
	ds_read_b32 v19, v18 offset:64
	s_waitcnt lgkmcnt(0)
	v_add_f32_e32 v3, v3, v19
	s_or_b64 exec, exec, s[2:3]
	s_and_saveexec_b64 s[2:3], vcc
	s_cbranch_execz .LBB152_92
.LBB152_112:
	ds_read_b32 v19, v18 offset:128
	s_waitcnt lgkmcnt(0)
	v_add_f32_e32 v4, v4, v19
	s_or_b64 exec, exec, s[2:3]
	s_and_saveexec_b64 s[2:3], vcc
	s_cbranch_execz .LBB152_93
.LBB152_113:
	ds_read_b32 v19, v18 offset:192
	s_waitcnt lgkmcnt(0)
	v_add_f32_e32 v5, v5, v19
	s_or_b64 exec, exec, s[2:3]
	s_and_saveexec_b64 s[2:3], vcc
	s_cbranch_execz .LBB152_94
.LBB152_114:
	ds_read_b32 v19, v18 offset:256
	s_waitcnt lgkmcnt(0)
	v_add_f32_e32 v6, v6, v19
	s_or_b64 exec, exec, s[2:3]
	s_and_saveexec_b64 s[2:3], vcc
	s_cbranch_execz .LBB152_95
.LBB152_115:
	ds_read_b32 v19, v18 offset:320
	s_waitcnt lgkmcnt(0)
	v_add_f32_e32 v7, v7, v19
	s_or_b64 exec, exec, s[2:3]
	s_and_saveexec_b64 s[2:3], vcc
	s_cbranch_execz .LBB152_96
.LBB152_116:
	ds_read_b32 v19, v18 offset:384
	s_waitcnt lgkmcnt(0)
	v_add_f32_e32 v14, v14, v19
	s_or_b64 exec, exec, s[2:3]
	s_and_saveexec_b64 s[2:3], vcc
	s_cbranch_execz .LBB152_97
.LBB152_117:
	ds_read_b32 v19, v18 offset:448
	s_waitcnt lgkmcnt(0)
	v_add_f32_e32 v15, v15, v19
	s_or_b64 exec, exec, s[2:3]
	s_and_saveexec_b64 s[2:3], vcc
	s_cbranch_execz .LBB152_98
.LBB152_118:
	ds_read_b32 v19, v18 offset:512
	s_waitcnt lgkmcnt(0)
	v_add_f32_e32 v12, v12, v19
	s_or_b64 exec, exec, s[2:3]
	s_and_saveexec_b64 s[2:3], vcc
	s_cbranch_execz .LBB152_99
.LBB152_119:
	ds_read_b32 v19, v18 offset:576
	s_waitcnt lgkmcnt(0)
	v_add_f32_e32 v13, v13, v19
	s_or_b64 exec, exec, s[2:3]
	s_and_saveexec_b64 s[2:3], vcc
	s_cbranch_execz .LBB152_100
.LBB152_120:
	ds_read_b32 v19, v18 offset:640
	s_waitcnt lgkmcnt(0)
	v_add_f32_e32 v10, v10, v19
	s_or_b64 exec, exec, s[2:3]
	s_and_saveexec_b64 s[2:3], vcc
	s_cbranch_execz .LBB152_101
.LBB152_121:
	ds_read_b32 v19, v18 offset:704
	s_waitcnt lgkmcnt(0)
	v_add_f32_e32 v11, v11, v19
	s_or_b64 exec, exec, s[2:3]
	s_and_saveexec_b64 s[2:3], vcc
	s_cbranch_execz .LBB152_102
.LBB152_122:
	ds_read_b32 v19, v18 offset:768
	s_waitcnt lgkmcnt(0)
	v_add_f32_e32 v8, v8, v19
	s_or_b64 exec, exec, s[2:3]
	s_and_saveexec_b64 s[2:3], vcc
	s_cbranch_execz .LBB152_103
.LBB152_123:
	ds_read_b32 v19, v18 offset:832
	s_waitcnt lgkmcnt(0)
	v_add_f32_e32 v9, v9, v19
	s_or_b64 exec, exec, s[2:3]
	s_and_saveexec_b64 s[2:3], vcc
	s_cbranch_execz .LBB152_104
.LBB152_124:
	ds_read_b32 v19, v18 offset:896
	s_waitcnt lgkmcnt(0)
	v_add_f32_e32 v16, v16, v19
	s_or_b64 exec, exec, s[2:3]
	s_and_saveexec_b64 s[2:3], vcc
	s_cbranch_execnz .LBB152_105
	s_branch .LBB152_106
	.section	.rodata,"a",@progbits
	.p2align	6, 0x0
	.amdhsa_kernel _ZN4vllm25paged_attention_v1_kernelI14__hip_bfloat16S1_Li256ELi32ELi128ELNS_18Fp8KVCacheDataTypeE0ELb1EEEvPT_PKS3_PKT0_S9_ifPKiSB_iPKfiiiSD_SD_iiiii
		.amdhsa_group_segment_fixed_size 528
		.amdhsa_private_segment_fixed_size 0
		.amdhsa_kernarg_size 384
		.amdhsa_user_sgpr_count 2
		.amdhsa_user_sgpr_dispatch_ptr 0
		.amdhsa_user_sgpr_queue_ptr 0
		.amdhsa_user_sgpr_kernarg_segment_ptr 1
		.amdhsa_user_sgpr_dispatch_id 0
		.amdhsa_user_sgpr_kernarg_preload_length 0
		.amdhsa_user_sgpr_kernarg_preload_offset 0
		.amdhsa_user_sgpr_private_segment_size 0
		.amdhsa_uses_dynamic_stack 0
		.amdhsa_enable_private_segment 0
		.amdhsa_system_sgpr_workgroup_id_x 1
		.amdhsa_system_sgpr_workgroup_id_y 1
		.amdhsa_system_sgpr_workgroup_id_z 1
		.amdhsa_system_sgpr_workgroup_info 0
		.amdhsa_system_vgpr_workitem_id 0
		.amdhsa_next_free_vgpr 111
		.amdhsa_next_free_sgpr 49
		.amdhsa_accum_offset 112
		.amdhsa_reserve_vcc 1
		.amdhsa_float_round_mode_32 0
		.amdhsa_float_round_mode_16_64 0
		.amdhsa_float_denorm_mode_32 3
		.amdhsa_float_denorm_mode_16_64 3
		.amdhsa_dx10_clamp 1
		.amdhsa_ieee_mode 1
		.amdhsa_fp16_overflow 0
		.amdhsa_tg_split 0
		.amdhsa_exception_fp_ieee_invalid_op 0
		.amdhsa_exception_fp_denorm_src 0
		.amdhsa_exception_fp_ieee_div_zero 0
		.amdhsa_exception_fp_ieee_overflow 0
		.amdhsa_exception_fp_ieee_underflow 0
		.amdhsa_exception_fp_ieee_inexact 0
		.amdhsa_exception_int_div_zero 0
	.end_amdhsa_kernel
	.section	.text._ZN4vllm25paged_attention_v1_kernelI14__hip_bfloat16S1_Li256ELi32ELi128ELNS_18Fp8KVCacheDataTypeE0ELb1EEEvPT_PKS3_PKT0_S9_ifPKiSB_iPKfiiiSD_SD_iiiii,"axG",@progbits,_ZN4vllm25paged_attention_v1_kernelI14__hip_bfloat16S1_Li256ELi32ELi128ELNS_18Fp8KVCacheDataTypeE0ELb1EEEvPT_PKS3_PKT0_S9_ifPKiSB_iPKfiiiSD_SD_iiiii,comdat
.Lfunc_end152:
	.size	_ZN4vllm25paged_attention_v1_kernelI14__hip_bfloat16S1_Li256ELi32ELi128ELNS_18Fp8KVCacheDataTypeE0ELb1EEEvPT_PKS3_PKT0_S9_ifPKiSB_iPKfiiiSD_SD_iiiii, .Lfunc_end152-_ZN4vllm25paged_attention_v1_kernelI14__hip_bfloat16S1_Li256ELi32ELi128ELNS_18Fp8KVCacheDataTypeE0ELb1EEEvPT_PKS3_PKT0_S9_ifPKiSB_iPKfiiiSD_SD_iiiii
                                        ; -- End function
	.set _ZN4vllm25paged_attention_v1_kernelI14__hip_bfloat16S1_Li256ELi32ELi128ELNS_18Fp8KVCacheDataTypeE0ELb1EEEvPT_PKS3_PKT0_S9_ifPKiSB_iPKfiiiSD_SD_iiiii.num_vgpr, 111
	.set _ZN4vllm25paged_attention_v1_kernelI14__hip_bfloat16S1_Li256ELi32ELi128ELNS_18Fp8KVCacheDataTypeE0ELb1EEEvPT_PKS3_PKT0_S9_ifPKiSB_iPKfiiiSD_SD_iiiii.num_agpr, 0
	.set _ZN4vllm25paged_attention_v1_kernelI14__hip_bfloat16S1_Li256ELi32ELi128ELNS_18Fp8KVCacheDataTypeE0ELb1EEEvPT_PKS3_PKT0_S9_ifPKiSB_iPKfiiiSD_SD_iiiii.numbered_sgpr, 49
	.set _ZN4vllm25paged_attention_v1_kernelI14__hip_bfloat16S1_Li256ELi32ELi128ELNS_18Fp8KVCacheDataTypeE0ELb1EEEvPT_PKS3_PKT0_S9_ifPKiSB_iPKfiiiSD_SD_iiiii.num_named_barrier, 0
	.set _ZN4vllm25paged_attention_v1_kernelI14__hip_bfloat16S1_Li256ELi32ELi128ELNS_18Fp8KVCacheDataTypeE0ELb1EEEvPT_PKS3_PKT0_S9_ifPKiSB_iPKfiiiSD_SD_iiiii.private_seg_size, 0
	.set _ZN4vllm25paged_attention_v1_kernelI14__hip_bfloat16S1_Li256ELi32ELi128ELNS_18Fp8KVCacheDataTypeE0ELb1EEEvPT_PKS3_PKT0_S9_ifPKiSB_iPKfiiiSD_SD_iiiii.uses_vcc, 1
	.set _ZN4vllm25paged_attention_v1_kernelI14__hip_bfloat16S1_Li256ELi32ELi128ELNS_18Fp8KVCacheDataTypeE0ELb1EEEvPT_PKS3_PKT0_S9_ifPKiSB_iPKfiiiSD_SD_iiiii.uses_flat_scratch, 0
	.set _ZN4vllm25paged_attention_v1_kernelI14__hip_bfloat16S1_Li256ELi32ELi128ELNS_18Fp8KVCacheDataTypeE0ELb1EEEvPT_PKS3_PKT0_S9_ifPKiSB_iPKfiiiSD_SD_iiiii.has_dyn_sized_stack, 0
	.set _ZN4vllm25paged_attention_v1_kernelI14__hip_bfloat16S1_Li256ELi32ELi128ELNS_18Fp8KVCacheDataTypeE0ELb1EEEvPT_PKS3_PKT0_S9_ifPKiSB_iPKfiiiSD_SD_iiiii.has_recursion, 0
	.set _ZN4vllm25paged_attention_v1_kernelI14__hip_bfloat16S1_Li256ELi32ELi128ELNS_18Fp8KVCacheDataTypeE0ELb1EEEvPT_PKS3_PKT0_S9_ifPKiSB_iPKfiiiSD_SD_iiiii.has_indirect_call, 0
	.section	.AMDGPU.csdata,"",@progbits
; Kernel info:
; codeLenInByte = 14136
; TotalNumSgprs: 55
; NumVgprs: 111
; NumAgprs: 0
; TotalNumVgprs: 111
; ScratchSize: 0
; MemoryBound: 0
; FloatMode: 240
; IeeeMode: 1
; LDSByteSize: 528 bytes/workgroup (compile time only)
; SGPRBlocks: 6
; VGPRBlocks: 13
; NumSGPRsForWavesPerEU: 55
; NumVGPRsForWavesPerEU: 111
; AccumOffset: 112
; Occupancy: 4
; WaveLimiterHint : 1
; COMPUTE_PGM_RSRC2:SCRATCH_EN: 0
; COMPUTE_PGM_RSRC2:USER_SGPR: 2
; COMPUTE_PGM_RSRC2:TRAP_HANDLER: 0
; COMPUTE_PGM_RSRC2:TGID_X_EN: 1
; COMPUTE_PGM_RSRC2:TGID_Y_EN: 1
; COMPUTE_PGM_RSRC2:TGID_Z_EN: 1
; COMPUTE_PGM_RSRC2:TIDIG_COMP_CNT: 0
; COMPUTE_PGM_RSRC3_GFX90A:ACCUM_OFFSET: 27
; COMPUTE_PGM_RSRC3_GFX90A:TG_SPLIT: 0
	.section	.text._ZN4vllm25paged_attention_v1_kernelI14__hip_bfloat16S1_Li32ELi32ELi128ELNS_18Fp8KVCacheDataTypeE0ELb0EEEvPT_PKS3_PKT0_S9_ifPKiSB_iPKfiiiSD_SD_iiiii,"axG",@progbits,_ZN4vllm25paged_attention_v1_kernelI14__hip_bfloat16S1_Li32ELi32ELi128ELNS_18Fp8KVCacheDataTypeE0ELb0EEEvPT_PKS3_PKT0_S9_ifPKiSB_iPKfiiiSD_SD_iiiii,comdat
	.protected	_ZN4vllm25paged_attention_v1_kernelI14__hip_bfloat16S1_Li32ELi32ELi128ELNS_18Fp8KVCacheDataTypeE0ELb0EEEvPT_PKS3_PKT0_S9_ifPKiSB_iPKfiiiSD_SD_iiiii ; -- Begin function _ZN4vllm25paged_attention_v1_kernelI14__hip_bfloat16S1_Li32ELi32ELi128ELNS_18Fp8KVCacheDataTypeE0ELb0EEEvPT_PKS3_PKT0_S9_ifPKiSB_iPKfiiiSD_SD_iiiii
	.globl	_ZN4vllm25paged_attention_v1_kernelI14__hip_bfloat16S1_Li32ELi32ELi128ELNS_18Fp8KVCacheDataTypeE0ELb0EEEvPT_PKS3_PKT0_S9_ifPKiSB_iPKfiiiSD_SD_iiiii
	.p2align	8
	.type	_ZN4vllm25paged_attention_v1_kernelI14__hip_bfloat16S1_Li32ELi32ELi128ELNS_18Fp8KVCacheDataTypeE0ELb0EEEvPT_PKS3_PKT0_S9_ifPKiSB_iPKfiiiSD_SD_iiiii,@function
_ZN4vllm25paged_attention_v1_kernelI14__hip_bfloat16S1_Li32ELi32ELi128ELNS_18Fp8KVCacheDataTypeE0ELb0EEEvPT_PKS3_PKT0_S9_ifPKiSB_iPKfiiiSD_SD_iiiii: ; @_ZN4vllm25paged_attention_v1_kernelI14__hip_bfloat16S1_Li32ELi32ELi128ELNS_18Fp8KVCacheDataTypeE0ELb0EEEvPT_PKS3_PKT0_S9_ifPKiSB_iPKfiiiSD_SD_iiiii
; %bb.0:
	s_load_dword s5, s[0:1], 0x80
	s_load_dwordx2 s[6:7], s[0:1], 0x30
	s_load_dwordx2 s[8:9], s[0:1], 0x20
	s_mov_b32 s10, s3
	s_ashr_i32 s11, s3, 31
	s_lshl_b64 s[12:13], s[10:11], 2
	s_waitcnt lgkmcnt(0)
	s_add_u32 s6, s6, s12
	s_addc_u32 s7, s7, s13
	s_abs_i32 s3, s8
	v_cvt_f32_u32_e32 v1, s3
	s_sub_i32 s12, 0, s3
	s_abs_i32 s11, s5
	s_xor_b32 s8, s5, s8
	v_rcp_iflag_f32_e32 v1, v1
	s_ashr_i32 s8, s8, 31
	v_mul_f32_e32 v1, 0x4f7ffffe, v1
	v_cvt_u32_f32_e32 v1, v1
	s_nop 0
	v_readfirstlane_b32 s13, v1
	s_mul_i32 s12, s12, s13
	s_mul_hi_u32 s12, s13, s12
	s_add_i32 s13, s13, s12
	s_mul_hi_u32 s12, s11, s13
	s_mul_i32 s13, s12, s3
	s_sub_i32 s11, s11, s13
	s_add_i32 s13, s12, 1
	s_sub_i32 s14, s11, s3
	s_cmp_ge_u32 s11, s3
	s_cselect_b32 s12, s13, s12
	s_cselect_b32 s11, s14, s11
	s_add_i32 s13, s12, 1
	s_cmp_ge_u32 s11, s3
	s_cselect_b32 s3, s13, s12
	s_xor_b32 s3, s3, s8
	s_sub_i32 s14, s3, s8
	s_abs_i32 s11, s14
	v_cvt_f32_u32_e32 v1, s11
	s_load_dwordx2 s[12:13], s[0:1], 0x40
	s_sub_i32 s3, 0, s11
	s_abs_i32 s18, s2
	v_rcp_iflag_f32_e32 v1, v1
	s_mov_b32 s8, 0
	v_mul_f32_e32 v1, 0x4f7ffffe, v1
	v_cvt_u32_f32_e32 v1, v1
	s_nop 0
	v_readfirstlane_b32 s15, v1
	s_mul_i32 s3, s3, s15
	s_mul_hi_u32 s3, s15, s3
	s_add_i32 s15, s15, s3
	s_waitcnt lgkmcnt(0)
	s_cmp_eq_u64 s[12:13], 0
	s_mul_hi_u32 s19, s18, s15
	s_cbranch_scc1 .LBB153_2
; %bb.1:
	s_ashr_i32 s3, s2, 31
	s_lshl_b64 s[16:17], s[2:3], 2
	s_add_u32 s12, s12, s16
	s_addc_u32 s13, s13, s17
	s_load_dword s8, s[12:13], 0x0
.LBB153_2:
	s_load_dword s33, s[6:7], 0x0
	s_ashr_i32 s7, s14, 31
	s_load_dwordx4 s[12:15], s[0:1], 0x48
	s_ashr_i32 s6, s2, 31
	v_and_b32_e32 v4, 1, v0
	s_lshl_b32 s16, s2, 5
	v_cmp_gt_u32_e32 vcc, 8, v0
	v_lshlrev_b32_e32 v6, 3, v0
	s_and_saveexec_b64 s[2:3], vcc
	s_cbranch_execz .LBB153_4
; %bb.3:
	s_load_dwordx2 s[20:21], s[0:1], 0x8
	s_waitcnt lgkmcnt(0)
	s_mul_i32 s22, s12, s10
	s_ashr_i32 s23, s22, 31
	s_lshl_b64 s[22:23], s[22:23], 1
	v_lshlrev_b32_e32 v1, 2, v0
	s_add_u32 s12, s20, s22
	s_addc_u32 s15, s21, s23
	s_ashr_i32 s17, s16, 31
	s_lshl_b64 s[20:21], s[16:17], 1
	s_add_u32 s20, s12, s20
	s_addc_u32 s21, s15, s21
	global_load_dwordx2 v[2:3], v6, s[20:21]
	v_and_b32_e32 v1, 0xff8, v1
	v_lshl_add_u32 v1, v4, 5, v1
	s_waitcnt vmcnt(0)
	ds_write_b64 v1, v[2:3]
.LBB153_4:
	s_or_b64 exec, exec, s[2:3]
	s_waitcnt lgkmcnt(0)
	s_add_i32 s3, s33, 31
	s_ashr_i32 s12, s3, 31
	s_lshr_b32 s12, s12, 27
	s_add_i32 s3, s3, s12
	s_ashr_i32 s17, s3, 5
	s_xor_b32 s3, s6, s7
	s_mul_i32 s6, s19, s11
	s_sub_i32 s6, s18, s6
	s_add_i32 s7, s19, 1
	s_sub_i32 s12, s6, s11
	s_load_dwordx2 s[20:21], s[0:1], 0x28
	s_load_dword s2, s[0:1], 0x38
	s_cmp_ge_u32 s6, s11
	s_cselect_b32 s7, s7, s19
	s_cselect_b32 s6, s12, s6
	s_add_i32 s12, s7, 1
	s_cmp_ge_u32 s6, s11
	s_cselect_b32 s6, s12, s7
	v_lshrrev_b32_e32 v1, 6, v0
	s_xor_b32 s6, s6, s3
	s_waitcnt lgkmcnt(0)
	s_mul_i32 s22, s2, s10
	s_sub_i32 s12, s6, s3
	s_ashr_i32 s23, s22, 31
	v_cmp_gt_i32_e64 s[2:3], s17, v1
	v_cmp_le_i32_e32 vcc, s17, v1
	v_mbcnt_lo_u32_b32 v5, -1, 0
	s_barrier
                                        ; implicit-def: $vgpr8
                                        ; implicit-def: $vgpr9
                                        ; implicit-def: $vgpr10
	s_and_saveexec_b64 s[6:7], vcc
	s_xor_b64 s[6:7], exec, s[6:7]
; %bb.5:
	v_mbcnt_hi_u32_b32 v8, -1, v5
	v_and_b32_e32 v9, 64, v8
	v_add_u32_e32 v10, 64, v9
                                        ; implicit-def: $vgpr4
                                        ; implicit-def: $vgpr5
; %bb.6:
	s_or_saveexec_b64 s[26:27], s[6:7]
	s_load_dwordx2 s[18:19], s[0:1], 0x0
	s_load_dwordx2 s[24:25], s[0:1], 0x18
	s_load_dword s11, s[0:1], 0x88
	v_mov_b32_e32 v16, 0xff7fffff
	s_mul_i32 s14, s12, s14
	v_lshrrev_b32_e32 v7, 4, v0
	s_xor_b64 exec, exec, s[26:27]
	s_cbranch_execz .LBB153_12
; %bb.7:
	s_load_dwordx2 s[0:1], s[0:1], 0x10
	v_lshlrev_b32_e32 v8, 5, v4
	s_ashr_i32 s15, s14, 31
	ds_read_b128 v[16:19], v8
	ds_read_b128 v[24:27], v8 offset:16
	v_mbcnt_hi_u32_b32 v8, -1, v5
	s_lshl_b64 s[6:7], s[14:15], 1
	v_and_b32_e32 v9, 64, v8
	v_bfe_u32 v30, v0, 1, 5
	s_waitcnt lgkmcnt(0)
	s_add_u32 s0, s0, s6
	v_xor_b32_e32 v5, 1, v8
	v_add_u32_e32 v10, 64, v9
	s_addc_u32 s1, s1, s7
	v_lshlrev_b32_e32 v32, 4, v30
	v_mov_b32_e32 v33, 0
	v_cmp_lt_i32_e32 vcc, v5, v10
	s_sub_i32 s15, 1, s33
	s_lshl_b64 s[6:7], s[22:23], 2
	v_lshl_add_u64 v[2:3], s[0:1], 0, v[32:33]
	v_and_b32_e32 v32, 8, v6
	v_cndmask_b32_e32 v5, v8, v5, vcc
	v_cmp_eq_u32_e32 vcc, 0, v4
	v_lshlrev_b32_e32 v4, 2, v30
	s_add_u32 s6, s20, s6
	v_lshl_add_u64 v[2:3], v[2:3], 0, v[32:33]
	v_lshl_or_b32 v4, v1, 7, v4
	v_and_b32_e32 v32, 60, v7
	s_addc_u32 s7, s21, s7
	s_mov_b32 s12, s13
	v_lshlrev_b32_e32 v11, 16, v16
	v_and_b32_e32 v12, 0xffff0000, v16
	v_lshlrev_b32_e32 v13, 16, v17
	v_and_b32_e32 v14, 0xffff0000, v17
	;; [unrolled: 2-line block ×8, first 2 shown]
	v_lshlrev_b32_e32 v28, 2, v5
	v_cmp_neq_f32_e64 s[0:1], s8, 0
	v_lshl_or_b32 v29, v1, 5, v30
	v_add_u32_e32 v30, 0x50, v4
	v_lshl_add_u64 v[4:5], s[6:7], 0, v[32:33]
	v_mov_b32_e32 v16, 0xff7fffff
	s_mov_b64 s[28:29], 0
	v_mov_b32_e32 v31, v1
	s_branch .LBB153_9
.LBB153_8:                              ;   in Loop: Header=BB153_9 Depth=1
	s_or_b64 exec, exec, s[30:31]
	v_add_u32_e32 v31, 2, v31
	v_cmp_le_i32_e64 s[6:7], s17, v31
	v_add_u32_e32 v29, 64, v29
	v_add_u32_e32 v30, 0x100, v30
	s_or_b64 s[28:29], s[6:7], s[28:29]
	v_lshl_add_u64 v[4:5], v[4:5], 0, 8
	s_andn2_b64 exec, exec, s[28:29]
	s_cbranch_execz .LBB153_11
.LBB153_9:                              ; =>This Inner Loop Header: Depth=1
	global_load_dword v32, v[4:5], off
	s_waitcnt vmcnt(0) lgkmcnt(0)
	v_mad_i64_i32 v[32:33], s[6:7], v32, s12, 0
	v_lshl_add_u64 v[32:33], v[32:33], 1, v[2:3]
	global_load_dwordx2 v[34:35], v[32:33], off
	global_load_dwordx2 v[36:37], v[32:33], off offset:512
	global_load_dwordx2 v[38:39], v[32:33], off offset:1024
	;; [unrolled: 1-line block ×3, first 2 shown]
	s_waitcnt vmcnt(3)
	v_lshlrev_b32_e32 v32, 16, v34
	s_waitcnt vmcnt(2)
	v_lshlrev_b32_e32 v42, 16, v36
	v_and_b32_e32 v36, 0xffff0000, v36
	v_and_b32_e32 v33, 0xffff0000, v34
	v_lshlrev_b32_e32 v43, 16, v37
	v_mul_f32_e32 v42, v15, v42
	v_mul_f32_e32 v36, v17, v36
	v_lshlrev_b32_e32 v34, 16, v35
	v_and_b32_e32 v37, 0xffff0000, v37
	s_waitcnt vmcnt(1)
	v_lshlrev_b32_e32 v44, 16, v38
	v_and_b32_e32 v38, 0xffff0000, v38
	v_mul_f32_e32 v43, v18, v43
	v_fmac_f32_e32 v42, v11, v32
	v_fmac_f32_e32 v36, v12, v33
	v_and_b32_e32 v35, 0xffff0000, v35
	v_lshlrev_b32_e32 v45, 16, v39
	s_waitcnt vmcnt(0)
	v_lshlrev_b32_e32 v46, 16, v40
	v_and_b32_e32 v40, 0xffff0000, v40
	v_mul_f32_e32 v37, v19, v37
	v_fmac_f32_e32 v43, v13, v34
	v_fmac_f32_e32 v42, v20, v44
	;; [unrolled: 1-line block ×3, first 2 shown]
	v_and_b32_e32 v39, 0xffff0000, v39
	v_lshlrev_b32_e32 v47, 16, v41
	v_fmac_f32_e32 v37, v14, v35
	v_fmac_f32_e32 v43, v22, v45
	;; [unrolled: 1-line block ×4, first 2 shown]
	v_and_b32_e32 v41, 0xffff0000, v41
	v_fmac_f32_e32 v37, v23, v39
	v_fmac_f32_e32 v43, v26, v47
	v_add_f32_e32 v32, v42, v36
	v_fmac_f32_e32 v37, v27, v41
	v_add_f32_e32 v32, v32, v43
	v_add_f32_e32 v32, v37, v32
	ds_bpermute_b32 v33, v28, v32
	s_and_saveexec_b64 s[30:31], vcc
	s_cbranch_execz .LBB153_8
; %bb.10:                               ;   in Loop: Header=BB153_9 Depth=1
	v_add_u32_e32 v34, s15, v29
	v_cvt_f32_i32_e32 v34, v34
	s_waitcnt lgkmcnt(0)
	v_add_f32_e32 v32, v32, v33
	v_cmp_gt_i32_e64 s[6:7], s33, v29
	v_max_f32_e32 v33, v16, v16
	v_mul_f32_e32 v34, s8, v34
	v_cndmask_b32_e64 v34, 0, v34, s[0:1]
	v_fmac_f32_e32 v34, s9, v32
	v_cndmask_b32_e64 v32, 0, v34, s[6:7]
	ds_write_b32 v30, v32
	v_max_f32_e32 v32, v33, v34
	v_cndmask_b32_e64 v16, v16, v32, s[6:7]
	s_branch .LBB153_8
.LBB153_11:
	s_or_b64 exec, exec, s[28:29]
.LBB153_12:
	s_or_b64 exec, exec, s[26:27]
	v_xor_b32_e32 v2, 32, v8
	v_cmp_lt_i32_e32 vcc, v2, v10
	v_xor_b32_e32 v5, 16, v8
	v_max_f32_e32 v4, v16, v16
	v_cndmask_b32_e32 v2, v8, v2, vcc
	v_lshlrev_b32_e32 v2, 2, v2
	ds_bpermute_b32 v3, v2, v16
	v_cmp_lt_i32_e32 vcc, v5, v10
	v_xor_b32_e32 v11, 8, v8
	v_xor_b32_e32 v12, 4, v8
	;; [unrolled: 1-line block ×3, first 2 shown]
	s_waitcnt lgkmcnt(0)
	v_max_f32_e32 v3, v3, v3
	v_max_f32_e32 v4, v4, v3
	v_cndmask_b32_e32 v3, v8, v5, vcc
	v_lshlrev_b32_e32 v3, 2, v3
	ds_bpermute_b32 v5, v3, v4
	v_cmp_lt_i32_e32 vcc, v11, v10
	v_and_b32_e32 v26, 63, v0
	s_waitcnt lgkmcnt(0)
	v_max_f32_e32 v5, v5, v5
	v_max_f32_e32 v5, v4, v5
	v_cndmask_b32_e32 v4, v8, v11, vcc
	v_lshlrev_b32_e32 v4, 2, v4
	ds_bpermute_b32 v11, v4, v5
	v_cmp_lt_i32_e32 vcc, v12, v10
	s_waitcnt lgkmcnt(0)
	v_max_f32_e32 v11, v11, v11
	v_max_f32_e32 v11, v5, v11
	v_cndmask_b32_e32 v5, v8, v12, vcc
	v_lshlrev_b32_e32 v5, 2, v5
	ds_bpermute_b32 v12, v5, v11
	v_cmp_lt_i32_e32 vcc, v13, v10
	s_waitcnt lgkmcnt(0)
	v_max_f32_e32 v12, v12, v12
	v_max_f32_e32 v12, v11, v12
	v_cndmask_b32_e32 v11, v8, v13, vcc
	v_lshlrev_b32_e32 v27, 2, v11
	ds_bpermute_b32 v13, v27, v12
	v_cmp_eq_u32_e32 vcc, 0, v26
	v_lshlrev_b32_e32 v11, 2, v1
	s_and_saveexec_b64 s[0:1], vcc
	s_cbranch_execz .LBB153_14
; %bb.13:
	s_waitcnt lgkmcnt(0)
	v_max_f32_e32 v13, v13, v13
	v_max_f32_e32 v12, v12, v12
	;; [unrolled: 1-line block ×3, first 2 shown]
	ds_write_b32 v11, v12 offset:64
.LBB153_14:
	s_or_b64 exec, exec, s[0:1]
	v_cmp_gt_u32_e64 s[0:1], 2, v26
	s_waitcnt lgkmcnt(0)
	v_mov_b32_e32 v13, 0xff7fffff
	v_lshlrev_b32_e32 v12, 2, v26
	s_barrier
	s_and_saveexec_b64 s[6:7], s[0:1]
; %bb.15:
	ds_read_b32 v13, v12 offset:64
; %bb.16:
	s_or_b64 exec, exec, s[6:7]
	v_xor_b32_e32 v14, 1, v8
	v_cmp_lt_i32_e64 s[6:7], v14, v10
	v_lshlrev_b32_e32 v9, 2, v9
	s_nop 0
	v_cndmask_b32_e64 v10, v8, v14, s[6:7]
	v_lshlrev_b32_e32 v28, 2, v10
	s_waitcnt lgkmcnt(0)
	ds_bpermute_b32 v10, v28, v13
	v_max_f32_e32 v13, v13, v13
	s_lshl_b32 s6, s17, 5
	s_min_i32 s12, s6, s33
	v_cmp_gt_i32_e64 s[6:7], s12, v0
	s_waitcnt lgkmcnt(0)
	v_max_f32_e32 v10, v10, v10
	v_max_f32_e32 v10, v13, v10
	ds_bpermute_b32 v10, v9, v10
	v_mov_b32_e32 v9, 0
	s_and_saveexec_b64 s[26:27], s[6:7]
	s_cbranch_execz .LBB153_20
; %bb.17:
	v_mov_b32_e32 v9, 0x50
	v_lshl_add_u32 v13, v0, 2, v9
	v_mov_b32_e32 v9, 0
	s_mov_b64 s[28:29], 0
	v_mov_b32_e32 v14, v0
.LBB153_18:                             ; =>This Inner Loop Header: Depth=1
	ds_read_b32 v15, v13
	v_add_u32_e32 v14, 0x80, v14
	v_cmp_le_i32_e64 s[8:9], s12, v14
	s_or_b64 s[28:29], s[8:9], s[28:29]
	s_waitcnt lgkmcnt(0)
	v_sub_f32_e32 v15, v15, v10
	v_mul_f32_e32 v15, 0x3fb8aa3b, v15
	v_exp_f32_e32 v15, v15
	ds_write_b32 v13, v15
	v_add_f32_e32 v9, v9, v15
	v_add_u32_e32 v13, 0x200, v13
	s_andn2_b64 exec, exec, s[28:29]
	s_cbranch_execnz .LBB153_18
; %bb.19:
	s_or_b64 exec, exec, s[28:29]
.LBB153_20:
	s_or_b64 exec, exec, s[26:27]
	ds_bpermute_b32 v2, v2, v9
	s_waitcnt lgkmcnt(0)
	v_add_f32_e32 v2, v9, v2
	ds_bpermute_b32 v3, v3, v2
	s_waitcnt lgkmcnt(0)
	v_add_f32_e32 v2, v2, v3
	;; [unrolled: 3-line block ×6, first 2 shown]
	s_and_saveexec_b64 s[8:9], vcc
; %bb.21:
	ds_write_b32 v11, v2 offset:72
; %bb.22:
	s_or_b64 exec, exec, s[8:9]
	s_waitcnt lgkmcnt(0)
	s_barrier
	s_and_saveexec_b64 s[8:9], s[0:1]
; %bb.23:
	ds_read_b32 v2, v12 offset:72
; %bb.24:
	s_or_b64 exec, exec, s[8:9]
	s_waitcnt lgkmcnt(0)
	ds_bpermute_b32 v3, v28, v2
	v_lshlrev_b32_e32 v4, 2, v8
	s_waitcnt lgkmcnt(0)
	v_add_f32_e32 v2, v2, v3
	v_and_b32_e32 v3, 0xffffff00, v4
	ds_bpermute_b32 v2, v3, v2
	s_and_saveexec_b64 s[0:1], s[6:7]
	s_cbranch_execz .LBB153_37
; %bb.25:
	s_waitcnt lgkmcnt(0)
	v_add_f32_e32 v2, 0x358637bd, v2
	v_div_scale_f32 v3, s[6:7], v2, v2, 1.0
	v_rcp_f32_e32 v4, v3
	v_div_scale_f32 v5, vcc, 1.0, v2, 1.0
	s_movk_i32 s6, 0x7f
	v_fma_f32 v8, -v3, v4, 1.0
	v_fmac_f32_e32 v4, v8, v4
	v_mul_f32_e32 v8, v5, v4
	v_fma_f32 v9, -v3, v8, v5
	v_fmac_f32_e32 v8, v9, v4
	v_fma_f32 v3, -v3, v8, v5
	v_div_fmas_f32 v3, v3, v4, v8
	v_xad_u32 v4, v0, -1, s12
	v_div_fixup_f32 v2, v3, v2, 1.0
	v_cmp_lt_u32_e32 vcc, s6, v4
	s_mov_b64 s[8:9], -1
	v_mov_b32_e32 v3, v0
	s_and_saveexec_b64 s[6:7], vcc
	s_cbranch_execz .LBB153_34
; %bb.26:
	v_lshrrev_b32_e32 v4, 7, v4
	v_add_u32_e32 v8, -1, v4
	v_lshrrev_b32_e32 v5, 1, v8
	v_mov_b32_e32 v3, v2
	v_add_u32_e32 v5, 1, v5
	v_cmp_lt_u32_e32 vcc, 13, v8
	v_mov_b32_e32 v10, 0
	s_and_saveexec_b64 s[8:9], vcc
	s_cbranch_execz .LBB153_30
; %bb.27:
	v_mov_b32_e32 v9, 0x50
	v_and_b32_e32 v8, -8, v5
	v_lshl_add_u32 v9, v0, 2, v9
	s_mov_b32 s15, 0
	s_mov_b64 s[26:27], 0
.LBB153_28:                             ; =>This Inner Loop Header: Depth=1
	ds_read2st64_b32 v[10:11], v9 offset1:2
	ds_read2st64_b32 v[12:13], v9 offset0:4 offset1:6
	ds_read2st64_b32 v[14:15], v9 offset0:8 offset1:10
	;; [unrolled: 1-line block ×3, first 2 shown]
	v_add_u32_e32 v8, -8, v8
	s_waitcnt lgkmcnt(3)
	v_pk_mul_f32 v[10:11], v[2:3], v[10:11]
	s_waitcnt lgkmcnt(2)
	v_pk_mul_f32 v[12:13], v[2:3], v[12:13]
	ds_write2st64_b32 v9, v10, v11 offset1:2
	ds_write2st64_b32 v9, v12, v13 offset0:4 offset1:6
	ds_read2st64_b32 v[12:13], v9 offset0:16 offset1:18
	s_waitcnt lgkmcnt(4)
	v_pk_mul_f32 v[10:11], v[2:3], v[14:15]
	ds_write2st64_b32 v9, v10, v11 offset0:8 offset1:10
	s_waitcnt lgkmcnt(4)
	v_pk_mul_f32 v[10:11], v[2:3], v[16:17]
	ds_write2st64_b32 v9, v10, v11 offset0:12 offset1:14
	ds_read2st64_b32 v[10:11], v9 offset0:20 offset1:22
	s_waitcnt lgkmcnt(3)
	v_pk_mul_f32 v[12:13], v[2:3], v[12:13]
	ds_read2st64_b32 v[14:15], v9 offset0:24 offset1:26
	ds_write2st64_b32 v9, v12, v13 offset0:16 offset1:18
	ds_read2st64_b32 v[12:13], v9 offset0:28 offset1:30
	s_waitcnt lgkmcnt(3)
	v_pk_mul_f32 v[10:11], v[2:3], v[10:11]
	ds_write2st64_b32 v9, v10, v11 offset0:20 offset1:22
	s_waitcnt lgkmcnt(3)
	v_pk_mul_f32 v[10:11], v[2:3], v[14:15]
	ds_write2st64_b32 v9, v10, v11 offset0:24 offset1:26
	s_waitcnt lgkmcnt(2)
	v_pk_mul_f32 v[10:11], v[2:3], v[12:13]
	s_add_i32 s15, s15, 16
	v_cmp_eq_u32_e32 vcc, 0, v8
	ds_write2st64_b32 v9, v10, v11 offset0:28 offset1:30
	v_add_u32_e32 v9, 0x2000, v9
	s_or_b64 s[26:27], vcc, s[26:27]
	v_mov_b32_e32 v10, s15
	s_andn2_b64 exec, exec, s[26:27]
	s_cbranch_execnz .LBB153_28
; %bb.29:
	s_or_b64 exec, exec, s[26:27]
.LBB153_30:
	s_or_b64 exec, exec, s[8:9]
	v_and_b32_e32 v5, 7, v5
	v_cmp_ne_u32_e32 vcc, 0, v5
	s_and_saveexec_b64 s[8:9], vcc
	s_cbranch_execz .LBB153_33
; %bb.31:
	v_lshlrev_b32_e32 v8, 9, v10
	v_lshlrev_b32_e32 v9, 2, v0
	s_movk_i32 s15, 0x50
	v_add3_u32 v8, v8, v9, s15
	s_mov_b64 s[26:27], 0
.LBB153_32:                             ; =>This Inner Loop Header: Depth=1
	ds_read2st64_b32 v[10:11], v8 offset1:2
	v_add_u32_e32 v5, -1, v5
	v_cmp_eq_u32_e32 vcc, 0, v5
	s_or_b64 s[26:27], vcc, s[26:27]
	s_waitcnt lgkmcnt(0)
	v_pk_mul_f32 v[10:11], v[2:3], v[10:11]
	ds_write2st64_b32 v8, v10, v11 offset1:2
	v_add_u32_e32 v8, 0x400, v8
	s_andn2_b64 exec, exec, s[26:27]
	s_cbranch_execnz .LBB153_32
.LBB153_33:
	s_or_b64 exec, exec, s[8:9]
	v_add_u32_e32 v4, 1, v4
	v_and_b32_e32 v5, 0x3fffffe, v4
	v_cmp_ne_u32_e32 vcc, v4, v5
	v_lshl_add_u32 v3, v5, 7, v0
	s_orn2_b64 s[8:9], vcc, exec
.LBB153_34:
	s_or_b64 exec, exec, s[6:7]
	s_and_b64 exec, exec, s[8:9]
	s_cbranch_execz .LBB153_37
; %bb.35:
	v_mov_b32_e32 v4, 0x50
	v_lshl_add_u32 v4, v3, 2, v4
	s_mov_b64 s[6:7], 0
.LBB153_36:                             ; =>This Inner Loop Header: Depth=1
	ds_read_b32 v5, v4
	v_add_u32_e32 v3, 0x80, v3
	v_cmp_le_i32_e32 vcc, s12, v3
	s_or_b64 s[6:7], vcc, s[6:7]
	s_waitcnt lgkmcnt(0)
	v_mul_f32_e32 v5, v2, v5
	ds_write_b32 v4, v5
	v_add_u32_e32 v4, 0x200, v4
	s_andn2_b64 exec, exec, s[6:7]
	s_cbranch_execnz .LBB153_36
.LBB153_37:
	s_or_b64 exec, exec, s[0:1]
	v_mov_b32_e32 v21, 0
	v_and_b32_e32 v29, 3, v0
	v_mov_b32_e32 v20, v21
	s_waitcnt lgkmcnt(0)
	s_barrier
	s_and_saveexec_b64 s[6:7], s[2:3]
	s_cbranch_execz .LBB153_45
; %bb.38:
	s_ashr_i32 s15, s14, 31
	s_lshl_b64 s[0:1], s[14:15], 1
	s_add_u32 s0, s24, s0
	v_lshlrev_b32_e32 v3, 4, v0
	s_addc_u32 s1, s25, s1
	v_and_b32_e32 v18, 0x3f0, v3
	v_mov_b32_e32 v19, 0
	v_and_b32_e32 v2, 24, v6
	s_add_i32 s14, s17, -1
	v_lshl_add_u64 v[22:23], s[0:1], 0, v[18:19]
	s_lshl_b64 s[0:1], s[22:23], 2
	v_lshl_or_b32 v30, v1, 5, v2
	v_lshlrev_b32_e32 v2, 5, v29
	s_add_u32 s0, s20, s0
	v_lshl_or_b32 v2, v1, 7, v2
	v_and_b32_e32 v18, 60, v7
	s_addc_u32 s1, s21, s1
	s_mov_b32 s26, s13
	s_mov_b32 s15, s33
	v_add_u32_e32 v31, 0x50, v2
	v_lshl_add_u64 v[24:25], s[0:1], 0, v[18:19]
	s_mov_b64 s[8:9], 0
	s_mov_b32 s20, 0x5040100
	v_mov_b32_e32 v20, 0
	v_mov_b32_e32 v21, v19
	s_branch .LBB153_40
.LBB153_39:                             ;   in Loop: Header=BB153_40 Depth=1
	s_or_b64 exec, exec, s[2:3]
	s_waitcnt lgkmcnt(0)
	v_cvt_pk_bf16_f32 v10, v10, s0
	s_waitcnt vmcnt(1)
	v_and_b32_e32 v33, 0xffff0000, v4
	v_lshlrev_b32_e32 v4, 16, v4
	v_lshlrev_b32_e32 v34, 16, v10
	v_cvt_pk_bf16_f32 v13, v13, s0
	v_mul_f32_e32 v4, v34, v4
	v_cvt_pk_bf16_f32 v14, v14, s0
	v_cvt_pk_bf16_f32 v15, v15, s0
	;; [unrolled: 1-line block ×3, first 2 shown]
	v_and_b32_e32 v4, 0xffff0000, v5
	v_lshlrev_b32_e32 v13, 16, v13
	v_cvt_pk_bf16_f32 v16, v16, s0
	v_cvt_pk_bf16_f32 v17, v17, s0
	;; [unrolled: 1-line block ×3, first 2 shown]
	v_and_b32_e32 v18, 0xffff0000, v2
	v_lshlrev_b32_e32 v15, 16, v15
	v_lshlrev_b32_e32 v2, 16, v2
	;; [unrolled: 1-line block ×3, first 2 shown]
	v_mul_f32_e32 v4, v13, v4
	v_cvt_pk_bf16_f32 v11, v11, s0
	v_mul_f32_e32 v18, v15, v18
	v_mul_f32_e32 v2, v14, v2
	v_and_b32_e32 v32, 0xffff0000, v3
	v_lshlrev_b32_e32 v17, 16, v17
	v_lshlrev_b32_e32 v3, 16, v3
	;; [unrolled: 1-line block ×3, first 2 shown]
	v_cvt_pk_bf16_f32 v35, v4, s0
	v_lshlrev_b32_e32 v4, 16, v5
	v_lshlrev_b32_e32 v5, 16, v12
	v_cvt_pk_bf16_f32 v18, v18, s0
	v_cvt_pk_bf16_f32 v2, v2, s0
	v_mul_f32_e32 v32, v17, v32
	v_mul_f32_e32 v3, v16, v3
	v_lshlrev_b32_e32 v11, 16, v11
	v_mul_f32_e32 v4, v5, v4
	v_cvt_pk_bf16_f32 v32, v32, s0
	v_cvt_pk_bf16_f32 v3, v3, s0
	v_mul_f32_e32 v33, v11, v33
	v_cvt_pk_bf16_f32 v12, v4, s0
	v_lshlrev_b32_e32 v2, 16, v2
	v_lshlrev_b32_e32 v4, 16, v18
	v_cvt_pk_bf16_f32 v33, v33, s0
	v_add_f32_e32 v2, v4, v2
	v_lshlrev_b32_e32 v3, 16, v3
	v_lshlrev_b32_e32 v4, 16, v32
	v_add_f32_e32 v4, v4, v3
	v_lshlrev_b32_e32 v3, 16, v10
	v_lshlrev_b32_e32 v10, 16, v33
	;; [unrolled: 3-line block ×3, first 2 shown]
	v_add_f32_e32 v12, v12, v3
	s_waitcnt vmcnt(0)
	v_lshlrev_b32_e32 v3, 16, v6
	v_mul_f32_e32 v3, v14, v3
	v_lshlrev_b32_e32 v14, 16, v7
	v_and_b32_e32 v7, 0xffff0000, v7
	v_and_b32_e32 v6, 0xffff0000, v6
	v_mul_f32_e32 v7, v17, v7
	v_mul_f32_e32 v6, v15, v6
	v_cvt_pk_bf16_f32 v15, v7, s0
	v_lshlrev_b32_e32 v7, 16, v8
	v_mul_f32_e32 v7, v34, v7
	v_mul_f32_e32 v14, v16, v14
	v_cvt_pk_bf16_f32 v16, v7, s0
	v_and_b32_e32 v7, 0xffff0000, v8
	v_mul_f32_e32 v7, v11, v7
	v_cvt_pk_bf16_f32 v11, v7, s0
	v_lshlrev_b32_e32 v7, 16, v9
	v_mul_f32_e32 v5, v5, v7
	v_and_b32_e32 v7, 0xffff0000, v9
	v_cvt_pk_bf16_f32 v3, v3, s0
	v_cvt_pk_bf16_f32 v6, v6, s0
	;; [unrolled: 1-line block ×3, first 2 shown]
	v_mul_f32_e32 v7, v13, v7
	v_cvt_pk_bf16_f32 v5, v5, s0
	v_cvt_pk_bf16_f32 v13, v7, s0
	v_lshlrev_b32_e32 v7, 16, v6
	v_lshlrev_b32_e32 v9, 16, v3
	;; [unrolled: 1-line block ×4, first 2 shown]
	v_pk_add_f32 v[6:7], v[8:9], v[6:7]
	v_lshlrev_b32_e32 v9, 16, v11
	v_lshlrev_b32_e32 v15, 16, v16
	;; [unrolled: 1-line block ×4, first 2 shown]
	v_pk_add_f32 v[8:9], v[14:15], v[8:9]
	v_mov_b32_e32 v5, v6
	v_mov_b32_e32 v3, v7
	;; [unrolled: 1-line block ×3, first 2 shown]
	v_pk_add_f32 v[2:3], v[4:5], v[2:3]
	v_mov_b32_e32 v13, v8
	v_pk_add_f32 v[2:3], v[10:11], v[2:3]
	v_add_u32_e32 v1, 2, v1
	v_pk_add_f32 v[2:3], v[12:13], v[2:3]
	v_cmp_le_i32_e32 vcc, s17, v1
	v_pk_add_f32 v[20:21], v[20:21], v[2:3]
	v_add_u32_e32 v30, 64, v30
	v_add_u32_e32 v31, 0x100, v31
	s_or_b64 s[8:9], vcc, s[8:9]
	v_lshl_add_u64 v[24:25], v[24:25], 0, 8
	s_andn2_b64 exec, exec, s[8:9]
	s_cbranch_execz .LBB153_44
.LBB153_40:                             ; =>This Inner Loop Header: Depth=1
	global_load_dword v2, v[24:25], off
	v_add_u32_e32 v37, 1, v30
	v_or_b32_e32 v35, 3, v30
	v_or_b32_e32 v36, 2, v30
	;; [unrolled: 1-line block ×6, first 2 shown]
	s_waitcnt vmcnt(0)
	v_mad_i64_i32 v[2:3], s[0:1], v2, s26, 0
	v_lshl_add_u64 v[6:7], v[2:3], 1, v[22:23]
	global_load_dwordx4 v[2:5], v[6:7], off
	ds_read2_b64 v[14:17], v31 offset1:1
	ds_read2_b64 v[10:13], v31 offset0:2 offset1:3
	v_cmp_eq_u32_e64 s[0:1], s14, v1
	s_and_saveexec_b64 s[12:13], s[0:1]
	s_cbranch_execz .LBB153_42
; %bb.41:                               ;   in Loop: Header=BB153_40 Depth=1
	v_cmp_gt_i32_e32 vcc, s15, v37
	v_cmp_gt_i32_e64 s[2:3], s33, v36
	s_waitcnt vmcnt(0)
	v_cndmask_b32_sdwa v8, v19, v2, vcc dst_sel:DWORD dst_unused:UNUSED_PAD src0_sel:DWORD src1_sel:WORD_1
	v_cmp_gt_i32_e32 vcc, s33, v30
	s_nop 1
	v_cndmask_b32_e32 v2, 0, v2, vcc
	v_cmp_gt_i32_e32 vcc, s15, v35
	v_perm_b32 v2, v8, v2, s20
	v_cndmask_b32_e64 v8, 0, v3, s[2:3]
	v_cndmask_b32_sdwa v3, v19, v3, vcc dst_sel:DWORD dst_unused:UNUSED_PAD src0_sel:DWORD src1_sel:WORD_1
	v_cmp_gt_i32_e32 vcc, s15, v33
	v_cmp_gt_i32_e64 s[2:3], s33, v34
	v_perm_b32 v3, v3, v8, s20
	s_nop 0
	v_cndmask_b32_e64 v8, 0, v4, s[2:3]
	v_cndmask_b32_sdwa v4, v19, v4, vcc dst_sel:DWORD dst_unused:UNUSED_PAD src0_sel:DWORD src1_sel:WORD_1
	v_cmp_gt_i32_e32 vcc, s15, v18
	v_cmp_gt_i32_e64 s[2:3], s33, v32
	v_perm_b32 v4, v4, v8, s20
	s_nop 0
	v_cndmask_b32_e64 v8, 0, v5, s[2:3]
	v_cndmask_b32_sdwa v5, v19, v5, vcc dst_sel:DWORD dst_unused:UNUSED_PAD src0_sel:DWORD src1_sel:WORD_1
	v_perm_b32 v5, v5, v8, s20
.LBB153_42:                             ;   in Loop: Header=BB153_40 Depth=1
	s_or_b64 exec, exec, s[12:13]
	global_load_dwordx4 v[6:9], v[6:7], off offset:1024
	s_and_saveexec_b64 s[2:3], s[0:1]
	s_cbranch_execz .LBB153_39
; %bb.43:                               ;   in Loop: Header=BB153_40 Depth=1
	v_cmp_gt_i32_e32 vcc, s15, v37
	v_cmp_gt_i32_e64 s[0:1], s33, v36
	s_waitcnt vmcnt(0)
	v_cndmask_b32_sdwa v37, v19, v6, vcc dst_sel:DWORD dst_unused:UNUSED_PAD src0_sel:DWORD src1_sel:WORD_1
	v_cmp_gt_i32_e32 vcc, s33, v30
	s_nop 1
	v_cndmask_b32_e32 v6, 0, v6, vcc
	v_cmp_gt_i32_e32 vcc, s15, v35
	v_cndmask_b32_e64 v35, 0, v7, s[0:1]
	v_cmp_gt_i32_e64 s[0:1], s33, v34
	v_cndmask_b32_sdwa v7, v19, v7, vcc dst_sel:DWORD dst_unused:UNUSED_PAD src0_sel:DWORD src1_sel:WORD_1
	v_cmp_gt_i32_e32 vcc, s15, v33
	v_cndmask_b32_e64 v33, 0, v8, s[0:1]
	v_cmp_gt_i32_e64 s[0:1], s33, v32
	v_cndmask_b32_sdwa v8, v19, v8, vcc dst_sel:DWORD dst_unused:UNUSED_PAD src0_sel:DWORD src1_sel:WORD_1
	v_cmp_gt_i32_e32 vcc, s15, v18
	v_cndmask_b32_e64 v18, 0, v9, s[0:1]
	v_perm_b32 v6, v37, v6, s20
	v_cndmask_b32_sdwa v9, v19, v9, vcc dst_sel:DWORD dst_unused:UNUSED_PAD src0_sel:DWORD src1_sel:WORD_1
	v_perm_b32 v7, v7, v35, s20
	v_perm_b32 v8, v8, v33, s20
	;; [unrolled: 1-line block ×3, first 2 shown]
	s_branch .LBB153_39
.LBB153_44:
	s_or_b64 exec, exec, s[8:9]
.LBB153_45:
	s_or_b64 exec, exec, s[6:7]
	ds_bpermute_b32 v2, v27, v20
	ds_bpermute_b32 v3, v27, v21
	v_and_b32_e32 v1, 0x3c3, v0
	v_cmp_eq_u32_e32 vcc, 64, v1
	s_waitcnt lgkmcnt(0)
	s_barrier
	v_pk_add_f32 v[2:3], v[20:21], v[2:3]
	ds_bpermute_b32 v4, v28, v2
	ds_bpermute_b32 v5, v28, v3
	s_waitcnt lgkmcnt(0)
	v_pk_add_f32 v[2:3], v[2:3], v[4:5]
	s_and_saveexec_b64 s[0:1], vcc
; %bb.46:
	v_add_u32_e32 v4, 0x50, v26
	ds_write2_b32 v4, v2, v3 offset1:16
; %bb.47:
	s_or_b64 exec, exec, s[0:1]
	v_cmp_gt_u32_e32 vcc, 64, v0
	v_lshrrev_b32_e32 v0, 2, v0
	s_waitcnt lgkmcnt(0)
	s_barrier
	s_and_saveexec_b64 s[0:1], vcc
	s_cbranch_execz .LBB153_53
; %bb.48:
	v_mov_b32_e32 v4, 0x50
	v_cmp_eq_u32_e32 vcc, 0, v29
	v_lshl_add_u32 v4, v0, 2, v4
	s_and_saveexec_b64 s[2:3], vcc
	s_cbranch_execz .LBB153_50
; %bb.49:
	ds_read_b32 v5, v4
	s_waitcnt lgkmcnt(0)
	v_add_f32_e32 v2, v2, v5
.LBB153_50:
	s_or_b64 exec, exec, s[2:3]
	s_and_saveexec_b64 s[2:3], vcc
	s_cbranch_execz .LBB153_52
; %bb.51:
	ds_read_b32 v4, v4 offset:64
	s_waitcnt lgkmcnt(0)
	v_add_f32_e32 v3, v3, v4
.LBB153_52:
	s_or_b64 exec, exec, s[2:3]
.LBB153_53:
	s_or_b64 exec, exec, s[0:1]
	v_cmp_eq_u32_e32 vcc, 0, v1
	s_barrier
	s_and_saveexec_b64 s[0:1], vcc
	s_cbranch_execz .LBB153_55
; %bb.54:
	s_mul_i32 s0, s10, s11
	s_mul_i32 s0, s0, s5
	s_lshl_b32 s0, s0, 5
	s_ashr_i32 s1, s0, 31
	s_lshl_b64 s[0:1], s[0:1], 1
	s_add_u32 s2, s18, s0
	s_mul_i32 s0, s11, s16
	s_addc_u32 s3, s19, s1
	s_ashr_i32 s1, s0, 31
	s_lshl_b64 s[0:1], s[0:1], 1
	s_add_u32 s2, s2, s0
	s_addc_u32 s3, s3, s1
	s_lshl_b32 s0, s4, 5
	s_ashr_i32 s1, s0, 31
	s_lshl_b64 s[0:1], s[0:1], 1
	s_add_u32 s0, s2, s0
	s_addc_u32 s1, s3, s1
	v_cvt_pk_bf16_f32 v1, v2, s0
	v_lshlrev_b32_e32 v0, 1, v0
	global_store_short v0, v1, s[0:1]
	v_cvt_pk_bf16_f32 v1, v3, s0
	global_store_short v0, v1, s[0:1] offset:32
.LBB153_55:
	s_endpgm
	.section	.rodata,"a",@progbits
	.p2align	6, 0x0
	.amdhsa_kernel _ZN4vllm25paged_attention_v1_kernelI14__hip_bfloat16S1_Li32ELi32ELi128ELNS_18Fp8KVCacheDataTypeE0ELb0EEEvPT_PKS3_PKT0_S9_ifPKiSB_iPKfiiiSD_SD_iiiii
		.amdhsa_group_segment_fixed_size 80
		.amdhsa_private_segment_fixed_size 0
		.amdhsa_kernarg_size 384
		.amdhsa_user_sgpr_count 2
		.amdhsa_user_sgpr_dispatch_ptr 0
		.amdhsa_user_sgpr_queue_ptr 0
		.amdhsa_user_sgpr_kernarg_segment_ptr 1
		.amdhsa_user_sgpr_dispatch_id 0
		.amdhsa_user_sgpr_kernarg_preload_length 0
		.amdhsa_user_sgpr_kernarg_preload_offset 0
		.amdhsa_user_sgpr_private_segment_size 0
		.amdhsa_uses_dynamic_stack 0
		.amdhsa_enable_private_segment 0
		.amdhsa_system_sgpr_workgroup_id_x 1
		.amdhsa_system_sgpr_workgroup_id_y 1
		.amdhsa_system_sgpr_workgroup_id_z 1
		.amdhsa_system_sgpr_workgroup_info 0
		.amdhsa_system_vgpr_workitem_id 0
		.amdhsa_next_free_vgpr 48
		.amdhsa_next_free_sgpr 34
		.amdhsa_accum_offset 48
		.amdhsa_reserve_vcc 1
		.amdhsa_float_round_mode_32 0
		.amdhsa_float_round_mode_16_64 0
		.amdhsa_float_denorm_mode_32 3
		.amdhsa_float_denorm_mode_16_64 3
		.amdhsa_dx10_clamp 1
		.amdhsa_ieee_mode 1
		.amdhsa_fp16_overflow 0
		.amdhsa_tg_split 0
		.amdhsa_exception_fp_ieee_invalid_op 0
		.amdhsa_exception_fp_denorm_src 0
		.amdhsa_exception_fp_ieee_div_zero 0
		.amdhsa_exception_fp_ieee_overflow 0
		.amdhsa_exception_fp_ieee_underflow 0
		.amdhsa_exception_fp_ieee_inexact 0
		.amdhsa_exception_int_div_zero 0
	.end_amdhsa_kernel
	.section	.text._ZN4vllm25paged_attention_v1_kernelI14__hip_bfloat16S1_Li32ELi32ELi128ELNS_18Fp8KVCacheDataTypeE0ELb0EEEvPT_PKS3_PKT0_S9_ifPKiSB_iPKfiiiSD_SD_iiiii,"axG",@progbits,_ZN4vllm25paged_attention_v1_kernelI14__hip_bfloat16S1_Li32ELi32ELi128ELNS_18Fp8KVCacheDataTypeE0ELb0EEEvPT_PKS3_PKT0_S9_ifPKiSB_iPKfiiiSD_SD_iiiii,comdat
.Lfunc_end153:
	.size	_ZN4vllm25paged_attention_v1_kernelI14__hip_bfloat16S1_Li32ELi32ELi128ELNS_18Fp8KVCacheDataTypeE0ELb0EEEvPT_PKS3_PKT0_S9_ifPKiSB_iPKfiiiSD_SD_iiiii, .Lfunc_end153-_ZN4vllm25paged_attention_v1_kernelI14__hip_bfloat16S1_Li32ELi32ELi128ELNS_18Fp8KVCacheDataTypeE0ELb0EEEvPT_PKS3_PKT0_S9_ifPKiSB_iPKfiiiSD_SD_iiiii
                                        ; -- End function
	.set _ZN4vllm25paged_attention_v1_kernelI14__hip_bfloat16S1_Li32ELi32ELi128ELNS_18Fp8KVCacheDataTypeE0ELb0EEEvPT_PKS3_PKT0_S9_ifPKiSB_iPKfiiiSD_SD_iiiii.num_vgpr, 48
	.set _ZN4vllm25paged_attention_v1_kernelI14__hip_bfloat16S1_Li32ELi32ELi128ELNS_18Fp8KVCacheDataTypeE0ELb0EEEvPT_PKS3_PKT0_S9_ifPKiSB_iPKfiiiSD_SD_iiiii.num_agpr, 0
	.set _ZN4vllm25paged_attention_v1_kernelI14__hip_bfloat16S1_Li32ELi32ELi128ELNS_18Fp8KVCacheDataTypeE0ELb0EEEvPT_PKS3_PKT0_S9_ifPKiSB_iPKfiiiSD_SD_iiiii.numbered_sgpr, 34
	.set _ZN4vllm25paged_attention_v1_kernelI14__hip_bfloat16S1_Li32ELi32ELi128ELNS_18Fp8KVCacheDataTypeE0ELb0EEEvPT_PKS3_PKT0_S9_ifPKiSB_iPKfiiiSD_SD_iiiii.num_named_barrier, 0
	.set _ZN4vllm25paged_attention_v1_kernelI14__hip_bfloat16S1_Li32ELi32ELi128ELNS_18Fp8KVCacheDataTypeE0ELb0EEEvPT_PKS3_PKT0_S9_ifPKiSB_iPKfiiiSD_SD_iiiii.private_seg_size, 0
	.set _ZN4vllm25paged_attention_v1_kernelI14__hip_bfloat16S1_Li32ELi32ELi128ELNS_18Fp8KVCacheDataTypeE0ELb0EEEvPT_PKS3_PKT0_S9_ifPKiSB_iPKfiiiSD_SD_iiiii.uses_vcc, 1
	.set _ZN4vllm25paged_attention_v1_kernelI14__hip_bfloat16S1_Li32ELi32ELi128ELNS_18Fp8KVCacheDataTypeE0ELb0EEEvPT_PKS3_PKT0_S9_ifPKiSB_iPKfiiiSD_SD_iiiii.uses_flat_scratch, 0
	.set _ZN4vllm25paged_attention_v1_kernelI14__hip_bfloat16S1_Li32ELi32ELi128ELNS_18Fp8KVCacheDataTypeE0ELb0EEEvPT_PKS3_PKT0_S9_ifPKiSB_iPKfiiiSD_SD_iiiii.has_dyn_sized_stack, 0
	.set _ZN4vllm25paged_attention_v1_kernelI14__hip_bfloat16S1_Li32ELi32ELi128ELNS_18Fp8KVCacheDataTypeE0ELb0EEEvPT_PKS3_PKT0_S9_ifPKiSB_iPKfiiiSD_SD_iiiii.has_recursion, 0
	.set _ZN4vllm25paged_attention_v1_kernelI14__hip_bfloat16S1_Li32ELi32ELi128ELNS_18Fp8KVCacheDataTypeE0ELb0EEEvPT_PKS3_PKT0_S9_ifPKiSB_iPKfiiiSD_SD_iiiii.has_indirect_call, 0
	.section	.AMDGPU.csdata,"",@progbits
; Kernel info:
; codeLenInByte = 4128
; TotalNumSgprs: 40
; NumVgprs: 48
; NumAgprs: 0
; TotalNumVgprs: 48
; ScratchSize: 0
; MemoryBound: 0
; FloatMode: 240
; IeeeMode: 1
; LDSByteSize: 80 bytes/workgroup (compile time only)
; SGPRBlocks: 4
; VGPRBlocks: 5
; NumSGPRsForWavesPerEU: 40
; NumVGPRsForWavesPerEU: 48
; AccumOffset: 48
; Occupancy: 8
; WaveLimiterHint : 1
; COMPUTE_PGM_RSRC2:SCRATCH_EN: 0
; COMPUTE_PGM_RSRC2:USER_SGPR: 2
; COMPUTE_PGM_RSRC2:TRAP_HANDLER: 0
; COMPUTE_PGM_RSRC2:TGID_X_EN: 1
; COMPUTE_PGM_RSRC2:TGID_Y_EN: 1
; COMPUTE_PGM_RSRC2:TGID_Z_EN: 1
; COMPUTE_PGM_RSRC2:TIDIG_COMP_CNT: 0
; COMPUTE_PGM_RSRC3_GFX90A:ACCUM_OFFSET: 11
; COMPUTE_PGM_RSRC3_GFX90A:TG_SPLIT: 0
	.section	.text._ZN4vllm25paged_attention_v1_kernelI14__hip_bfloat16S1_Li64ELi32ELi128ELNS_18Fp8KVCacheDataTypeE0ELb0EEEvPT_PKS3_PKT0_S9_ifPKiSB_iPKfiiiSD_SD_iiiii,"axG",@progbits,_ZN4vllm25paged_attention_v1_kernelI14__hip_bfloat16S1_Li64ELi32ELi128ELNS_18Fp8KVCacheDataTypeE0ELb0EEEvPT_PKS3_PKT0_S9_ifPKiSB_iPKfiiiSD_SD_iiiii,comdat
	.protected	_ZN4vllm25paged_attention_v1_kernelI14__hip_bfloat16S1_Li64ELi32ELi128ELNS_18Fp8KVCacheDataTypeE0ELb0EEEvPT_PKS3_PKT0_S9_ifPKiSB_iPKfiiiSD_SD_iiiii ; -- Begin function _ZN4vllm25paged_attention_v1_kernelI14__hip_bfloat16S1_Li64ELi32ELi128ELNS_18Fp8KVCacheDataTypeE0ELb0EEEvPT_PKS3_PKT0_S9_ifPKiSB_iPKfiiiSD_SD_iiiii
	.globl	_ZN4vllm25paged_attention_v1_kernelI14__hip_bfloat16S1_Li64ELi32ELi128ELNS_18Fp8KVCacheDataTypeE0ELb0EEEvPT_PKS3_PKT0_S9_ifPKiSB_iPKfiiiSD_SD_iiiii
	.p2align	8
	.type	_ZN4vllm25paged_attention_v1_kernelI14__hip_bfloat16S1_Li64ELi32ELi128ELNS_18Fp8KVCacheDataTypeE0ELb0EEEvPT_PKS3_PKT0_S9_ifPKiSB_iPKfiiiSD_SD_iiiii,@function
_ZN4vllm25paged_attention_v1_kernelI14__hip_bfloat16S1_Li64ELi32ELi128ELNS_18Fp8KVCacheDataTypeE0ELb0EEEvPT_PKS3_PKT0_S9_ifPKiSB_iPKfiiiSD_SD_iiiii: ; @_ZN4vllm25paged_attention_v1_kernelI14__hip_bfloat16S1_Li64ELi32ELi128ELNS_18Fp8KVCacheDataTypeE0ELb0EEEvPT_PKS3_PKT0_S9_ifPKiSB_iPKfiiiSD_SD_iiiii
; %bb.0:
	s_load_dword s5, s[0:1], 0x80
	s_load_dwordx2 s[6:7], s[0:1], 0x30
	s_load_dwordx2 s[8:9], s[0:1], 0x20
	s_mov_b32 s10, s3
	s_ashr_i32 s11, s3, 31
	s_lshl_b64 s[12:13], s[10:11], 2
	s_waitcnt lgkmcnt(0)
	s_add_u32 s6, s6, s12
	s_addc_u32 s7, s7, s13
	s_abs_i32 s3, s8
	v_cvt_f32_u32_e32 v1, s3
	s_sub_i32 s12, 0, s3
	s_abs_i32 s11, s5
	s_xor_b32 s8, s5, s8
	v_rcp_iflag_f32_e32 v1, v1
	s_ashr_i32 s8, s8, 31
	v_mul_f32_e32 v1, 0x4f7ffffe, v1
	v_cvt_u32_f32_e32 v1, v1
	s_nop 0
	v_readfirstlane_b32 s13, v1
	s_mul_i32 s12, s12, s13
	s_mul_hi_u32 s12, s13, s12
	s_add_i32 s13, s13, s12
	s_mul_hi_u32 s12, s11, s13
	s_mul_i32 s13, s12, s3
	s_sub_i32 s11, s11, s13
	s_add_i32 s13, s12, 1
	s_sub_i32 s14, s11, s3
	s_cmp_ge_u32 s11, s3
	s_cselect_b32 s12, s13, s12
	s_cselect_b32 s11, s14, s11
	s_add_i32 s13, s12, 1
	s_cmp_ge_u32 s11, s3
	s_cselect_b32 s3, s13, s12
	s_xor_b32 s3, s3, s8
	s_sub_i32 s14, s3, s8
	s_abs_i32 s11, s14
	v_cvt_f32_u32_e32 v1, s11
	s_load_dwordx2 s[12:13], s[0:1], 0x40
	s_sub_i32 s3, 0, s11
	s_abs_i32 s18, s2
	v_rcp_iflag_f32_e32 v1, v1
	s_mov_b32 s8, 0
	v_mul_f32_e32 v1, 0x4f7ffffe, v1
	v_cvt_u32_f32_e32 v1, v1
	s_nop 0
	v_readfirstlane_b32 s15, v1
	s_mul_i32 s3, s3, s15
	s_mul_hi_u32 s3, s15, s3
	s_add_i32 s15, s15, s3
	s_waitcnt lgkmcnt(0)
	s_cmp_eq_u64 s[12:13], 0
	s_mul_hi_u32 s19, s18, s15
	s_cbranch_scc1 .LBB154_2
; %bb.1:
	s_ashr_i32 s3, s2, 31
	s_lshl_b64 s[16:17], s[2:3], 2
	s_add_u32 s12, s12, s16
	s_addc_u32 s13, s13, s17
	s_load_dword s8, s[12:13], 0x0
.LBB154_2:
	s_load_dword s33, s[6:7], 0x0
	s_ashr_i32 s7, s14, 31
	s_load_dwordx4 s[12:15], s[0:1], 0x48
	s_ashr_i32 s6, s2, 31
	v_and_b32_e32 v4, 1, v0
	s_lshl_b32 s16, s2, 6
	v_cmp_gt_u32_e32 vcc, 16, v0
	v_lshlrev_b32_e32 v6, 3, v0
	s_and_saveexec_b64 s[2:3], vcc
	s_cbranch_execz .LBB154_4
; %bb.3:
	s_load_dwordx2 s[20:21], s[0:1], 0x8
	s_waitcnt lgkmcnt(0)
	s_mul_i32 s22, s12, s10
	s_ashr_i32 s23, s22, 31
	s_lshl_b64 s[22:23], s[22:23], 1
	v_lshlrev_b32_e32 v1, 2, v0
	s_add_u32 s12, s20, s22
	s_addc_u32 s15, s21, s23
	s_ashr_i32 s17, s16, 31
	s_lshl_b64 s[20:21], s[16:17], 1
	s_add_u32 s20, s12, s20
	s_addc_u32 s21, s15, s21
	global_load_dwordx2 v[2:3], v6, s[20:21]
	v_and_b32_e32 v1, 0xff8, v1
	v_lshl_add_u32 v1, v4, 6, v1
	s_waitcnt vmcnt(0)
	ds_write_b64 v1, v[2:3]
.LBB154_4:
	s_or_b64 exec, exec, s[2:3]
	s_waitcnt lgkmcnt(0)
	s_add_i32 s3, s33, 31
	s_ashr_i32 s12, s3, 31
	s_lshr_b32 s12, s12, 27
	s_add_i32 s3, s3, s12
	s_ashr_i32 s17, s3, 5
	s_xor_b32 s3, s6, s7
	s_mul_i32 s6, s19, s11
	s_sub_i32 s6, s18, s6
	s_add_i32 s7, s19, 1
	s_sub_i32 s12, s6, s11
	s_load_dwordx2 s[20:21], s[0:1], 0x28
	s_load_dword s2, s[0:1], 0x38
	s_cmp_ge_u32 s6, s11
	s_cselect_b32 s7, s7, s19
	s_cselect_b32 s6, s12, s6
	s_add_i32 s12, s7, 1
	s_cmp_ge_u32 s6, s11
	s_cselect_b32 s6, s12, s7
	v_lshrrev_b32_e32 v1, 6, v0
	s_xor_b32 s6, s6, s3
	s_waitcnt lgkmcnt(0)
	s_mul_i32 s22, s2, s10
	s_sub_i32 s12, s6, s3
	s_ashr_i32 s23, s22, 31
	v_cmp_gt_i32_e64 s[6:7], s17, v1
	v_cmp_le_i32_e32 vcc, s17, v1
	v_mbcnt_lo_u32_b32 v5, -1, 0
	s_barrier
                                        ; implicit-def: $vgpr8
                                        ; implicit-def: $vgpr9
                                        ; implicit-def: $vgpr10
	s_and_saveexec_b64 s[2:3], vcc
	s_xor_b64 s[2:3], exec, s[2:3]
; %bb.5:
	v_mbcnt_hi_u32_b32 v8, -1, v5
	v_and_b32_e32 v9, 64, v8
	v_add_u32_e32 v10, 64, v9
                                        ; implicit-def: $vgpr4
                                        ; implicit-def: $vgpr5
; %bb.6:
	s_or_saveexec_b64 s[26:27], s[2:3]
	s_load_dwordx2 s[18:19], s[0:1], 0x0
	s_load_dwordx2 s[24:25], s[0:1], 0x18
	s_load_dword s11, s[0:1], 0x88
	v_mov_b32_e32 v32, 0xff7fffff
	s_mul_i32 s14, s12, s14
	v_lshrrev_b32_e32 v7, 4, v0
	s_xor_b64 exec, exec, s[26:27]
	s_cbranch_execz .LBB154_12
; %bb.7:
	s_load_dwordx2 s[0:1], s[0:1], 0x10
	s_ashr_i32 s15, s14, 31
	v_lshlrev_b32_e32 v8, 6, v4
	s_lshl_b64 s[2:3], s[14:15], 1
	ds_read_b128 v[16:19], v8
	ds_read_b128 v[24:27], v8 offset:16
	ds_read_b128 v[32:35], v8 offset:32
	;; [unrolled: 1-line block ×3, first 2 shown]
	v_mbcnt_hi_u32_b32 v8, -1, v5
	v_bfe_u32 v46, v0, 1, 5
	s_waitcnt lgkmcnt(0)
	s_add_u32 s0, s0, s2
	v_and_b32_e32 v9, 64, v8
	s_addc_u32 s1, s1, s3
	v_lshlrev_b32_e32 v48, 4, v46
	v_mov_b32_e32 v49, 0
	v_xor_b32_e32 v5, 1, v8
	v_add_u32_e32 v10, 64, v9
	v_lshl_add_u64 v[2:3], s[0:1], 0, v[48:49]
	v_cmp_lt_i32_e32 vcc, v5, v10
	s_sub_i32 s15, 1, s33
	s_lshl_b64 s[0:1], s[22:23], 2
	v_and_b32_e32 v48, 8, v6
	v_cndmask_b32_e32 v5, v8, v5, vcc
	v_cmp_eq_u32_e32 vcc, 0, v4
	v_lshlrev_b32_e32 v4, 2, v46
	s_add_u32 s0, s20, s0
	v_lshl_add_u64 v[2:3], v[2:3], 0, v[48:49]
	v_lshl_or_b32 v4, v1, 7, v4
	v_and_b32_e32 v48, 60, v7
	s_addc_u32 s1, s21, s1
	s_mov_b32 s12, s13
	v_lshlrev_b32_e32 v11, 16, v16
	v_and_b32_e32 v12, 0xffff0000, v16
	v_lshlrev_b32_e32 v13, 16, v17
	v_and_b32_e32 v14, 0xffff0000, v17
	;; [unrolled: 2-line block ×16, first 2 shown]
	v_lshlrev_b32_e32 v44, 2, v5
	v_cmp_neq_f32_e64 s[2:3], s8, 0
	v_lshl_or_b32 v45, v1, 5, v46
	v_add_u32_e32 v46, 0x90, v4
	v_lshl_add_u64 v[4:5], s[0:1], 0, v[48:49]
	v_mov_b32_e32 v32, 0xff7fffff
	s_mov_b64 s[28:29], 0
	v_mov_b32_e32 v47, v1
	s_branch .LBB154_9
.LBB154_8:                              ;   in Loop: Header=BB154_9 Depth=1
	s_or_b64 exec, exec, s[30:31]
	v_add_u32_e32 v47, 2, v47
	v_cmp_le_i32_e64 s[0:1], s17, v47
	v_add_u32_e32 v45, 64, v45
	v_add_u32_e32 v46, 0x100, v46
	s_or_b64 s[28:29], s[0:1], s[28:29]
	v_lshl_add_u64 v[4:5], v[4:5], 0, 8
	s_andn2_b64 exec, exec, s[28:29]
	s_cbranch_execz .LBB154_11
.LBB154_9:                              ; =>This Inner Loop Header: Depth=1
	global_load_dword v48, v[4:5], off
	s_waitcnt vmcnt(0) lgkmcnt(0)
	v_mad_i64_i32 v[48:49], s[0:1], v48, s12, 0
	v_lshl_add_u64 v[48:49], v[48:49], 1, v[2:3]
	global_load_dwordx2 v[50:51], v[48:49], off
	global_load_dwordx2 v[52:53], v[48:49], off offset:512
	global_load_dwordx2 v[54:55], v[48:49], off offset:1024
	;; [unrolled: 1-line block ×6, first 2 shown]
	s_nop 0
	global_load_dwordx2 v[48:49], v[48:49], off offset:3584
	s_waitcnt vmcnt(7)
	v_lshlrev_b32_e32 v64, 16, v50
	s_waitcnt vmcnt(6)
	v_lshlrev_b32_e32 v66, 16, v52
	v_and_b32_e32 v52, 0xffff0000, v52
	v_and_b32_e32 v50, 0xffff0000, v50
	v_lshlrev_b32_e32 v67, 16, v53
	v_mul_f32_e32 v66, v15, v66
	v_mul_f32_e32 v52, v16, v52
	v_lshlrev_b32_e32 v65, 16, v51
	v_and_b32_e32 v53, 0xffff0000, v53
	s_waitcnt vmcnt(5)
	v_lshlrev_b32_e32 v68, 16, v54
	v_and_b32_e32 v54, 0xffff0000, v54
	v_mul_f32_e32 v67, v17, v67
	v_fmac_f32_e32 v66, v11, v64
	v_fmac_f32_e32 v52, v12, v50
	v_and_b32_e32 v51, 0xffff0000, v51
	v_lshlrev_b32_e32 v69, 16, v55
	s_waitcnt vmcnt(4)
	v_lshlrev_b32_e32 v70, 16, v56
	v_and_b32_e32 v56, 0xffff0000, v56
	v_mul_f32_e32 v53, v18, v53
	v_fmac_f32_e32 v67, v13, v65
	v_fmac_f32_e32 v66, v19, v68
	v_fmac_f32_e32 v52, v20, v54
	v_and_b32_e32 v55, 0xffff0000, v55
	v_lshlrev_b32_e32 v71, 16, v57
	s_waitcnt vmcnt(3)
	v_lshlrev_b32_e32 v72, 16, v58
	v_and_b32_e32 v58, 0xffff0000, v58
	v_fmac_f32_e32 v53, v14, v51
	v_fmac_f32_e32 v67, v21, v69
	v_fmac_f32_e32 v66, v23, v70
	v_fmac_f32_e32 v52, v24, v56
	v_and_b32_e32 v57, 0xffff0000, v57
	v_lshlrev_b32_e32 v73, 16, v59
	s_waitcnt vmcnt(2)
	v_lshlrev_b32_e32 v74, 16, v60
	v_and_b32_e32 v60, 0xffff0000, v60
	v_fmac_f32_e32 v53, v22, v55
	;; [unrolled: 9-line block ×4, first 2 shown]
	v_fmac_f32_e32 v67, v34, v75
	v_fmac_f32_e32 v66, v36, v76
	;; [unrolled: 1-line block ×3, first 2 shown]
	v_and_b32_e32 v63, 0xffff0000, v63
	v_lshlrev_b32_e32 v79, 16, v49
	v_fmac_f32_e32 v53, v35, v61
	v_fmac_f32_e32 v67, v38, v77
	;; [unrolled: 1-line block ×4, first 2 shown]
	v_and_b32_e32 v49, 0xffff0000, v49
	v_fmac_f32_e32 v53, v39, v63
	v_fmac_f32_e32 v67, v42, v79
	v_add_f32_e32 v48, v66, v52
	v_fmac_f32_e32 v53, v43, v49
	v_add_f32_e32 v48, v48, v67
	v_add_f32_e32 v48, v53, v48
	ds_bpermute_b32 v49, v44, v48
	s_and_saveexec_b64 s[30:31], vcc
	s_cbranch_execz .LBB154_8
; %bb.10:                               ;   in Loop: Header=BB154_9 Depth=1
	v_add_u32_e32 v50, s15, v45
	v_cvt_f32_i32_e32 v50, v50
	s_waitcnt lgkmcnt(0)
	v_add_f32_e32 v48, v48, v49
	v_cmp_gt_i32_e64 s[0:1], s33, v45
	v_max_f32_e32 v49, v32, v32
	v_mul_f32_e32 v50, s8, v50
	v_cndmask_b32_e64 v50, 0, v50, s[2:3]
	v_fmac_f32_e32 v50, s9, v48
	v_cndmask_b32_e64 v48, 0, v50, s[0:1]
	ds_write_b32 v46, v48
	v_max_f32_e32 v48, v49, v50
	v_cndmask_b32_e64 v32, v32, v48, s[0:1]
	s_branch .LBB154_8
.LBB154_11:
	s_or_b64 exec, exec, s[28:29]
.LBB154_12:
	s_or_b64 exec, exec, s[26:27]
	v_xor_b32_e32 v2, 32, v8
	v_cmp_lt_i32_e32 vcc, v2, v10
	v_xor_b32_e32 v5, 16, v8
	v_max_f32_e32 v4, v32, v32
	v_cndmask_b32_e32 v2, v8, v2, vcc
	v_lshlrev_b32_e32 v2, 2, v2
	ds_bpermute_b32 v3, v2, v32
	v_cmp_lt_i32_e32 vcc, v5, v10
	v_xor_b32_e32 v11, 8, v8
	v_xor_b32_e32 v12, 4, v8
	;; [unrolled: 1-line block ×3, first 2 shown]
	s_waitcnt lgkmcnt(0)
	v_max_f32_e32 v3, v3, v3
	v_max_f32_e32 v4, v4, v3
	v_cndmask_b32_e32 v3, v8, v5, vcc
	v_lshlrev_b32_e32 v3, 2, v3
	ds_bpermute_b32 v5, v3, v4
	v_cmp_lt_i32_e32 vcc, v11, v10
	v_and_b32_e32 v36, 63, v0
	s_waitcnt lgkmcnt(0)
	v_max_f32_e32 v5, v5, v5
	v_max_f32_e32 v5, v4, v5
	v_cndmask_b32_e32 v4, v8, v11, vcc
	v_lshlrev_b32_e32 v4, 2, v4
	ds_bpermute_b32 v11, v4, v5
	v_cmp_lt_i32_e32 vcc, v12, v10
	s_waitcnt lgkmcnt(0)
	v_max_f32_e32 v11, v11, v11
	v_max_f32_e32 v11, v5, v11
	v_cndmask_b32_e32 v5, v8, v12, vcc
	v_lshlrev_b32_e32 v5, 2, v5
	ds_bpermute_b32 v12, v5, v11
	v_cmp_lt_i32_e32 vcc, v13, v10
	s_waitcnt lgkmcnt(0)
	v_max_f32_e32 v12, v12, v12
	v_max_f32_e32 v12, v11, v12
	v_cndmask_b32_e32 v11, v8, v13, vcc
	v_lshlrev_b32_e32 v37, 2, v11
	ds_bpermute_b32 v13, v37, v12
	v_cmp_eq_u32_e32 vcc, 0, v36
	v_lshlrev_b32_e32 v11, 2, v1
	s_and_saveexec_b64 s[0:1], vcc
	s_cbranch_execz .LBB154_14
; %bb.13:
	s_waitcnt lgkmcnt(0)
	v_max_f32_e32 v13, v13, v13
	v_max_f32_e32 v12, v12, v12
	;; [unrolled: 1-line block ×3, first 2 shown]
	ds_write_b32 v11, v12 offset:128
.LBB154_14:
	s_or_b64 exec, exec, s[0:1]
	v_cmp_gt_u32_e64 s[0:1], 2, v36
	s_waitcnt lgkmcnt(0)
	v_mov_b32_e32 v13, 0xff7fffff
	v_lshlrev_b32_e32 v12, 2, v36
	s_barrier
	s_and_saveexec_b64 s[2:3], s[0:1]
; %bb.15:
	ds_read_b32 v13, v12 offset:128
; %bb.16:
	s_or_b64 exec, exec, s[2:3]
	v_xor_b32_e32 v14, 1, v8
	v_cmp_lt_i32_e64 s[2:3], v14, v10
	v_lshlrev_b32_e32 v9, 2, v9
	s_nop 0
	v_cndmask_b32_e64 v10, v8, v14, s[2:3]
	v_lshlrev_b32_e32 v38, 2, v10
	s_waitcnt lgkmcnt(0)
	ds_bpermute_b32 v10, v38, v13
	v_max_f32_e32 v13, v13, v13
	s_lshl_b32 s2, s17, 5
	s_min_i32 s12, s2, s33
	v_cmp_gt_i32_e64 s[2:3], s12, v0
	s_waitcnt lgkmcnt(0)
	v_max_f32_e32 v10, v10, v10
	v_max_f32_e32 v10, v13, v10
	ds_bpermute_b32 v10, v9, v10
	v_mov_b32_e32 v9, 0
	s_and_saveexec_b64 s[26:27], s[2:3]
	s_cbranch_execz .LBB154_20
; %bb.17:
	v_mov_b32_e32 v9, 0x90
	v_lshl_add_u32 v13, v0, 2, v9
	v_mov_b32_e32 v9, 0
	s_mov_b64 s[28:29], 0
	v_mov_b32_e32 v14, v0
.LBB154_18:                             ; =>This Inner Loop Header: Depth=1
	ds_read_b32 v15, v13
	v_add_u32_e32 v14, 0x80, v14
	v_cmp_le_i32_e64 s[8:9], s12, v14
	s_or_b64 s[28:29], s[8:9], s[28:29]
	s_waitcnt lgkmcnt(0)
	v_sub_f32_e32 v15, v15, v10
	v_mul_f32_e32 v15, 0x3fb8aa3b, v15
	v_exp_f32_e32 v15, v15
	ds_write_b32 v13, v15
	v_add_f32_e32 v9, v9, v15
	v_add_u32_e32 v13, 0x200, v13
	s_andn2_b64 exec, exec, s[28:29]
	s_cbranch_execnz .LBB154_18
; %bb.19:
	s_or_b64 exec, exec, s[28:29]
.LBB154_20:
	s_or_b64 exec, exec, s[26:27]
	ds_bpermute_b32 v2, v2, v9
	s_waitcnt lgkmcnt(0)
	v_add_f32_e32 v2, v9, v2
	ds_bpermute_b32 v3, v3, v2
	s_waitcnt lgkmcnt(0)
	v_add_f32_e32 v2, v2, v3
	;; [unrolled: 3-line block ×6, first 2 shown]
	s_and_saveexec_b64 s[8:9], vcc
; %bb.21:
	ds_write_b32 v11, v2 offset:136
; %bb.22:
	s_or_b64 exec, exec, s[8:9]
	s_waitcnt lgkmcnt(0)
	s_barrier
	s_and_saveexec_b64 s[8:9], s[0:1]
; %bb.23:
	ds_read_b32 v2, v12 offset:136
; %bb.24:
	s_or_b64 exec, exec, s[8:9]
	s_waitcnt lgkmcnt(0)
	ds_bpermute_b32 v3, v38, v2
	v_lshlrev_b32_e32 v4, 2, v8
	s_waitcnt lgkmcnt(0)
	v_add_f32_e32 v2, v2, v3
	v_and_b32_e32 v3, 0xffffff00, v4
	ds_bpermute_b32 v2, v3, v2
	s_and_saveexec_b64 s[0:1], s[2:3]
	s_cbranch_execz .LBB154_37
; %bb.25:
	s_waitcnt lgkmcnt(0)
	v_add_f32_e32 v2, 0x358637bd, v2
	v_div_scale_f32 v3, s[2:3], v2, v2, 1.0
	v_rcp_f32_e32 v4, v3
	v_div_scale_f32 v5, vcc, 1.0, v2, 1.0
	s_movk_i32 s2, 0x7f
	v_fma_f32 v8, -v3, v4, 1.0
	v_fmac_f32_e32 v4, v8, v4
	v_mul_f32_e32 v8, v5, v4
	v_fma_f32 v9, -v3, v8, v5
	v_fmac_f32_e32 v8, v9, v4
	v_fma_f32 v3, -v3, v8, v5
	v_div_fmas_f32 v3, v3, v4, v8
	v_xad_u32 v4, v0, -1, s12
	v_div_fixup_f32 v2, v3, v2, 1.0
	v_cmp_lt_u32_e32 vcc, s2, v4
	s_mov_b64 s[8:9], -1
	v_mov_b32_e32 v3, v0
	s_and_saveexec_b64 s[2:3], vcc
	s_cbranch_execz .LBB154_34
; %bb.26:
	v_lshrrev_b32_e32 v4, 7, v4
	v_add_u32_e32 v8, -1, v4
	v_lshrrev_b32_e32 v5, 1, v8
	v_mov_b32_e32 v3, v2
	v_add_u32_e32 v5, 1, v5
	v_cmp_lt_u32_e32 vcc, 13, v8
	v_mov_b32_e32 v10, 0
	s_and_saveexec_b64 s[8:9], vcc
	s_cbranch_execz .LBB154_30
; %bb.27:
	v_mov_b32_e32 v9, 0x90
	v_and_b32_e32 v8, -8, v5
	v_lshl_add_u32 v9, v0, 2, v9
	s_mov_b32 s15, 0
	s_mov_b64 s[26:27], 0
.LBB154_28:                             ; =>This Inner Loop Header: Depth=1
	ds_read2st64_b32 v[10:11], v9 offset1:2
	ds_read2st64_b32 v[12:13], v9 offset0:4 offset1:6
	ds_read2st64_b32 v[14:15], v9 offset0:8 offset1:10
	;; [unrolled: 1-line block ×3, first 2 shown]
	v_add_u32_e32 v8, -8, v8
	s_waitcnt lgkmcnt(3)
	v_pk_mul_f32 v[10:11], v[2:3], v[10:11]
	s_waitcnt lgkmcnt(2)
	v_pk_mul_f32 v[12:13], v[2:3], v[12:13]
	ds_write2st64_b32 v9, v10, v11 offset1:2
	ds_write2st64_b32 v9, v12, v13 offset0:4 offset1:6
	ds_read2st64_b32 v[12:13], v9 offset0:16 offset1:18
	s_waitcnt lgkmcnt(4)
	v_pk_mul_f32 v[10:11], v[2:3], v[14:15]
	ds_write2st64_b32 v9, v10, v11 offset0:8 offset1:10
	s_waitcnt lgkmcnt(4)
	v_pk_mul_f32 v[10:11], v[2:3], v[16:17]
	ds_write2st64_b32 v9, v10, v11 offset0:12 offset1:14
	ds_read2st64_b32 v[10:11], v9 offset0:20 offset1:22
	s_waitcnt lgkmcnt(3)
	v_pk_mul_f32 v[12:13], v[2:3], v[12:13]
	ds_read2st64_b32 v[14:15], v9 offset0:24 offset1:26
	ds_write2st64_b32 v9, v12, v13 offset0:16 offset1:18
	ds_read2st64_b32 v[12:13], v9 offset0:28 offset1:30
	s_waitcnt lgkmcnt(3)
	v_pk_mul_f32 v[10:11], v[2:3], v[10:11]
	ds_write2st64_b32 v9, v10, v11 offset0:20 offset1:22
	s_waitcnt lgkmcnt(3)
	v_pk_mul_f32 v[10:11], v[2:3], v[14:15]
	ds_write2st64_b32 v9, v10, v11 offset0:24 offset1:26
	s_waitcnt lgkmcnt(2)
	v_pk_mul_f32 v[10:11], v[2:3], v[12:13]
	s_add_i32 s15, s15, 16
	v_cmp_eq_u32_e32 vcc, 0, v8
	ds_write2st64_b32 v9, v10, v11 offset0:28 offset1:30
	v_add_u32_e32 v9, 0x2000, v9
	s_or_b64 s[26:27], vcc, s[26:27]
	v_mov_b32_e32 v10, s15
	s_andn2_b64 exec, exec, s[26:27]
	s_cbranch_execnz .LBB154_28
; %bb.29:
	s_or_b64 exec, exec, s[26:27]
.LBB154_30:
	s_or_b64 exec, exec, s[8:9]
	v_and_b32_e32 v5, 7, v5
	v_cmp_ne_u32_e32 vcc, 0, v5
	s_and_saveexec_b64 s[8:9], vcc
	s_cbranch_execz .LBB154_33
; %bb.31:
	v_lshlrev_b32_e32 v8, 9, v10
	v_lshlrev_b32_e32 v9, 2, v0
	s_movk_i32 s15, 0x90
	v_add3_u32 v8, v8, v9, s15
	s_mov_b64 s[26:27], 0
.LBB154_32:                             ; =>This Inner Loop Header: Depth=1
	ds_read2st64_b32 v[10:11], v8 offset1:2
	v_add_u32_e32 v5, -1, v5
	v_cmp_eq_u32_e32 vcc, 0, v5
	s_or_b64 s[26:27], vcc, s[26:27]
	s_waitcnt lgkmcnt(0)
	v_pk_mul_f32 v[10:11], v[2:3], v[10:11]
	ds_write2st64_b32 v8, v10, v11 offset1:2
	v_add_u32_e32 v8, 0x400, v8
	s_andn2_b64 exec, exec, s[26:27]
	s_cbranch_execnz .LBB154_32
.LBB154_33:
	s_or_b64 exec, exec, s[8:9]
	v_add_u32_e32 v4, 1, v4
	v_and_b32_e32 v5, 0x3fffffe, v4
	v_cmp_ne_u32_e32 vcc, v4, v5
	v_lshl_add_u32 v3, v5, 7, v0
	s_orn2_b64 s[8:9], vcc, exec
.LBB154_34:
	s_or_b64 exec, exec, s[2:3]
	s_and_b64 exec, exec, s[8:9]
	s_cbranch_execz .LBB154_37
; %bb.35:
	v_mov_b32_e32 v4, 0x90
	v_lshl_add_u32 v4, v3, 2, v4
	s_mov_b64 s[2:3], 0
.LBB154_36:                             ; =>This Inner Loop Header: Depth=1
	ds_read_b32 v5, v4
	v_add_u32_e32 v3, 0x80, v3
	v_cmp_le_i32_e32 vcc, s12, v3
	s_or_b64 s[2:3], vcc, s[2:3]
	s_waitcnt lgkmcnt(0)
	v_mul_f32_e32 v5, v2, v5
	ds_write_b32 v4, v5
	v_add_u32_e32 v4, 0x200, v4
	s_andn2_b64 exec, exec, s[2:3]
	s_cbranch_execnz .LBB154_36
.LBB154_37:
	s_or_b64 exec, exec, s[0:1]
	v_mov_b32_e32 v27, 0
	v_and_b32_e32 v39, 3, v0
	v_mov_b32_e32 v26, 0
	v_mov_b32_e32 v29, 0
	;; [unrolled: 1-line block ×3, first 2 shown]
	s_waitcnt lgkmcnt(0)
	s_barrier
	s_and_saveexec_b64 s[8:9], s[6:7]
	s_cbranch_execz .LBB154_49
; %bb.38:
	s_ashr_i32 s15, s14, 31
	s_lshl_b64 s[0:1], s[14:15], 1
	s_add_u32 s0, s24, s0
	v_lshlrev_b32_e32 v3, 4, v0
	s_addc_u32 s1, s25, s1
	v_and_b32_e32 v30, 0x3f0, v3
	v_mov_b32_e32 v31, 0
	v_and_b32_e32 v2, 24, v6
	s_add_i32 s14, s17, -1
	v_lshl_add_u64 v[32:33], s[0:1], 0, v[30:31]
	s_lshl_b64 s[0:1], s[22:23], 2
	v_lshl_or_b32 v40, v1, 5, v2
	v_lshlrev_b32_e32 v2, 5, v39
	s_add_u32 s0, s20, s0
	v_lshl_or_b32 v2, v1, 7, v2
	v_and_b32_e32 v30, 60, v7
	s_addc_u32 s1, s21, s1
	s_mov_b32 s26, s13
	s_mov_b32 s15, s33
	v_add_u32_e32 v41, 0x90, v2
	v_lshl_add_u64 v[34:35], s[0:1], 0, v[30:31]
	s_mov_b64 s[6:7], 0
	s_mov_b32 s20, 0x5040100
	v_mov_b32_e32 v27, 0
	v_mov_b32_e32 v26, 0
	;; [unrolled: 1-line block ×4, first 2 shown]
	s_branch .LBB154_40
.LBB154_39:                             ;   in Loop: Header=BB154_40 Depth=1
	s_or_b64 exec, exec, s[2:3]
	s_waitcnt lgkmcnt(1)
	v_cvt_pk_bf16_f32 v14, v14, s0
	v_cvt_pk_bf16_f32 v15, v15, s0
	;; [unrolled: 1-line block ×4, first 2 shown]
	s_waitcnt vmcnt(1)
	v_and_b32_e32 v30, 0xffff0000, v22
	v_lshlrev_b32_e32 v15, 16, v15
	v_lshlrev_b32_e32 v22, 16, v22
	;; [unrolled: 1-line block ×3, first 2 shown]
	v_mul_f32_e32 v30, v15, v30
	v_mul_f32_e32 v22, v14, v22
	v_and_b32_e32 v42, 0xffff0000, v23
	v_lshlrev_b32_e32 v17, 16, v17
	v_lshlrev_b32_e32 v23, 16, v23
	;; [unrolled: 1-line block ×3, first 2 shown]
	s_waitcnt lgkmcnt(0)
	v_cvt_pk_bf16_f32 v10, v10, s0
	v_cvt_pk_bf16_f32 v11, v11, s0
	;; [unrolled: 1-line block ×4, first 2 shown]
	v_mul_f32_e32 v42, v17, v42
	v_mul_f32_e32 v23, v16, v23
	v_cvt_pk_bf16_f32 v42, v42, s0
	v_cvt_pk_bf16_f32 v23, v23, s0
	v_and_b32_e32 v43, 0xffff0000, v24
	v_lshlrev_b32_e32 v11, 16, v11
	v_lshlrev_b32_e32 v24, 16, v24
	;; [unrolled: 1-line block ×5, first 2 shown]
	v_cvt_pk_bf16_f32 v12, v12, s0
	v_cvt_pk_bf16_f32 v13, v13, s0
	v_mul_f32_e32 v43, v11, v43
	v_mul_f32_e32 v24, v10, v24
	v_add_f32_e32 v22, v22, v30
	v_lshlrev_b32_e32 v23, 16, v23
	v_lshlrev_b32_e32 v30, 16, v42
	v_cvt_pk_bf16_f32 v43, v43, s0
	v_cvt_pk_bf16_f32 v24, v24, s0
	v_and_b32_e32 v44, 0xffff0000, v25
	v_lshlrev_b32_e32 v13, 16, v13
	v_lshlrev_b32_e32 v25, 16, v25
	;; [unrolled: 1-line block ×3, first 2 shown]
	v_add_f32_e32 v23, v23, v30
	v_mul_f32_e32 v44, v13, v44
	v_mul_f32_e32 v25, v12, v25
	v_add_f32_e32 v22, v23, v22
	v_lshlrev_b32_e32 v23, 16, v24
	v_lshlrev_b32_e32 v24, 16, v43
	v_cvt_pk_bf16_f32 v44, v44, s0
	v_cvt_pk_bf16_f32 v25, v25, s0
	v_add_f32_e32 v23, v23, v24
	v_add_f32_e32 v22, v23, v22
	v_lshlrev_b32_e32 v23, 16, v25
	v_lshlrev_b32_e32 v24, 16, v44
	v_add_f32_e32 v23, v23, v24
	v_add_f32_e32 v22, v23, v22
	;; [unrolled: 1-line block ×3, first 2 shown]
	v_and_b32_e32 v22, 0xffff0000, v6
	v_lshlrev_b32_e32 v6, 16, v6
	v_mul_f32_e32 v22, v15, v22
	v_mul_f32_e32 v6, v14, v6
	v_and_b32_e32 v23, 0xffff0000, v7
	v_lshlrev_b32_e32 v7, 16, v7
	v_cvt_pk_bf16_f32 v22, v22, s0
	v_cvt_pk_bf16_f32 v6, v6, s0
	v_mul_f32_e32 v23, v17, v23
	v_mul_f32_e32 v7, v16, v7
	v_cvt_pk_bf16_f32 v23, v23, s0
	v_cvt_pk_bf16_f32 v7, v7, s0
	v_and_b32_e32 v24, 0xffff0000, v8
	v_lshlrev_b32_e32 v8, 16, v8
	v_lshlrev_b32_e32 v6, 16, v6
	;; [unrolled: 1-line block ×3, first 2 shown]
	v_mul_f32_e32 v24, v11, v24
	v_mul_f32_e32 v8, v10, v8
	v_add_f32_e32 v6, v6, v22
	v_lshlrev_b32_e32 v7, 16, v7
	v_lshlrev_b32_e32 v22, 16, v23
	v_cvt_pk_bf16_f32 v24, v24, s0
	v_cvt_pk_bf16_f32 v8, v8, s0
	v_and_b32_e32 v25, 0xffff0000, v9
	v_lshlrev_b32_e32 v9, 16, v9
	v_add_f32_e32 v7, v7, v22
	v_mul_f32_e32 v25, v13, v25
	v_mul_f32_e32 v9, v12, v9
	v_add_f32_e32 v6, v7, v6
	v_lshlrev_b32_e32 v7, 16, v8
	v_lshlrev_b32_e32 v8, 16, v24
	v_cvt_pk_bf16_f32 v25, v25, s0
	v_cvt_pk_bf16_f32 v9, v9, s0
	v_add_f32_e32 v7, v7, v8
	v_add_f32_e32 v6, v7, v6
	v_lshlrev_b32_e32 v7, 16, v9
	v_lshlrev_b32_e32 v8, 16, v25
	v_add_f32_e32 v7, v7, v8
	v_add_f32_e32 v6, v7, v6
	;; [unrolled: 1-line block ×3, first 2 shown]
	v_and_b32_e32 v6, 0xffff0000, v2
	v_lshlrev_b32_e32 v2, 16, v2
	v_mul_f32_e32 v6, v15, v6
	v_mul_f32_e32 v2, v14, v2
	v_and_b32_e32 v7, 0xffff0000, v3
	v_lshlrev_b32_e32 v3, 16, v3
	v_cvt_pk_bf16_f32 v6, v6, s0
	v_cvt_pk_bf16_f32 v2, v2, s0
	v_mul_f32_e32 v7, v17, v7
	v_mul_f32_e32 v3, v16, v3
	v_cvt_pk_bf16_f32 v7, v7, s0
	v_cvt_pk_bf16_f32 v3, v3, s0
	v_and_b32_e32 v8, 0xffff0000, v4
	v_lshlrev_b32_e32 v4, 16, v4
	v_lshlrev_b32_e32 v2, 16, v2
	;; [unrolled: 1-line block ×3, first 2 shown]
	v_mul_f32_e32 v8, v11, v8
	v_mul_f32_e32 v4, v10, v4
	v_add_f32_e32 v2, v2, v6
	v_lshlrev_b32_e32 v3, 16, v3
	v_lshlrev_b32_e32 v6, 16, v7
	v_cvt_pk_bf16_f32 v8, v8, s0
	v_cvt_pk_bf16_f32 v4, v4, s0
	v_and_b32_e32 v9, 0xffff0000, v5
	v_lshlrev_b32_e32 v5, 16, v5
	v_add_f32_e32 v3, v3, v6
	v_mul_f32_e32 v5, v12, v5
	v_add_f32_e32 v2, v3, v2
	v_lshlrev_b32_e32 v3, 16, v4
	v_lshlrev_b32_e32 v4, 16, v8
	v_cvt_pk_bf16_f32 v5, v5, s0
	v_add_f32_e32 v3, v3, v4
	v_add_f32_e32 v2, v3, v2
	v_lshlrev_b32_e32 v3, 16, v5
	s_waitcnt vmcnt(0)
	v_and_b32_e32 v5, 0xffff0000, v19
	v_mul_f32_e32 v5, v17, v5
	v_mul_f32_e32 v9, v13, v9
	v_cvt_pk_bf16_f32 v6, v5, s0
	v_lshlrev_b32_e32 v5, 16, v20
	v_cvt_pk_bf16_f32 v9, v9, s0
	v_mul_f32_e32 v5, v10, v5
	v_lshlrev_b32_e32 v4, 16, v9
	v_cvt_pk_bf16_f32 v7, v5, s0
	v_and_b32_e32 v5, 0xffff0000, v20
	v_add_f32_e32 v3, v3, v4
	v_mul_f32_e32 v5, v11, v5
	v_add_f32_e32 v2, v3, v2
	v_cvt_pk_bf16_f32 v8, v5, s0
	v_lshlrev_b32_e32 v5, 16, v21
	v_add_f32_e32 v28, v28, v2
	v_lshlrev_b32_e32 v2, 16, v18
	v_and_b32_e32 v3, 0xffff0000, v18
	v_lshlrev_b32_e32 v4, 16, v19
	v_mul_f32_e32 v5, v12, v5
	v_mul_f32_e32 v2, v14, v2
	v_mul_f32_e32 v3, v15, v3
	v_mul_f32_e32 v4, v16, v4
	v_cvt_pk_bf16_f32 v9, v5, s0
	v_and_b32_e32 v5, 0xffff0000, v21
	v_cvt_pk_bf16_f32 v2, v2, s0
	v_cvt_pk_bf16_f32 v3, v3, s0
	v_cvt_pk_bf16_f32 v4, v4, s0
	v_mul_f32_e32 v5, v13, v5
	v_cvt_pk_bf16_f32 v10, v5, s0
	v_lshlrev_b32_e32 v3, 16, v3
	v_lshlrev_b32_e32 v5, 16, v2
	;; [unrolled: 1-line block ×4, first 2 shown]
	v_pk_add_f32 v[2:3], v[4:5], v[2:3]
	v_lshlrev_b32_e32 v5, 16, v8
	v_lshlrev_b32_e32 v7, 16, v7
	;; [unrolled: 1-line block ×4, first 2 shown]
	v_pk_add_f32 v[4:5], v[6:7], v[4:5]
	v_add_f32_e32 v2, v2, v3
	v_add_f32_e32 v2, v5, v2
	v_add_u32_e32 v1, 2, v1
	v_add_f32_e32 v2, v4, v2
	v_cmp_le_i32_e32 vcc, s17, v1
	v_add_f32_e32 v27, v27, v2
	v_add_u32_e32 v40, 64, v40
	v_add_u32_e32 v41, 0x100, v41
	s_or_b64 s[6:7], vcc, s[6:7]
	v_lshl_add_u64 v[34:35], v[34:35], 0, 8
	s_andn2_b64 exec, exec, s[6:7]
	s_cbranch_execz .LBB154_48
.LBB154_40:                             ; =>This Inner Loop Header: Depth=1
	global_load_dword v2, v[34:35], off
	v_add_u32_e32 v47, 1, v40
	v_or_b32_e32 v45, 3, v40
	v_or_b32_e32 v46, 2, v40
	;; [unrolled: 1-line block ×6, first 2 shown]
	s_waitcnt vmcnt(0)
	v_mad_i64_i32 v[2:3], s[0:1], v2, s26, 0
	v_lshl_add_u64 v[18:19], v[2:3], 1, v[32:33]
	global_load_dwordx4 v[2:5], v[18:19], off
	ds_read2_b64 v[14:17], v41 offset1:1
	ds_read2_b64 v[10:13], v41 offset0:2 offset1:3
	v_cmp_eq_u32_e64 s[0:1], s14, v1
	s_and_saveexec_b64 s[12:13], s[0:1]
	s_cbranch_execnz .LBB154_44
; %bb.41:                               ;   in Loop: Header=BB154_40 Depth=1
	s_or_b64 exec, exec, s[12:13]
	global_load_dwordx4 v[6:9], v[18:19], off offset:1024
	s_and_saveexec_b64 s[12:13], s[0:1]
	s_cbranch_execnz .LBB154_45
.LBB154_42:                             ;   in Loop: Header=BB154_40 Depth=1
	s_or_b64 exec, exec, s[12:13]
	global_load_dwordx4 v[22:25], v[18:19], off offset:2048
	s_and_saveexec_b64 s[12:13], s[0:1]
	s_cbranch_execnz .LBB154_46
.LBB154_43:                             ;   in Loop: Header=BB154_40 Depth=1
	s_or_b64 exec, exec, s[12:13]
	global_load_dwordx4 v[18:21], v[18:19], off offset:3072
	s_and_saveexec_b64 s[2:3], s[0:1]
	s_cbranch_execz .LBB154_39
	s_branch .LBB154_47
.LBB154_44:                             ;   in Loop: Header=BB154_40 Depth=1
	v_cmp_gt_i32_e32 vcc, s15, v47
	v_cmp_gt_i32_e64 s[2:3], s33, v46
	s_waitcnt vmcnt(0)
	v_cndmask_b32_sdwa v6, v31, v2, vcc dst_sel:DWORD dst_unused:UNUSED_PAD src0_sel:DWORD src1_sel:WORD_1
	v_cmp_gt_i32_e32 vcc, s33, v40
	s_nop 1
	v_cndmask_b32_e32 v2, 0, v2, vcc
	v_cmp_gt_i32_e32 vcc, s15, v45
	v_perm_b32 v2, v6, v2, s20
	v_cndmask_b32_e64 v6, 0, v3, s[2:3]
	v_cndmask_b32_sdwa v3, v31, v3, vcc dst_sel:DWORD dst_unused:UNUSED_PAD src0_sel:DWORD src1_sel:WORD_1
	v_cmp_gt_i32_e32 vcc, s15, v43
	v_cmp_gt_i32_e64 s[2:3], s33, v44
	v_perm_b32 v3, v3, v6, s20
	s_nop 0
	v_cndmask_b32_e64 v6, 0, v4, s[2:3]
	v_cndmask_b32_sdwa v4, v31, v4, vcc dst_sel:DWORD dst_unused:UNUSED_PAD src0_sel:DWORD src1_sel:WORD_1
	v_cmp_gt_i32_e32 vcc, s15, v30
	v_cmp_gt_i32_e64 s[2:3], s33, v42
	v_perm_b32 v4, v4, v6, s20
	s_nop 0
	v_cndmask_b32_e64 v6, 0, v5, s[2:3]
	v_cndmask_b32_sdwa v5, v31, v5, vcc dst_sel:DWORD dst_unused:UNUSED_PAD src0_sel:DWORD src1_sel:WORD_1
	v_perm_b32 v5, v5, v6, s20
	s_or_b64 exec, exec, s[12:13]
	global_load_dwordx4 v[6:9], v[18:19], off offset:1024
	s_and_saveexec_b64 s[12:13], s[0:1]
	s_cbranch_execz .LBB154_42
.LBB154_45:                             ;   in Loop: Header=BB154_40 Depth=1
	v_cmp_gt_i32_e32 vcc, s15, v47
	v_cmp_gt_i32_e64 s[2:3], s33, v46
	s_waitcnt vmcnt(0)
	v_cndmask_b32_sdwa v20, v31, v6, vcc dst_sel:DWORD dst_unused:UNUSED_PAD src0_sel:DWORD src1_sel:WORD_1
	v_cmp_gt_i32_e32 vcc, s33, v40
	s_nop 1
	v_cndmask_b32_e32 v6, 0, v6, vcc
	v_cmp_gt_i32_e32 vcc, s15, v45
	v_perm_b32 v6, v20, v6, s20
	v_cndmask_b32_e64 v20, 0, v7, s[2:3]
	v_cndmask_b32_sdwa v7, v31, v7, vcc dst_sel:DWORD dst_unused:UNUSED_PAD src0_sel:DWORD src1_sel:WORD_1
	v_cmp_gt_i32_e32 vcc, s15, v43
	v_cmp_gt_i32_e64 s[2:3], s33, v44
	v_perm_b32 v7, v7, v20, s20
	s_nop 0
	v_cndmask_b32_e64 v20, 0, v8, s[2:3]
	v_cndmask_b32_sdwa v8, v31, v8, vcc dst_sel:DWORD dst_unused:UNUSED_PAD src0_sel:DWORD src1_sel:WORD_1
	v_cmp_gt_i32_e32 vcc, s15, v30
	v_cmp_gt_i32_e64 s[2:3], s33, v42
	v_perm_b32 v8, v8, v20, s20
	s_nop 0
	v_cndmask_b32_e64 v20, 0, v9, s[2:3]
	v_cndmask_b32_sdwa v9, v31, v9, vcc dst_sel:DWORD dst_unused:UNUSED_PAD src0_sel:DWORD src1_sel:WORD_1
	v_perm_b32 v9, v9, v20, s20
	s_or_b64 exec, exec, s[12:13]
	global_load_dwordx4 v[22:25], v[18:19], off offset:2048
	s_and_saveexec_b64 s[12:13], s[0:1]
	s_cbranch_execz .LBB154_43
.LBB154_46:                             ;   in Loop: Header=BB154_40 Depth=1
	v_cmp_gt_i32_e32 vcc, s15, v47
	v_cmp_gt_i32_e64 s[2:3], s33, v46
	s_waitcnt vmcnt(0)
	v_cndmask_b32_sdwa v20, v31, v22, vcc dst_sel:DWORD dst_unused:UNUSED_PAD src0_sel:DWORD src1_sel:WORD_1
	v_cmp_gt_i32_e32 vcc, s33, v40
	s_nop 1
	v_cndmask_b32_e32 v21, 0, v22, vcc
	v_cmp_gt_i32_e32 vcc, s15, v45
	v_perm_b32 v22, v20, v21, s20
	v_cndmask_b32_e64 v20, 0, v23, s[2:3]
	v_cndmask_b32_sdwa v21, v31, v23, vcc dst_sel:DWORD dst_unused:UNUSED_PAD src0_sel:DWORD src1_sel:WORD_1
	v_cmp_gt_i32_e32 vcc, s15, v43
	v_cmp_gt_i32_e64 s[2:3], s33, v44
	v_perm_b32 v23, v21, v20, s20
	v_cndmask_b32_sdwa v21, v31, v24, vcc dst_sel:DWORD dst_unused:UNUSED_PAD src0_sel:DWORD src1_sel:WORD_1
	v_cndmask_b32_e64 v20, 0, v24, s[2:3]
	v_cmp_gt_i32_e32 vcc, s15, v30
	v_cmp_gt_i32_e64 s[2:3], s33, v42
	v_perm_b32 v24, v21, v20, s20
	v_cndmask_b32_sdwa v21, v31, v25, vcc dst_sel:DWORD dst_unused:UNUSED_PAD src0_sel:DWORD src1_sel:WORD_1
	v_cndmask_b32_e64 v20, 0, v25, s[2:3]
	v_perm_b32 v25, v21, v20, s20
	s_or_b64 exec, exec, s[12:13]
	global_load_dwordx4 v[18:21], v[18:19], off offset:3072
	s_and_saveexec_b64 s[2:3], s[0:1]
	s_cbranch_execz .LBB154_39
.LBB154_47:                             ;   in Loop: Header=BB154_40 Depth=1
	v_cmp_gt_i32_e32 vcc, s15, v47
	v_cmp_gt_i32_e64 s[0:1], s33, v46
	s_waitcnt vmcnt(0)
	v_cndmask_b32_sdwa v47, v31, v18, vcc dst_sel:DWORD dst_unused:UNUSED_PAD src0_sel:DWORD src1_sel:WORD_1
	v_cmp_gt_i32_e32 vcc, s33, v40
	s_nop 1
	v_cndmask_b32_e32 v18, 0, v18, vcc
	v_cmp_gt_i32_e32 vcc, s15, v45
	v_cndmask_b32_e64 v45, 0, v19, s[0:1]
	v_cmp_gt_i32_e64 s[0:1], s33, v44
	v_cndmask_b32_sdwa v19, v31, v19, vcc dst_sel:DWORD dst_unused:UNUSED_PAD src0_sel:DWORD src1_sel:WORD_1
	v_cmp_gt_i32_e32 vcc, s15, v43
	v_cndmask_b32_e64 v43, 0, v20, s[0:1]
	v_cmp_gt_i32_e64 s[0:1], s33, v42
	v_cndmask_b32_sdwa v20, v31, v20, vcc dst_sel:DWORD dst_unused:UNUSED_PAD src0_sel:DWORD src1_sel:WORD_1
	v_cmp_gt_i32_e32 vcc, s15, v30
	v_cndmask_b32_e64 v30, 0, v21, s[0:1]
	v_perm_b32 v18, v47, v18, s20
	v_cndmask_b32_sdwa v21, v31, v21, vcc dst_sel:DWORD dst_unused:UNUSED_PAD src0_sel:DWORD src1_sel:WORD_1
	v_perm_b32 v19, v19, v45, s20
	v_perm_b32 v20, v20, v43, s20
	;; [unrolled: 1-line block ×3, first 2 shown]
	s_branch .LBB154_39
.LBB154_48:
	s_or_b64 exec, exec, s[6:7]
.LBB154_49:
	s_or_b64 exec, exec, s[8:9]
	ds_bpermute_b32 v2, v37, v28
	ds_bpermute_b32 v3, v37, v29
	;; [unrolled: 1-line block ×4, first 2 shown]
	v_and_b32_e32 v1, 0x3c3, v0
	v_cmp_ne_u32_e32 vcc, 64, v1
	s_waitcnt lgkmcnt(2)
	v_pk_add_f32 v[2:3], v[28:29], v[2:3]
	ds_bpermute_b32 v8, v38, v2
	ds_bpermute_b32 v9, v38, v3
	s_waitcnt lgkmcnt(2)
	v_pk_add_f32 v[4:5], v[26:27], v[4:5]
	ds_bpermute_b32 v6, v38, v4
	ds_bpermute_b32 v7, v38, v5
	s_waitcnt lgkmcnt(0)
	v_pk_add_f32 v[2:3], v[2:3], v[8:9]
	s_barrier
	s_and_saveexec_b64 s[0:1], vcc
	s_xor_b64 s[0:1], exec, s[0:1]
; %bb.50:
                                        ; implicit-def: $vgpr36
; %bb.51:
	s_or_saveexec_b64 s[0:1], s[0:1]
	v_pk_add_f32 v[4:5], v[4:5], v[6:7]
	s_xor_b64 exec, exec, s[0:1]
	s_cbranch_execz .LBB154_53
; %bb.52:
	v_add_u32_e32 v6, 0x90, v36
	ds_write2_b32 v6, v2, v3 offset1:16
	ds_write2_b32 v6, v4, v5 offset0:32 offset1:48
.LBB154_53:
	s_or_b64 exec, exec, s[0:1]
	v_cmp_gt_u32_e32 vcc, 64, v0
	v_lshrrev_b32_e32 v0, 2, v0
	s_waitcnt lgkmcnt(0)
	s_barrier
	s_and_saveexec_b64 s[0:1], vcc
	s_cbranch_execz .LBB154_60
; %bb.54:
	v_mov_b32_e32 v6, 0x90
	v_cmp_eq_u32_e32 vcc, 0, v39
	v_lshl_add_u32 v6, v0, 2, v6
	s_and_saveexec_b64 s[2:3], vcc
	s_cbranch_execnz .LBB154_63
; %bb.55:
	s_or_b64 exec, exec, s[2:3]
	s_and_saveexec_b64 s[2:3], vcc
	s_cbranch_execnz .LBB154_64
.LBB154_56:
	s_or_b64 exec, exec, s[2:3]
	s_and_saveexec_b64 s[2:3], vcc
	s_cbranch_execnz .LBB154_65
.LBB154_57:
	s_or_b64 exec, exec, s[2:3]
	s_and_saveexec_b64 s[2:3], vcc
	s_cbranch_execz .LBB154_59
.LBB154_58:
	ds_read_b32 v6, v6 offset:192
	s_waitcnt lgkmcnt(0)
	v_add_f32_e32 v5, v5, v6
.LBB154_59:
	s_or_b64 exec, exec, s[2:3]
.LBB154_60:
	s_or_b64 exec, exec, s[0:1]
	v_cmp_eq_u32_e32 vcc, 0, v1
	s_barrier
	s_and_saveexec_b64 s[0:1], vcc
	s_cbranch_execz .LBB154_62
; %bb.61:
	s_mul_i32 s0, s10, s11
	s_mul_i32 s0, s0, s5
	s_lshl_b32 s0, s0, 6
	s_ashr_i32 s1, s0, 31
	s_lshl_b64 s[0:1], s[0:1], 1
	s_add_u32 s2, s18, s0
	s_mul_i32 s0, s11, s16
	s_addc_u32 s3, s19, s1
	s_ashr_i32 s1, s0, 31
	s_lshl_b64 s[0:1], s[0:1], 1
	s_add_u32 s2, s2, s0
	s_addc_u32 s3, s3, s1
	s_lshl_b32 s0, s4, 6
	s_ashr_i32 s1, s0, 31
	s_lshl_b64 s[0:1], s[0:1], 1
	s_add_u32 s0, s2, s0
	s_addc_u32 s1, s3, s1
	v_lshlrev_b32_e32 v0, 1, v0
	v_cvt_pk_bf16_f32 v1, v2, s0
	global_store_short v0, v1, s[0:1]
	v_cvt_pk_bf16_f32 v1, v3, s0
	global_store_short v0, v1, s[0:1] offset:32
	v_cvt_pk_bf16_f32 v1, v4, s0
	global_store_short v0, v1, s[0:1] offset:64
	v_cvt_pk_bf16_f32 v1, v5, s0
	global_store_short v0, v1, s[0:1] offset:96
.LBB154_62:
	s_endpgm
.LBB154_63:
	ds_read_b32 v7, v6
	s_waitcnt lgkmcnt(0)
	v_add_f32_e32 v2, v2, v7
	s_or_b64 exec, exec, s[2:3]
	s_and_saveexec_b64 s[2:3], vcc
	s_cbranch_execz .LBB154_56
.LBB154_64:
	ds_read_b32 v7, v6 offset:64
	s_waitcnt lgkmcnt(0)
	v_add_f32_e32 v3, v3, v7
	s_or_b64 exec, exec, s[2:3]
	s_and_saveexec_b64 s[2:3], vcc
	s_cbranch_execz .LBB154_57
.LBB154_65:
	ds_read_b32 v7, v6 offset:128
	s_waitcnt lgkmcnt(0)
	v_add_f32_e32 v4, v4, v7
	s_or_b64 exec, exec, s[2:3]
	s_and_saveexec_b64 s[2:3], vcc
	s_cbranch_execnz .LBB154_58
	s_branch .LBB154_59
	.section	.rodata,"a",@progbits
	.p2align	6, 0x0
	.amdhsa_kernel _ZN4vllm25paged_attention_v1_kernelI14__hip_bfloat16S1_Li64ELi32ELi128ELNS_18Fp8KVCacheDataTypeE0ELb0EEEvPT_PKS3_PKT0_S9_ifPKiSB_iPKfiiiSD_SD_iiiii
		.amdhsa_group_segment_fixed_size 144
		.amdhsa_private_segment_fixed_size 0
		.amdhsa_kernarg_size 384
		.amdhsa_user_sgpr_count 2
		.amdhsa_user_sgpr_dispatch_ptr 0
		.amdhsa_user_sgpr_queue_ptr 0
		.amdhsa_user_sgpr_kernarg_segment_ptr 1
		.amdhsa_user_sgpr_dispatch_id 0
		.amdhsa_user_sgpr_kernarg_preload_length 0
		.amdhsa_user_sgpr_kernarg_preload_offset 0
		.amdhsa_user_sgpr_private_segment_size 0
		.amdhsa_uses_dynamic_stack 0
		.amdhsa_enable_private_segment 0
		.amdhsa_system_sgpr_workgroup_id_x 1
		.amdhsa_system_sgpr_workgroup_id_y 1
		.amdhsa_system_sgpr_workgroup_id_z 1
		.amdhsa_system_sgpr_workgroup_info 0
		.amdhsa_system_vgpr_workitem_id 0
		.amdhsa_next_free_vgpr 80
		.amdhsa_next_free_sgpr 34
		.amdhsa_accum_offset 80
		.amdhsa_reserve_vcc 1
		.amdhsa_float_round_mode_32 0
		.amdhsa_float_round_mode_16_64 0
		.amdhsa_float_denorm_mode_32 3
		.amdhsa_float_denorm_mode_16_64 3
		.amdhsa_dx10_clamp 1
		.amdhsa_ieee_mode 1
		.amdhsa_fp16_overflow 0
		.amdhsa_tg_split 0
		.amdhsa_exception_fp_ieee_invalid_op 0
		.amdhsa_exception_fp_denorm_src 0
		.amdhsa_exception_fp_ieee_div_zero 0
		.amdhsa_exception_fp_ieee_overflow 0
		.amdhsa_exception_fp_ieee_underflow 0
		.amdhsa_exception_fp_ieee_inexact 0
		.amdhsa_exception_int_div_zero 0
	.end_amdhsa_kernel
	.section	.text._ZN4vllm25paged_attention_v1_kernelI14__hip_bfloat16S1_Li64ELi32ELi128ELNS_18Fp8KVCacheDataTypeE0ELb0EEEvPT_PKS3_PKT0_S9_ifPKiSB_iPKfiiiSD_SD_iiiii,"axG",@progbits,_ZN4vllm25paged_attention_v1_kernelI14__hip_bfloat16S1_Li64ELi32ELi128ELNS_18Fp8KVCacheDataTypeE0ELb0EEEvPT_PKS3_PKT0_S9_ifPKiSB_iPKfiiiSD_SD_iiiii,comdat
.Lfunc_end154:
	.size	_ZN4vllm25paged_attention_v1_kernelI14__hip_bfloat16S1_Li64ELi32ELi128ELNS_18Fp8KVCacheDataTypeE0ELb0EEEvPT_PKS3_PKT0_S9_ifPKiSB_iPKfiiiSD_SD_iiiii, .Lfunc_end154-_ZN4vllm25paged_attention_v1_kernelI14__hip_bfloat16S1_Li64ELi32ELi128ELNS_18Fp8KVCacheDataTypeE0ELb0EEEvPT_PKS3_PKT0_S9_ifPKiSB_iPKfiiiSD_SD_iiiii
                                        ; -- End function
	.set _ZN4vllm25paged_attention_v1_kernelI14__hip_bfloat16S1_Li64ELi32ELi128ELNS_18Fp8KVCacheDataTypeE0ELb0EEEvPT_PKS3_PKT0_S9_ifPKiSB_iPKfiiiSD_SD_iiiii.num_vgpr, 80
	.set _ZN4vllm25paged_attention_v1_kernelI14__hip_bfloat16S1_Li64ELi32ELi128ELNS_18Fp8KVCacheDataTypeE0ELb0EEEvPT_PKS3_PKT0_S9_ifPKiSB_iPKfiiiSD_SD_iiiii.num_agpr, 0
	.set _ZN4vllm25paged_attention_v1_kernelI14__hip_bfloat16S1_Li64ELi32ELi128ELNS_18Fp8KVCacheDataTypeE0ELb0EEEvPT_PKS3_PKT0_S9_ifPKiSB_iPKfiiiSD_SD_iiiii.numbered_sgpr, 34
	.set _ZN4vllm25paged_attention_v1_kernelI14__hip_bfloat16S1_Li64ELi32ELi128ELNS_18Fp8KVCacheDataTypeE0ELb0EEEvPT_PKS3_PKT0_S9_ifPKiSB_iPKfiiiSD_SD_iiiii.num_named_barrier, 0
	.set _ZN4vllm25paged_attention_v1_kernelI14__hip_bfloat16S1_Li64ELi32ELi128ELNS_18Fp8KVCacheDataTypeE0ELb0EEEvPT_PKS3_PKT0_S9_ifPKiSB_iPKfiiiSD_SD_iiiii.private_seg_size, 0
	.set _ZN4vllm25paged_attention_v1_kernelI14__hip_bfloat16S1_Li64ELi32ELi128ELNS_18Fp8KVCacheDataTypeE0ELb0EEEvPT_PKS3_PKT0_S9_ifPKiSB_iPKfiiiSD_SD_iiiii.uses_vcc, 1
	.set _ZN4vllm25paged_attention_v1_kernelI14__hip_bfloat16S1_Li64ELi32ELi128ELNS_18Fp8KVCacheDataTypeE0ELb0EEEvPT_PKS3_PKT0_S9_ifPKiSB_iPKfiiiSD_SD_iiiii.uses_flat_scratch, 0
	.set _ZN4vllm25paged_attention_v1_kernelI14__hip_bfloat16S1_Li64ELi32ELi128ELNS_18Fp8KVCacheDataTypeE0ELb0EEEvPT_PKS3_PKT0_S9_ifPKiSB_iPKfiiiSD_SD_iiiii.has_dyn_sized_stack, 0
	.set _ZN4vllm25paged_attention_v1_kernelI14__hip_bfloat16S1_Li64ELi32ELi128ELNS_18Fp8KVCacheDataTypeE0ELb0EEEvPT_PKS3_PKT0_S9_ifPKiSB_iPKfiiiSD_SD_iiiii.has_recursion, 0
	.set _ZN4vllm25paged_attention_v1_kernelI14__hip_bfloat16S1_Li64ELi32ELi128ELNS_18Fp8KVCacheDataTypeE0ELb0EEEvPT_PKS3_PKT0_S9_ifPKiSB_iPKfiiiSD_SD_iiiii.has_indirect_call, 0
	.section	.AMDGPU.csdata,"",@progbits
; Kernel info:
; codeLenInByte = 5476
; TotalNumSgprs: 40
; NumVgprs: 80
; NumAgprs: 0
; TotalNumVgprs: 80
; ScratchSize: 0
; MemoryBound: 0
; FloatMode: 240
; IeeeMode: 1
; LDSByteSize: 144 bytes/workgroup (compile time only)
; SGPRBlocks: 4
; VGPRBlocks: 9
; NumSGPRsForWavesPerEU: 40
; NumVGPRsForWavesPerEU: 80
; AccumOffset: 80
; Occupancy: 6
; WaveLimiterHint : 1
; COMPUTE_PGM_RSRC2:SCRATCH_EN: 0
; COMPUTE_PGM_RSRC2:USER_SGPR: 2
; COMPUTE_PGM_RSRC2:TRAP_HANDLER: 0
; COMPUTE_PGM_RSRC2:TGID_X_EN: 1
; COMPUTE_PGM_RSRC2:TGID_Y_EN: 1
; COMPUTE_PGM_RSRC2:TGID_Z_EN: 1
; COMPUTE_PGM_RSRC2:TIDIG_COMP_CNT: 0
; COMPUTE_PGM_RSRC3_GFX90A:ACCUM_OFFSET: 19
; COMPUTE_PGM_RSRC3_GFX90A:TG_SPLIT: 0
	.section	.text._ZN4vllm25paged_attention_v1_kernelI14__hip_bfloat16S1_Li80ELi32ELi128ELNS_18Fp8KVCacheDataTypeE0ELb0EEEvPT_PKS3_PKT0_S9_ifPKiSB_iPKfiiiSD_SD_iiiii,"axG",@progbits,_ZN4vllm25paged_attention_v1_kernelI14__hip_bfloat16S1_Li80ELi32ELi128ELNS_18Fp8KVCacheDataTypeE0ELb0EEEvPT_PKS3_PKT0_S9_ifPKiSB_iPKfiiiSD_SD_iiiii,comdat
	.protected	_ZN4vllm25paged_attention_v1_kernelI14__hip_bfloat16S1_Li80ELi32ELi128ELNS_18Fp8KVCacheDataTypeE0ELb0EEEvPT_PKS3_PKT0_S9_ifPKiSB_iPKfiiiSD_SD_iiiii ; -- Begin function _ZN4vllm25paged_attention_v1_kernelI14__hip_bfloat16S1_Li80ELi32ELi128ELNS_18Fp8KVCacheDataTypeE0ELb0EEEvPT_PKS3_PKT0_S9_ifPKiSB_iPKfiiiSD_SD_iiiii
	.globl	_ZN4vllm25paged_attention_v1_kernelI14__hip_bfloat16S1_Li80ELi32ELi128ELNS_18Fp8KVCacheDataTypeE0ELb0EEEvPT_PKS3_PKT0_S9_ifPKiSB_iPKfiiiSD_SD_iiiii
	.p2align	8
	.type	_ZN4vllm25paged_attention_v1_kernelI14__hip_bfloat16S1_Li80ELi32ELi128ELNS_18Fp8KVCacheDataTypeE0ELb0EEEvPT_PKS3_PKT0_S9_ifPKiSB_iPKfiiiSD_SD_iiiii,@function
_ZN4vllm25paged_attention_v1_kernelI14__hip_bfloat16S1_Li80ELi32ELi128ELNS_18Fp8KVCacheDataTypeE0ELb0EEEvPT_PKS3_PKT0_S9_ifPKiSB_iPKfiiiSD_SD_iiiii: ; @_ZN4vllm25paged_attention_v1_kernelI14__hip_bfloat16S1_Li80ELi32ELi128ELNS_18Fp8KVCacheDataTypeE0ELb0EEEvPT_PKS3_PKT0_S9_ifPKiSB_iPKfiiiSD_SD_iiiii
; %bb.0:
	s_load_dword s5, s[0:1], 0x80
	s_load_dwordx2 s[6:7], s[0:1], 0x30
	s_load_dwordx2 s[8:9], s[0:1], 0x20
	s_mov_b32 s10, s3
	s_ashr_i32 s11, s3, 31
	s_lshl_b64 s[12:13], s[10:11], 2
	s_waitcnt lgkmcnt(0)
	s_add_u32 s6, s6, s12
	s_addc_u32 s7, s7, s13
	s_abs_i32 s3, s8
	v_cvt_f32_u32_e32 v1, s3
	s_sub_i32 s12, 0, s3
	s_abs_i32 s11, s5
	s_xor_b32 s8, s5, s8
	v_rcp_iflag_f32_e32 v1, v1
	s_ashr_i32 s8, s8, 31
	v_mul_f32_e32 v1, 0x4f7ffffe, v1
	v_cvt_u32_f32_e32 v1, v1
	s_nop 0
	v_readfirstlane_b32 s13, v1
	s_mul_i32 s12, s12, s13
	s_mul_hi_u32 s12, s13, s12
	s_add_i32 s13, s13, s12
	s_mul_hi_u32 s12, s11, s13
	s_mul_i32 s13, s12, s3
	s_sub_i32 s11, s11, s13
	s_add_i32 s13, s12, 1
	s_sub_i32 s14, s11, s3
	s_cmp_ge_u32 s11, s3
	s_cselect_b32 s12, s13, s12
	s_cselect_b32 s11, s14, s11
	s_add_i32 s13, s12, 1
	s_cmp_ge_u32 s11, s3
	s_cselect_b32 s3, s13, s12
	s_xor_b32 s3, s3, s8
	s_sub_i32 s14, s3, s8
	s_abs_i32 s11, s14
	v_cvt_f32_u32_e32 v1, s11
	s_load_dwordx2 s[12:13], s[0:1], 0x40
	s_sub_i32 s3, 0, s11
	s_abs_i32 s18, s2
	v_rcp_iflag_f32_e32 v1, v1
	s_mov_b32 s8, 0
	v_mul_f32_e32 v1, 0x4f7ffffe, v1
	v_cvt_u32_f32_e32 v1, v1
	s_nop 0
	v_readfirstlane_b32 s15, v1
	s_mul_i32 s3, s3, s15
	s_mul_hi_u32 s3, s15, s3
	s_add_i32 s15, s15, s3
	s_waitcnt lgkmcnt(0)
	s_cmp_eq_u64 s[12:13], 0
	s_mul_hi_u32 s19, s18, s15
	s_cbranch_scc1 .LBB155_2
; %bb.1:
	s_ashr_i32 s3, s2, 31
	s_lshl_b64 s[16:17], s[2:3], 2
	s_add_u32 s12, s12, s16
	s_addc_u32 s13, s13, s17
	s_load_dword s8, s[12:13], 0x0
.LBB155_2:
	s_load_dword s33, s[6:7], 0x0
	s_ashr_i32 s7, s14, 31
	s_load_dwordx4 s[12:15], s[0:1], 0x48
	s_ashr_i32 s6, s2, 31
	v_and_b32_e32 v4, 1, v0
	s_waitcnt lgkmcnt(0)
	s_movk_i32 s15, 0x50
	s_mul_i32 s16, s2, 0x50
	v_cmp_gt_u32_e32 vcc, 20, v0
	v_lshlrev_b32_e32 v6, 3, v0
	s_and_saveexec_b64 s[2:3], vcc
	s_cbranch_execz .LBB155_4
; %bb.3:
	s_load_dwordx2 s[20:21], s[0:1], 0x8
	s_mul_i32 s22, s12, s10
	s_ashr_i32 s23, s22, 31
	s_lshl_b64 s[22:23], s[22:23], 1
	v_lshlrev_b32_e32 v1, 2, v0
	s_waitcnt lgkmcnt(0)
	s_add_u32 s12, s20, s22
	s_addc_u32 s22, s21, s23
	s_ashr_i32 s17, s16, 31
	s_lshl_b64 s[20:21], s[16:17], 1
	s_add_u32 s20, s12, s20
	s_addc_u32 s21, s22, s21
	global_load_dwordx2 v[2:3], v6, s[20:21]
	v_and_b32_e32 v1, 0xff8, v1
	v_mad_u32_u24 v1, v4, s15, v1
	s_waitcnt vmcnt(0)
	ds_write_b64 v1, v[2:3]
.LBB155_4:
	s_or_b64 exec, exec, s[2:3]
	s_add_i32 s3, s33, 31
	s_ashr_i32 s12, s3, 31
	s_lshr_b32 s12, s12, 27
	s_add_i32 s3, s3, s12
	s_ashr_i32 s17, s3, 5
	s_xor_b32 s3, s6, s7
	s_mul_i32 s6, s19, s11
	s_sub_i32 s6, s18, s6
	s_add_i32 s7, s19, 1
	s_sub_i32 s12, s6, s11
	s_load_dwordx2 s[20:21], s[0:1], 0x28
	s_load_dword s2, s[0:1], 0x38
	s_cmp_ge_u32 s6, s11
	s_cselect_b32 s7, s7, s19
	s_cselect_b32 s6, s12, s6
	s_add_i32 s12, s7, 1
	s_cmp_ge_u32 s6, s11
	s_cselect_b32 s6, s12, s7
	v_lshrrev_b32_e32 v1, 6, v0
	s_xor_b32 s6, s6, s3
	s_waitcnt lgkmcnt(0)
	s_mul_i32 s22, s2, s10
	s_sub_i32 s12, s6, s3
	s_ashr_i32 s23, s22, 31
	v_cmp_gt_i32_e64 s[6:7], s17, v1
	v_cmp_le_i32_e32 vcc, s17, v1
	v_mbcnt_lo_u32_b32 v5, -1, 0
	s_barrier
                                        ; implicit-def: $vgpr8
                                        ; implicit-def: $vgpr9
                                        ; implicit-def: $vgpr10
	s_and_saveexec_b64 s[2:3], vcc
	s_xor_b64 s[2:3], exec, s[2:3]
; %bb.5:
	v_mbcnt_hi_u32_b32 v8, -1, v5
	v_and_b32_e32 v9, 64, v8
	v_add_u32_e32 v10, 64, v9
                                        ; implicit-def: $vgpr4
                                        ; implicit-def: $vgpr5
; %bb.6:
	s_or_saveexec_b64 s[26:27], s[2:3]
	s_load_dwordx2 s[18:19], s[0:1], 0x0
	s_load_dwordx2 s[24:25], s[0:1], 0x18
	s_load_dword s11, s[0:1], 0x88
	v_mov_b32_e32 v40, 0xff7fffff
	s_mul_i32 s14, s12, s14
	v_lshrrev_b32_e32 v7, 4, v0
	s_xor_b64 exec, exec, s[26:27]
	s_cbranch_execz .LBB155_12
; %bb.7:
	s_load_dwordx2 s[0:1], s[0:1], 0x10
	s_ashr_i32 s15, s14, 31
	v_mul_u32_u24_e32 v8, 0x50, v4
	s_lshl_b64 s[2:3], s[14:15], 1
	ds_read_b128 v[16:19], v8
	ds_read_b128 v[24:27], v8 offset:16
	ds_read_b128 v[32:35], v8 offset:32
	;; [unrolled: 1-line block ×4, first 2 shown]
	v_mbcnt_hi_u32_b32 v8, -1, v5
	v_bfe_u32 v54, v0, 1, 5
	s_waitcnt lgkmcnt(0)
	s_add_u32 s0, s0, s2
	v_and_b32_e32 v9, 64, v8
	s_addc_u32 s1, s1, s3
	v_lshlrev_b32_e32 v56, 4, v54
	v_mov_b32_e32 v57, 0
	v_xor_b32_e32 v5, 1, v8
	v_add_u32_e32 v10, 64, v9
	v_lshl_add_u64 v[2:3], s[0:1], 0, v[56:57]
	v_cmp_lt_i32_e32 vcc, v5, v10
	s_sub_i32 s15, 1, s33
	s_lshl_b64 s[0:1], s[22:23], 2
	v_and_b32_e32 v56, 8, v6
	v_cndmask_b32_e32 v5, v8, v5, vcc
	v_cmp_eq_u32_e32 vcc, 0, v4
	v_lshlrev_b32_e32 v4, 2, v54
	s_add_u32 s0, s20, s0
	v_lshl_add_u64 v[2:3], v[2:3], 0, v[56:57]
	v_lshl_or_b32 v4, v1, 7, v4
	v_and_b32_e32 v56, 60, v7
	s_addc_u32 s1, s21, s1
	s_mov_b32 s12, s13
	v_lshlrev_b32_e32 v11, 16, v16
	v_and_b32_e32 v12, 0xffff0000, v16
	v_lshlrev_b32_e32 v13, 16, v17
	v_and_b32_e32 v14, 0xffff0000, v17
	;; [unrolled: 2-line block ×20, first 2 shown]
	v_lshlrev_b32_e32 v52, 2, v5
	v_cmp_neq_f32_e64 s[2:3], s8, 0
	v_lshl_or_b32 v53, v1, 5, v54
	v_add_u32_e32 v54, 0xb0, v4
	v_lshl_add_u64 v[4:5], s[0:1], 0, v[56:57]
	v_mov_b32_e32 v40, 0xff7fffff
	s_mov_b64 s[28:29], 0
	s_movk_i32 s34, 0x1000
	v_mov_b32_e32 v55, v1
	s_branch .LBB155_9
.LBB155_8:                              ;   in Loop: Header=BB155_9 Depth=1
	s_or_b64 exec, exec, s[30:31]
	v_add_u32_e32 v55, 2, v55
	v_cmp_le_i32_e64 s[0:1], s17, v55
	v_add_u32_e32 v53, 64, v53
	v_add_u32_e32 v54, 0x100, v54
	s_or_b64 s[28:29], s[0:1], s[28:29]
	v_lshl_add_u64 v[4:5], v[4:5], 0, 8
	s_andn2_b64 exec, exec, s[28:29]
	s_cbranch_execz .LBB155_11
.LBB155_9:                              ; =>This Inner Loop Header: Depth=1
	global_load_dword v56, v[4:5], off
	s_waitcnt vmcnt(0) lgkmcnt(0)
	v_mad_i64_i32 v[56:57], s[0:1], v56, s12, 0
	v_lshl_add_u64 v[56:57], v[56:57], 1, v[2:3]
	global_load_dwordx2 v[58:59], v[56:57], off
	global_load_dwordx2 v[60:61], v[56:57], off offset:512
	global_load_dwordx2 v[62:63], v[56:57], off offset:1024
	;; [unrolled: 1-line block ×7, first 2 shown]
	v_add_co_u32_e64 v56, s[0:1], s34, v56
	s_waitcnt vmcnt(7)
	v_lshlrev_b32_e32 v76, 16, v58
	v_addc_co_u32_e64 v57, s[0:1], 0, v57, s[0:1]
	global_load_dwordx2 v[74:75], v[56:57], off
	s_nop 0
	global_load_dwordx2 v[56:57], v[56:57], off offset:512
	s_waitcnt vmcnt(8)
	v_lshlrev_b32_e32 v78, 16, v60
	v_and_b32_e32 v60, 0xffff0000, v60
	v_and_b32_e32 v58, 0xffff0000, v58
	v_lshlrev_b32_e32 v79, 16, v61
	v_mul_f32_e32 v78, v15, v78
	v_mul_f32_e32 v60, v16, v60
	v_lshlrev_b32_e32 v77, 16, v59
	v_and_b32_e32 v61, 0xffff0000, v61
	s_waitcnt vmcnt(7)
	v_lshlrev_b32_e32 v80, 16, v62
	v_and_b32_e32 v62, 0xffff0000, v62
	v_mul_f32_e32 v79, v17, v79
	v_fmac_f32_e32 v78, v11, v76
	v_fmac_f32_e32 v60, v12, v58
	v_and_b32_e32 v59, 0xffff0000, v59
	v_lshlrev_b32_e32 v81, 16, v63
	s_waitcnt vmcnt(6)
	v_lshlrev_b32_e32 v82, 16, v64
	v_and_b32_e32 v64, 0xffff0000, v64
	v_mul_f32_e32 v61, v18, v61
	v_fmac_f32_e32 v79, v13, v77
	v_fmac_f32_e32 v78, v19, v80
	v_fmac_f32_e32 v60, v20, v62
	v_and_b32_e32 v63, 0xffff0000, v63
	v_lshlrev_b32_e32 v83, 16, v65
	s_waitcnt vmcnt(5)
	v_lshlrev_b32_e32 v84, 16, v66
	v_and_b32_e32 v66, 0xffff0000, v66
	v_fmac_f32_e32 v61, v14, v59
	v_fmac_f32_e32 v79, v21, v81
	v_fmac_f32_e32 v78, v23, v82
	v_fmac_f32_e32 v60, v24, v64
	v_and_b32_e32 v65, 0xffff0000, v65
	v_lshlrev_b32_e32 v85, 16, v67
	s_waitcnt vmcnt(4)
	v_lshlrev_b32_e32 v86, 16, v68
	v_and_b32_e32 v68, 0xffff0000, v68
	v_fmac_f32_e32 v61, v22, v63
	;; [unrolled: 9-line block ×4, first 2 shown]
	v_fmac_f32_e32 v79, v33, v87
	v_fmac_f32_e32 v78, v35, v88
	;; [unrolled: 1-line block ×3, first 2 shown]
	v_and_b32_e32 v71, 0xffff0000, v71
	v_lshlrev_b32_e32 v91, 16, v73
	v_fmac_f32_e32 v61, v34, v69
	v_fmac_f32_e32 v79, v37, v89
	;; [unrolled: 1-line block ×4, first 2 shown]
	v_and_b32_e32 v73, 0xffff0000, v73
	v_fmac_f32_e32 v61, v38, v71
	v_fmac_f32_e32 v79, v42, v91
	;; [unrolled: 1-line block ×3, first 2 shown]
	s_waitcnt vmcnt(1)
	v_lshlrev_b32_e32 v92, 16, v74
	v_and_b32_e32 v74, 0xffff0000, v74
	v_lshlrev_b32_e32 v93, 16, v75
	s_waitcnt vmcnt(0)
	v_lshlrev_b32_e32 v94, 16, v56
	v_and_b32_e32 v56, 0xffff0000, v56
	v_fmac_f32_e32 v78, v44, v92
	v_fmac_f32_e32 v60, v45, v74
	v_and_b32_e32 v75, 0xffff0000, v75
	v_lshlrev_b32_e32 v95, 16, v57
	v_fmac_f32_e32 v79, v46, v93
	v_fmac_f32_e32 v78, v48, v94
	;; [unrolled: 1-line block ×3, first 2 shown]
	v_and_b32_e32 v57, 0xffff0000, v57
	v_fmac_f32_e32 v61, v47, v75
	v_fmac_f32_e32 v79, v50, v95
	v_add_f32_e32 v56, v78, v60
	v_fmac_f32_e32 v61, v51, v57
	v_add_f32_e32 v56, v56, v79
	v_add_f32_e32 v56, v61, v56
	ds_bpermute_b32 v57, v52, v56
	s_and_saveexec_b64 s[30:31], vcc
	s_cbranch_execz .LBB155_8
; %bb.10:                               ;   in Loop: Header=BB155_9 Depth=1
	v_add_u32_e32 v58, s15, v53
	v_cvt_f32_i32_e32 v58, v58
	s_waitcnt lgkmcnt(0)
	v_add_f32_e32 v56, v56, v57
	v_cmp_gt_i32_e64 s[0:1], s33, v53
	v_max_f32_e32 v57, v40, v40
	v_mul_f32_e32 v58, s8, v58
	v_cndmask_b32_e64 v58, 0, v58, s[2:3]
	v_fmac_f32_e32 v58, s9, v56
	v_cndmask_b32_e64 v56, 0, v58, s[0:1]
	ds_write_b32 v54, v56
	v_max_f32_e32 v56, v57, v58
	v_cndmask_b32_e64 v40, v40, v56, s[0:1]
	s_branch .LBB155_8
.LBB155_11:
	s_or_b64 exec, exec, s[28:29]
.LBB155_12:
	s_or_b64 exec, exec, s[26:27]
	v_xor_b32_e32 v2, 32, v8
	v_cmp_lt_i32_e32 vcc, v2, v10
	v_xor_b32_e32 v5, 16, v8
	v_max_f32_e32 v4, v40, v40
	v_cndmask_b32_e32 v2, v8, v2, vcc
	v_lshlrev_b32_e32 v2, 2, v2
	ds_bpermute_b32 v3, v2, v40
	v_cmp_lt_i32_e32 vcc, v5, v10
	v_xor_b32_e32 v11, 8, v8
	v_xor_b32_e32 v12, 4, v8
	;; [unrolled: 1-line block ×3, first 2 shown]
	s_waitcnt lgkmcnt(0)
	v_max_f32_e32 v3, v3, v3
	v_max_f32_e32 v4, v4, v3
	v_cndmask_b32_e32 v3, v8, v5, vcc
	v_lshlrev_b32_e32 v3, 2, v3
	ds_bpermute_b32 v5, v3, v4
	v_cmp_lt_i32_e32 vcc, v11, v10
	v_and_b32_e32 v40, 63, v0
	s_waitcnt lgkmcnt(0)
	v_max_f32_e32 v5, v5, v5
	v_max_f32_e32 v5, v4, v5
	v_cndmask_b32_e32 v4, v8, v11, vcc
	v_lshlrev_b32_e32 v4, 2, v4
	ds_bpermute_b32 v11, v4, v5
	v_cmp_lt_i32_e32 vcc, v12, v10
	s_waitcnt lgkmcnt(0)
	v_max_f32_e32 v11, v11, v11
	v_max_f32_e32 v11, v5, v11
	v_cndmask_b32_e32 v5, v8, v12, vcc
	v_lshlrev_b32_e32 v5, 2, v5
	ds_bpermute_b32 v12, v5, v11
	v_cmp_lt_i32_e32 vcc, v13, v10
	s_waitcnt lgkmcnt(0)
	v_max_f32_e32 v12, v12, v12
	v_max_f32_e32 v12, v11, v12
	v_cndmask_b32_e32 v11, v8, v13, vcc
	v_lshlrev_b32_e32 v41, 2, v11
	ds_bpermute_b32 v13, v41, v12
	v_cmp_eq_u32_e32 vcc, 0, v40
	v_lshlrev_b32_e32 v11, 2, v1
	s_and_saveexec_b64 s[0:1], vcc
	s_cbranch_execz .LBB155_14
; %bb.13:
	s_waitcnt lgkmcnt(0)
	v_max_f32_e32 v13, v13, v13
	v_max_f32_e32 v12, v12, v12
	;; [unrolled: 1-line block ×3, first 2 shown]
	ds_write_b32 v11, v12 offset:160
.LBB155_14:
	s_or_b64 exec, exec, s[0:1]
	v_cmp_gt_u32_e64 s[0:1], 2, v40
	s_waitcnt lgkmcnt(0)
	v_mov_b32_e32 v13, 0xff7fffff
	v_lshlrev_b32_e32 v12, 2, v40
	s_barrier
	s_and_saveexec_b64 s[2:3], s[0:1]
; %bb.15:
	ds_read_b32 v13, v12 offset:160
; %bb.16:
	s_or_b64 exec, exec, s[2:3]
	v_xor_b32_e32 v14, 1, v8
	v_cmp_lt_i32_e64 s[2:3], v14, v10
	v_lshlrev_b32_e32 v9, 2, v9
	s_nop 0
	v_cndmask_b32_e64 v10, v8, v14, s[2:3]
	v_lshlrev_b32_e32 v42, 2, v10
	s_waitcnt lgkmcnt(0)
	ds_bpermute_b32 v10, v42, v13
	v_max_f32_e32 v13, v13, v13
	s_lshl_b32 s2, s17, 5
	s_min_i32 s12, s2, s33
	v_cmp_gt_i32_e64 s[2:3], s12, v0
	s_waitcnt lgkmcnt(0)
	v_max_f32_e32 v10, v10, v10
	v_max_f32_e32 v10, v13, v10
	ds_bpermute_b32 v10, v9, v10
	v_mov_b32_e32 v9, 0
	s_and_saveexec_b64 s[26:27], s[2:3]
	s_cbranch_execz .LBB155_20
; %bb.17:
	v_mov_b32_e32 v9, 0xb0
	v_lshl_add_u32 v13, v0, 2, v9
	v_mov_b32_e32 v9, 0
	s_mov_b64 s[28:29], 0
	v_mov_b32_e32 v14, v0
.LBB155_18:                             ; =>This Inner Loop Header: Depth=1
	ds_read_b32 v15, v13
	v_add_u32_e32 v14, 0x80, v14
	v_cmp_le_i32_e64 s[8:9], s12, v14
	s_or_b64 s[28:29], s[8:9], s[28:29]
	s_waitcnt lgkmcnt(0)
	v_sub_f32_e32 v15, v15, v10
	v_mul_f32_e32 v15, 0x3fb8aa3b, v15
	v_exp_f32_e32 v15, v15
	ds_write_b32 v13, v15
	v_add_f32_e32 v9, v9, v15
	v_add_u32_e32 v13, 0x200, v13
	s_andn2_b64 exec, exec, s[28:29]
	s_cbranch_execnz .LBB155_18
; %bb.19:
	s_or_b64 exec, exec, s[28:29]
.LBB155_20:
	s_or_b64 exec, exec, s[26:27]
	ds_bpermute_b32 v2, v2, v9
	s_waitcnt lgkmcnt(0)
	v_add_f32_e32 v2, v9, v2
	ds_bpermute_b32 v3, v3, v2
	s_waitcnt lgkmcnt(0)
	v_add_f32_e32 v2, v2, v3
	;; [unrolled: 3-line block ×6, first 2 shown]
	s_and_saveexec_b64 s[8:9], vcc
; %bb.21:
	ds_write_b32 v11, v2 offset:168
; %bb.22:
	s_or_b64 exec, exec, s[8:9]
	s_waitcnt lgkmcnt(0)
	s_barrier
	s_and_saveexec_b64 s[8:9], s[0:1]
; %bb.23:
	ds_read_b32 v2, v12 offset:168
; %bb.24:
	s_or_b64 exec, exec, s[8:9]
	s_waitcnt lgkmcnt(0)
	ds_bpermute_b32 v3, v42, v2
	v_lshlrev_b32_e32 v4, 2, v8
	s_waitcnt lgkmcnt(0)
	v_add_f32_e32 v2, v2, v3
	v_and_b32_e32 v3, 0xffffff00, v4
	ds_bpermute_b32 v2, v3, v2
	s_and_saveexec_b64 s[0:1], s[2:3]
	s_cbranch_execz .LBB155_37
; %bb.25:
	s_waitcnt lgkmcnt(0)
	v_add_f32_e32 v2, 0x358637bd, v2
	v_div_scale_f32 v3, s[2:3], v2, v2, 1.0
	v_rcp_f32_e32 v4, v3
	v_div_scale_f32 v5, vcc, 1.0, v2, 1.0
	s_movk_i32 s2, 0x7f
	v_fma_f32 v8, -v3, v4, 1.0
	v_fmac_f32_e32 v4, v8, v4
	v_mul_f32_e32 v8, v5, v4
	v_fma_f32 v9, -v3, v8, v5
	v_fmac_f32_e32 v8, v9, v4
	v_fma_f32 v3, -v3, v8, v5
	v_div_fmas_f32 v3, v3, v4, v8
	v_xad_u32 v4, v0, -1, s12
	v_div_fixup_f32 v2, v3, v2, 1.0
	v_cmp_lt_u32_e32 vcc, s2, v4
	s_mov_b64 s[8:9], -1
	v_mov_b32_e32 v3, v0
	s_and_saveexec_b64 s[2:3], vcc
	s_cbranch_execz .LBB155_34
; %bb.26:
	v_lshrrev_b32_e32 v4, 7, v4
	v_add_u32_e32 v8, -1, v4
	v_lshrrev_b32_e32 v5, 1, v8
	v_mov_b32_e32 v3, v2
	v_add_u32_e32 v5, 1, v5
	v_cmp_lt_u32_e32 vcc, 13, v8
	v_mov_b32_e32 v10, 0
	s_and_saveexec_b64 s[8:9], vcc
	s_cbranch_execz .LBB155_30
; %bb.27:
	v_mov_b32_e32 v9, 0xb0
	v_and_b32_e32 v8, -8, v5
	v_lshl_add_u32 v9, v0, 2, v9
	s_mov_b32 s15, 0
	s_mov_b64 s[26:27], 0
.LBB155_28:                             ; =>This Inner Loop Header: Depth=1
	ds_read2st64_b32 v[10:11], v9 offset1:2
	ds_read2st64_b32 v[12:13], v9 offset0:4 offset1:6
	ds_read2st64_b32 v[14:15], v9 offset0:8 offset1:10
	;; [unrolled: 1-line block ×3, first 2 shown]
	v_add_u32_e32 v8, -8, v8
	s_waitcnt lgkmcnt(3)
	v_pk_mul_f32 v[10:11], v[2:3], v[10:11]
	s_waitcnt lgkmcnt(2)
	v_pk_mul_f32 v[12:13], v[2:3], v[12:13]
	ds_write2st64_b32 v9, v10, v11 offset1:2
	ds_write2st64_b32 v9, v12, v13 offset0:4 offset1:6
	ds_read2st64_b32 v[12:13], v9 offset0:16 offset1:18
	s_waitcnt lgkmcnt(4)
	v_pk_mul_f32 v[10:11], v[2:3], v[14:15]
	ds_write2st64_b32 v9, v10, v11 offset0:8 offset1:10
	s_waitcnt lgkmcnt(4)
	v_pk_mul_f32 v[10:11], v[2:3], v[16:17]
	ds_write2st64_b32 v9, v10, v11 offset0:12 offset1:14
	ds_read2st64_b32 v[10:11], v9 offset0:20 offset1:22
	s_waitcnt lgkmcnt(3)
	v_pk_mul_f32 v[12:13], v[2:3], v[12:13]
	ds_read2st64_b32 v[14:15], v9 offset0:24 offset1:26
	ds_write2st64_b32 v9, v12, v13 offset0:16 offset1:18
	ds_read2st64_b32 v[12:13], v9 offset0:28 offset1:30
	s_waitcnt lgkmcnt(3)
	v_pk_mul_f32 v[10:11], v[2:3], v[10:11]
	ds_write2st64_b32 v9, v10, v11 offset0:20 offset1:22
	s_waitcnt lgkmcnt(3)
	v_pk_mul_f32 v[10:11], v[2:3], v[14:15]
	ds_write2st64_b32 v9, v10, v11 offset0:24 offset1:26
	s_waitcnt lgkmcnt(2)
	v_pk_mul_f32 v[10:11], v[2:3], v[12:13]
	s_add_i32 s15, s15, 16
	v_cmp_eq_u32_e32 vcc, 0, v8
	ds_write2st64_b32 v9, v10, v11 offset0:28 offset1:30
	v_add_u32_e32 v9, 0x2000, v9
	s_or_b64 s[26:27], vcc, s[26:27]
	v_mov_b32_e32 v10, s15
	s_andn2_b64 exec, exec, s[26:27]
	s_cbranch_execnz .LBB155_28
; %bb.29:
	s_or_b64 exec, exec, s[26:27]
.LBB155_30:
	s_or_b64 exec, exec, s[8:9]
	v_and_b32_e32 v5, 7, v5
	v_cmp_ne_u32_e32 vcc, 0, v5
	s_and_saveexec_b64 s[8:9], vcc
	s_cbranch_execz .LBB155_33
; %bb.31:
	v_lshlrev_b32_e32 v8, 9, v10
	v_lshlrev_b32_e32 v9, 2, v0
	s_movk_i32 s15, 0xb0
	v_add3_u32 v8, v8, v9, s15
	s_mov_b64 s[26:27], 0
.LBB155_32:                             ; =>This Inner Loop Header: Depth=1
	ds_read2st64_b32 v[10:11], v8 offset1:2
	v_add_u32_e32 v5, -1, v5
	v_cmp_eq_u32_e32 vcc, 0, v5
	s_or_b64 s[26:27], vcc, s[26:27]
	s_waitcnt lgkmcnt(0)
	v_pk_mul_f32 v[10:11], v[2:3], v[10:11]
	ds_write2st64_b32 v8, v10, v11 offset1:2
	v_add_u32_e32 v8, 0x400, v8
	s_andn2_b64 exec, exec, s[26:27]
	s_cbranch_execnz .LBB155_32
.LBB155_33:
	s_or_b64 exec, exec, s[8:9]
	v_add_u32_e32 v4, 1, v4
	v_and_b32_e32 v5, 0x3fffffe, v4
	v_cmp_ne_u32_e32 vcc, v4, v5
	v_lshl_add_u32 v3, v5, 7, v0
	s_orn2_b64 s[8:9], vcc, exec
.LBB155_34:
	s_or_b64 exec, exec, s[2:3]
	s_and_b64 exec, exec, s[8:9]
	s_cbranch_execz .LBB155_37
; %bb.35:
	v_mov_b32_e32 v4, 0xb0
	v_lshl_add_u32 v4, v3, 2, v4
	s_mov_b64 s[2:3], 0
.LBB155_36:                             ; =>This Inner Loop Header: Depth=1
	ds_read_b32 v5, v4
	v_add_u32_e32 v3, 0x80, v3
	v_cmp_le_i32_e32 vcc, s12, v3
	s_or_b64 s[2:3], vcc, s[2:3]
	s_waitcnt lgkmcnt(0)
	v_mul_f32_e32 v5, v2, v5
	ds_write_b32 v4, v5
	v_add_u32_e32 v4, 0x200, v4
	s_andn2_b64 exec, exec, s[2:3]
	s_cbranch_execnz .LBB155_36
.LBB155_37:
	s_or_b64 exec, exec, s[0:1]
	v_mov_b32_e32 v31, 0
	v_and_b32_e32 v43, 3, v0
	v_mov_b32_e32 v30, 0
	v_mov_b32_e32 v33, 0
	;; [unrolled: 1-line block ×4, first 2 shown]
	s_waitcnt lgkmcnt(0)
	s_barrier
	s_and_saveexec_b64 s[8:9], s[6:7]
	s_cbranch_execz .LBB155_51
; %bb.38:
	s_ashr_i32 s15, s14, 31
	s_lshl_b64 s[0:1], s[14:15], 1
	s_add_u32 s0, s24, s0
	v_lshlrev_b32_e32 v3, 4, v0
	s_addc_u32 s1, s25, s1
	v_and_b32_e32 v34, 0x3f0, v3
	v_mov_b32_e32 v35, 0
	v_and_b32_e32 v2, 24, v6
	s_add_i32 s14, s17, -1
	v_lshl_add_u64 v[36:37], s[0:1], 0, v[34:35]
	s_lshl_b64 s[0:1], s[22:23], 2
	v_lshl_or_b32 v44, v1, 5, v2
	v_lshlrev_b32_e32 v2, 5, v43
	s_add_u32 s0, s20, s0
	v_lshl_or_b32 v2, v1, 7, v2
	v_and_b32_e32 v34, 60, v7
	s_addc_u32 s1, s21, s1
	s_mov_b32 s26, s13
	s_mov_b32 s15, s33
	v_add_u32_e32 v45, 0xb0, v2
	v_lshl_add_u64 v[38:39], s[0:1], 0, v[34:35]
	s_mov_b64 s[6:7], 0
	s_mov_b32 s20, 0x5040100
	v_mov_b32_e32 v34, 0
	v_mov_b32_e32 v31, 0
	;; [unrolled: 1-line block ×5, first 2 shown]
	s_branch .LBB155_40
.LBB155_39:                             ;   in Loop: Header=BB155_40 Depth=1
	s_or_b64 exec, exec, s[2:3]
	s_waitcnt lgkmcnt(1)
	v_cvt_pk_bf16_f32 v14, v14, s0
	v_cvt_pk_bf16_f32 v15, v15, s0
	;; [unrolled: 1-line block ×4, first 2 shown]
	s_waitcnt vmcnt(1)
	v_and_b32_e32 v46, 0xffff0000, v26
	v_lshlrev_b32_e32 v15, 16, v15
	v_lshlrev_b32_e32 v26, 16, v26
	;; [unrolled: 1-line block ×3, first 2 shown]
	v_mul_f32_e32 v46, v15, v46
	v_mul_f32_e32 v26, v14, v26
	v_and_b32_e32 v47, 0xffff0000, v27
	v_lshlrev_b32_e32 v17, 16, v17
	v_lshlrev_b32_e32 v27, 16, v27
	;; [unrolled: 1-line block ×3, first 2 shown]
	s_waitcnt lgkmcnt(0)
	v_cvt_pk_bf16_f32 v10, v10, s0
	v_cvt_pk_bf16_f32 v11, v11, s0
	;; [unrolled: 1-line block ×4, first 2 shown]
	v_mul_f32_e32 v47, v17, v47
	v_mul_f32_e32 v27, v16, v27
	v_cvt_pk_bf16_f32 v47, v47, s0
	v_cvt_pk_bf16_f32 v27, v27, s0
	v_and_b32_e32 v48, 0xffff0000, v28
	v_lshlrev_b32_e32 v11, 16, v11
	v_lshlrev_b32_e32 v28, 16, v28
	;; [unrolled: 1-line block ×5, first 2 shown]
	v_cvt_pk_bf16_f32 v12, v12, s0
	v_cvt_pk_bf16_f32 v13, v13, s0
	v_mul_f32_e32 v48, v11, v48
	v_mul_f32_e32 v28, v10, v28
	v_add_f32_e32 v26, v26, v46
	v_lshlrev_b32_e32 v27, 16, v27
	v_lshlrev_b32_e32 v46, 16, v47
	v_cvt_pk_bf16_f32 v48, v48, s0
	v_cvt_pk_bf16_f32 v28, v28, s0
	v_and_b32_e32 v49, 0xffff0000, v29
	v_lshlrev_b32_e32 v13, 16, v13
	v_lshlrev_b32_e32 v29, 16, v29
	;; [unrolled: 1-line block ×3, first 2 shown]
	v_add_f32_e32 v27, v27, v46
	v_mul_f32_e32 v49, v13, v49
	v_mul_f32_e32 v29, v12, v29
	v_add_f32_e32 v26, v27, v26
	v_lshlrev_b32_e32 v27, 16, v28
	v_lshlrev_b32_e32 v28, 16, v48
	v_cvt_pk_bf16_f32 v49, v49, s0
	v_cvt_pk_bf16_f32 v29, v29, s0
	v_add_f32_e32 v27, v27, v28
	v_add_f32_e32 v26, v27, v26
	v_lshlrev_b32_e32 v27, 16, v29
	v_lshlrev_b32_e32 v28, 16, v49
	v_add_f32_e32 v27, v27, v28
	v_add_f32_e32 v26, v27, v26
	v_add_f32_e32 v31, v31, v26
	v_and_b32_e32 v26, 0xffff0000, v22
	v_lshlrev_b32_e32 v22, 16, v22
	v_mul_f32_e32 v26, v15, v26
	v_mul_f32_e32 v22, v14, v22
	v_and_b32_e32 v27, 0xffff0000, v23
	v_lshlrev_b32_e32 v23, 16, v23
	v_cvt_pk_bf16_f32 v26, v26, s0
	v_cvt_pk_bf16_f32 v22, v22, s0
	v_mul_f32_e32 v27, v17, v27
	v_mul_f32_e32 v23, v16, v23
	v_cvt_pk_bf16_f32 v27, v27, s0
	v_cvt_pk_bf16_f32 v23, v23, s0
	v_and_b32_e32 v28, 0xffff0000, v24
	v_lshlrev_b32_e32 v24, 16, v24
	v_lshlrev_b32_e32 v22, 16, v22
	v_lshlrev_b32_e32 v26, 16, v26
	v_mul_f32_e32 v28, v11, v28
	v_mul_f32_e32 v24, v10, v24
	v_add_f32_e32 v22, v22, v26
	v_lshlrev_b32_e32 v23, 16, v23
	v_lshlrev_b32_e32 v26, 16, v27
	v_cvt_pk_bf16_f32 v28, v28, s0
	v_cvt_pk_bf16_f32 v24, v24, s0
	v_and_b32_e32 v29, 0xffff0000, v25
	v_lshlrev_b32_e32 v25, 16, v25
	v_add_f32_e32 v23, v23, v26
	v_mul_f32_e32 v29, v13, v29
	v_mul_f32_e32 v25, v12, v25
	v_add_f32_e32 v22, v23, v22
	v_lshlrev_b32_e32 v23, 16, v24
	v_lshlrev_b32_e32 v24, 16, v28
	v_cvt_pk_bf16_f32 v29, v29, s0
	v_cvt_pk_bf16_f32 v25, v25, s0
	v_add_f32_e32 v23, v23, v24
	v_add_f32_e32 v22, v23, v22
	v_lshlrev_b32_e32 v23, 16, v25
	v_lshlrev_b32_e32 v24, 16, v29
	v_add_f32_e32 v23, v23, v24
	v_add_f32_e32 v22, v23, v22
	v_add_f32_e32 v30, v30, v22
	v_and_b32_e32 v22, 0xffff0000, v6
	v_lshlrev_b32_e32 v6, 16, v6
	v_mul_f32_e32 v22, v15, v22
	v_mul_f32_e32 v6, v14, v6
	v_and_b32_e32 v23, 0xffff0000, v7
	v_lshlrev_b32_e32 v7, 16, v7
	v_cvt_pk_bf16_f32 v22, v22, s0
	v_cvt_pk_bf16_f32 v6, v6, s0
	v_mul_f32_e32 v23, v17, v23
	v_mul_f32_e32 v7, v16, v7
	v_cvt_pk_bf16_f32 v23, v23, s0
	v_cvt_pk_bf16_f32 v7, v7, s0
	v_and_b32_e32 v24, 0xffff0000, v8
	v_lshlrev_b32_e32 v8, 16, v8
	v_lshlrev_b32_e32 v6, 16, v6
	v_lshlrev_b32_e32 v22, 16, v22
	v_mul_f32_e32 v24, v11, v24
	v_mul_f32_e32 v8, v10, v8
	v_add_f32_e32 v6, v6, v22
	v_lshlrev_b32_e32 v7, 16, v7
	v_lshlrev_b32_e32 v22, 16, v23
	v_cvt_pk_bf16_f32 v24, v24, s0
	v_cvt_pk_bf16_f32 v8, v8, s0
	v_and_b32_e32 v25, 0xffff0000, v9
	v_lshlrev_b32_e32 v9, 16, v9
	;; [unrolled: 40-line block ×3, first 2 shown]
	v_add_f32_e32 v3, v3, v6
	v_mul_f32_e32 v5, v12, v5
	v_add_f32_e32 v2, v3, v2
	v_lshlrev_b32_e32 v3, 16, v4
	v_lshlrev_b32_e32 v4, 16, v8
	v_cvt_pk_bf16_f32 v5, v5, s0
	v_add_f32_e32 v3, v3, v4
	v_add_f32_e32 v2, v3, v2
	v_lshlrev_b32_e32 v3, 16, v5
	s_waitcnt vmcnt(0)
	v_and_b32_e32 v5, 0xffff0000, v19
	v_mul_f32_e32 v5, v17, v5
	v_mul_f32_e32 v9, v13, v9
	v_cvt_pk_bf16_f32 v6, v5, s0
	v_lshlrev_b32_e32 v5, 16, v20
	v_cvt_pk_bf16_f32 v9, v9, s0
	v_mul_f32_e32 v5, v10, v5
	v_lshlrev_b32_e32 v4, 16, v9
	v_cvt_pk_bf16_f32 v7, v5, s0
	v_and_b32_e32 v5, 0xffff0000, v20
	v_add_f32_e32 v3, v3, v4
	v_mul_f32_e32 v5, v11, v5
	v_add_f32_e32 v2, v3, v2
	v_cvt_pk_bf16_f32 v8, v5, s0
	v_lshlrev_b32_e32 v5, 16, v21
	v_add_f32_e32 v32, v32, v2
	v_lshlrev_b32_e32 v2, 16, v18
	v_and_b32_e32 v3, 0xffff0000, v18
	v_lshlrev_b32_e32 v4, 16, v19
	v_mul_f32_e32 v5, v12, v5
	v_mul_f32_e32 v2, v14, v2
	;; [unrolled: 1-line block ×4, first 2 shown]
	v_cvt_pk_bf16_f32 v9, v5, s0
	v_and_b32_e32 v5, 0xffff0000, v21
	v_cvt_pk_bf16_f32 v2, v2, s0
	v_cvt_pk_bf16_f32 v3, v3, s0
	;; [unrolled: 1-line block ×3, first 2 shown]
	v_mul_f32_e32 v5, v13, v5
	v_cvt_pk_bf16_f32 v10, v5, s0
	v_lshlrev_b32_e32 v3, 16, v3
	v_lshlrev_b32_e32 v5, 16, v2
	;; [unrolled: 1-line block ×4, first 2 shown]
	v_pk_add_f32 v[2:3], v[4:5], v[2:3]
	v_lshlrev_b32_e32 v5, 16, v8
	v_lshlrev_b32_e32 v7, 16, v7
	;; [unrolled: 1-line block ×4, first 2 shown]
	v_pk_add_f32 v[4:5], v[6:7], v[4:5]
	v_add_f32_e32 v2, v2, v3
	v_add_f32_e32 v2, v5, v2
	v_add_u32_e32 v1, 2, v1
	v_add_f32_e32 v2, v4, v2
	v_cmp_le_i32_e32 vcc, s17, v1
	v_add_f32_e32 v34, v34, v2
	v_add_u32_e32 v44, 64, v44
	v_add_u32_e32 v45, 0x100, v45
	s_or_b64 s[6:7], vcc, s[6:7]
	v_lshl_add_u64 v[38:39], v[38:39], 0, 8
	s_andn2_b64 exec, exec, s[6:7]
	s_cbranch_execz .LBB155_50
.LBB155_40:                             ; =>This Inner Loop Header: Depth=1
	global_load_dword v2, v[38:39], off
	v_add_u32_e32 v52, 1, v44
	v_or_b32_e32 v50, 3, v44
	v_or_b32_e32 v51, 2, v44
	;; [unrolled: 1-line block ×6, first 2 shown]
	s_waitcnt vmcnt(0)
	v_mad_i64_i32 v[2:3], s[0:1], v2, s26, 0
	v_lshl_add_u64 v[18:19], v[2:3], 1, v[36:37]
	global_load_dwordx4 v[2:5], v[18:19], off
	ds_read2_b64 v[14:17], v45 offset1:1
	ds_read2_b64 v[10:13], v45 offset0:2 offset1:3
	v_cmp_eq_u32_e64 s[0:1], s14, v1
	s_and_saveexec_b64 s[12:13], s[0:1]
	s_cbranch_execnz .LBB155_47
; %bb.41:                               ;   in Loop: Header=BB155_40 Depth=1
	s_or_b64 exec, exec, s[12:13]
	global_load_dwordx4 v[6:9], v[18:19], off offset:1024
	s_and_saveexec_b64 s[12:13], s[0:1]
	s_cbranch_execnz .LBB155_48
.LBB155_42:                             ;   in Loop: Header=BB155_40 Depth=1
	s_or_b64 exec, exec, s[12:13]
	global_load_dwordx4 v[22:25], v[18:19], off offset:2048
	s_and_saveexec_b64 s[12:13], s[0:1]
	s_cbranch_execnz .LBB155_49
.LBB155_43:                             ;   in Loop: Header=BB155_40 Depth=1
	s_or_b64 exec, exec, s[12:13]
	global_load_dwordx4 v[26:29], v[18:19], off offset:3072
	s_and_saveexec_b64 s[12:13], s[0:1]
	s_cbranch_execz .LBB155_45
.LBB155_44:                             ;   in Loop: Header=BB155_40 Depth=1
	v_cmp_gt_i32_e32 vcc, s15, v52
	v_cmp_gt_i32_e64 s[2:3], s33, v51
	s_waitcnt vmcnt(0)
	v_cndmask_b32_sdwa v20, v35, v26, vcc dst_sel:DWORD dst_unused:UNUSED_PAD src0_sel:DWORD src1_sel:WORD_1
	v_cmp_gt_i32_e32 vcc, s33, v44
	s_nop 1
	v_cndmask_b32_e32 v21, 0, v26, vcc
	v_cmp_gt_i32_e32 vcc, s15, v50
	v_perm_b32 v26, v20, v21, s20
	v_cndmask_b32_e64 v20, 0, v27, s[2:3]
	v_cndmask_b32_sdwa v21, v35, v27, vcc dst_sel:DWORD dst_unused:UNUSED_PAD src0_sel:DWORD src1_sel:WORD_1
	v_cmp_gt_i32_e32 vcc, s15, v48
	v_cmp_gt_i32_e64 s[2:3], s33, v49
	v_perm_b32 v27, v21, v20, s20
	v_cndmask_b32_sdwa v21, v35, v28, vcc dst_sel:DWORD dst_unused:UNUSED_PAD src0_sel:DWORD src1_sel:WORD_1
	v_cndmask_b32_e64 v20, 0, v28, s[2:3]
	v_cmp_gt_i32_e32 vcc, s15, v46
	v_cmp_gt_i32_e64 s[2:3], s33, v47
	v_perm_b32 v28, v21, v20, s20
	v_cndmask_b32_sdwa v21, v35, v29, vcc dst_sel:DWORD dst_unused:UNUSED_PAD src0_sel:DWORD src1_sel:WORD_1
	v_cndmask_b32_e64 v20, 0, v29, s[2:3]
	v_perm_b32 v29, v21, v20, s20
.LBB155_45:                             ;   in Loop: Header=BB155_40 Depth=1
	s_or_b64 exec, exec, s[12:13]
	v_add_co_u32_e32 v18, vcc, 0x1000, v18
	s_nop 1
	v_addc_co_u32_e32 v19, vcc, 0, v19, vcc
	global_load_dwordx4 v[18:21], v[18:19], off
	s_and_saveexec_b64 s[2:3], s[0:1]
	s_cbranch_execz .LBB155_39
; %bb.46:                               ;   in Loop: Header=BB155_40 Depth=1
	v_cmp_gt_i32_e32 vcc, s15, v52
	v_cmp_gt_i32_e64 s[0:1], s33, v51
	s_waitcnt vmcnt(0)
	v_cndmask_b32_sdwa v52, v35, v18, vcc dst_sel:DWORD dst_unused:UNUSED_PAD src0_sel:DWORD src1_sel:WORD_1
	v_cmp_gt_i32_e32 vcc, s33, v44
	s_nop 1
	v_cndmask_b32_e32 v18, 0, v18, vcc
	v_cmp_gt_i32_e32 vcc, s15, v50
	v_cndmask_b32_e64 v50, 0, v19, s[0:1]
	v_cmp_gt_i32_e64 s[0:1], s33, v49
	v_cndmask_b32_sdwa v19, v35, v19, vcc dst_sel:DWORD dst_unused:UNUSED_PAD src0_sel:DWORD src1_sel:WORD_1
	v_cmp_gt_i32_e32 vcc, s15, v48
	v_cndmask_b32_e64 v48, 0, v20, s[0:1]
	v_cmp_gt_i32_e64 s[0:1], s33, v47
	v_cndmask_b32_sdwa v20, v35, v20, vcc dst_sel:DWORD dst_unused:UNUSED_PAD src0_sel:DWORD src1_sel:WORD_1
	v_cmp_gt_i32_e32 vcc, s15, v46
	v_cndmask_b32_e64 v46, 0, v21, s[0:1]
	v_perm_b32 v18, v52, v18, s20
	v_cndmask_b32_sdwa v21, v35, v21, vcc dst_sel:DWORD dst_unused:UNUSED_PAD src0_sel:DWORD src1_sel:WORD_1
	v_perm_b32 v19, v19, v50, s20
	v_perm_b32 v20, v20, v48, s20
	;; [unrolled: 1-line block ×3, first 2 shown]
	s_branch .LBB155_39
.LBB155_47:                             ;   in Loop: Header=BB155_40 Depth=1
	v_cmp_gt_i32_e32 vcc, s15, v52
	v_cmp_gt_i32_e64 s[2:3], s33, v51
	s_waitcnt vmcnt(0)
	v_cndmask_b32_sdwa v6, v35, v2, vcc dst_sel:DWORD dst_unused:UNUSED_PAD src0_sel:DWORD src1_sel:WORD_1
	v_cmp_gt_i32_e32 vcc, s33, v44
	s_nop 1
	v_cndmask_b32_e32 v2, 0, v2, vcc
	v_cmp_gt_i32_e32 vcc, s15, v50
	v_perm_b32 v2, v6, v2, s20
	v_cndmask_b32_e64 v6, 0, v3, s[2:3]
	v_cndmask_b32_sdwa v3, v35, v3, vcc dst_sel:DWORD dst_unused:UNUSED_PAD src0_sel:DWORD src1_sel:WORD_1
	v_cmp_gt_i32_e32 vcc, s15, v48
	v_cmp_gt_i32_e64 s[2:3], s33, v49
	v_perm_b32 v3, v3, v6, s20
	s_nop 0
	v_cndmask_b32_e64 v6, 0, v4, s[2:3]
	v_cndmask_b32_sdwa v4, v35, v4, vcc dst_sel:DWORD dst_unused:UNUSED_PAD src0_sel:DWORD src1_sel:WORD_1
	v_cmp_gt_i32_e32 vcc, s15, v46
	v_cmp_gt_i32_e64 s[2:3], s33, v47
	v_perm_b32 v4, v4, v6, s20
	s_nop 0
	v_cndmask_b32_e64 v6, 0, v5, s[2:3]
	v_cndmask_b32_sdwa v5, v35, v5, vcc dst_sel:DWORD dst_unused:UNUSED_PAD src0_sel:DWORD src1_sel:WORD_1
	v_perm_b32 v5, v5, v6, s20
	s_or_b64 exec, exec, s[12:13]
	global_load_dwordx4 v[6:9], v[18:19], off offset:1024
	s_and_saveexec_b64 s[12:13], s[0:1]
	s_cbranch_execz .LBB155_42
.LBB155_48:                             ;   in Loop: Header=BB155_40 Depth=1
	v_cmp_gt_i32_e32 vcc, s15, v52
	v_cmp_gt_i32_e64 s[2:3], s33, v51
	s_waitcnt vmcnt(0)
	v_cndmask_b32_sdwa v20, v35, v6, vcc dst_sel:DWORD dst_unused:UNUSED_PAD src0_sel:DWORD src1_sel:WORD_1
	v_cmp_gt_i32_e32 vcc, s33, v44
	s_nop 1
	v_cndmask_b32_e32 v6, 0, v6, vcc
	v_cmp_gt_i32_e32 vcc, s15, v50
	v_perm_b32 v6, v20, v6, s20
	v_cndmask_b32_e64 v20, 0, v7, s[2:3]
	v_cndmask_b32_sdwa v7, v35, v7, vcc dst_sel:DWORD dst_unused:UNUSED_PAD src0_sel:DWORD src1_sel:WORD_1
	v_cmp_gt_i32_e32 vcc, s15, v48
	v_cmp_gt_i32_e64 s[2:3], s33, v49
	v_perm_b32 v7, v7, v20, s20
	s_nop 0
	v_cndmask_b32_e64 v20, 0, v8, s[2:3]
	v_cndmask_b32_sdwa v8, v35, v8, vcc dst_sel:DWORD dst_unused:UNUSED_PAD src0_sel:DWORD src1_sel:WORD_1
	v_cmp_gt_i32_e32 vcc, s15, v46
	v_cmp_gt_i32_e64 s[2:3], s33, v47
	v_perm_b32 v8, v8, v20, s20
	s_nop 0
	v_cndmask_b32_e64 v20, 0, v9, s[2:3]
	v_cndmask_b32_sdwa v9, v35, v9, vcc dst_sel:DWORD dst_unused:UNUSED_PAD src0_sel:DWORD src1_sel:WORD_1
	v_perm_b32 v9, v9, v20, s20
	s_or_b64 exec, exec, s[12:13]
	global_load_dwordx4 v[22:25], v[18:19], off offset:2048
	s_and_saveexec_b64 s[12:13], s[0:1]
	s_cbranch_execz .LBB155_43
.LBB155_49:                             ;   in Loop: Header=BB155_40 Depth=1
	v_cmp_gt_i32_e32 vcc, s15, v52
	v_cmp_gt_i32_e64 s[2:3], s33, v51
	s_waitcnt vmcnt(0)
	v_cndmask_b32_sdwa v20, v35, v22, vcc dst_sel:DWORD dst_unused:UNUSED_PAD src0_sel:DWORD src1_sel:WORD_1
	v_cmp_gt_i32_e32 vcc, s33, v44
	s_nop 1
	v_cndmask_b32_e32 v21, 0, v22, vcc
	v_cmp_gt_i32_e32 vcc, s15, v50
	v_perm_b32 v22, v20, v21, s20
	v_cndmask_b32_e64 v20, 0, v23, s[2:3]
	v_cndmask_b32_sdwa v21, v35, v23, vcc dst_sel:DWORD dst_unused:UNUSED_PAD src0_sel:DWORD src1_sel:WORD_1
	v_cmp_gt_i32_e32 vcc, s15, v48
	v_cmp_gt_i32_e64 s[2:3], s33, v49
	v_perm_b32 v23, v21, v20, s20
	v_cndmask_b32_sdwa v21, v35, v24, vcc dst_sel:DWORD dst_unused:UNUSED_PAD src0_sel:DWORD src1_sel:WORD_1
	v_cndmask_b32_e64 v20, 0, v24, s[2:3]
	v_cmp_gt_i32_e32 vcc, s15, v46
	v_cmp_gt_i32_e64 s[2:3], s33, v47
	v_perm_b32 v24, v21, v20, s20
	v_cndmask_b32_sdwa v21, v35, v25, vcc dst_sel:DWORD dst_unused:UNUSED_PAD src0_sel:DWORD src1_sel:WORD_1
	v_cndmask_b32_e64 v20, 0, v25, s[2:3]
	v_perm_b32 v25, v21, v20, s20
	s_or_b64 exec, exec, s[12:13]
	global_load_dwordx4 v[26:29], v[18:19], off offset:3072
	s_and_saveexec_b64 s[12:13], s[0:1]
	s_cbranch_execnz .LBB155_44
	s_branch .LBB155_45
.LBB155_50:
	s_or_b64 exec, exec, s[6:7]
.LBB155_51:
	s_or_b64 exec, exec, s[8:9]
	ds_bpermute_b32 v2, v41, v32
	ds_bpermute_b32 v3, v41, v33
	;; [unrolled: 1-line block ×5, first 2 shown]
	s_waitcnt lgkmcnt(0)
	v_pk_add_f32 v[2:3], v[32:33], v[2:3]
	ds_bpermute_b32 v6, v42, v2
	ds_bpermute_b32 v7, v42, v3
	v_pk_add_f32 v[8:9], v[30:31], v[4:5]
	ds_bpermute_b32 v10, v42, v8
	ds_bpermute_b32 v11, v42, v9
	s_barrier
	s_waitcnt lgkmcnt(2)
	v_pk_add_f32 v[4:5], v[2:3], v[6:7]
	v_add_f32_e32 v6, v34, v1
	ds_bpermute_b32 v7, v42, v6
	v_and_b32_e32 v1, 0x3c3, v0
	s_waitcnt lgkmcnt(1)
	v_pk_add_f32 v[2:3], v[8:9], v[10:11]
	v_cmp_ne_u32_e32 vcc, 64, v1
	s_waitcnt lgkmcnt(0)
	s_and_saveexec_b64 s[0:1], vcc
	s_xor_b64 s[0:1], exec, s[0:1]
; %bb.52:
                                        ; implicit-def: $vgpr40
; %bb.53:
	s_or_saveexec_b64 s[0:1], s[0:1]
	v_add_f32_e32 v6, v6, v7
	s_xor_b64 exec, exec, s[0:1]
	s_cbranch_execz .LBB155_55
; %bb.54:
	v_add_u32_e32 v7, 0xb0, v40
	ds_write2_b32 v7, v4, v5 offset1:16
	ds_write2_b32 v7, v2, v3 offset0:32 offset1:48
	ds_write_b32 v7, v6 offset:256
.LBB155_55:
	s_or_b64 exec, exec, s[0:1]
	v_cmp_gt_u32_e32 vcc, 64, v0
	v_lshrrev_b32_e32 v0, 2, v0
	s_waitcnt lgkmcnt(0)
	s_barrier
	s_and_saveexec_b64 s[0:1], vcc
	s_cbranch_execz .LBB155_63
; %bb.56:
	v_mov_b32_e32 v7, 0xb0
	v_cmp_eq_u32_e32 vcc, 0, v43
	v_lshl_add_u32 v7, v0, 2, v7
	s_and_saveexec_b64 s[2:3], vcc
	s_cbranch_execnz .LBB155_66
; %bb.57:
	s_or_b64 exec, exec, s[2:3]
	s_and_saveexec_b64 s[2:3], vcc
	s_cbranch_execnz .LBB155_67
.LBB155_58:
	s_or_b64 exec, exec, s[2:3]
	s_and_saveexec_b64 s[2:3], vcc
	s_cbranch_execnz .LBB155_68
.LBB155_59:
	s_or_b64 exec, exec, s[2:3]
	s_and_saveexec_b64 s[2:3], vcc
	s_cbranch_execnz .LBB155_69
.LBB155_60:
	s_or_b64 exec, exec, s[2:3]
	s_and_saveexec_b64 s[2:3], vcc
	s_cbranch_execz .LBB155_62
.LBB155_61:
	ds_read_b32 v7, v7 offset:256
	s_waitcnt lgkmcnt(0)
	v_add_f32_e32 v6, v6, v7
.LBB155_62:
	s_or_b64 exec, exec, s[2:3]
.LBB155_63:
	s_or_b64 exec, exec, s[0:1]
	v_cmp_eq_u32_e32 vcc, 0, v1
	s_barrier
	s_and_saveexec_b64 s[0:1], vcc
	s_cbranch_execz .LBB155_65
; %bb.64:
	s_mul_i32 s0, s10, s11
	s_mul_i32 s0, s0, s5
	s_mulk_i32 s0, 0x50
	s_ashr_i32 s1, s0, 31
	s_lshl_b64 s[0:1], s[0:1], 1
	s_add_u32 s2, s18, s0
	s_mul_i32 s0, s11, s16
	s_addc_u32 s3, s19, s1
	s_ashr_i32 s1, s0, 31
	s_lshl_b64 s[0:1], s[0:1], 1
	s_add_u32 s2, s2, s0
	s_mul_i32 s0, s4, 0x50
	s_addc_u32 s3, s3, s1
	s_ashr_i32 s1, s0, 31
	s_lshl_b64 s[0:1], s[0:1], 1
	s_add_u32 s0, s2, s0
	s_addc_u32 s1, s3, s1
	v_lshlrev_b32_e32 v0, 1, v0
	v_cvt_pk_bf16_f32 v1, v4, s0
	global_store_short v0, v1, s[0:1]
	v_cvt_pk_bf16_f32 v1, v5, s0
	global_store_short v0, v1, s[0:1] offset:32
	v_cvt_pk_bf16_f32 v1, v2, s0
	global_store_short v0, v1, s[0:1] offset:64
	;; [unrolled: 2-line block ×4, first 2 shown]
.LBB155_65:
	s_endpgm
.LBB155_66:
	ds_read_b32 v8, v7
	s_waitcnt lgkmcnt(0)
	v_add_f32_e32 v4, v4, v8
	s_or_b64 exec, exec, s[2:3]
	s_and_saveexec_b64 s[2:3], vcc
	s_cbranch_execz .LBB155_58
.LBB155_67:
	ds_read_b32 v8, v7 offset:64
	s_waitcnt lgkmcnt(0)
	v_add_f32_e32 v5, v5, v8
	s_or_b64 exec, exec, s[2:3]
	s_and_saveexec_b64 s[2:3], vcc
	s_cbranch_execz .LBB155_59
.LBB155_68:
	ds_read_b32 v8, v7 offset:128
	s_waitcnt lgkmcnt(0)
	v_add_f32_e32 v2, v2, v8
	s_or_b64 exec, exec, s[2:3]
	s_and_saveexec_b64 s[2:3], vcc
	s_cbranch_execz .LBB155_60
.LBB155_69:
	ds_read_b32 v8, v7 offset:192
	s_waitcnt lgkmcnt(0)
	v_add_f32_e32 v3, v3, v8
	s_or_b64 exec, exec, s[2:3]
	s_and_saveexec_b64 s[2:3], vcc
	s_cbranch_execnz .LBB155_61
	s_branch .LBB155_62
	.section	.rodata,"a",@progbits
	.p2align	6, 0x0
	.amdhsa_kernel _ZN4vllm25paged_attention_v1_kernelI14__hip_bfloat16S1_Li80ELi32ELi128ELNS_18Fp8KVCacheDataTypeE0ELb0EEEvPT_PKS3_PKT0_S9_ifPKiSB_iPKfiiiSD_SD_iiiii
		.amdhsa_group_segment_fixed_size 176
		.amdhsa_private_segment_fixed_size 0
		.amdhsa_kernarg_size 384
		.amdhsa_user_sgpr_count 2
		.amdhsa_user_sgpr_dispatch_ptr 0
		.amdhsa_user_sgpr_queue_ptr 0
		.amdhsa_user_sgpr_kernarg_segment_ptr 1
		.amdhsa_user_sgpr_dispatch_id 0
		.amdhsa_user_sgpr_kernarg_preload_length 0
		.amdhsa_user_sgpr_kernarg_preload_offset 0
		.amdhsa_user_sgpr_private_segment_size 0
		.amdhsa_uses_dynamic_stack 0
		.amdhsa_enable_private_segment 0
		.amdhsa_system_sgpr_workgroup_id_x 1
		.amdhsa_system_sgpr_workgroup_id_y 1
		.amdhsa_system_sgpr_workgroup_id_z 1
		.amdhsa_system_sgpr_workgroup_info 0
		.amdhsa_system_vgpr_workitem_id 0
		.amdhsa_next_free_vgpr 96
		.amdhsa_next_free_sgpr 35
		.amdhsa_accum_offset 96
		.amdhsa_reserve_vcc 1
		.amdhsa_float_round_mode_32 0
		.amdhsa_float_round_mode_16_64 0
		.amdhsa_float_denorm_mode_32 3
		.amdhsa_float_denorm_mode_16_64 3
		.amdhsa_dx10_clamp 1
		.amdhsa_ieee_mode 1
		.amdhsa_fp16_overflow 0
		.amdhsa_tg_split 0
		.amdhsa_exception_fp_ieee_invalid_op 0
		.amdhsa_exception_fp_denorm_src 0
		.amdhsa_exception_fp_ieee_div_zero 0
		.amdhsa_exception_fp_ieee_overflow 0
		.amdhsa_exception_fp_ieee_underflow 0
		.amdhsa_exception_fp_ieee_inexact 0
		.amdhsa_exception_int_div_zero 0
	.end_amdhsa_kernel
	.section	.text._ZN4vllm25paged_attention_v1_kernelI14__hip_bfloat16S1_Li80ELi32ELi128ELNS_18Fp8KVCacheDataTypeE0ELb0EEEvPT_PKS3_PKT0_S9_ifPKiSB_iPKfiiiSD_SD_iiiii,"axG",@progbits,_ZN4vllm25paged_attention_v1_kernelI14__hip_bfloat16S1_Li80ELi32ELi128ELNS_18Fp8KVCacheDataTypeE0ELb0EEEvPT_PKS3_PKT0_S9_ifPKiSB_iPKfiiiSD_SD_iiiii,comdat
.Lfunc_end155:
	.size	_ZN4vllm25paged_attention_v1_kernelI14__hip_bfloat16S1_Li80ELi32ELi128ELNS_18Fp8KVCacheDataTypeE0ELb0EEEvPT_PKS3_PKT0_S9_ifPKiSB_iPKfiiiSD_SD_iiiii, .Lfunc_end155-_ZN4vllm25paged_attention_v1_kernelI14__hip_bfloat16S1_Li80ELi32ELi128ELNS_18Fp8KVCacheDataTypeE0ELb0EEEvPT_PKS3_PKT0_S9_ifPKiSB_iPKfiiiSD_SD_iiiii
                                        ; -- End function
	.set _ZN4vllm25paged_attention_v1_kernelI14__hip_bfloat16S1_Li80ELi32ELi128ELNS_18Fp8KVCacheDataTypeE0ELb0EEEvPT_PKS3_PKT0_S9_ifPKiSB_iPKfiiiSD_SD_iiiii.num_vgpr, 96
	.set _ZN4vllm25paged_attention_v1_kernelI14__hip_bfloat16S1_Li80ELi32ELi128ELNS_18Fp8KVCacheDataTypeE0ELb0EEEvPT_PKS3_PKT0_S9_ifPKiSB_iPKfiiiSD_SD_iiiii.num_agpr, 0
	.set _ZN4vllm25paged_attention_v1_kernelI14__hip_bfloat16S1_Li80ELi32ELi128ELNS_18Fp8KVCacheDataTypeE0ELb0EEEvPT_PKS3_PKT0_S9_ifPKiSB_iPKfiiiSD_SD_iiiii.numbered_sgpr, 35
	.set _ZN4vllm25paged_attention_v1_kernelI14__hip_bfloat16S1_Li80ELi32ELi128ELNS_18Fp8KVCacheDataTypeE0ELb0EEEvPT_PKS3_PKT0_S9_ifPKiSB_iPKfiiiSD_SD_iiiii.num_named_barrier, 0
	.set _ZN4vllm25paged_attention_v1_kernelI14__hip_bfloat16S1_Li80ELi32ELi128ELNS_18Fp8KVCacheDataTypeE0ELb0EEEvPT_PKS3_PKT0_S9_ifPKiSB_iPKfiiiSD_SD_iiiii.private_seg_size, 0
	.set _ZN4vllm25paged_attention_v1_kernelI14__hip_bfloat16S1_Li80ELi32ELi128ELNS_18Fp8KVCacheDataTypeE0ELb0EEEvPT_PKS3_PKT0_S9_ifPKiSB_iPKfiiiSD_SD_iiiii.uses_vcc, 1
	.set _ZN4vllm25paged_attention_v1_kernelI14__hip_bfloat16S1_Li80ELi32ELi128ELNS_18Fp8KVCacheDataTypeE0ELb0EEEvPT_PKS3_PKT0_S9_ifPKiSB_iPKfiiiSD_SD_iiiii.uses_flat_scratch, 0
	.set _ZN4vllm25paged_attention_v1_kernelI14__hip_bfloat16S1_Li80ELi32ELi128ELNS_18Fp8KVCacheDataTypeE0ELb0EEEvPT_PKS3_PKT0_S9_ifPKiSB_iPKfiiiSD_SD_iiiii.has_dyn_sized_stack, 0
	.set _ZN4vllm25paged_attention_v1_kernelI14__hip_bfloat16S1_Li80ELi32ELi128ELNS_18Fp8KVCacheDataTypeE0ELb0EEEvPT_PKS3_PKT0_S9_ifPKiSB_iPKfiiiSD_SD_iiiii.has_recursion, 0
	.set _ZN4vllm25paged_attention_v1_kernelI14__hip_bfloat16S1_Li80ELi32ELi128ELNS_18Fp8KVCacheDataTypeE0ELb0EEEvPT_PKS3_PKT0_S9_ifPKiSB_iPKfiiiSD_SD_iiiii.has_indirect_call, 0
	.section	.AMDGPU.csdata,"",@progbits
; Kernel info:
; codeLenInByte = 6160
; TotalNumSgprs: 41
; NumVgprs: 96
; NumAgprs: 0
; TotalNumVgprs: 96
; ScratchSize: 0
; MemoryBound: 0
; FloatMode: 240
; IeeeMode: 1
; LDSByteSize: 176 bytes/workgroup (compile time only)
; SGPRBlocks: 5
; VGPRBlocks: 11
; NumSGPRsForWavesPerEU: 41
; NumVGPRsForWavesPerEU: 96
; AccumOffset: 96
; Occupancy: 5
; WaveLimiterHint : 1
; COMPUTE_PGM_RSRC2:SCRATCH_EN: 0
; COMPUTE_PGM_RSRC2:USER_SGPR: 2
; COMPUTE_PGM_RSRC2:TRAP_HANDLER: 0
; COMPUTE_PGM_RSRC2:TGID_X_EN: 1
; COMPUTE_PGM_RSRC2:TGID_Y_EN: 1
; COMPUTE_PGM_RSRC2:TGID_Z_EN: 1
; COMPUTE_PGM_RSRC2:TIDIG_COMP_CNT: 0
; COMPUTE_PGM_RSRC3_GFX90A:ACCUM_OFFSET: 23
; COMPUTE_PGM_RSRC3_GFX90A:TG_SPLIT: 0
	.section	.text._ZN4vllm25paged_attention_v1_kernelI14__hip_bfloat16S1_Li96ELi32ELi128ELNS_18Fp8KVCacheDataTypeE0ELb0EEEvPT_PKS3_PKT0_S9_ifPKiSB_iPKfiiiSD_SD_iiiii,"axG",@progbits,_ZN4vllm25paged_attention_v1_kernelI14__hip_bfloat16S1_Li96ELi32ELi128ELNS_18Fp8KVCacheDataTypeE0ELb0EEEvPT_PKS3_PKT0_S9_ifPKiSB_iPKfiiiSD_SD_iiiii,comdat
	.protected	_ZN4vllm25paged_attention_v1_kernelI14__hip_bfloat16S1_Li96ELi32ELi128ELNS_18Fp8KVCacheDataTypeE0ELb0EEEvPT_PKS3_PKT0_S9_ifPKiSB_iPKfiiiSD_SD_iiiii ; -- Begin function _ZN4vllm25paged_attention_v1_kernelI14__hip_bfloat16S1_Li96ELi32ELi128ELNS_18Fp8KVCacheDataTypeE0ELb0EEEvPT_PKS3_PKT0_S9_ifPKiSB_iPKfiiiSD_SD_iiiii
	.globl	_ZN4vllm25paged_attention_v1_kernelI14__hip_bfloat16S1_Li96ELi32ELi128ELNS_18Fp8KVCacheDataTypeE0ELb0EEEvPT_PKS3_PKT0_S9_ifPKiSB_iPKfiiiSD_SD_iiiii
	.p2align	8
	.type	_ZN4vllm25paged_attention_v1_kernelI14__hip_bfloat16S1_Li96ELi32ELi128ELNS_18Fp8KVCacheDataTypeE0ELb0EEEvPT_PKS3_PKT0_S9_ifPKiSB_iPKfiiiSD_SD_iiiii,@function
_ZN4vllm25paged_attention_v1_kernelI14__hip_bfloat16S1_Li96ELi32ELi128ELNS_18Fp8KVCacheDataTypeE0ELb0EEEvPT_PKS3_PKT0_S9_ifPKiSB_iPKfiiiSD_SD_iiiii: ; @_ZN4vllm25paged_attention_v1_kernelI14__hip_bfloat16S1_Li96ELi32ELi128ELNS_18Fp8KVCacheDataTypeE0ELb0EEEvPT_PKS3_PKT0_S9_ifPKiSB_iPKfiiiSD_SD_iiiii
; %bb.0:
	s_load_dword s5, s[0:1], 0x80
	s_load_dwordx2 s[6:7], s[0:1], 0x30
	s_load_dwordx2 s[8:9], s[0:1], 0x20
	s_mov_b32 s10, s3
	s_ashr_i32 s11, s3, 31
	s_lshl_b64 s[12:13], s[10:11], 2
	s_waitcnt lgkmcnt(0)
	s_add_u32 s6, s6, s12
	s_addc_u32 s7, s7, s13
	s_abs_i32 s3, s8
	v_cvt_f32_u32_e32 v1, s3
	s_sub_i32 s12, 0, s3
	s_abs_i32 s11, s5
	s_xor_b32 s8, s5, s8
	v_rcp_iflag_f32_e32 v1, v1
	s_ashr_i32 s8, s8, 31
	v_mul_f32_e32 v1, 0x4f7ffffe, v1
	v_cvt_u32_f32_e32 v1, v1
	s_nop 0
	v_readfirstlane_b32 s13, v1
	s_mul_i32 s12, s12, s13
	s_mul_hi_u32 s12, s13, s12
	s_add_i32 s13, s13, s12
	s_mul_hi_u32 s12, s11, s13
	s_mul_i32 s13, s12, s3
	s_sub_i32 s11, s11, s13
	s_add_i32 s13, s12, 1
	s_sub_i32 s14, s11, s3
	s_cmp_ge_u32 s11, s3
	s_cselect_b32 s12, s13, s12
	s_cselect_b32 s11, s14, s11
	s_add_i32 s13, s12, 1
	s_cmp_ge_u32 s11, s3
	s_cselect_b32 s3, s13, s12
	s_xor_b32 s3, s3, s8
	s_sub_i32 s14, s3, s8
	s_abs_i32 s11, s14
	v_cvt_f32_u32_e32 v1, s11
	s_load_dwordx2 s[12:13], s[0:1], 0x40
	s_sub_i32 s3, 0, s11
	s_abs_i32 s18, s2
	v_rcp_iflag_f32_e32 v1, v1
	s_mov_b32 s8, 0
	v_mul_f32_e32 v1, 0x4f7ffffe, v1
	v_cvt_u32_f32_e32 v1, v1
	s_nop 0
	v_readfirstlane_b32 s15, v1
	s_mul_i32 s3, s3, s15
	s_mul_hi_u32 s3, s15, s3
	s_add_i32 s15, s15, s3
	s_waitcnt lgkmcnt(0)
	s_cmp_eq_u64 s[12:13], 0
	s_mul_hi_u32 s19, s18, s15
	s_cbranch_scc1 .LBB156_2
; %bb.1:
	s_ashr_i32 s3, s2, 31
	s_lshl_b64 s[16:17], s[2:3], 2
	s_add_u32 s12, s12, s16
	s_addc_u32 s13, s13, s17
	s_load_dword s8, s[12:13], 0x0
.LBB156_2:
	s_load_dword s33, s[6:7], 0x0
	s_ashr_i32 s7, s14, 31
	s_load_dwordx4 s[12:15], s[0:1], 0x48
	s_ashr_i32 s6, s2, 31
	v_and_b32_e32 v4, 1, v0
	s_waitcnt lgkmcnt(0)
	s_movk_i32 s15, 0x60
	s_mul_i32 s16, s2, 0x60
	v_cmp_gt_u32_e32 vcc, 24, v0
	v_lshlrev_b32_e32 v20, 3, v0
	s_and_saveexec_b64 s[2:3], vcc
	s_cbranch_execz .LBB156_4
; %bb.3:
	s_load_dwordx2 s[20:21], s[0:1], 0x8
	s_mul_i32 s22, s12, s10
	s_ashr_i32 s23, s22, 31
	s_lshl_b64 s[22:23], s[22:23], 1
	v_lshlrev_b32_e32 v1, 2, v0
	s_waitcnt lgkmcnt(0)
	s_add_u32 s12, s20, s22
	s_addc_u32 s22, s21, s23
	s_ashr_i32 s17, s16, 31
	s_lshl_b64 s[20:21], s[16:17], 1
	s_add_u32 s20, s12, s20
	s_addc_u32 s21, s22, s21
	global_load_dwordx2 v[2:3], v20, s[20:21]
	v_and_b32_e32 v1, 0xff8, v1
	v_mad_u32_u24 v1, v4, s15, v1
	s_waitcnt vmcnt(0)
	ds_write_b64 v1, v[2:3]
.LBB156_4:
	s_or_b64 exec, exec, s[2:3]
	s_add_i32 s3, s33, 31
	s_ashr_i32 s12, s3, 31
	s_lshr_b32 s12, s12, 27
	s_add_i32 s3, s3, s12
	s_ashr_i32 s17, s3, 5
	s_xor_b32 s3, s6, s7
	s_mul_i32 s6, s19, s11
	s_sub_i32 s6, s18, s6
	s_add_i32 s7, s19, 1
	s_sub_i32 s12, s6, s11
	s_load_dwordx2 s[20:21], s[0:1], 0x28
	s_load_dword s2, s[0:1], 0x38
	s_cmp_ge_u32 s6, s11
	s_cselect_b32 s7, s7, s19
	s_cselect_b32 s6, s12, s6
	s_add_i32 s12, s7, 1
	s_cmp_ge_u32 s6, s11
	s_cselect_b32 s6, s12, s7
	v_lshrrev_b32_e32 v1, 6, v0
	s_xor_b32 s6, s6, s3
	s_waitcnt lgkmcnt(0)
	s_mul_i32 s22, s2, s10
	s_sub_i32 s12, s6, s3
	s_ashr_i32 s23, s22, 31
	v_cmp_gt_i32_e64 s[6:7], s17, v1
	v_cmp_le_i32_e32 vcc, s17, v1
	v_mbcnt_lo_u32_b32 v5, -1, 0
	s_barrier
                                        ; implicit-def: $vgpr22
                                        ; implicit-def: $vgpr23
                                        ; implicit-def: $vgpr24
	s_and_saveexec_b64 s[2:3], vcc
	s_xor_b64 s[2:3], exec, s[2:3]
; %bb.5:
	v_mbcnt_hi_u32_b32 v22, -1, v5
	v_and_b32_e32 v23, 64, v22
	v_add_u32_e32 v24, 64, v23
                                        ; implicit-def: $vgpr4
                                        ; implicit-def: $vgpr5
; %bb.6:
	s_or_saveexec_b64 s[26:27], s[2:3]
	s_load_dwordx2 s[18:19], s[0:1], 0x0
	s_load_dwordx2 s[24:25], s[0:1], 0x18
	s_load_dword s11, s[0:1], 0x88
	v_mov_b32_e32 v73, 0xff7fffff
	s_mul_i32 s14, s12, s14
	v_lshrrev_b32_e32 v21, 4, v0
	s_xor_b64 exec, exec, s[26:27]
	s_cbranch_execz .LBB156_12
; %bb.7:
	s_load_dwordx2 s[0:1], s[0:1], 0x10
	v_mul_u32_u24_e32 v2, 0x60, v4
	ds_read_b128 v[6:9], v2
	s_ashr_i32 s15, s14, 31
	ds_read_b128 v[10:13], v2 offset:16
	ds_read_b128 v[14:17], v2 offset:32
	;; [unrolled: 1-line block ×3, first 2 shown]
	s_lshl_b64 s[2:3], s[14:15], 1
	v_mbcnt_hi_u32_b32 v22, -1, v5
	v_bfe_u32 v73, v0, 1, 5
	s_waitcnt lgkmcnt(0)
	s_add_u32 s0, s0, s2
	v_and_b32_e32 v23, 64, v22
	s_addc_u32 s1, s1, s3
	v_lshlrev_b32_e32 v18, 4, v73
	v_mov_b32_e32 v19, 0
	v_lshlrev_b32_e32 v25, 16, v6
	v_and_b32_e32 v26, 0xffff0000, v6
	v_lshlrev_b32_e32 v27, 16, v7
	v_and_b32_e32 v28, 0xffff0000, v7
	v_lshlrev_b32_e32 v29, 16, v8
	v_and_b32_e32 v30, 0xffff0000, v8
	v_lshlrev_b32_e32 v31, 16, v9
	v_and_b32_e32 v32, 0xffff0000, v9
	v_lshlrev_b32_e32 v33, 16, v10
	v_and_b32_e32 v34, 0xffff0000, v10
	v_lshlrev_b32_e32 v35, 16, v11
	v_and_b32_e32 v36, 0xffff0000, v11
	v_lshlrev_b32_e32 v37, 16, v12
	v_and_b32_e32 v38, 0xffff0000, v12
	v_lshlrev_b32_e32 v39, 16, v13
	v_and_b32_e32 v40, 0xffff0000, v13
	ds_read_b128 v[6:9], v2 offset:64
	ds_read_b128 v[10:13], v2 offset:80
	v_xor_b32_e32 v5, 1, v22
	v_add_u32_e32 v24, 64, v23
	v_lshl_add_u64 v[2:3], s[0:1], 0, v[18:19]
	v_cmp_lt_i32_e64 s[0:1], v5, v24
	v_cmp_eq_u32_e32 vcc, 0, v4
	s_sub_i32 s15, 1, s33
	v_cndmask_b32_e64 v4, v22, v5, s[0:1]
	s_lshl_b64 s[0:1], s[22:23], 2
	v_and_b32_e32 v18, 8, v20
	v_lshlrev_b32_e32 v74, 2, v4
	v_lshlrev_b32_e32 v4, 2, v73
	s_add_u32 s0, s20, s0
	v_lshl_add_u64 v[2:3], v[2:3], 0, v[18:19]
	v_lshl_or_b32 v4, v1, 7, v4
	v_and_b32_e32 v18, 60, v21
	s_addc_u32 s1, s21, s1
	s_mov_b32 s12, s13
	v_lshlrev_b32_e32 v41, 16, v14
	v_and_b32_e32 v42, 0xffff0000, v14
	v_lshlrev_b32_e32 v43, 16, v15
	v_and_b32_e32 v44, 0xffff0000, v15
	;; [unrolled: 2-line block ×8, first 2 shown]
	s_waitcnt lgkmcnt(1)
	v_lshlrev_b32_e32 v57, 16, v6
	v_and_b32_e32 v58, 0xffff0000, v6
	v_lshlrev_b32_e32 v59, 16, v7
	v_and_b32_e32 v60, 0xffff0000, v7
	;; [unrolled: 2-line block ×4, first 2 shown]
	s_waitcnt lgkmcnt(0)
	v_lshlrev_b32_e32 v65, 16, v10
	v_and_b32_e32 v66, 0xffff0000, v10
	v_lshlrev_b32_e32 v67, 16, v11
	v_and_b32_e32 v68, 0xffff0000, v11
	;; [unrolled: 2-line block ×4, first 2 shown]
	v_cmp_neq_f32_e64 s[2:3], s8, 0
	v_lshl_or_b32 v75, v1, 5, v73
	v_add_u32_e32 v76, 0xd0, v4
	v_lshl_add_u64 v[4:5], s[0:1], 0, v[18:19]
	s_mov_b64 s[28:29], 0
	s_movk_i32 s34, 0x1000
	v_mov_b32_e32 v73, 0xff7fffff
	v_mov_b32_e32 v77, v1
	s_branch .LBB156_9
.LBB156_8:                              ;   in Loop: Header=BB156_9 Depth=1
	s_or_b64 exec, exec, s[30:31]
	v_add_u32_e32 v77, 2, v77
	v_cmp_le_i32_e64 s[0:1], s17, v77
	v_add_u32_e32 v75, 64, v75
	v_add_u32_e32 v76, 0x100, v76
	s_or_b64 s[28:29], s[0:1], s[28:29]
	v_lshl_add_u64 v[4:5], v[4:5], 0, 8
	s_andn2_b64 exec, exec, s[28:29]
	s_cbranch_execz .LBB156_11
.LBB156_9:                              ; =>This Inner Loop Header: Depth=1
	global_load_dword v6, v[4:5], off
	s_waitcnt vmcnt(0) lgkmcnt(0)
	v_mad_i64_i32 v[6:7], s[0:1], v6, s12, 0
	v_lshl_add_u64 v[78:79], v[6:7], 1, v[2:3]
	global_load_dwordx2 v[12:13], v[78:79], off
	global_load_dwordx2 v[10:11], v[78:79], off offset:512
	global_load_dwordx2 v[8:9], v[78:79], off offset:1024
	;; [unrolled: 1-line block ×7, first 2 shown]
	v_add_co_u32_e64 v78, s[0:1], s34, v78
	s_waitcnt vmcnt(7)
	v_lshlrev_b32_e32 v88, 16, v12
	v_addc_co_u32_e64 v79, s[0:1], 0, v79, s[0:1]
	global_load_dwordx2 v[82:83], v[78:79], off
	global_load_dwordx2 v[84:85], v[78:79], off offset:512
	global_load_dwordx2 v[86:87], v[78:79], off offset:1024
	s_nop 0
	global_load_dwordx2 v[78:79], v[78:79], off offset:1536
	s_waitcnt vmcnt(10)
	v_lshlrev_b32_e32 v90, 16, v10
	v_and_b32_e32 v10, 0xffff0000, v10
	v_and_b32_e32 v12, 0xffff0000, v12
	v_lshlrev_b32_e32 v91, 16, v11
	v_mul_f32_e32 v90, v29, v90
	v_mul_f32_e32 v10, v30, v10
	v_lshlrev_b32_e32 v89, 16, v13
	v_and_b32_e32 v11, 0xffff0000, v11
	s_waitcnt vmcnt(9)
	v_lshlrev_b32_e32 v92, 16, v8
	v_and_b32_e32 v8, 0xffff0000, v8
	v_mul_f32_e32 v91, v31, v91
	v_fmac_f32_e32 v90, v25, v88
	v_fmac_f32_e32 v10, v26, v12
	v_and_b32_e32 v13, 0xffff0000, v13
	v_lshlrev_b32_e32 v93, 16, v9
	s_waitcnt vmcnt(8)
	v_lshlrev_b32_e32 v94, 16, v6
	v_and_b32_e32 v6, 0xffff0000, v6
	v_mul_f32_e32 v11, v32, v11
	v_fmac_f32_e32 v91, v27, v89
	v_fmac_f32_e32 v90, v33, v92
	v_fmac_f32_e32 v10, v34, v8
	v_and_b32_e32 v9, 0xffff0000, v9
	v_lshlrev_b32_e32 v95, 16, v7
	s_waitcnt vmcnt(7)
	v_lshlrev_b32_e32 v96, 16, v18
	v_and_b32_e32 v18, 0xffff0000, v18
	v_fmac_f32_e32 v11, v28, v13
	v_fmac_f32_e32 v91, v35, v93
	v_fmac_f32_e32 v90, v37, v94
	v_fmac_f32_e32 v10, v38, v6
	v_and_b32_e32 v7, 0xffff0000, v7
	v_lshlrev_b32_e32 v97, 16, v19
	s_waitcnt vmcnt(6)
	v_lshlrev_b32_e32 v98, 16, v16
	v_and_b32_e32 v16, 0xffff0000, v16
	v_fmac_f32_e32 v11, v36, v9
	;; [unrolled: 9-line block ×4, first 2 shown]
	v_fmac_f32_e32 v91, v47, v99
	v_fmac_f32_e32 v90, v49, v100
	;; [unrolled: 1-line block ×3, first 2 shown]
	v_and_b32_e32 v15, 0xffff0000, v15
	v_lshlrev_b32_e32 v103, 16, v81
	v_fmac_f32_e32 v11, v48, v17
	v_fmac_f32_e32 v91, v51, v101
	;; [unrolled: 1-line block ×4, first 2 shown]
	v_and_b32_e32 v81, 0xffff0000, v81
	v_fmac_f32_e32 v11, v52, v15
	v_fmac_f32_e32 v91, v55, v103
	;; [unrolled: 1-line block ×3, first 2 shown]
	s_waitcnt vmcnt(3)
	v_lshlrev_b32_e32 v104, 16, v82
	v_and_b32_e32 v82, 0xffff0000, v82
	v_lshlrev_b32_e32 v105, 16, v83
	s_waitcnt vmcnt(2)
	v_lshlrev_b32_e32 v106, 16, v84
	v_and_b32_e32 v84, 0xffff0000, v84
	v_fmac_f32_e32 v90, v57, v104
	v_fmac_f32_e32 v10, v58, v82
	v_and_b32_e32 v83, 0xffff0000, v83
	v_lshlrev_b32_e32 v107, 16, v85
	s_waitcnt vmcnt(1)
	v_lshlrev_b32_e32 v108, 16, v86
	v_and_b32_e32 v86, 0xffff0000, v86
	v_fmac_f32_e32 v91, v59, v105
	v_fmac_f32_e32 v90, v61, v106
	;; [unrolled: 1-line block ×3, first 2 shown]
	v_and_b32_e32 v85, 0xffff0000, v85
	v_lshlrev_b32_e32 v109, 16, v87
	s_waitcnt vmcnt(0)
	v_lshlrev_b32_e32 v110, 16, v78
	v_and_b32_e32 v78, 0xffff0000, v78
	v_fmac_f32_e32 v11, v60, v83
	v_fmac_f32_e32 v91, v63, v107
	;; [unrolled: 1-line block ×4, first 2 shown]
	v_and_b32_e32 v87, 0xffff0000, v87
	v_lshlrev_b32_e32 v111, 16, v79
	v_fmac_f32_e32 v11, v64, v85
	v_fmac_f32_e32 v91, v67, v109
	;; [unrolled: 1-line block ×4, first 2 shown]
	v_and_b32_e32 v79, 0xffff0000, v79
	v_fmac_f32_e32 v11, v68, v87
	v_fmac_f32_e32 v91, v71, v111
	v_add_f32_e32 v6, v90, v10
	v_fmac_f32_e32 v11, v72, v79
	v_add_f32_e32 v6, v6, v91
	v_add_f32_e32 v6, v11, v6
	ds_bpermute_b32 v7, v74, v6
	s_and_saveexec_b64 s[30:31], vcc
	s_cbranch_execz .LBB156_8
; %bb.10:                               ;   in Loop: Header=BB156_9 Depth=1
	v_add_u32_e32 v8, s15, v75
	v_cvt_f32_i32_e32 v8, v8
	s_waitcnt lgkmcnt(0)
	v_add_f32_e32 v6, v6, v7
	v_cmp_gt_i32_e64 s[0:1], s33, v75
	v_max_f32_e32 v7, v73, v73
	v_mul_f32_e32 v8, s8, v8
	v_cndmask_b32_e64 v8, 0, v8, s[2:3]
	v_fmac_f32_e32 v8, s9, v6
	v_cndmask_b32_e64 v6, 0, v8, s[0:1]
	ds_write_b32 v76, v6
	v_max_f32_e32 v6, v7, v8
	v_cndmask_b32_e64 v73, v73, v6, s[0:1]
	s_branch .LBB156_8
.LBB156_11:
	s_or_b64 exec, exec, s[28:29]
.LBB156_12:
	s_or_b64 exec, exec, s[26:27]
	v_xor_b32_e32 v2, 32, v22
	v_cmp_lt_i32_e32 vcc, v2, v24
	v_xor_b32_e32 v5, 16, v22
	v_max_f32_e32 v4, v73, v73
	v_cndmask_b32_e32 v2, v22, v2, vcc
	v_lshlrev_b32_e32 v2, 2, v2
	ds_bpermute_b32 v3, v2, v73
	v_cmp_lt_i32_e32 vcc, v5, v24
	v_xor_b32_e32 v6, 8, v22
	s_waitcnt lgkmcnt(0)
	v_xor_b32_e32 v7, 4, v22
	v_xor_b32_e32 v8, 2, v22
	v_max_f32_e32 v3, v3, v3
	v_max_f32_e32 v4, v4, v3
	v_cndmask_b32_e32 v3, v22, v5, vcc
	v_lshlrev_b32_e32 v3, 2, v3
	ds_bpermute_b32 v5, v3, v4
	v_cmp_lt_i32_e32 vcc, v6, v24
	v_and_b32_e32 v46, 63, v0
	s_waitcnt lgkmcnt(0)
	v_max_f32_e32 v5, v5, v5
	v_max_f32_e32 v5, v4, v5
	v_cndmask_b32_e32 v4, v22, v6, vcc
	v_lshlrev_b32_e32 v4, 2, v4
	ds_bpermute_b32 v6, v4, v5
	v_cmp_lt_i32_e32 vcc, v7, v24
	s_waitcnt lgkmcnt(0)
	v_max_f32_e32 v6, v6, v6
	v_max_f32_e32 v6, v5, v6
	v_cndmask_b32_e32 v5, v22, v7, vcc
	v_lshlrev_b32_e32 v5, 2, v5
	ds_bpermute_b32 v7, v5, v6
	v_cmp_lt_i32_e32 vcc, v8, v24
	s_waitcnt lgkmcnt(0)
	v_max_f32_e32 v7, v7, v7
	v_max_f32_e32 v7, v6, v7
	v_cndmask_b32_e32 v6, v22, v8, vcc
	v_lshlrev_b32_e32 v47, 2, v6
	ds_bpermute_b32 v8, v47, v7
	v_cmp_eq_u32_e32 vcc, 0, v46
	v_lshlrev_b32_e32 v6, 2, v1
	s_and_saveexec_b64 s[0:1], vcc
	s_cbranch_execz .LBB156_14
; %bb.13:
	s_waitcnt lgkmcnt(0)
	v_max_f32_e32 v8, v8, v8
	v_max_f32_e32 v7, v7, v7
	;; [unrolled: 1-line block ×3, first 2 shown]
	ds_write_b32 v6, v7 offset:192
.LBB156_14:
	s_or_b64 exec, exec, s[0:1]
	v_cmp_gt_u32_e64 s[0:1], 2, v46
	s_waitcnt lgkmcnt(0)
	v_mov_b32_e32 v8, 0xff7fffff
	v_lshlrev_b32_e32 v7, 2, v46
	s_barrier
	s_and_saveexec_b64 s[2:3], s[0:1]
; %bb.15:
	ds_read_b32 v8, v7 offset:192
; %bb.16:
	s_or_b64 exec, exec, s[2:3]
	v_xor_b32_e32 v9, 1, v22
	v_cmp_lt_i32_e64 s[2:3], v9, v24
	s_nop 1
	v_cndmask_b32_e64 v9, v22, v9, s[2:3]
	v_lshlrev_b32_e32 v48, 2, v9
	s_waitcnt lgkmcnt(0)
	ds_bpermute_b32 v9, v48, v8
	v_max_f32_e32 v8, v8, v8
	s_lshl_b32 s2, s17, 5
	s_min_i32 s12, s2, s33
	v_cmp_gt_i32_e64 s[2:3], s12, v0
	s_waitcnt lgkmcnt(0)
	v_max_f32_e32 v9, v9, v9
	v_max_f32_e32 v8, v8, v9
	v_lshlrev_b32_e32 v9, 2, v23
	ds_bpermute_b32 v9, v9, v8
	v_mov_b32_e32 v8, 0
	s_and_saveexec_b64 s[26:27], s[2:3]
	s_cbranch_execz .LBB156_20
; %bb.17:
	v_mov_b32_e32 v8, 0xd0
	v_lshl_add_u32 v10, v0, 2, v8
	v_mov_b32_e32 v8, 0
	s_mov_b64 s[28:29], 0
	v_mov_b32_e32 v11, v0
.LBB156_18:                             ; =>This Inner Loop Header: Depth=1
	ds_read_b32 v12, v10
	v_add_u32_e32 v11, 0x80, v11
	v_cmp_le_i32_e64 s[8:9], s12, v11
	s_or_b64 s[28:29], s[8:9], s[28:29]
	s_waitcnt lgkmcnt(0)
	v_sub_f32_e32 v12, v12, v9
	v_mul_f32_e32 v12, 0x3fb8aa3b, v12
	v_exp_f32_e32 v12, v12
	ds_write_b32 v10, v12
	v_add_f32_e32 v8, v8, v12
	v_add_u32_e32 v10, 0x200, v10
	s_andn2_b64 exec, exec, s[28:29]
	s_cbranch_execnz .LBB156_18
; %bb.19:
	s_or_b64 exec, exec, s[28:29]
.LBB156_20:
	s_or_b64 exec, exec, s[26:27]
	ds_bpermute_b32 v2, v2, v8
	s_waitcnt lgkmcnt(0)
	v_add_f32_e32 v2, v8, v2
	ds_bpermute_b32 v3, v3, v2
	s_waitcnt lgkmcnt(0)
	v_add_f32_e32 v2, v2, v3
	ds_bpermute_b32 v3, v4, v2
	s_waitcnt lgkmcnt(0)
	v_add_f32_e32 v2, v2, v3
	ds_bpermute_b32 v3, v5, v2
	s_waitcnt lgkmcnt(0)
	v_add_f32_e32 v2, v2, v3
	ds_bpermute_b32 v3, v47, v2
	s_waitcnt lgkmcnt(0)
	v_add_f32_e32 v2, v2, v3
	ds_bpermute_b32 v3, v48, v2
	s_waitcnt lgkmcnt(0)
	v_add_f32_e32 v2, v2, v3
	s_and_saveexec_b64 s[8:9], vcc
; %bb.21:
	ds_write_b32 v6, v2 offset:200
; %bb.22:
	s_or_b64 exec, exec, s[8:9]
	s_waitcnt lgkmcnt(0)
	s_barrier
	s_and_saveexec_b64 s[8:9], s[0:1]
; %bb.23:
	ds_read_b32 v2, v7 offset:200
; %bb.24:
	s_or_b64 exec, exec, s[8:9]
	s_waitcnt lgkmcnt(0)
	ds_bpermute_b32 v3, v48, v2
	v_lshlrev_b32_e32 v4, 2, v22
	s_waitcnt lgkmcnt(0)
	v_add_f32_e32 v2, v2, v3
	v_and_b32_e32 v3, 0xffffff00, v4
	ds_bpermute_b32 v2, v3, v2
	s_and_saveexec_b64 s[0:1], s[2:3]
	s_cbranch_execz .LBB156_37
; %bb.25:
	s_waitcnt lgkmcnt(0)
	v_add_f32_e32 v2, 0x358637bd, v2
	v_div_scale_f32 v3, s[2:3], v2, v2, 1.0
	v_rcp_f32_e32 v4, v3
	v_div_scale_f32 v5, vcc, 1.0, v2, 1.0
	s_movk_i32 s2, 0x7f
	v_fma_f32 v6, -v3, v4, 1.0
	v_fmac_f32_e32 v4, v6, v4
	v_mul_f32_e32 v6, v5, v4
	v_fma_f32 v7, -v3, v6, v5
	v_fmac_f32_e32 v6, v7, v4
	v_fma_f32 v3, -v3, v6, v5
	v_div_fmas_f32 v3, v3, v4, v6
	v_xad_u32 v4, v0, -1, s12
	v_div_fixup_f32 v2, v3, v2, 1.0
	v_cmp_lt_u32_e32 vcc, s2, v4
	s_mov_b64 s[8:9], -1
	v_mov_b32_e32 v3, v0
	s_and_saveexec_b64 s[2:3], vcc
	s_cbranch_execz .LBB156_34
; %bb.26:
	v_lshrrev_b32_e32 v4, 7, v4
	v_add_u32_e32 v6, -1, v4
	v_lshrrev_b32_e32 v5, 1, v6
	v_mov_b32_e32 v3, v2
	v_add_u32_e32 v5, 1, v5
	v_cmp_lt_u32_e32 vcc, 13, v6
	v_mov_b32_e32 v8, 0
	s_and_saveexec_b64 s[8:9], vcc
	s_cbranch_execz .LBB156_30
; %bb.27:
	v_mov_b32_e32 v7, 0xd0
	v_and_b32_e32 v6, -8, v5
	v_lshl_add_u32 v7, v0, 2, v7
	s_mov_b32 s15, 0
	s_mov_b64 s[26:27], 0
.LBB156_28:                             ; =>This Inner Loop Header: Depth=1
	ds_read2st64_b32 v[8:9], v7 offset1:2
	ds_read2st64_b32 v[10:11], v7 offset0:4 offset1:6
	ds_read2st64_b32 v[12:13], v7 offset0:8 offset1:10
	;; [unrolled: 1-line block ×3, first 2 shown]
	v_add_u32_e32 v6, -8, v6
	s_waitcnt lgkmcnt(3)
	v_pk_mul_f32 v[8:9], v[2:3], v[8:9]
	s_waitcnt lgkmcnt(2)
	v_pk_mul_f32 v[10:11], v[2:3], v[10:11]
	ds_write2st64_b32 v7, v8, v9 offset1:2
	ds_write2st64_b32 v7, v10, v11 offset0:4 offset1:6
	ds_read2st64_b32 v[10:11], v7 offset0:16 offset1:18
	s_waitcnt lgkmcnt(4)
	v_pk_mul_f32 v[8:9], v[2:3], v[12:13]
	ds_write2st64_b32 v7, v8, v9 offset0:8 offset1:10
	s_waitcnt lgkmcnt(4)
	v_pk_mul_f32 v[8:9], v[2:3], v[14:15]
	ds_write2st64_b32 v7, v8, v9 offset0:12 offset1:14
	ds_read2st64_b32 v[8:9], v7 offset0:20 offset1:22
	s_waitcnt lgkmcnt(3)
	v_pk_mul_f32 v[10:11], v[2:3], v[10:11]
	ds_read2st64_b32 v[12:13], v7 offset0:24 offset1:26
	ds_write2st64_b32 v7, v10, v11 offset0:16 offset1:18
	ds_read2st64_b32 v[10:11], v7 offset0:28 offset1:30
	s_waitcnt lgkmcnt(3)
	v_pk_mul_f32 v[8:9], v[2:3], v[8:9]
	ds_write2st64_b32 v7, v8, v9 offset0:20 offset1:22
	s_waitcnt lgkmcnt(3)
	v_pk_mul_f32 v[8:9], v[2:3], v[12:13]
	ds_write2st64_b32 v7, v8, v9 offset0:24 offset1:26
	s_waitcnt lgkmcnt(2)
	v_pk_mul_f32 v[8:9], v[2:3], v[10:11]
	s_add_i32 s15, s15, 16
	v_cmp_eq_u32_e32 vcc, 0, v6
	ds_write2st64_b32 v7, v8, v9 offset0:28 offset1:30
	v_add_u32_e32 v7, 0x2000, v7
	s_or_b64 s[26:27], vcc, s[26:27]
	v_mov_b32_e32 v8, s15
	s_andn2_b64 exec, exec, s[26:27]
	s_cbranch_execnz .LBB156_28
; %bb.29:
	s_or_b64 exec, exec, s[26:27]
.LBB156_30:
	s_or_b64 exec, exec, s[8:9]
	v_and_b32_e32 v5, 7, v5
	v_cmp_ne_u32_e32 vcc, 0, v5
	s_and_saveexec_b64 s[8:9], vcc
	s_cbranch_execz .LBB156_33
; %bb.31:
	v_lshlrev_b32_e32 v6, 9, v8
	v_lshlrev_b32_e32 v7, 2, v0
	s_movk_i32 s15, 0xd0
	v_add3_u32 v6, v6, v7, s15
	s_mov_b64 s[26:27], 0
.LBB156_32:                             ; =>This Inner Loop Header: Depth=1
	ds_read2st64_b32 v[8:9], v6 offset1:2
	v_add_u32_e32 v5, -1, v5
	v_cmp_eq_u32_e32 vcc, 0, v5
	s_or_b64 s[26:27], vcc, s[26:27]
	s_waitcnt lgkmcnt(0)
	v_pk_mul_f32 v[8:9], v[2:3], v[8:9]
	ds_write2st64_b32 v6, v8, v9 offset1:2
	v_add_u32_e32 v6, 0x400, v6
	s_andn2_b64 exec, exec, s[26:27]
	s_cbranch_execnz .LBB156_32
.LBB156_33:
	s_or_b64 exec, exec, s[8:9]
	v_add_u32_e32 v4, 1, v4
	v_and_b32_e32 v5, 0x3fffffe, v4
	v_cmp_ne_u32_e32 vcc, v4, v5
	v_lshl_add_u32 v3, v5, 7, v0
	s_orn2_b64 s[8:9], vcc, exec
.LBB156_34:
	s_or_b64 exec, exec, s[2:3]
	s_and_b64 exec, exec, s[8:9]
	s_cbranch_execz .LBB156_37
; %bb.35:
	v_mov_b32_e32 v4, 0xd0
	v_lshl_add_u32 v4, v3, 2, v4
	s_mov_b64 s[2:3], 0
.LBB156_36:                             ; =>This Inner Loop Header: Depth=1
	ds_read_b32 v5, v4
	v_add_u32_e32 v3, 0x80, v3
	v_cmp_le_i32_e32 vcc, s12, v3
	s_or_b64 s[2:3], vcc, s[2:3]
	s_waitcnt lgkmcnt(0)
	v_mul_f32_e32 v5, v2, v5
	ds_write_b32 v4, v5
	v_add_u32_e32 v4, 0x200, v4
	s_andn2_b64 exec, exec, s[2:3]
	s_cbranch_execnz .LBB156_36
.LBB156_37:
	s_or_b64 exec, exec, s[0:1]
	v_mov_b32_e32 v35, 0
	v_and_b32_e32 v49, 3, v0
	v_mov_b32_e32 v34, 0
	v_mov_b32_e32 v37, 0
	;; [unrolled: 1-line block ×5, first 2 shown]
	s_waitcnt lgkmcnt(0)
	s_barrier
	s_and_saveexec_b64 s[8:9], s[6:7]
	s_cbranch_execz .LBB156_53
; %bb.38:
	s_ashr_i32 s15, s14, 31
	s_lshl_b64 s[0:1], s[14:15], 1
	s_add_u32 s0, s24, s0
	v_lshlrev_b32_e32 v3, 4, v0
	s_addc_u32 s1, s25, s1
	v_and_b32_e32 v40, 0x3f0, v3
	v_mov_b32_e32 v41, 0
	v_and_b32_e32 v2, 24, v20
	s_add_i32 s14, s17, -1
	v_lshl_add_u64 v[42:43], s[0:1], 0, v[40:41]
	s_lshl_b64 s[0:1], s[22:23], 2
	v_lshl_or_b32 v50, v1, 5, v2
	v_lshlrev_b32_e32 v2, 5, v49
	s_add_u32 s0, s20, s0
	v_lshl_or_b32 v2, v1, 7, v2
	v_and_b32_e32 v40, 60, v21
	s_addc_u32 s1, s21, s1
	s_mov_b32 s26, s13
	s_mov_b32 s15, s33
	v_add_u32_e32 v51, 0xd0, v2
	v_lshl_add_u64 v[44:45], s[0:1], 0, v[40:41]
	s_mov_b64 s[6:7], 0
	s_mov_b32 s20, 0x5040100
	v_mov_b32_e32 v35, 0
	v_mov_b32_e32 v34, 0
	;; [unrolled: 1-line block ×6, first 2 shown]
	s_branch .LBB156_40
.LBB156_39:                             ;   in Loop: Header=BB156_40 Depth=1
	s_or_b64 exec, exec, s[2:3]
	s_waitcnt lgkmcnt(1)
	v_cvt_pk_bf16_f32 v18, v18, s0
	v_cvt_pk_bf16_f32 v19, v19, s0
	;; [unrolled: 1-line block ×4, first 2 shown]
	s_waitcnt vmcnt(1)
	v_and_b32_e32 v40, 0xffff0000, v30
	v_lshlrev_b32_e32 v19, 16, v19
	v_lshlrev_b32_e32 v30, 16, v30
	;; [unrolled: 1-line block ×3, first 2 shown]
	v_mul_f32_e32 v40, v19, v40
	v_mul_f32_e32 v30, v18, v30
	v_and_b32_e32 v52, 0xffff0000, v31
	v_lshlrev_b32_e32 v21, 16, v21
	v_lshlrev_b32_e32 v31, 16, v31
	v_lshlrev_b32_e32 v20, 16, v20
	s_waitcnt lgkmcnt(0)
	v_cvt_pk_bf16_f32 v14, v14, s0
	v_cvt_pk_bf16_f32 v15, v15, s0
	;; [unrolled: 1-line block ×4, first 2 shown]
	v_mul_f32_e32 v52, v21, v52
	v_mul_f32_e32 v31, v20, v31
	v_cvt_pk_bf16_f32 v52, v52, s0
	v_cvt_pk_bf16_f32 v31, v31, s0
	v_and_b32_e32 v53, 0xffff0000, v32
	v_lshlrev_b32_e32 v15, 16, v15
	v_lshlrev_b32_e32 v32, 16, v32
	;; [unrolled: 1-line block ×5, first 2 shown]
	v_cvt_pk_bf16_f32 v16, v16, s0
	v_cvt_pk_bf16_f32 v17, v17, s0
	v_mul_f32_e32 v53, v15, v53
	v_mul_f32_e32 v32, v14, v32
	v_add_f32_e32 v30, v30, v40
	v_lshlrev_b32_e32 v31, 16, v31
	v_lshlrev_b32_e32 v40, 16, v52
	v_cvt_pk_bf16_f32 v53, v53, s0
	v_cvt_pk_bf16_f32 v32, v32, s0
	v_and_b32_e32 v54, 0xffff0000, v33
	v_lshlrev_b32_e32 v17, 16, v17
	v_lshlrev_b32_e32 v33, 16, v33
	;; [unrolled: 1-line block ×3, first 2 shown]
	v_add_f32_e32 v31, v31, v40
	v_mul_f32_e32 v54, v17, v54
	v_mul_f32_e32 v33, v16, v33
	v_add_f32_e32 v30, v31, v30
	v_lshlrev_b32_e32 v31, 16, v32
	v_lshlrev_b32_e32 v32, 16, v53
	v_cvt_pk_bf16_f32 v54, v54, s0
	v_cvt_pk_bf16_f32 v33, v33, s0
	v_add_f32_e32 v31, v31, v32
	v_add_f32_e32 v30, v31, v30
	v_lshlrev_b32_e32 v31, 16, v33
	v_lshlrev_b32_e32 v32, 16, v54
	v_add_f32_e32 v31, v31, v32
	v_add_f32_e32 v30, v31, v30
	v_add_f32_e32 v34, v34, v30
	v_and_b32_e32 v30, 0xffff0000, v26
	v_lshlrev_b32_e32 v26, 16, v26
	v_mul_f32_e32 v30, v19, v30
	v_mul_f32_e32 v26, v18, v26
	v_and_b32_e32 v31, 0xffff0000, v27
	v_lshlrev_b32_e32 v27, 16, v27
	v_cvt_pk_bf16_f32 v30, v30, s0
	v_cvt_pk_bf16_f32 v26, v26, s0
	v_mul_f32_e32 v31, v21, v31
	v_mul_f32_e32 v27, v20, v27
	v_cvt_pk_bf16_f32 v31, v31, s0
	v_cvt_pk_bf16_f32 v27, v27, s0
	v_and_b32_e32 v32, 0xffff0000, v28
	v_lshlrev_b32_e32 v28, 16, v28
	v_lshlrev_b32_e32 v26, 16, v26
	v_lshlrev_b32_e32 v30, 16, v30
	v_mul_f32_e32 v32, v15, v32
	v_mul_f32_e32 v28, v14, v28
	v_add_f32_e32 v26, v26, v30
	v_lshlrev_b32_e32 v27, 16, v27
	v_lshlrev_b32_e32 v30, 16, v31
	v_cvt_pk_bf16_f32 v32, v32, s0
	v_cvt_pk_bf16_f32 v28, v28, s0
	v_and_b32_e32 v33, 0xffff0000, v29
	v_lshlrev_b32_e32 v29, 16, v29
	v_add_f32_e32 v27, v27, v30
	v_mul_f32_e32 v33, v17, v33
	v_mul_f32_e32 v29, v16, v29
	v_add_f32_e32 v26, v27, v26
	v_lshlrev_b32_e32 v27, 16, v28
	v_lshlrev_b32_e32 v28, 16, v32
	v_cvt_pk_bf16_f32 v33, v33, s0
	v_cvt_pk_bf16_f32 v29, v29, s0
	v_add_f32_e32 v27, v27, v28
	v_add_f32_e32 v26, v27, v26
	v_lshlrev_b32_e32 v27, 16, v29
	v_lshlrev_b32_e32 v28, 16, v33
	v_add_f32_e32 v27, v27, v28
	v_add_f32_e32 v26, v27, v26
	v_add_f32_e32 v37, v37, v26
	v_and_b32_e32 v26, 0xffff0000, v10
	v_lshlrev_b32_e32 v10, 16, v10
	v_mul_f32_e32 v26, v19, v26
	v_mul_f32_e32 v10, v18, v10
	v_and_b32_e32 v27, 0xffff0000, v11
	v_lshlrev_b32_e32 v11, 16, v11
	v_cvt_pk_bf16_f32 v26, v26, s0
	v_cvt_pk_bf16_f32 v10, v10, s0
	v_mul_f32_e32 v27, v21, v27
	v_mul_f32_e32 v11, v20, v11
	v_cvt_pk_bf16_f32 v27, v27, s0
	v_cvt_pk_bf16_f32 v11, v11, s0
	v_and_b32_e32 v28, 0xffff0000, v12
	v_lshlrev_b32_e32 v12, 16, v12
	v_lshlrev_b32_e32 v10, 16, v10
	v_lshlrev_b32_e32 v26, 16, v26
	v_mul_f32_e32 v28, v15, v28
	v_mul_f32_e32 v12, v14, v12
	v_add_f32_e32 v10, v10, v26
	v_lshlrev_b32_e32 v11, 16, v11
	v_lshlrev_b32_e32 v26, 16, v27
	v_cvt_pk_bf16_f32 v28, v28, s0
	v_cvt_pk_bf16_f32 v12, v12, s0
	v_and_b32_e32 v29, 0xffff0000, v13
	v_lshlrev_b32_e32 v13, 16, v13
	;; [unrolled: 40-line block ×4, first 2 shown]
	v_add_f32_e32 v3, v3, v6
	v_mul_f32_e32 v5, v16, v5
	v_add_f32_e32 v2, v3, v2
	v_lshlrev_b32_e32 v3, 16, v4
	v_lshlrev_b32_e32 v4, 16, v8
	v_cvt_pk_bf16_f32 v5, v5, s0
	v_add_f32_e32 v3, v3, v4
	v_add_f32_e32 v2, v3, v2
	v_lshlrev_b32_e32 v3, 16, v5
	s_waitcnt vmcnt(0)
	v_and_b32_e32 v5, 0xffff0000, v23
	v_mul_f32_e32 v5, v21, v5
	v_mul_f32_e32 v9, v17, v9
	v_cvt_pk_bf16_f32 v6, v5, s0
	v_lshlrev_b32_e32 v5, 16, v24
	v_cvt_pk_bf16_f32 v9, v9, s0
	v_mul_f32_e32 v5, v14, v5
	v_lshlrev_b32_e32 v4, 16, v9
	v_cvt_pk_bf16_f32 v7, v5, s0
	v_and_b32_e32 v5, 0xffff0000, v24
	v_add_f32_e32 v3, v3, v4
	v_mul_f32_e32 v5, v15, v5
	v_add_f32_e32 v2, v3, v2
	v_cvt_pk_bf16_f32 v8, v5, s0
	v_lshlrev_b32_e32 v5, 16, v25
	v_add_f32_e32 v38, v38, v2
	v_lshlrev_b32_e32 v2, 16, v22
	v_and_b32_e32 v3, 0xffff0000, v22
	v_lshlrev_b32_e32 v4, 16, v23
	v_mul_f32_e32 v5, v16, v5
	v_mul_f32_e32 v2, v18, v2
	;; [unrolled: 1-line block ×4, first 2 shown]
	v_cvt_pk_bf16_f32 v9, v5, s0
	v_and_b32_e32 v5, 0xffff0000, v25
	v_cvt_pk_bf16_f32 v2, v2, s0
	v_cvt_pk_bf16_f32 v3, v3, s0
	;; [unrolled: 1-line block ×3, first 2 shown]
	v_mul_f32_e32 v5, v17, v5
	v_cvt_pk_bf16_f32 v10, v5, s0
	v_lshlrev_b32_e32 v3, 16, v3
	v_lshlrev_b32_e32 v5, 16, v2
	;; [unrolled: 1-line block ×4, first 2 shown]
	v_pk_add_f32 v[2:3], v[4:5], v[2:3]
	v_lshlrev_b32_e32 v5, 16, v8
	v_lshlrev_b32_e32 v7, 16, v7
	;; [unrolled: 1-line block ×4, first 2 shown]
	v_pk_add_f32 v[4:5], v[6:7], v[4:5]
	v_add_f32_e32 v2, v2, v3
	v_add_f32_e32 v2, v5, v2
	v_add_u32_e32 v1, 2, v1
	v_add_f32_e32 v2, v4, v2
	v_cmp_le_i32_e32 vcc, s17, v1
	v_add_f32_e32 v35, v35, v2
	v_add_u32_e32 v50, 64, v50
	v_add_u32_e32 v51, 0x100, v51
	s_or_b64 s[6:7], vcc, s[6:7]
	v_lshl_add_u64 v[44:45], v[44:45], 0, 8
	s_andn2_b64 exec, exec, s[6:7]
	s_cbranch_execz .LBB156_52
.LBB156_40:                             ; =>This Inner Loop Header: Depth=1
	global_load_dword v2, v[44:45], off
	v_add_u32_e32 v57, 1, v50
	v_or_b32_e32 v55, 3, v50
	v_or_b32_e32 v56, 2, v50
	;; [unrolled: 1-line block ×6, first 2 shown]
	s_waitcnt vmcnt(0)
	v_mad_i64_i32 v[2:3], s[0:1], v2, s26, 0
	v_lshl_add_u64 v[22:23], v[2:3], 1, v[42:43]
	global_load_dwordx4 v[2:5], v[22:23], off
	ds_read2_b64 v[18:21], v51 offset1:1
	ds_read2_b64 v[14:17], v51 offset0:2 offset1:3
	v_cmp_eq_u32_e64 s[0:1], s14, v1
	s_and_saveexec_b64 s[12:13], s[0:1]
	s_cbranch_execnz .LBB156_49
; %bb.41:                               ;   in Loop: Header=BB156_40 Depth=1
	s_or_b64 exec, exec, s[12:13]
	global_load_dwordx4 v[6:9], v[22:23], off offset:1024
	s_and_saveexec_b64 s[12:13], s[0:1]
	s_cbranch_execnz .LBB156_50
.LBB156_42:                             ;   in Loop: Header=BB156_40 Depth=1
	s_or_b64 exec, exec, s[12:13]
	global_load_dwordx4 v[10:13], v[22:23], off offset:2048
	s_and_saveexec_b64 s[12:13], s[0:1]
	s_cbranch_execnz .LBB156_51
.LBB156_43:                             ;   in Loop: Header=BB156_40 Depth=1
	s_or_b64 exec, exec, s[12:13]
	global_load_dwordx4 v[26:29], v[22:23], off offset:3072
	s_and_saveexec_b64 s[12:13], s[0:1]
	s_cbranch_execz .LBB156_45
.LBB156_44:                             ;   in Loop: Header=BB156_40 Depth=1
	v_cmp_gt_i32_e32 vcc, s15, v57
	v_cmp_gt_i32_e64 s[2:3], s33, v56
	s_waitcnt vmcnt(0)
	v_cndmask_b32_sdwa v24, v41, v26, vcc dst_sel:DWORD dst_unused:UNUSED_PAD src0_sel:DWORD src1_sel:WORD_1
	v_cmp_gt_i32_e32 vcc, s33, v50
	s_nop 1
	v_cndmask_b32_e32 v25, 0, v26, vcc
	v_cmp_gt_i32_e32 vcc, s15, v55
	v_perm_b32 v26, v24, v25, s20
	v_cndmask_b32_e64 v24, 0, v27, s[2:3]
	v_cndmask_b32_sdwa v25, v41, v27, vcc dst_sel:DWORD dst_unused:UNUSED_PAD src0_sel:DWORD src1_sel:WORD_1
	v_cmp_gt_i32_e32 vcc, s15, v53
	v_cmp_gt_i32_e64 s[2:3], s33, v54
	v_perm_b32 v27, v25, v24, s20
	v_cndmask_b32_sdwa v25, v41, v28, vcc dst_sel:DWORD dst_unused:UNUSED_PAD src0_sel:DWORD src1_sel:WORD_1
	v_cndmask_b32_e64 v24, 0, v28, s[2:3]
	v_cmp_gt_i32_e32 vcc, s15, v40
	v_cmp_gt_i32_e64 s[2:3], s33, v52
	v_perm_b32 v28, v25, v24, s20
	v_cndmask_b32_sdwa v25, v41, v29, vcc dst_sel:DWORD dst_unused:UNUSED_PAD src0_sel:DWORD src1_sel:WORD_1
	v_cndmask_b32_e64 v24, 0, v29, s[2:3]
	v_perm_b32 v29, v25, v24, s20
.LBB156_45:                             ;   in Loop: Header=BB156_40 Depth=1
	s_or_b64 exec, exec, s[12:13]
	v_add_co_u32_e32 v24, vcc, 0x1000, v22
	s_nop 1
	v_addc_co_u32_e32 v25, vcc, 0, v23, vcc
	global_load_dwordx4 v[30:33], v[24:25], off
	s_and_saveexec_b64 s[12:13], s[0:1]
	s_cbranch_execz .LBB156_47
; %bb.46:                               ;   in Loop: Header=BB156_40 Depth=1
	v_cmp_gt_i32_e32 vcc, s15, v57
	v_cmp_gt_i32_e64 s[2:3], s33, v56
	s_waitcnt vmcnt(0)
	v_cndmask_b32_sdwa v24, v41, v30, vcc dst_sel:DWORD dst_unused:UNUSED_PAD src0_sel:DWORD src1_sel:WORD_1
	v_cmp_gt_i32_e32 vcc, s33, v50
	s_nop 1
	v_cndmask_b32_e32 v25, 0, v30, vcc
	v_cmp_gt_i32_e32 vcc, s15, v55
	v_perm_b32 v30, v24, v25, s20
	v_cndmask_b32_e64 v24, 0, v31, s[2:3]
	v_cndmask_b32_sdwa v25, v41, v31, vcc dst_sel:DWORD dst_unused:UNUSED_PAD src0_sel:DWORD src1_sel:WORD_1
	v_cmp_gt_i32_e32 vcc, s15, v53
	v_cmp_gt_i32_e64 s[2:3], s33, v54
	v_perm_b32 v31, v25, v24, s20
	v_cndmask_b32_sdwa v25, v41, v32, vcc dst_sel:DWORD dst_unused:UNUSED_PAD src0_sel:DWORD src1_sel:WORD_1
	v_cndmask_b32_e64 v24, 0, v32, s[2:3]
	v_cmp_gt_i32_e32 vcc, s15, v40
	v_cmp_gt_i32_e64 s[2:3], s33, v52
	v_perm_b32 v32, v25, v24, s20
	v_cndmask_b32_sdwa v25, v41, v33, vcc dst_sel:DWORD dst_unused:UNUSED_PAD src0_sel:DWORD src1_sel:WORD_1
	v_cndmask_b32_e64 v24, 0, v33, s[2:3]
	v_perm_b32 v33, v25, v24, s20
.LBB156_47:                             ;   in Loop: Header=BB156_40 Depth=1
	s_or_b64 exec, exec, s[12:13]
	v_add_co_u32_e32 v22, vcc, 0x1000, v22
	s_nop 1
	v_addc_co_u32_e32 v23, vcc, 0, v23, vcc
	global_load_dwordx4 v[22:25], v[22:23], off offset:1024
	s_and_saveexec_b64 s[2:3], s[0:1]
	s_cbranch_execz .LBB156_39
; %bb.48:                               ;   in Loop: Header=BB156_40 Depth=1
	v_cmp_gt_i32_e32 vcc, s15, v57
	v_cmp_gt_i32_e64 s[0:1], s33, v56
	s_waitcnt vmcnt(0)
	v_cndmask_b32_sdwa v57, v41, v22, vcc dst_sel:DWORD dst_unused:UNUSED_PAD src0_sel:DWORD src1_sel:WORD_1
	v_cmp_gt_i32_e32 vcc, s33, v50
	s_nop 1
	v_cndmask_b32_e32 v22, 0, v22, vcc
	v_cmp_gt_i32_e32 vcc, s15, v55
	v_cndmask_b32_e64 v55, 0, v23, s[0:1]
	v_cmp_gt_i32_e64 s[0:1], s33, v54
	v_cndmask_b32_sdwa v23, v41, v23, vcc dst_sel:DWORD dst_unused:UNUSED_PAD src0_sel:DWORD src1_sel:WORD_1
	v_cmp_gt_i32_e32 vcc, s15, v53
	v_cndmask_b32_e64 v53, 0, v24, s[0:1]
	v_cmp_gt_i32_e64 s[0:1], s33, v52
	v_cndmask_b32_sdwa v24, v41, v24, vcc dst_sel:DWORD dst_unused:UNUSED_PAD src0_sel:DWORD src1_sel:WORD_1
	v_cmp_gt_i32_e32 vcc, s15, v40
	v_cndmask_b32_e64 v40, 0, v25, s[0:1]
	v_perm_b32 v22, v57, v22, s20
	v_cndmask_b32_sdwa v25, v41, v25, vcc dst_sel:DWORD dst_unused:UNUSED_PAD src0_sel:DWORD src1_sel:WORD_1
	v_perm_b32 v23, v23, v55, s20
	v_perm_b32 v24, v24, v53, s20
	;; [unrolled: 1-line block ×3, first 2 shown]
	s_branch .LBB156_39
.LBB156_49:                             ;   in Loop: Header=BB156_40 Depth=1
	v_cmp_gt_i32_e32 vcc, s15, v57
	v_cmp_gt_i32_e64 s[2:3], s33, v56
	s_waitcnt vmcnt(0)
	v_cndmask_b32_sdwa v6, v41, v2, vcc dst_sel:DWORD dst_unused:UNUSED_PAD src0_sel:DWORD src1_sel:WORD_1
	v_cmp_gt_i32_e32 vcc, s33, v50
	s_nop 1
	v_cndmask_b32_e32 v2, 0, v2, vcc
	v_cmp_gt_i32_e32 vcc, s15, v55
	v_perm_b32 v2, v6, v2, s20
	v_cndmask_b32_e64 v6, 0, v3, s[2:3]
	v_cndmask_b32_sdwa v3, v41, v3, vcc dst_sel:DWORD dst_unused:UNUSED_PAD src0_sel:DWORD src1_sel:WORD_1
	v_cmp_gt_i32_e32 vcc, s15, v53
	v_cmp_gt_i32_e64 s[2:3], s33, v54
	v_perm_b32 v3, v3, v6, s20
	s_nop 0
	v_cndmask_b32_e64 v6, 0, v4, s[2:3]
	v_cndmask_b32_sdwa v4, v41, v4, vcc dst_sel:DWORD dst_unused:UNUSED_PAD src0_sel:DWORD src1_sel:WORD_1
	v_cmp_gt_i32_e32 vcc, s15, v40
	v_cmp_gt_i32_e64 s[2:3], s33, v52
	v_perm_b32 v4, v4, v6, s20
	s_nop 0
	v_cndmask_b32_e64 v6, 0, v5, s[2:3]
	v_cndmask_b32_sdwa v5, v41, v5, vcc dst_sel:DWORD dst_unused:UNUSED_PAD src0_sel:DWORD src1_sel:WORD_1
	v_perm_b32 v5, v5, v6, s20
	s_or_b64 exec, exec, s[12:13]
	global_load_dwordx4 v[6:9], v[22:23], off offset:1024
	s_and_saveexec_b64 s[12:13], s[0:1]
	s_cbranch_execz .LBB156_42
.LBB156_50:                             ;   in Loop: Header=BB156_40 Depth=1
	v_cmp_gt_i32_e32 vcc, s15, v57
	v_cmp_gt_i32_e64 s[2:3], s33, v56
	s_waitcnt vmcnt(0)
	v_cndmask_b32_sdwa v10, v41, v6, vcc dst_sel:DWORD dst_unused:UNUSED_PAD src0_sel:DWORD src1_sel:WORD_1
	v_cmp_gt_i32_e32 vcc, s33, v50
	s_nop 1
	v_cndmask_b32_e32 v6, 0, v6, vcc
	v_cmp_gt_i32_e32 vcc, s15, v55
	v_perm_b32 v6, v10, v6, s20
	v_cndmask_b32_e64 v10, 0, v7, s[2:3]
	v_cndmask_b32_sdwa v7, v41, v7, vcc dst_sel:DWORD dst_unused:UNUSED_PAD src0_sel:DWORD src1_sel:WORD_1
	v_cmp_gt_i32_e32 vcc, s15, v53
	v_cmp_gt_i32_e64 s[2:3], s33, v54
	v_perm_b32 v7, v7, v10, s20
	s_nop 0
	v_cndmask_b32_e64 v10, 0, v8, s[2:3]
	v_cndmask_b32_sdwa v8, v41, v8, vcc dst_sel:DWORD dst_unused:UNUSED_PAD src0_sel:DWORD src1_sel:WORD_1
	v_cmp_gt_i32_e32 vcc, s15, v40
	v_cmp_gt_i32_e64 s[2:3], s33, v52
	v_perm_b32 v8, v8, v10, s20
	s_nop 0
	v_cndmask_b32_e64 v10, 0, v9, s[2:3]
	v_cndmask_b32_sdwa v9, v41, v9, vcc dst_sel:DWORD dst_unused:UNUSED_PAD src0_sel:DWORD src1_sel:WORD_1
	v_perm_b32 v9, v9, v10, s20
	s_or_b64 exec, exec, s[12:13]
	global_load_dwordx4 v[10:13], v[22:23], off offset:2048
	s_and_saveexec_b64 s[12:13], s[0:1]
	s_cbranch_execz .LBB156_43
.LBB156_51:                             ;   in Loop: Header=BB156_40 Depth=1
	v_cmp_gt_i32_e32 vcc, s15, v57
	v_cmp_gt_i32_e64 s[2:3], s33, v56
	s_waitcnt vmcnt(0)
	v_cndmask_b32_sdwa v24, v41, v10, vcc dst_sel:DWORD dst_unused:UNUSED_PAD src0_sel:DWORD src1_sel:WORD_1
	v_cmp_gt_i32_e32 vcc, s33, v50
	s_nop 1
	v_cndmask_b32_e32 v10, 0, v10, vcc
	v_cmp_gt_i32_e32 vcc, s15, v55
	v_perm_b32 v10, v24, v10, s20
	v_cndmask_b32_e64 v24, 0, v11, s[2:3]
	v_cndmask_b32_sdwa v11, v41, v11, vcc dst_sel:DWORD dst_unused:UNUSED_PAD src0_sel:DWORD src1_sel:WORD_1
	v_cmp_gt_i32_e32 vcc, s15, v53
	v_cmp_gt_i32_e64 s[2:3], s33, v54
	v_perm_b32 v11, v11, v24, s20
	s_nop 0
	v_cndmask_b32_e64 v24, 0, v12, s[2:3]
	v_cndmask_b32_sdwa v12, v41, v12, vcc dst_sel:DWORD dst_unused:UNUSED_PAD src0_sel:DWORD src1_sel:WORD_1
	v_cmp_gt_i32_e32 vcc, s15, v40
	v_cmp_gt_i32_e64 s[2:3], s33, v52
	v_perm_b32 v12, v12, v24, s20
	s_nop 0
	v_cndmask_b32_e64 v24, 0, v13, s[2:3]
	v_cndmask_b32_sdwa v13, v41, v13, vcc dst_sel:DWORD dst_unused:UNUSED_PAD src0_sel:DWORD src1_sel:WORD_1
	v_perm_b32 v13, v13, v24, s20
	s_or_b64 exec, exec, s[12:13]
	global_load_dwordx4 v[26:29], v[22:23], off offset:3072
	s_and_saveexec_b64 s[12:13], s[0:1]
	s_cbranch_execnz .LBB156_44
	s_branch .LBB156_45
.LBB156_52:
	s_or_b64 exec, exec, s[6:7]
.LBB156_53:
	s_or_b64 exec, exec, s[8:9]
	ds_bpermute_b32 v2, v47, v38
	ds_bpermute_b32 v3, v47, v39
	;; [unrolled: 1-line block ×6, first 2 shown]
	s_waitcnt lgkmcnt(4)
	v_pk_add_f32 v[2:3], v[38:39], v[2:3]
	ds_bpermute_b32 v6, v48, v2
	ds_bpermute_b32 v7, v48, v3
	s_waitcnt lgkmcnt(4)
	v_pk_add_f32 v[8:9], v[36:37], v[4:5]
	ds_bpermute_b32 v10, v48, v8
	ds_bpermute_b32 v11, v48, v9
	v_and_b32_e32 v1, 0x3c3, v0
	s_waitcnt lgkmcnt(2)
	v_pk_add_f32 v[4:5], v[2:3], v[6:7]
	v_pk_add_f32 v[6:7], v[34:35], v[12:13]
	v_cmp_ne_u32_e32 vcc, 64, v1
	s_waitcnt lgkmcnt(0)
	v_pk_add_f32 v[2:3], v[8:9], v[10:11]
	ds_bpermute_b32 v8, v48, v6
	ds_bpermute_b32 v9, v48, v7
	s_waitcnt lgkmcnt(0)
	s_barrier
	s_and_saveexec_b64 s[0:1], vcc
	s_xor_b64 s[0:1], exec, s[0:1]
; %bb.54:
                                        ; implicit-def: $vgpr46
; %bb.55:
	s_or_saveexec_b64 s[0:1], s[0:1]
	v_pk_add_f32 v[6:7], v[6:7], v[8:9]
	s_xor_b64 exec, exec, s[0:1]
	s_cbranch_execz .LBB156_57
; %bb.56:
	v_add_u32_e32 v8, 0xd0, v46
	ds_write2_b32 v8, v4, v5 offset1:16
	ds_write2_b32 v8, v2, v3 offset0:32 offset1:48
	ds_write2_b32 v8, v6, v7 offset0:64 offset1:80
.LBB156_57:
	s_or_b64 exec, exec, s[0:1]
	v_cmp_gt_u32_e32 vcc, 64, v0
	v_lshrrev_b32_e32 v0, 2, v0
	s_waitcnt lgkmcnt(0)
	s_barrier
	s_and_saveexec_b64 s[0:1], vcc
	s_cbranch_execz .LBB156_66
; %bb.58:
	v_mov_b32_e32 v8, 0xd0
	v_cmp_eq_u32_e32 vcc, 0, v49
	v_lshl_add_u32 v8, v0, 2, v8
	s_and_saveexec_b64 s[2:3], vcc
	s_cbranch_execnz .LBB156_69
; %bb.59:
	s_or_b64 exec, exec, s[2:3]
	s_and_saveexec_b64 s[2:3], vcc
	s_cbranch_execnz .LBB156_70
.LBB156_60:
	s_or_b64 exec, exec, s[2:3]
	s_and_saveexec_b64 s[2:3], vcc
	s_cbranch_execnz .LBB156_71
.LBB156_61:
	s_or_b64 exec, exec, s[2:3]
	s_and_saveexec_b64 s[2:3], vcc
	s_cbranch_execnz .LBB156_72
.LBB156_62:
	s_or_b64 exec, exec, s[2:3]
	s_and_saveexec_b64 s[2:3], vcc
	s_cbranch_execnz .LBB156_73
.LBB156_63:
	s_or_b64 exec, exec, s[2:3]
	s_and_saveexec_b64 s[2:3], vcc
	s_cbranch_execz .LBB156_65
.LBB156_64:
	ds_read_b32 v8, v8 offset:320
	s_waitcnt lgkmcnt(0)
	v_add_f32_e32 v7, v7, v8
.LBB156_65:
	s_or_b64 exec, exec, s[2:3]
.LBB156_66:
	s_or_b64 exec, exec, s[0:1]
	v_cmp_eq_u32_e32 vcc, 0, v1
	s_barrier
	s_and_saveexec_b64 s[0:1], vcc
	s_cbranch_execz .LBB156_68
; %bb.67:
	s_mul_i32 s0, s10, s11
	s_mul_i32 s0, s0, s5
	s_mulk_i32 s0, 0x60
	s_ashr_i32 s1, s0, 31
	s_lshl_b64 s[0:1], s[0:1], 1
	s_add_u32 s2, s18, s0
	s_mul_i32 s0, s11, s16
	s_addc_u32 s3, s19, s1
	s_ashr_i32 s1, s0, 31
	s_lshl_b64 s[0:1], s[0:1], 1
	s_add_u32 s2, s2, s0
	s_mul_i32 s0, s4, 0x60
	s_addc_u32 s3, s3, s1
	s_ashr_i32 s1, s0, 31
	s_lshl_b64 s[0:1], s[0:1], 1
	s_add_u32 s0, s2, s0
	s_addc_u32 s1, s3, s1
	v_lshlrev_b32_e32 v0, 1, v0
	v_cvt_pk_bf16_f32 v1, v4, s0
	global_store_short v0, v1, s[0:1]
	v_cvt_pk_bf16_f32 v1, v5, s0
	global_store_short v0, v1, s[0:1] offset:32
	v_cvt_pk_bf16_f32 v1, v2, s0
	global_store_short v0, v1, s[0:1] offset:64
	;; [unrolled: 2-line block ×5, first 2 shown]
.LBB156_68:
	s_endpgm
.LBB156_69:
	ds_read_b32 v9, v8
	s_waitcnt lgkmcnt(0)
	v_add_f32_e32 v4, v4, v9
	s_or_b64 exec, exec, s[2:3]
	s_and_saveexec_b64 s[2:3], vcc
	s_cbranch_execz .LBB156_60
.LBB156_70:
	ds_read_b32 v9, v8 offset:64
	s_waitcnt lgkmcnt(0)
	v_add_f32_e32 v5, v5, v9
	s_or_b64 exec, exec, s[2:3]
	s_and_saveexec_b64 s[2:3], vcc
	s_cbranch_execz .LBB156_61
.LBB156_71:
	ds_read_b32 v9, v8 offset:128
	s_waitcnt lgkmcnt(0)
	v_add_f32_e32 v2, v2, v9
	s_or_b64 exec, exec, s[2:3]
	s_and_saveexec_b64 s[2:3], vcc
	s_cbranch_execz .LBB156_62
.LBB156_72:
	ds_read_b32 v9, v8 offset:192
	s_waitcnt lgkmcnt(0)
	v_add_f32_e32 v3, v3, v9
	s_or_b64 exec, exec, s[2:3]
	s_and_saveexec_b64 s[2:3], vcc
	s_cbranch_execz .LBB156_63
.LBB156_73:
	ds_read_b32 v9, v8 offset:256
	s_waitcnt lgkmcnt(0)
	v_add_f32_e32 v6, v6, v9
	s_or_b64 exec, exec, s[2:3]
	s_and_saveexec_b64 s[2:3], vcc
	s_cbranch_execnz .LBB156_64
	s_branch .LBB156_65
	.section	.rodata,"a",@progbits
	.p2align	6, 0x0
	.amdhsa_kernel _ZN4vllm25paged_attention_v1_kernelI14__hip_bfloat16S1_Li96ELi32ELi128ELNS_18Fp8KVCacheDataTypeE0ELb0EEEvPT_PKS3_PKT0_S9_ifPKiSB_iPKfiiiSD_SD_iiiii
		.amdhsa_group_segment_fixed_size 208
		.amdhsa_private_segment_fixed_size 0
		.amdhsa_kernarg_size 384
		.amdhsa_user_sgpr_count 2
		.amdhsa_user_sgpr_dispatch_ptr 0
		.amdhsa_user_sgpr_queue_ptr 0
		.amdhsa_user_sgpr_kernarg_segment_ptr 1
		.amdhsa_user_sgpr_dispatch_id 0
		.amdhsa_user_sgpr_kernarg_preload_length 0
		.amdhsa_user_sgpr_kernarg_preload_offset 0
		.amdhsa_user_sgpr_private_segment_size 0
		.amdhsa_uses_dynamic_stack 0
		.amdhsa_enable_private_segment 0
		.amdhsa_system_sgpr_workgroup_id_x 1
		.amdhsa_system_sgpr_workgroup_id_y 1
		.amdhsa_system_sgpr_workgroup_id_z 1
		.amdhsa_system_sgpr_workgroup_info 0
		.amdhsa_system_vgpr_workitem_id 0
		.amdhsa_next_free_vgpr 112
		.amdhsa_next_free_sgpr 35
		.amdhsa_accum_offset 112
		.amdhsa_reserve_vcc 1
		.amdhsa_float_round_mode_32 0
		.amdhsa_float_round_mode_16_64 0
		.amdhsa_float_denorm_mode_32 3
		.amdhsa_float_denorm_mode_16_64 3
		.amdhsa_dx10_clamp 1
		.amdhsa_ieee_mode 1
		.amdhsa_fp16_overflow 0
		.amdhsa_tg_split 0
		.amdhsa_exception_fp_ieee_invalid_op 0
		.amdhsa_exception_fp_denorm_src 0
		.amdhsa_exception_fp_ieee_div_zero 0
		.amdhsa_exception_fp_ieee_overflow 0
		.amdhsa_exception_fp_ieee_underflow 0
		.amdhsa_exception_fp_ieee_inexact 0
		.amdhsa_exception_int_div_zero 0
	.end_amdhsa_kernel
	.section	.text._ZN4vllm25paged_attention_v1_kernelI14__hip_bfloat16S1_Li96ELi32ELi128ELNS_18Fp8KVCacheDataTypeE0ELb0EEEvPT_PKS3_PKT0_S9_ifPKiSB_iPKfiiiSD_SD_iiiii,"axG",@progbits,_ZN4vllm25paged_attention_v1_kernelI14__hip_bfloat16S1_Li96ELi32ELi128ELNS_18Fp8KVCacheDataTypeE0ELb0EEEvPT_PKS3_PKT0_S9_ifPKiSB_iPKfiiiSD_SD_iiiii,comdat
.Lfunc_end156:
	.size	_ZN4vllm25paged_attention_v1_kernelI14__hip_bfloat16S1_Li96ELi32ELi128ELNS_18Fp8KVCacheDataTypeE0ELb0EEEvPT_PKS3_PKT0_S9_ifPKiSB_iPKfiiiSD_SD_iiiii, .Lfunc_end156-_ZN4vllm25paged_attention_v1_kernelI14__hip_bfloat16S1_Li96ELi32ELi128ELNS_18Fp8KVCacheDataTypeE0ELb0EEEvPT_PKS3_PKT0_S9_ifPKiSB_iPKfiiiSD_SD_iiiii
                                        ; -- End function
	.set _ZN4vllm25paged_attention_v1_kernelI14__hip_bfloat16S1_Li96ELi32ELi128ELNS_18Fp8KVCacheDataTypeE0ELb0EEEvPT_PKS3_PKT0_S9_ifPKiSB_iPKfiiiSD_SD_iiiii.num_vgpr, 112
	.set _ZN4vllm25paged_attention_v1_kernelI14__hip_bfloat16S1_Li96ELi32ELi128ELNS_18Fp8KVCacheDataTypeE0ELb0EEEvPT_PKS3_PKT0_S9_ifPKiSB_iPKfiiiSD_SD_iiiii.num_agpr, 0
	.set _ZN4vllm25paged_attention_v1_kernelI14__hip_bfloat16S1_Li96ELi32ELi128ELNS_18Fp8KVCacheDataTypeE0ELb0EEEvPT_PKS3_PKT0_S9_ifPKiSB_iPKfiiiSD_SD_iiiii.numbered_sgpr, 35
	.set _ZN4vllm25paged_attention_v1_kernelI14__hip_bfloat16S1_Li96ELi32ELi128ELNS_18Fp8KVCacheDataTypeE0ELb0EEEvPT_PKS3_PKT0_S9_ifPKiSB_iPKfiiiSD_SD_iiiii.num_named_barrier, 0
	.set _ZN4vllm25paged_attention_v1_kernelI14__hip_bfloat16S1_Li96ELi32ELi128ELNS_18Fp8KVCacheDataTypeE0ELb0EEEvPT_PKS3_PKT0_S9_ifPKiSB_iPKfiiiSD_SD_iiiii.private_seg_size, 0
	.set _ZN4vllm25paged_attention_v1_kernelI14__hip_bfloat16S1_Li96ELi32ELi128ELNS_18Fp8KVCacheDataTypeE0ELb0EEEvPT_PKS3_PKT0_S9_ifPKiSB_iPKfiiiSD_SD_iiiii.uses_vcc, 1
	.set _ZN4vllm25paged_attention_v1_kernelI14__hip_bfloat16S1_Li96ELi32ELi128ELNS_18Fp8KVCacheDataTypeE0ELb0EEEvPT_PKS3_PKT0_S9_ifPKiSB_iPKfiiiSD_SD_iiiii.uses_flat_scratch, 0
	.set _ZN4vllm25paged_attention_v1_kernelI14__hip_bfloat16S1_Li96ELi32ELi128ELNS_18Fp8KVCacheDataTypeE0ELb0EEEvPT_PKS3_PKT0_S9_ifPKiSB_iPKfiiiSD_SD_iiiii.has_dyn_sized_stack, 0
	.set _ZN4vllm25paged_attention_v1_kernelI14__hip_bfloat16S1_Li96ELi32ELi128ELNS_18Fp8KVCacheDataTypeE0ELb0EEEvPT_PKS3_PKT0_S9_ifPKiSB_iPKfiiiSD_SD_iiiii.has_recursion, 0
	.set _ZN4vllm25paged_attention_v1_kernelI14__hip_bfloat16S1_Li96ELi32ELi128ELNS_18Fp8KVCacheDataTypeE0ELb0EEEvPT_PKS3_PKT0_S9_ifPKiSB_iPKfiiiSD_SD_iiiii.has_indirect_call, 0
	.section	.AMDGPU.csdata,"",@progbits
; Kernel info:
; codeLenInByte = 6824
; TotalNumSgprs: 41
; NumVgprs: 112
; NumAgprs: 0
; TotalNumVgprs: 112
; ScratchSize: 0
; MemoryBound: 0
; FloatMode: 240
; IeeeMode: 1
; LDSByteSize: 208 bytes/workgroup (compile time only)
; SGPRBlocks: 5
; VGPRBlocks: 13
; NumSGPRsForWavesPerEU: 41
; NumVGPRsForWavesPerEU: 112
; AccumOffset: 112
; Occupancy: 4
; WaveLimiterHint : 1
; COMPUTE_PGM_RSRC2:SCRATCH_EN: 0
; COMPUTE_PGM_RSRC2:USER_SGPR: 2
; COMPUTE_PGM_RSRC2:TRAP_HANDLER: 0
; COMPUTE_PGM_RSRC2:TGID_X_EN: 1
; COMPUTE_PGM_RSRC2:TGID_Y_EN: 1
; COMPUTE_PGM_RSRC2:TGID_Z_EN: 1
; COMPUTE_PGM_RSRC2:TIDIG_COMP_CNT: 0
; COMPUTE_PGM_RSRC3_GFX90A:ACCUM_OFFSET: 27
; COMPUTE_PGM_RSRC3_GFX90A:TG_SPLIT: 0
	.section	.text._ZN4vllm25paged_attention_v1_kernelI14__hip_bfloat16S1_Li112ELi32ELi128ELNS_18Fp8KVCacheDataTypeE0ELb0EEEvPT_PKS3_PKT0_S9_ifPKiSB_iPKfiiiSD_SD_iiiii,"axG",@progbits,_ZN4vllm25paged_attention_v1_kernelI14__hip_bfloat16S1_Li112ELi32ELi128ELNS_18Fp8KVCacheDataTypeE0ELb0EEEvPT_PKS3_PKT0_S9_ifPKiSB_iPKfiiiSD_SD_iiiii,comdat
	.protected	_ZN4vllm25paged_attention_v1_kernelI14__hip_bfloat16S1_Li112ELi32ELi128ELNS_18Fp8KVCacheDataTypeE0ELb0EEEvPT_PKS3_PKT0_S9_ifPKiSB_iPKfiiiSD_SD_iiiii ; -- Begin function _ZN4vllm25paged_attention_v1_kernelI14__hip_bfloat16S1_Li112ELi32ELi128ELNS_18Fp8KVCacheDataTypeE0ELb0EEEvPT_PKS3_PKT0_S9_ifPKiSB_iPKfiiiSD_SD_iiiii
	.globl	_ZN4vllm25paged_attention_v1_kernelI14__hip_bfloat16S1_Li112ELi32ELi128ELNS_18Fp8KVCacheDataTypeE0ELb0EEEvPT_PKS3_PKT0_S9_ifPKiSB_iPKfiiiSD_SD_iiiii
	.p2align	8
	.type	_ZN4vllm25paged_attention_v1_kernelI14__hip_bfloat16S1_Li112ELi32ELi128ELNS_18Fp8KVCacheDataTypeE0ELb0EEEvPT_PKS3_PKT0_S9_ifPKiSB_iPKfiiiSD_SD_iiiii,@function
_ZN4vllm25paged_attention_v1_kernelI14__hip_bfloat16S1_Li112ELi32ELi128ELNS_18Fp8KVCacheDataTypeE0ELb0EEEvPT_PKS3_PKT0_S9_ifPKiSB_iPKfiiiSD_SD_iiiii: ; @_ZN4vllm25paged_attention_v1_kernelI14__hip_bfloat16S1_Li112ELi32ELi128ELNS_18Fp8KVCacheDataTypeE0ELb0EEEvPT_PKS3_PKT0_S9_ifPKiSB_iPKfiiiSD_SD_iiiii
; %bb.0:
	s_load_dword s5, s[0:1], 0x80
	s_load_dwordx2 s[6:7], s[0:1], 0x30
	s_load_dwordx2 s[8:9], s[0:1], 0x20
	s_mov_b32 s10, s3
	s_ashr_i32 s11, s3, 31
	s_lshl_b64 s[12:13], s[10:11], 2
	s_waitcnt lgkmcnt(0)
	s_add_u32 s6, s6, s12
	s_addc_u32 s7, s7, s13
	s_abs_i32 s3, s8
	v_cvt_f32_u32_e32 v1, s3
	s_sub_i32 s12, 0, s3
	s_abs_i32 s11, s5
	s_xor_b32 s8, s5, s8
	v_rcp_iflag_f32_e32 v1, v1
	s_ashr_i32 s8, s8, 31
	v_mul_f32_e32 v1, 0x4f7ffffe, v1
	v_cvt_u32_f32_e32 v1, v1
	s_nop 0
	v_readfirstlane_b32 s13, v1
	s_mul_i32 s12, s12, s13
	s_mul_hi_u32 s12, s13, s12
	s_add_i32 s13, s13, s12
	s_mul_hi_u32 s12, s11, s13
	s_mul_i32 s13, s12, s3
	s_sub_i32 s11, s11, s13
	s_add_i32 s13, s12, 1
	s_sub_i32 s14, s11, s3
	s_cmp_ge_u32 s11, s3
	s_cselect_b32 s12, s13, s12
	s_cselect_b32 s11, s14, s11
	s_add_i32 s13, s12, 1
	s_cmp_ge_u32 s11, s3
	s_cselect_b32 s3, s13, s12
	s_xor_b32 s3, s3, s8
	s_sub_i32 s14, s3, s8
	s_abs_i32 s11, s14
	v_cvt_f32_u32_e32 v1, s11
	s_load_dwordx2 s[12:13], s[0:1], 0x40
	s_sub_i32 s3, 0, s11
	s_abs_i32 s18, s2
	v_rcp_iflag_f32_e32 v1, v1
	s_mov_b32 s8, 0
	v_mul_f32_e32 v1, 0x4f7ffffe, v1
	v_cvt_u32_f32_e32 v1, v1
	s_nop 0
	v_readfirstlane_b32 s15, v1
	s_mul_i32 s3, s3, s15
	s_mul_hi_u32 s3, s15, s3
	s_add_i32 s15, s15, s3
	s_waitcnt lgkmcnt(0)
	s_cmp_eq_u64 s[12:13], 0
	s_mul_hi_u32 s19, s18, s15
	s_cbranch_scc1 .LBB157_2
; %bb.1:
	s_ashr_i32 s3, s2, 31
	s_lshl_b64 s[16:17], s[2:3], 2
	s_add_u32 s12, s12, s16
	s_addc_u32 s13, s13, s17
	s_load_dword s8, s[12:13], 0x0
.LBB157_2:
	s_load_dword s33, s[6:7], 0x0
	s_ashr_i32 s7, s14, 31
	s_load_dwordx4 s[12:15], s[0:1], 0x48
	s_ashr_i32 s6, s2, 31
	v_and_b32_e32 v2, 1, v0
	s_waitcnt lgkmcnt(0)
	s_movk_i32 s15, 0x70
	s_mul_i32 s16, s2, 0x70
	v_cmp_gt_u32_e32 vcc, 28, v0
	v_lshlrev_b32_e32 v10, 3, v0
	s_and_saveexec_b64 s[2:3], vcc
	s_cbranch_execz .LBB157_4
; %bb.3:
	s_load_dwordx2 s[20:21], s[0:1], 0x8
	s_mul_i32 s22, s12, s10
	s_ashr_i32 s23, s22, 31
	s_lshl_b64 s[22:23], s[22:23], 1
	v_lshlrev_b32_e32 v1, 2, v0
	s_waitcnt lgkmcnt(0)
	s_add_u32 s12, s20, s22
	s_addc_u32 s22, s21, s23
	s_ashr_i32 s17, s16, 31
	s_lshl_b64 s[20:21], s[16:17], 1
	s_add_u32 s20, s12, s20
	s_addc_u32 s21, s22, s21
	global_load_dwordx2 v[4:5], v10, s[20:21]
	v_and_b32_e32 v1, 0xff8, v1
	v_mad_u32_u24 v1, v2, s15, v1
	s_waitcnt vmcnt(0)
	ds_write_b64 v1, v[4:5]
.LBB157_4:
	s_or_b64 exec, exec, s[2:3]
	s_add_i32 s3, s33, 31
	s_ashr_i32 s12, s3, 31
	s_lshr_b32 s12, s12, 27
	s_add_i32 s3, s3, s12
	s_ashr_i32 s17, s3, 5
	s_xor_b32 s3, s6, s7
	s_mul_i32 s6, s19, s11
	s_sub_i32 s6, s18, s6
	s_add_i32 s7, s19, 1
	s_sub_i32 s12, s6, s11
	s_load_dwordx2 s[20:21], s[0:1], 0x28
	s_load_dword s2, s[0:1], 0x38
	s_cmp_ge_u32 s6, s11
	s_cselect_b32 s7, s7, s19
	s_cselect_b32 s6, s12, s6
	s_add_i32 s12, s7, 1
	s_cmp_ge_u32 s6, s11
	s_cselect_b32 s6, s12, s7
	v_lshrrev_b32_e32 v1, 6, v0
	s_xor_b32 s6, s6, s3
	s_waitcnt lgkmcnt(0)
	s_mul_i32 s22, s2, s10
	s_sub_i32 s12, s6, s3
	s_ashr_i32 s23, s22, 31
	v_cmp_gt_i32_e64 s[6:7], s17, v1
	v_cmp_le_i32_e32 vcc, s17, v1
	v_mbcnt_lo_u32_b32 v4, -1, 0
	s_barrier
                                        ; implicit-def: $vgpr12
                                        ; implicit-def: $vgpr13
                                        ; implicit-def: $vgpr14
	s_and_saveexec_b64 s[2:3], vcc
	s_xor_b64 s[2:3], exec, s[2:3]
; %bb.5:
	v_mbcnt_hi_u32_b32 v12, -1, v4
	v_and_b32_e32 v13, 64, v12
	v_add_u32_e32 v14, 64, v13
                                        ; implicit-def: $vgpr2
                                        ; implicit-def: $vgpr4
; %bb.6:
	s_or_saveexec_b64 s[26:27], s[2:3]
	s_load_dwordx2 s[18:19], s[0:1], 0x0
	s_load_dwordx2 s[24:25], s[0:1], 0x18
	s_load_dword s11, s[0:1], 0x88
	v_mov_b32_e32 v71, 0xff7fffff
	s_mul_i32 s14, s12, s14
	v_lshrrev_b32_e32 v11, 4, v0
	s_xor_b64 exec, exec, s[26:27]
	s_cbranch_execz .LBB157_12
; %bb.7:
	v_mul_u32_u24_e32 v3, 0x70, v2
	ds_read_b128 v[6:9], v3
	ds_read_b128 v[28:31], v3 offset:16
	ds_read_b128 v[36:39], v3 offset:32
	;; [unrolled: 1-line block ×3, first 2 shown]
	s_load_dwordx2 s[0:1], s[0:1], 0x10
	s_waitcnt lgkmcnt(0)
	v_lshlrev_b32_e32 v15, 16, v6
	v_and_b32_e32 v16, 0xffff0000, v6
	v_lshlrev_b32_e32 v17, 16, v7
	v_and_b32_e32 v18, 0xffff0000, v7
	;; [unrolled: 2-line block ×4, first 2 shown]
	ds_read_b128 v[6:9], v3 offset:64
	ds_read_b128 v[60:63], v3 offset:80
	v_lshlrev_b32_e32 v23, 16, v28
	v_and_b32_e32 v24, 0xffff0000, v28
	v_lshlrev_b32_e32 v25, 16, v29
	v_and_b32_e32 v26, 0xffff0000, v29
	;; [unrolled: 2-line block ×12, first 2 shown]
	s_waitcnt lgkmcnt(1)
	v_lshlrev_b32_e32 v47, 16, v6
	v_and_b32_e32 v48, 0xffff0000, v6
	v_lshlrev_b32_e32 v49, 16, v7
	v_and_b32_e32 v50, 0xffff0000, v7
	;; [unrolled: 2-line block ×4, first 2 shown]
	ds_read_b128 v[6:9], v3 offset:96
	s_ashr_i32 s15, s14, 31
	s_lshl_b64 s[2:3], s[14:15], 1
	v_mbcnt_hi_u32_b32 v12, -1, v4
	s_add_u32 s0, s0, s2
	v_bfe_u32 v5, v0, 1, 5
	v_and_b32_e32 v13, 64, v12
	s_waitcnt lgkmcnt(1)
	v_lshlrev_b32_e32 v55, 16, v60
	v_and_b32_e32 v56, 0xffff0000, v60
	v_lshlrev_b32_e32 v57, 16, v61
	v_and_b32_e32 v58, 0xffff0000, v61
	;; [unrolled: 2-line block ×4, first 2 shown]
	s_waitcnt lgkmcnt(0)
	v_lshlrev_b32_e32 v63, 16, v6
	v_and_b32_e32 v64, 0xffff0000, v6
	v_lshlrev_b32_e32 v65, 16, v7
	v_and_b32_e32 v66, 0xffff0000, v7
	s_addc_u32 s1, s1, s3
	v_lshlrev_b32_e32 v6, 4, v5
	v_mov_b32_e32 v7, 0
	v_xor_b32_e32 v4, 1, v12
	v_add_u32_e32 v14, 64, v13
	v_cmp_eq_u32_e32 vcc, 0, v2
	v_lshl_add_u64 v[2:3], s[0:1], 0, v[6:7]
	v_cmp_lt_i32_e64 s[0:1], v4, v14
	s_sub_i32 s15, 1, s33
	v_and_b32_e32 v6, 8, v10
	v_cndmask_b32_e64 v4, v12, v4, s[0:1]
	s_lshl_b64 s[0:1], s[22:23], 2
	v_lshlrev_b32_e32 v72, 2, v4
	v_lshlrev_b32_e32 v4, 2, v5
	s_add_u32 s0, s20, s0
	v_lshl_add_u64 v[2:3], v[2:3], 0, v[6:7]
	v_lshl_or_b32 v4, v1, 7, v4
	v_and_b32_e32 v6, 60, v11
	s_addc_u32 s1, s21, s1
	v_lshlrev_b32_e32 v67, 16, v8
	v_and_b32_e32 v68, 0xffff0000, v8
	v_lshlrev_b32_e32 v69, 16, v9
	v_and_b32_e32 v70, 0xffff0000, v9
	s_mov_b32 s12, s13
	v_cmp_neq_f32_e64 s[2:3], s8, 0
	v_lshl_or_b32 v73, v1, 5, v5
	v_add_u32_e32 v74, 0xf0, v4
	v_lshl_add_u64 v[4:5], s[0:1], 0, v[6:7]
	s_mov_b64 s[28:29], 0
	s_movk_i32 s34, 0x1000
	v_mov_b32_e32 v71, 0xff7fffff
	v_mov_b32_e32 v75, v1
	s_branch .LBB157_9
.LBB157_8:                              ;   in Loop: Header=BB157_9 Depth=1
	s_or_b64 exec, exec, s[30:31]
	v_add_u32_e32 v75, 2, v75
	v_cmp_le_i32_e64 s[0:1], s17, v75
	v_add_u32_e32 v73, 64, v73
	v_add_u32_e32 v74, 0x100, v74
	s_or_b64 s[28:29], s[0:1], s[28:29]
	v_lshl_add_u64 v[4:5], v[4:5], 0, 8
	s_andn2_b64 exec, exec, s[28:29]
	s_cbranch_execz .LBB157_11
.LBB157_9:                              ; =>This Inner Loop Header: Depth=1
	global_load_dword v6, v[4:5], off
	s_waitcnt vmcnt(0) lgkmcnt(0)
	v_mad_i64_i32 v[6:7], s[0:1], v6, s12, 0
	v_lshl_add_u64 v[6:7], v[6:7], 1, v[2:3]
	global_load_dwordx2 v[8:9], v[6:7], off
	global_load_dwordx2 v[76:77], v[6:7], off offset:512
	global_load_dwordx2 v[78:79], v[6:7], off offset:1024
	;; [unrolled: 1-line block ×4, first 2 shown]
	s_waitcnt vmcnt(4)
	v_lshlrev_b32_e32 v88, 16, v8
	v_and_b32_e32 v89, 0xffff0000, v8
	v_lshlrev_b32_e32 v98, 16, v9
	v_and_b32_e32 v99, 0xffff0000, v9
	global_load_dwordx2 v[8:9], v[6:7], off offset:2560
	s_waitcnt vmcnt(4)
	v_lshlrev_b32_e32 v100, 16, v76
	v_and_b32_e32 v101, 0xffff0000, v76
	v_lshlrev_b32_e32 v102, 16, v77
	v_and_b32_e32 v103, 0xffff0000, v77
	s_waitcnt vmcnt(3)
	v_lshlrev_b32_e32 v76, 16, v78
	v_and_b32_e32 v77, 0xffff0000, v78
	v_lshlrev_b32_e32 v78, 16, v79
	s_waitcnt vmcnt(2)
	v_lshlrev_b32_e32 v80, 16, v82
	v_and_b32_e32 v81, 0xffff0000, v82
	v_and_b32_e32 v79, 0xffff0000, v79
	v_lshlrev_b32_e32 v82, 16, v83
	s_waitcnt vmcnt(1)
	v_lshlrev_b32_e32 v84, 16, v86
	v_and_b32_e32 v85, 0xffff0000, v86
	v_and_b32_e32 v83, 0xffff0000, v83
	v_lshlrev_b32_e32 v86, 16, v87
	v_and_b32_e32 v87, 0xffff0000, v87
	s_waitcnt vmcnt(0)
	v_lshlrev_b32_e32 v90, 16, v8
	v_and_b32_e32 v91, 0xffff0000, v8
	v_lshlrev_b32_e32 v92, 16, v9
	v_and_b32_e32 v93, 0xffff0000, v9
	global_load_dwordx2 v[8:9], v[6:7], off offset:3072
	s_waitcnt vmcnt(0)
	v_lshlrev_b32_e32 v94, 16, v8
	v_and_b32_e32 v95, 0xffff0000, v8
	v_add_co_u32_e64 v8, s[0:1], s34, v6
	v_lshlrev_b32_e32 v96, 16, v9
	v_and_b32_e32 v97, 0xffff0000, v9
	v_addc_co_u32_e64 v9, s[0:1], 0, v7, s[0:1]
	global_load_dwordx2 v[6:7], v[6:7], off offset:3584
	s_waitcnt vmcnt(0)
	v_lshlrev_b32_e32 v104, 16, v6
	v_and_b32_e32 v105, 0xffff0000, v6
	v_lshlrev_b32_e32 v106, 16, v7
	v_and_b32_e32 v107, 0xffff0000, v7
	v_mul_f32_e32 v6, v19, v100
	v_mul_f32_e32 v7, v20, v101
	v_fmac_f32_e32 v6, v15, v88
	v_fmac_f32_e32 v7, v16, v89
	v_mul_f32_e32 v88, v21, v102
	v_mul_f32_e32 v89, v22, v103
	v_fmac_f32_e32 v88, v17, v98
	v_fmac_f32_e32 v89, v18, v99
	global_load_dwordx2 v[98:99], v[8:9], off
	v_fmac_f32_e32 v6, v23, v76
	v_fmac_f32_e32 v7, v24, v77
	;; [unrolled: 1-line block ×24, first 2 shown]
	s_waitcnt vmcnt(0)
	v_lshlrev_b32_e32 v100, 16, v98
	v_and_b32_e32 v101, 0xffff0000, v98
	v_lshlrev_b32_e32 v102, 16, v99
	v_and_b32_e32 v103, 0xffff0000, v99
	global_load_dwordx2 v[98:99], v[8:9], off offset:512
	v_fmac_f32_e32 v6, v47, v100
	v_fmac_f32_e32 v7, v48, v101
	v_fmac_f32_e32 v88, v49, v102
	v_fmac_f32_e32 v89, v50, v103
	s_waitcnt vmcnt(0)
	v_lshlrev_b32_e32 v108, 16, v98
	v_and_b32_e32 v109, 0xffff0000, v98
	v_lshlrev_b32_e32 v110, 16, v99
	v_and_b32_e32 v111, 0xffff0000, v99
	global_load_dwordx2 v[98:99], v[8:9], off offset:1024
	v_fmac_f32_e32 v6, v51, v108
	v_fmac_f32_e32 v7, v52, v109
	v_fmac_f32_e32 v88, v53, v110
	v_fmac_f32_e32 v89, v54, v111
	;; [unrolled: 10-line block ×3, first 2 shown]
	s_waitcnt vmcnt(0)
	v_lshlrev_b32_e32 v116, 16, v98
	v_and_b32_e32 v117, 0xffff0000, v98
	v_lshlrev_b32_e32 v118, 16, v99
	v_and_b32_e32 v119, 0xffff0000, v99
	global_load_dwordx2 v[98:99], v[8:9], off offset:2048
	v_fmac_f32_e32 v6, v59, v116
	global_load_dwordx2 v[8:9], v[8:9], off offset:2560
	v_fmac_f32_e32 v7, v60, v117
	v_fmac_f32_e32 v88, v61, v118
	;; [unrolled: 1-line block ×3, first 2 shown]
	s_waitcnt vmcnt(1)
	v_lshlrev_b32_e32 v120, 16, v98
	v_and_b32_e32 v98, 0xffff0000, v98
	v_lshlrev_b32_e32 v121, 16, v99
	s_waitcnt vmcnt(0)
	v_lshlrev_b32_e32 v122, 16, v8
	v_and_b32_e32 v8, 0xffff0000, v8
	v_fmac_f32_e32 v6, v63, v120
	v_fmac_f32_e32 v7, v64, v98
	v_and_b32_e32 v99, 0xffff0000, v99
	v_lshlrev_b32_e32 v123, 16, v9
	v_fmac_f32_e32 v88, v65, v121
	v_fmac_f32_e32 v6, v67, v122
	;; [unrolled: 1-line block ×3, first 2 shown]
	v_and_b32_e32 v9, 0xffff0000, v9
	v_fmac_f32_e32 v89, v66, v99
	v_fmac_f32_e32 v88, v69, v123
	v_add_f32_e32 v6, v6, v7
	v_fmac_f32_e32 v89, v70, v9
	v_add_f32_e32 v6, v6, v88
	v_add_f32_e32 v6, v89, v6
	ds_bpermute_b32 v7, v72, v6
	s_and_saveexec_b64 s[30:31], vcc
	s_cbranch_execz .LBB157_8
; %bb.10:                               ;   in Loop: Header=BB157_9 Depth=1
	v_add_u32_e32 v8, s15, v73
	v_cvt_f32_i32_e32 v8, v8
	s_waitcnt lgkmcnt(0)
	v_add_f32_e32 v6, v6, v7
	v_cmp_gt_i32_e64 s[0:1], s33, v73
	v_max_f32_e32 v7, v71, v71
	v_mul_f32_e32 v8, s8, v8
	v_cndmask_b32_e64 v8, 0, v8, s[2:3]
	v_fmac_f32_e32 v8, s9, v6
	v_cndmask_b32_e64 v6, 0, v8, s[0:1]
	ds_write_b32 v74, v6
	v_max_f32_e32 v6, v7, v8
	v_cndmask_b32_e64 v71, v71, v6, s[0:1]
	s_branch .LBB157_8
.LBB157_11:
	s_or_b64 exec, exec, s[28:29]
.LBB157_12:
	s_or_b64 exec, exec, s[26:27]
	v_xor_b32_e32 v2, 32, v12
	v_cmp_lt_i32_e32 vcc, v2, v14
	v_xor_b32_e32 v5, 16, v12
	v_max_f32_e32 v4, v71, v71
	v_cndmask_b32_e32 v2, v12, v2, vcc
	v_lshlrev_b32_e32 v2, 2, v2
	ds_bpermute_b32 v3, v2, v71
	v_cmp_lt_i32_e32 vcc, v5, v14
	v_xor_b32_e32 v6, 8, v12
	s_waitcnt lgkmcnt(0)
	v_xor_b32_e32 v7, 4, v12
	v_xor_b32_e32 v8, 2, v12
	v_max_f32_e32 v3, v3, v3
	v_max_f32_e32 v4, v4, v3
	v_cndmask_b32_e32 v3, v12, v5, vcc
	v_lshlrev_b32_e32 v3, 2, v3
	ds_bpermute_b32 v5, v3, v4
	v_cmp_lt_i32_e32 vcc, v6, v14
	v_and_b32_e32 v50, 63, v0
	s_waitcnt lgkmcnt(0)
	v_max_f32_e32 v5, v5, v5
	v_max_f32_e32 v5, v4, v5
	v_cndmask_b32_e32 v4, v12, v6, vcc
	v_lshlrev_b32_e32 v4, 2, v4
	ds_bpermute_b32 v6, v4, v5
	v_cmp_lt_i32_e32 vcc, v7, v14
	s_waitcnt lgkmcnt(0)
	v_max_f32_e32 v6, v6, v6
	v_max_f32_e32 v6, v5, v6
	v_cndmask_b32_e32 v5, v12, v7, vcc
	v_lshlrev_b32_e32 v5, 2, v5
	ds_bpermute_b32 v7, v5, v6
	v_cmp_lt_i32_e32 vcc, v8, v14
	s_waitcnt lgkmcnt(0)
	v_max_f32_e32 v7, v7, v7
	v_max_f32_e32 v7, v6, v7
	v_cndmask_b32_e32 v6, v12, v8, vcc
	v_lshlrev_b32_e32 v51, 2, v6
	ds_bpermute_b32 v8, v51, v7
	v_cmp_eq_u32_e32 vcc, 0, v50
	v_lshlrev_b32_e32 v6, 2, v1
	s_and_saveexec_b64 s[0:1], vcc
	s_cbranch_execz .LBB157_14
; %bb.13:
	s_waitcnt lgkmcnt(0)
	v_max_f32_e32 v8, v8, v8
	v_max_f32_e32 v7, v7, v7
	;; [unrolled: 1-line block ×3, first 2 shown]
	ds_write_b32 v6, v7 offset:224
.LBB157_14:
	s_or_b64 exec, exec, s[0:1]
	v_cmp_gt_u32_e64 s[0:1], 2, v50
	s_waitcnt lgkmcnt(0)
	v_mov_b32_e32 v8, 0xff7fffff
	v_lshlrev_b32_e32 v7, 2, v50
	s_barrier
	s_and_saveexec_b64 s[2:3], s[0:1]
; %bb.15:
	ds_read_b32 v8, v7 offset:224
; %bb.16:
	s_or_b64 exec, exec, s[2:3]
	v_xor_b32_e32 v9, 1, v12
	v_cmp_lt_i32_e64 s[2:3], v9, v14
	s_nop 1
	v_cndmask_b32_e64 v9, v12, v9, s[2:3]
	v_lshlrev_b32_e32 v52, 2, v9
	s_waitcnt lgkmcnt(0)
	ds_bpermute_b32 v9, v52, v8
	v_max_f32_e32 v8, v8, v8
	s_lshl_b32 s2, s17, 5
	s_min_i32 s12, s2, s33
	v_cmp_gt_i32_e64 s[2:3], s12, v0
	s_waitcnt lgkmcnt(0)
	v_max_f32_e32 v9, v9, v9
	v_max_f32_e32 v8, v8, v9
	v_lshlrev_b32_e32 v9, 2, v13
	ds_bpermute_b32 v9, v9, v8
	v_mov_b32_e32 v8, 0
	s_and_saveexec_b64 s[26:27], s[2:3]
	s_cbranch_execz .LBB157_20
; %bb.17:
	v_mov_b32_e32 v8, 0xf0
	v_lshl_add_u32 v13, v0, 2, v8
	v_mov_b32_e32 v8, 0
	s_mov_b64 s[28:29], 0
	v_mov_b32_e32 v14, v0
.LBB157_18:                             ; =>This Inner Loop Header: Depth=1
	ds_read_b32 v15, v13
	v_add_u32_e32 v14, 0x80, v14
	v_cmp_le_i32_e64 s[8:9], s12, v14
	s_or_b64 s[28:29], s[8:9], s[28:29]
	s_waitcnt lgkmcnt(0)
	v_sub_f32_e32 v15, v15, v9
	v_mul_f32_e32 v15, 0x3fb8aa3b, v15
	v_exp_f32_e32 v15, v15
	ds_write_b32 v13, v15
	v_add_f32_e32 v8, v8, v15
	v_add_u32_e32 v13, 0x200, v13
	s_andn2_b64 exec, exec, s[28:29]
	s_cbranch_execnz .LBB157_18
; %bb.19:
	s_or_b64 exec, exec, s[28:29]
.LBB157_20:
	s_or_b64 exec, exec, s[26:27]
	ds_bpermute_b32 v2, v2, v8
	s_waitcnt lgkmcnt(0)
	v_add_f32_e32 v2, v8, v2
	ds_bpermute_b32 v3, v3, v2
	s_waitcnt lgkmcnt(0)
	v_add_f32_e32 v2, v2, v3
	;; [unrolled: 3-line block ×6, first 2 shown]
	s_and_saveexec_b64 s[8:9], vcc
; %bb.21:
	ds_write_b32 v6, v2 offset:232
; %bb.22:
	s_or_b64 exec, exec, s[8:9]
	s_waitcnt lgkmcnt(0)
	s_barrier
	s_and_saveexec_b64 s[8:9], s[0:1]
; %bb.23:
	ds_read_b32 v2, v7 offset:232
; %bb.24:
	s_or_b64 exec, exec, s[8:9]
	s_waitcnt lgkmcnt(0)
	ds_bpermute_b32 v3, v52, v2
	v_lshlrev_b32_e32 v4, 2, v12
	s_waitcnt lgkmcnt(0)
	v_add_f32_e32 v2, v2, v3
	v_and_b32_e32 v3, 0xffffff00, v4
	ds_bpermute_b32 v2, v3, v2
	s_and_saveexec_b64 s[0:1], s[2:3]
	s_cbranch_execz .LBB157_37
; %bb.25:
	s_waitcnt lgkmcnt(0)
	v_add_f32_e32 v2, 0x358637bd, v2
	v_div_scale_f32 v3, s[2:3], v2, v2, 1.0
	v_rcp_f32_e32 v4, v3
	v_div_scale_f32 v5, vcc, 1.0, v2, 1.0
	s_movk_i32 s2, 0x7f
	v_fma_f32 v6, -v3, v4, 1.0
	v_fmac_f32_e32 v4, v6, v4
	v_mul_f32_e32 v6, v5, v4
	v_fma_f32 v7, -v3, v6, v5
	v_fmac_f32_e32 v6, v7, v4
	v_fma_f32 v3, -v3, v6, v5
	v_div_fmas_f32 v3, v3, v4, v6
	v_xad_u32 v4, v0, -1, s12
	v_div_fixup_f32 v2, v3, v2, 1.0
	v_cmp_lt_u32_e32 vcc, s2, v4
	s_mov_b64 s[8:9], -1
	v_mov_b32_e32 v3, v0
	s_and_saveexec_b64 s[2:3], vcc
	s_cbranch_execz .LBB157_34
; %bb.26:
	v_lshrrev_b32_e32 v4, 7, v4
	v_add_u32_e32 v6, -1, v4
	v_lshrrev_b32_e32 v5, 1, v6
	v_mov_b32_e32 v3, v2
	v_add_u32_e32 v5, 1, v5
	v_cmp_lt_u32_e32 vcc, 13, v6
	v_mov_b32_e32 v8, 0
	s_and_saveexec_b64 s[8:9], vcc
	s_cbranch_execz .LBB157_30
; %bb.27:
	v_mov_b32_e32 v7, 0xf0
	v_and_b32_e32 v6, -8, v5
	v_lshl_add_u32 v7, v0, 2, v7
	s_mov_b32 s15, 0
	s_mov_b64 s[26:27], 0
.LBB157_28:                             ; =>This Inner Loop Header: Depth=1
	ds_read2st64_b32 v[8:9], v7 offset1:2
	ds_read2st64_b32 v[12:13], v7 offset0:4 offset1:6
	ds_read2st64_b32 v[14:15], v7 offset0:8 offset1:10
	;; [unrolled: 1-line block ×3, first 2 shown]
	v_add_u32_e32 v6, -8, v6
	s_waitcnt lgkmcnt(3)
	v_pk_mul_f32 v[8:9], v[2:3], v[8:9]
	s_waitcnt lgkmcnt(2)
	v_pk_mul_f32 v[12:13], v[2:3], v[12:13]
	ds_write2st64_b32 v7, v8, v9 offset1:2
	ds_write2st64_b32 v7, v12, v13 offset0:4 offset1:6
	ds_read2st64_b32 v[12:13], v7 offset0:16 offset1:18
	s_waitcnt lgkmcnt(4)
	v_pk_mul_f32 v[8:9], v[2:3], v[14:15]
	ds_write2st64_b32 v7, v8, v9 offset0:8 offset1:10
	s_waitcnt lgkmcnt(4)
	v_pk_mul_f32 v[8:9], v[2:3], v[16:17]
	ds_write2st64_b32 v7, v8, v9 offset0:12 offset1:14
	ds_read2st64_b32 v[8:9], v7 offset0:20 offset1:22
	s_waitcnt lgkmcnt(3)
	v_pk_mul_f32 v[12:13], v[2:3], v[12:13]
	ds_read2st64_b32 v[14:15], v7 offset0:24 offset1:26
	ds_write2st64_b32 v7, v12, v13 offset0:16 offset1:18
	ds_read2st64_b32 v[12:13], v7 offset0:28 offset1:30
	s_waitcnt lgkmcnt(3)
	v_pk_mul_f32 v[8:9], v[2:3], v[8:9]
	ds_write2st64_b32 v7, v8, v9 offset0:20 offset1:22
	s_waitcnt lgkmcnt(3)
	v_pk_mul_f32 v[8:9], v[2:3], v[14:15]
	ds_write2st64_b32 v7, v8, v9 offset0:24 offset1:26
	s_waitcnt lgkmcnt(2)
	v_pk_mul_f32 v[8:9], v[2:3], v[12:13]
	s_add_i32 s15, s15, 16
	v_cmp_eq_u32_e32 vcc, 0, v6
	ds_write2st64_b32 v7, v8, v9 offset0:28 offset1:30
	v_add_u32_e32 v7, 0x2000, v7
	s_or_b64 s[26:27], vcc, s[26:27]
	v_mov_b32_e32 v8, s15
	s_andn2_b64 exec, exec, s[26:27]
	s_cbranch_execnz .LBB157_28
; %bb.29:
	s_or_b64 exec, exec, s[26:27]
.LBB157_30:
	s_or_b64 exec, exec, s[8:9]
	v_and_b32_e32 v5, 7, v5
	v_cmp_ne_u32_e32 vcc, 0, v5
	s_and_saveexec_b64 s[8:9], vcc
	s_cbranch_execz .LBB157_33
; %bb.31:
	v_lshlrev_b32_e32 v6, 9, v8
	v_lshlrev_b32_e32 v7, 2, v0
	s_movk_i32 s15, 0xf0
	v_add3_u32 v6, v6, v7, s15
	s_mov_b64 s[26:27], 0
.LBB157_32:                             ; =>This Inner Loop Header: Depth=1
	ds_read2st64_b32 v[8:9], v6 offset1:2
	v_add_u32_e32 v5, -1, v5
	v_cmp_eq_u32_e32 vcc, 0, v5
	s_or_b64 s[26:27], vcc, s[26:27]
	s_waitcnt lgkmcnt(0)
	v_pk_mul_f32 v[8:9], v[2:3], v[8:9]
	ds_write2st64_b32 v6, v8, v9 offset1:2
	v_add_u32_e32 v6, 0x400, v6
	s_andn2_b64 exec, exec, s[26:27]
	s_cbranch_execnz .LBB157_32
.LBB157_33:
	s_or_b64 exec, exec, s[8:9]
	v_add_u32_e32 v4, 1, v4
	v_and_b32_e32 v5, 0x3fffffe, v4
	v_cmp_ne_u32_e32 vcc, v4, v5
	v_lshl_add_u32 v3, v5, 7, v0
	s_orn2_b64 s[8:9], vcc, exec
.LBB157_34:
	s_or_b64 exec, exec, s[2:3]
	s_and_b64 exec, exec, s[8:9]
	s_cbranch_execz .LBB157_37
; %bb.35:
	v_mov_b32_e32 v4, 0xf0
	v_lshl_add_u32 v4, v3, 2, v4
	s_mov_b64 s[2:3], 0
.LBB157_36:                             ; =>This Inner Loop Header: Depth=1
	ds_read_b32 v5, v4
	v_add_u32_e32 v3, 0x80, v3
	v_cmp_le_i32_e32 vcc, s12, v3
	s_or_b64 s[2:3], vcc, s[2:3]
	s_waitcnt lgkmcnt(0)
	v_mul_f32_e32 v5, v2, v5
	ds_write_b32 v4, v5
	v_add_u32_e32 v4, 0x200, v4
	s_andn2_b64 exec, exec, s[2:3]
	s_cbranch_execnz .LBB157_36
.LBB157_37:
	s_or_b64 exec, exec, s[0:1]
	v_mov_b32_e32 v39, 0
	v_and_b32_e32 v53, 3, v0
	v_mov_b32_e32 v38, 0
	v_mov_b32_e32 v41, 0
	;; [unrolled: 1-line block ×6, first 2 shown]
	s_waitcnt lgkmcnt(0)
	s_barrier
	s_and_saveexec_b64 s[8:9], s[6:7]
	s_cbranch_execz .LBB157_55
; %bb.38:
	s_ashr_i32 s15, s14, 31
	s_lshl_b64 s[0:1], s[14:15], 1
	s_add_u32 s0, s24, s0
	v_lshlrev_b32_e32 v3, 4, v0
	s_addc_u32 s1, s25, s1
	v_and_b32_e32 v44, 0x3f0, v3
	v_mov_b32_e32 v45, 0
	v_and_b32_e32 v2, 24, v10
	s_add_i32 s14, s17, -1
	v_lshl_add_u64 v[46:47], s[0:1], 0, v[44:45]
	s_lshl_b64 s[0:1], s[22:23], 2
	v_lshl_or_b32 v54, v1, 5, v2
	v_lshlrev_b32_e32 v2, 5, v53
	s_add_u32 s0, s20, s0
	v_lshl_or_b32 v2, v1, 7, v2
	v_and_b32_e32 v44, 60, v11
	s_addc_u32 s1, s21, s1
	s_mov_b32 s26, s13
	s_mov_b32 s15, s33
	v_add_u32_e32 v55, 0xf0, v2
	v_lshl_add_u64 v[48:49], s[0:1], 0, v[44:45]
	s_mov_b64 s[6:7], 0
	s_mov_b32 s20, 0x5040100
	v_mov_b32_e32 v44, 0
	v_mov_b32_e32 v39, 0
	;; [unrolled: 1-line block ×7, first 2 shown]
	s_branch .LBB157_40
.LBB157_39:                             ;   in Loop: Header=BB157_40 Depth=1
	s_or_b64 exec, exec, s[2:3]
	s_waitcnt lgkmcnt(1)
	v_cvt_pk_bf16_f32 v18, v18, s0
	v_cvt_pk_bf16_f32 v19, v19, s0
	;; [unrolled: 1-line block ×4, first 2 shown]
	s_waitcnt vmcnt(1)
	v_and_b32_e32 v56, 0xffff0000, v34
	v_lshlrev_b32_e32 v19, 16, v19
	v_lshlrev_b32_e32 v34, 16, v34
	;; [unrolled: 1-line block ×3, first 2 shown]
	v_mul_f32_e32 v56, v19, v56
	v_mul_f32_e32 v34, v18, v34
	v_and_b32_e32 v57, 0xffff0000, v35
	v_lshlrev_b32_e32 v21, 16, v21
	v_lshlrev_b32_e32 v35, 16, v35
	;; [unrolled: 1-line block ×3, first 2 shown]
	s_waitcnt lgkmcnt(0)
	v_cvt_pk_bf16_f32 v14, v14, s0
	v_cvt_pk_bf16_f32 v15, v15, s0
	;; [unrolled: 1-line block ×4, first 2 shown]
	v_mul_f32_e32 v57, v21, v57
	v_mul_f32_e32 v35, v20, v35
	v_cvt_pk_bf16_f32 v57, v57, s0
	v_cvt_pk_bf16_f32 v35, v35, s0
	v_and_b32_e32 v58, 0xffff0000, v36
	v_lshlrev_b32_e32 v15, 16, v15
	v_lshlrev_b32_e32 v36, 16, v36
	v_lshlrev_b32_e32 v14, 16, v14
	v_lshlrev_b32_e32 v34, 16, v34
	v_lshlrev_b32_e32 v56, 16, v56
	v_cvt_pk_bf16_f32 v16, v16, s0
	v_cvt_pk_bf16_f32 v17, v17, s0
	v_mul_f32_e32 v58, v15, v58
	v_mul_f32_e32 v36, v14, v36
	v_add_f32_e32 v34, v34, v56
	v_lshlrev_b32_e32 v35, 16, v35
	v_lshlrev_b32_e32 v56, 16, v57
	v_cvt_pk_bf16_f32 v58, v58, s0
	v_cvt_pk_bf16_f32 v36, v36, s0
	v_and_b32_e32 v59, 0xffff0000, v37
	v_lshlrev_b32_e32 v17, 16, v17
	v_lshlrev_b32_e32 v37, 16, v37
	;; [unrolled: 1-line block ×3, first 2 shown]
	v_add_f32_e32 v35, v35, v56
	v_mul_f32_e32 v59, v17, v59
	v_mul_f32_e32 v37, v16, v37
	v_add_f32_e32 v34, v35, v34
	v_lshlrev_b32_e32 v35, 16, v36
	v_lshlrev_b32_e32 v36, 16, v58
	v_cvt_pk_bf16_f32 v59, v59, s0
	v_cvt_pk_bf16_f32 v37, v37, s0
	v_add_f32_e32 v35, v35, v36
	v_add_f32_e32 v34, v35, v34
	v_lshlrev_b32_e32 v35, 16, v37
	v_lshlrev_b32_e32 v36, 16, v59
	v_add_f32_e32 v35, v35, v36
	v_add_f32_e32 v34, v35, v34
	v_add_f32_e32 v39, v39, v34
	v_and_b32_e32 v34, 0xffff0000, v30
	v_lshlrev_b32_e32 v30, 16, v30
	v_mul_f32_e32 v34, v19, v34
	v_mul_f32_e32 v30, v18, v30
	v_and_b32_e32 v35, 0xffff0000, v31
	v_lshlrev_b32_e32 v31, 16, v31
	v_cvt_pk_bf16_f32 v34, v34, s0
	v_cvt_pk_bf16_f32 v30, v30, s0
	v_mul_f32_e32 v35, v21, v35
	v_mul_f32_e32 v31, v20, v31
	v_cvt_pk_bf16_f32 v35, v35, s0
	v_cvt_pk_bf16_f32 v31, v31, s0
	v_and_b32_e32 v36, 0xffff0000, v32
	v_lshlrev_b32_e32 v32, 16, v32
	v_lshlrev_b32_e32 v30, 16, v30
	v_lshlrev_b32_e32 v34, 16, v34
	v_mul_f32_e32 v36, v15, v36
	v_mul_f32_e32 v32, v14, v32
	v_add_f32_e32 v30, v30, v34
	v_lshlrev_b32_e32 v31, 16, v31
	v_lshlrev_b32_e32 v34, 16, v35
	v_cvt_pk_bf16_f32 v36, v36, s0
	v_cvt_pk_bf16_f32 v32, v32, s0
	v_and_b32_e32 v37, 0xffff0000, v33
	v_lshlrev_b32_e32 v33, 16, v33
	v_add_f32_e32 v31, v31, v34
	v_mul_f32_e32 v37, v17, v37
	v_mul_f32_e32 v33, v16, v33
	v_add_f32_e32 v30, v31, v30
	v_lshlrev_b32_e32 v31, 16, v32
	v_lshlrev_b32_e32 v32, 16, v36
	v_cvt_pk_bf16_f32 v37, v37, s0
	v_cvt_pk_bf16_f32 v33, v33, s0
	v_add_f32_e32 v31, v31, v32
	v_add_f32_e32 v30, v31, v30
	v_lshlrev_b32_e32 v31, 16, v33
	v_lshlrev_b32_e32 v32, 16, v37
	v_add_f32_e32 v31, v31, v32
	v_add_f32_e32 v30, v31, v30
	v_add_f32_e32 v38, v38, v30
	v_and_b32_e32 v30, 0xffff0000, v22
	v_lshlrev_b32_e32 v22, 16, v22
	v_mul_f32_e32 v30, v19, v30
	v_mul_f32_e32 v22, v18, v22
	v_and_b32_e32 v31, 0xffff0000, v23
	v_lshlrev_b32_e32 v23, 16, v23
	v_cvt_pk_bf16_f32 v30, v30, s0
	v_cvt_pk_bf16_f32 v22, v22, s0
	v_mul_f32_e32 v31, v21, v31
	v_mul_f32_e32 v23, v20, v23
	v_cvt_pk_bf16_f32 v31, v31, s0
	v_cvt_pk_bf16_f32 v23, v23, s0
	v_and_b32_e32 v32, 0xffff0000, v24
	v_lshlrev_b32_e32 v24, 16, v24
	v_lshlrev_b32_e32 v22, 16, v22
	v_lshlrev_b32_e32 v30, 16, v30
	v_mul_f32_e32 v32, v15, v32
	v_mul_f32_e32 v24, v14, v24
	v_add_f32_e32 v22, v22, v30
	v_lshlrev_b32_e32 v23, 16, v23
	v_lshlrev_b32_e32 v30, 16, v31
	v_cvt_pk_bf16_f32 v32, v32, s0
	v_cvt_pk_bf16_f32 v24, v24, s0
	v_and_b32_e32 v33, 0xffff0000, v25
	v_lshlrev_b32_e32 v25, 16, v25
	;; [unrolled: 40-line block ×5, first 2 shown]
	v_add_f32_e32 v3, v3, v6
	v_mul_f32_e32 v5, v16, v5
	v_add_f32_e32 v2, v3, v2
	v_lshlrev_b32_e32 v3, 16, v4
	v_lshlrev_b32_e32 v4, 16, v8
	v_cvt_pk_bf16_f32 v5, v5, s0
	v_add_f32_e32 v3, v3, v4
	v_add_f32_e32 v2, v3, v2
	v_lshlrev_b32_e32 v3, 16, v5
	s_waitcnt vmcnt(0)
	v_and_b32_e32 v5, 0xffff0000, v27
	v_mul_f32_e32 v5, v21, v5
	v_mul_f32_e32 v9, v17, v9
	v_cvt_pk_bf16_f32 v6, v5, s0
	v_lshlrev_b32_e32 v5, 16, v28
	v_cvt_pk_bf16_f32 v9, v9, s0
	v_mul_f32_e32 v5, v14, v5
	v_lshlrev_b32_e32 v4, 16, v9
	v_cvt_pk_bf16_f32 v7, v5, s0
	v_and_b32_e32 v5, 0xffff0000, v28
	v_add_f32_e32 v3, v3, v4
	v_mul_f32_e32 v5, v15, v5
	v_add_f32_e32 v2, v3, v2
	v_cvt_pk_bf16_f32 v8, v5, s0
	v_lshlrev_b32_e32 v5, 16, v29
	v_add_f32_e32 v42, v42, v2
	v_lshlrev_b32_e32 v2, 16, v26
	v_and_b32_e32 v3, 0xffff0000, v26
	v_lshlrev_b32_e32 v4, 16, v27
	v_mul_f32_e32 v5, v16, v5
	v_mul_f32_e32 v2, v18, v2
	;; [unrolled: 1-line block ×4, first 2 shown]
	v_cvt_pk_bf16_f32 v9, v5, s0
	v_and_b32_e32 v5, 0xffff0000, v29
	v_cvt_pk_bf16_f32 v2, v2, s0
	v_cvt_pk_bf16_f32 v3, v3, s0
	;; [unrolled: 1-line block ×3, first 2 shown]
	v_mul_f32_e32 v5, v17, v5
	v_cvt_pk_bf16_f32 v10, v5, s0
	v_lshlrev_b32_e32 v3, 16, v3
	v_lshlrev_b32_e32 v5, 16, v2
	;; [unrolled: 1-line block ×4, first 2 shown]
	v_pk_add_f32 v[2:3], v[4:5], v[2:3]
	v_lshlrev_b32_e32 v5, 16, v8
	v_lshlrev_b32_e32 v7, 16, v7
	;; [unrolled: 1-line block ×4, first 2 shown]
	v_pk_add_f32 v[4:5], v[6:7], v[4:5]
	v_add_f32_e32 v2, v2, v3
	v_add_f32_e32 v2, v5, v2
	v_add_u32_e32 v1, 2, v1
	v_add_f32_e32 v2, v4, v2
	v_cmp_le_i32_e32 vcc, s17, v1
	v_add_f32_e32 v44, v44, v2
	v_add_u32_e32 v54, 64, v54
	v_add_u32_e32 v55, 0x100, v55
	s_or_b64 s[6:7], vcc, s[6:7]
	v_lshl_add_u64 v[48:49], v[48:49], 0, 8
	s_andn2_b64 exec, exec, s[6:7]
	s_cbranch_execz .LBB157_54
.LBB157_40:                             ; =>This Inner Loop Header: Depth=1
	global_load_dword v2, v[48:49], off
	v_add_u32_e32 v62, 1, v54
	v_or_b32_e32 v60, 3, v54
	v_or_b32_e32 v61, 2, v54
	;; [unrolled: 1-line block ×6, first 2 shown]
	s_waitcnt vmcnt(0)
	v_mad_i64_i32 v[2:3], s[0:1], v2, s26, 0
	v_lshl_add_u64 v[26:27], v[2:3], 1, v[46:47]
	global_load_dwordx4 v[2:5], v[26:27], off
	ds_read2_b64 v[18:21], v55 offset1:1
	ds_read2_b64 v[14:17], v55 offset0:2 offset1:3
	v_cmp_eq_u32_e64 s[0:1], s14, v1
	s_and_saveexec_b64 s[12:13], s[0:1]
	s_cbranch_execnz .LBB157_51
; %bb.41:                               ;   in Loop: Header=BB157_40 Depth=1
	s_or_b64 exec, exec, s[12:13]
	global_load_dwordx4 v[6:9], v[26:27], off offset:1024
	s_and_saveexec_b64 s[12:13], s[0:1]
	s_cbranch_execnz .LBB157_52
.LBB157_42:                             ;   in Loop: Header=BB157_40 Depth=1
	s_or_b64 exec, exec, s[12:13]
	global_load_dwordx4 v[10:13], v[26:27], off offset:2048
	s_and_saveexec_b64 s[12:13], s[0:1]
	s_cbranch_execnz .LBB157_53
.LBB157_43:                             ;   in Loop: Header=BB157_40 Depth=1
	s_or_b64 exec, exec, s[12:13]
	global_load_dwordx4 v[22:25], v[26:27], off offset:3072
	s_and_saveexec_b64 s[12:13], s[0:1]
	s_cbranch_execz .LBB157_45
.LBB157_44:                             ;   in Loop: Header=BB157_40 Depth=1
	v_cmp_gt_i32_e32 vcc, s15, v62
	v_cmp_gt_i32_e64 s[2:3], s33, v61
	s_waitcnt vmcnt(0)
	v_cndmask_b32_sdwa v28, v45, v22, vcc dst_sel:DWORD dst_unused:UNUSED_PAD src0_sel:DWORD src1_sel:WORD_1
	v_cmp_gt_i32_e32 vcc, s33, v54
	s_nop 1
	v_cndmask_b32_e32 v22, 0, v22, vcc
	v_cmp_gt_i32_e32 vcc, s15, v60
	v_perm_b32 v22, v28, v22, s20
	v_cndmask_b32_e64 v28, 0, v23, s[2:3]
	v_cndmask_b32_sdwa v23, v45, v23, vcc dst_sel:DWORD dst_unused:UNUSED_PAD src0_sel:DWORD src1_sel:WORD_1
	v_cmp_gt_i32_e32 vcc, s15, v58
	v_cmp_gt_i32_e64 s[2:3], s33, v59
	v_perm_b32 v23, v23, v28, s20
	s_nop 0
	v_cndmask_b32_e64 v28, 0, v24, s[2:3]
	v_cndmask_b32_sdwa v24, v45, v24, vcc dst_sel:DWORD dst_unused:UNUSED_PAD src0_sel:DWORD src1_sel:WORD_1
	v_cmp_gt_i32_e32 vcc, s15, v56
	v_cmp_gt_i32_e64 s[2:3], s33, v57
	v_perm_b32 v24, v24, v28, s20
	s_nop 0
	v_cndmask_b32_e64 v28, 0, v25, s[2:3]
	v_cndmask_b32_sdwa v25, v45, v25, vcc dst_sel:DWORD dst_unused:UNUSED_PAD src0_sel:DWORD src1_sel:WORD_1
	v_perm_b32 v25, v25, v28, s20
.LBB157_45:                             ;   in Loop: Header=BB157_40 Depth=1
	s_or_b64 exec, exec, s[12:13]
	v_add_co_u32_e32 v28, vcc, 0x1000, v26
	s_nop 1
	v_addc_co_u32_e32 v29, vcc, 0, v27, vcc
	global_load_dwordx4 v[30:33], v[28:29], off
	s_and_saveexec_b64 s[12:13], s[0:1]
	s_cbranch_execz .LBB157_47
; %bb.46:                               ;   in Loop: Header=BB157_40 Depth=1
	v_cmp_gt_i32_e32 vcc, s15, v62
	v_cmp_gt_i32_e64 s[2:3], s33, v61
	s_waitcnt vmcnt(0)
	v_cndmask_b32_sdwa v28, v45, v30, vcc dst_sel:DWORD dst_unused:UNUSED_PAD src0_sel:DWORD src1_sel:WORD_1
	v_cmp_gt_i32_e32 vcc, s33, v54
	s_nop 1
	v_cndmask_b32_e32 v29, 0, v30, vcc
	v_cmp_gt_i32_e32 vcc, s15, v60
	v_perm_b32 v30, v28, v29, s20
	v_cndmask_b32_e64 v28, 0, v31, s[2:3]
	v_cndmask_b32_sdwa v29, v45, v31, vcc dst_sel:DWORD dst_unused:UNUSED_PAD src0_sel:DWORD src1_sel:WORD_1
	v_cmp_gt_i32_e32 vcc, s15, v58
	v_cmp_gt_i32_e64 s[2:3], s33, v59
	v_perm_b32 v31, v29, v28, s20
	v_cndmask_b32_sdwa v29, v45, v32, vcc dst_sel:DWORD dst_unused:UNUSED_PAD src0_sel:DWORD src1_sel:WORD_1
	v_cndmask_b32_e64 v28, 0, v32, s[2:3]
	v_cmp_gt_i32_e32 vcc, s15, v56
	v_cmp_gt_i32_e64 s[2:3], s33, v57
	v_perm_b32 v32, v29, v28, s20
	v_cndmask_b32_sdwa v29, v45, v33, vcc dst_sel:DWORD dst_unused:UNUSED_PAD src0_sel:DWORD src1_sel:WORD_1
	v_cndmask_b32_e64 v28, 0, v33, s[2:3]
	v_perm_b32 v33, v29, v28, s20
.LBB157_47:                             ;   in Loop: Header=BB157_40 Depth=1
	s_or_b64 exec, exec, s[12:13]
	v_add_co_u32_e32 v28, vcc, 0x1000, v26
	s_nop 1
	v_addc_co_u32_e32 v29, vcc, 0, v27, vcc
	global_load_dwordx4 v[34:37], v[28:29], off offset:1024
	s_and_saveexec_b64 s[12:13], s[0:1]
	s_cbranch_execz .LBB157_49
; %bb.48:                               ;   in Loop: Header=BB157_40 Depth=1
	v_cmp_gt_i32_e32 vcc, s15, v62
	v_cmp_gt_i32_e64 s[2:3], s33, v61
	s_waitcnt vmcnt(0)
	v_cndmask_b32_sdwa v28, v45, v34, vcc dst_sel:DWORD dst_unused:UNUSED_PAD src0_sel:DWORD src1_sel:WORD_1
	v_cmp_gt_i32_e32 vcc, s33, v54
	s_nop 1
	v_cndmask_b32_e32 v29, 0, v34, vcc
	v_cmp_gt_i32_e32 vcc, s15, v60
	v_perm_b32 v34, v28, v29, s20
	v_cndmask_b32_e64 v28, 0, v35, s[2:3]
	v_cndmask_b32_sdwa v29, v45, v35, vcc dst_sel:DWORD dst_unused:UNUSED_PAD src0_sel:DWORD src1_sel:WORD_1
	v_cmp_gt_i32_e32 vcc, s15, v58
	v_cmp_gt_i32_e64 s[2:3], s33, v59
	v_perm_b32 v35, v29, v28, s20
	v_cndmask_b32_sdwa v29, v45, v36, vcc dst_sel:DWORD dst_unused:UNUSED_PAD src0_sel:DWORD src1_sel:WORD_1
	v_cndmask_b32_e64 v28, 0, v36, s[2:3]
	v_cmp_gt_i32_e32 vcc, s15, v56
	v_cmp_gt_i32_e64 s[2:3], s33, v57
	v_perm_b32 v36, v29, v28, s20
	v_cndmask_b32_sdwa v29, v45, v37, vcc dst_sel:DWORD dst_unused:UNUSED_PAD src0_sel:DWORD src1_sel:WORD_1
	v_cndmask_b32_e64 v28, 0, v37, s[2:3]
	v_perm_b32 v37, v29, v28, s20
.LBB157_49:                             ;   in Loop: Header=BB157_40 Depth=1
	s_or_b64 exec, exec, s[12:13]
	v_add_co_u32_e32 v26, vcc, 0x1000, v26
	s_nop 1
	v_addc_co_u32_e32 v27, vcc, 0, v27, vcc
	global_load_dwordx4 v[26:29], v[26:27], off offset:2048
	s_and_saveexec_b64 s[2:3], s[0:1]
	s_cbranch_execz .LBB157_39
; %bb.50:                               ;   in Loop: Header=BB157_40 Depth=1
	v_cmp_gt_i32_e32 vcc, s15, v62
	v_cmp_gt_i32_e64 s[0:1], s33, v61
	s_waitcnt vmcnt(0)
	v_cndmask_b32_sdwa v62, v45, v26, vcc dst_sel:DWORD dst_unused:UNUSED_PAD src0_sel:DWORD src1_sel:WORD_1
	v_cmp_gt_i32_e32 vcc, s33, v54
	s_nop 1
	v_cndmask_b32_e32 v26, 0, v26, vcc
	v_cmp_gt_i32_e32 vcc, s15, v60
	v_cndmask_b32_e64 v60, 0, v27, s[0:1]
	v_cmp_gt_i32_e64 s[0:1], s33, v59
	v_cndmask_b32_sdwa v27, v45, v27, vcc dst_sel:DWORD dst_unused:UNUSED_PAD src0_sel:DWORD src1_sel:WORD_1
	v_cmp_gt_i32_e32 vcc, s15, v58
	v_cndmask_b32_e64 v58, 0, v28, s[0:1]
	v_cmp_gt_i32_e64 s[0:1], s33, v57
	v_cndmask_b32_sdwa v28, v45, v28, vcc dst_sel:DWORD dst_unused:UNUSED_PAD src0_sel:DWORD src1_sel:WORD_1
	v_cmp_gt_i32_e32 vcc, s15, v56
	v_cndmask_b32_e64 v56, 0, v29, s[0:1]
	v_perm_b32 v26, v62, v26, s20
	v_cndmask_b32_sdwa v29, v45, v29, vcc dst_sel:DWORD dst_unused:UNUSED_PAD src0_sel:DWORD src1_sel:WORD_1
	v_perm_b32 v27, v27, v60, s20
	v_perm_b32 v28, v28, v58, s20
	;; [unrolled: 1-line block ×3, first 2 shown]
	s_branch .LBB157_39
.LBB157_51:                             ;   in Loop: Header=BB157_40 Depth=1
	v_cmp_gt_i32_e32 vcc, s15, v62
	v_cmp_gt_i32_e64 s[2:3], s33, v61
	s_waitcnt vmcnt(0)
	v_cndmask_b32_sdwa v6, v45, v2, vcc dst_sel:DWORD dst_unused:UNUSED_PAD src0_sel:DWORD src1_sel:WORD_1
	v_cmp_gt_i32_e32 vcc, s33, v54
	s_nop 1
	v_cndmask_b32_e32 v2, 0, v2, vcc
	v_cmp_gt_i32_e32 vcc, s15, v60
	v_perm_b32 v2, v6, v2, s20
	v_cndmask_b32_e64 v6, 0, v3, s[2:3]
	v_cndmask_b32_sdwa v3, v45, v3, vcc dst_sel:DWORD dst_unused:UNUSED_PAD src0_sel:DWORD src1_sel:WORD_1
	v_cmp_gt_i32_e32 vcc, s15, v58
	v_cmp_gt_i32_e64 s[2:3], s33, v59
	v_perm_b32 v3, v3, v6, s20
	s_nop 0
	v_cndmask_b32_e64 v6, 0, v4, s[2:3]
	v_cndmask_b32_sdwa v4, v45, v4, vcc dst_sel:DWORD dst_unused:UNUSED_PAD src0_sel:DWORD src1_sel:WORD_1
	v_cmp_gt_i32_e32 vcc, s15, v56
	v_cmp_gt_i32_e64 s[2:3], s33, v57
	v_perm_b32 v4, v4, v6, s20
	s_nop 0
	v_cndmask_b32_e64 v6, 0, v5, s[2:3]
	v_cndmask_b32_sdwa v5, v45, v5, vcc dst_sel:DWORD dst_unused:UNUSED_PAD src0_sel:DWORD src1_sel:WORD_1
	v_perm_b32 v5, v5, v6, s20
	s_or_b64 exec, exec, s[12:13]
	global_load_dwordx4 v[6:9], v[26:27], off offset:1024
	s_and_saveexec_b64 s[12:13], s[0:1]
	s_cbranch_execz .LBB157_42
.LBB157_52:                             ;   in Loop: Header=BB157_40 Depth=1
	v_cmp_gt_i32_e32 vcc, s15, v62
	v_cmp_gt_i32_e64 s[2:3], s33, v61
	s_waitcnt vmcnt(0)
	v_cndmask_b32_sdwa v10, v45, v6, vcc dst_sel:DWORD dst_unused:UNUSED_PAD src0_sel:DWORD src1_sel:WORD_1
	v_cmp_gt_i32_e32 vcc, s33, v54
	s_nop 1
	v_cndmask_b32_e32 v6, 0, v6, vcc
	v_cmp_gt_i32_e32 vcc, s15, v60
	v_perm_b32 v6, v10, v6, s20
	v_cndmask_b32_e64 v10, 0, v7, s[2:3]
	v_cndmask_b32_sdwa v7, v45, v7, vcc dst_sel:DWORD dst_unused:UNUSED_PAD src0_sel:DWORD src1_sel:WORD_1
	v_cmp_gt_i32_e32 vcc, s15, v58
	v_cmp_gt_i32_e64 s[2:3], s33, v59
	v_perm_b32 v7, v7, v10, s20
	s_nop 0
	v_cndmask_b32_e64 v10, 0, v8, s[2:3]
	v_cndmask_b32_sdwa v8, v45, v8, vcc dst_sel:DWORD dst_unused:UNUSED_PAD src0_sel:DWORD src1_sel:WORD_1
	v_cmp_gt_i32_e32 vcc, s15, v56
	v_cmp_gt_i32_e64 s[2:3], s33, v57
	v_perm_b32 v8, v8, v10, s20
	s_nop 0
	v_cndmask_b32_e64 v10, 0, v9, s[2:3]
	v_cndmask_b32_sdwa v9, v45, v9, vcc dst_sel:DWORD dst_unused:UNUSED_PAD src0_sel:DWORD src1_sel:WORD_1
	v_perm_b32 v9, v9, v10, s20
	s_or_b64 exec, exec, s[12:13]
	global_load_dwordx4 v[10:13], v[26:27], off offset:2048
	s_and_saveexec_b64 s[12:13], s[0:1]
	s_cbranch_execz .LBB157_43
.LBB157_53:                             ;   in Loop: Header=BB157_40 Depth=1
	v_cmp_gt_i32_e32 vcc, s15, v62
	v_cmp_gt_i32_e64 s[2:3], s33, v61
	s_waitcnt vmcnt(0)
	v_cndmask_b32_sdwa v22, v45, v10, vcc dst_sel:DWORD dst_unused:UNUSED_PAD src0_sel:DWORD src1_sel:WORD_1
	v_cmp_gt_i32_e32 vcc, s33, v54
	s_nop 1
	v_cndmask_b32_e32 v10, 0, v10, vcc
	v_cmp_gt_i32_e32 vcc, s15, v60
	v_perm_b32 v10, v22, v10, s20
	v_cndmask_b32_e64 v22, 0, v11, s[2:3]
	v_cndmask_b32_sdwa v11, v45, v11, vcc dst_sel:DWORD dst_unused:UNUSED_PAD src0_sel:DWORD src1_sel:WORD_1
	v_cmp_gt_i32_e32 vcc, s15, v58
	v_cmp_gt_i32_e64 s[2:3], s33, v59
	v_perm_b32 v11, v11, v22, s20
	s_nop 0
	v_cndmask_b32_e64 v22, 0, v12, s[2:3]
	v_cndmask_b32_sdwa v12, v45, v12, vcc dst_sel:DWORD dst_unused:UNUSED_PAD src0_sel:DWORD src1_sel:WORD_1
	v_cmp_gt_i32_e32 vcc, s15, v56
	v_cmp_gt_i32_e64 s[2:3], s33, v57
	v_perm_b32 v12, v12, v22, s20
	s_nop 0
	v_cndmask_b32_e64 v22, 0, v13, s[2:3]
	v_cndmask_b32_sdwa v13, v45, v13, vcc dst_sel:DWORD dst_unused:UNUSED_PAD src0_sel:DWORD src1_sel:WORD_1
	v_perm_b32 v13, v13, v22, s20
	s_or_b64 exec, exec, s[12:13]
	global_load_dwordx4 v[22:25], v[26:27], off offset:3072
	s_and_saveexec_b64 s[12:13], s[0:1]
	s_cbranch_execnz .LBB157_44
	s_branch .LBB157_45
.LBB157_54:
	s_or_b64 exec, exec, s[6:7]
.LBB157_55:
	s_or_b64 exec, exec, s[8:9]
	ds_bpermute_b32 v2, v51, v42
	ds_bpermute_b32 v3, v51, v43
	;; [unrolled: 1-line block ×6, first 2 shown]
	s_waitcnt lgkmcnt(4)
	v_pk_add_f32 v[2:3], v[42:43], v[2:3]
	ds_bpermute_b32 v8, v52, v2
	ds_bpermute_b32 v9, v52, v3
	;; [unrolled: 1-line block ×3, first 2 shown]
	s_waitcnt lgkmcnt(5)
	v_pk_add_f32 v[4:5], v[40:41], v[4:5]
	s_waitcnt lgkmcnt(3)
	v_pk_add_f32 v[12:13], v[38:39], v[6:7]
	ds_bpermute_b32 v10, v52, v4
	ds_bpermute_b32 v11, v52, v5
	;; [unrolled: 1-line block ×4, first 2 shown]
	s_waitcnt lgkmcnt(5)
	v_pk_add_f32 v[6:7], v[2:3], v[8:9]
	s_waitcnt lgkmcnt(4)
	v_add_f32_e32 v8, v44, v1
	ds_bpermute_b32 v9, v52, v8
	v_and_b32_e32 v1, 0x3c3, v0
	s_waitcnt lgkmcnt(3)
	v_pk_add_f32 v[4:5], v[4:5], v[10:11]
	s_waitcnt lgkmcnt(1)
	v_pk_add_f32 v[2:3], v[12:13], v[14:15]
	v_cmp_ne_u32_e32 vcc, 64, v1
	s_waitcnt lgkmcnt(0)
	s_barrier
	s_and_saveexec_b64 s[0:1], vcc
	s_xor_b64 s[0:1], exec, s[0:1]
; %bb.56:
                                        ; implicit-def: $vgpr50
; %bb.57:
	s_or_saveexec_b64 s[0:1], s[0:1]
	v_add_f32_e32 v8, v8, v9
	s_xor_b64 exec, exec, s[0:1]
	s_cbranch_execz .LBB157_59
; %bb.58:
	v_add_u32_e32 v9, 0xf0, v50
	ds_write2_b32 v9, v6, v7 offset1:16
	ds_write2_b32 v9, v4, v5 offset0:32 offset1:48
	ds_write2_b32 v9, v2, v3 offset0:64 offset1:80
	ds_write_b32 v9, v8 offset:384
.LBB157_59:
	s_or_b64 exec, exec, s[0:1]
	v_cmp_gt_u32_e32 vcc, 64, v0
	v_lshrrev_b32_e32 v0, 2, v0
	s_waitcnt lgkmcnt(0)
	s_barrier
	s_and_saveexec_b64 s[0:1], vcc
	s_cbranch_execz .LBB157_69
; %bb.60:
	v_mov_b32_e32 v9, 0xf0
	v_cmp_eq_u32_e32 vcc, 0, v53
	v_lshl_add_u32 v9, v0, 2, v9
	s_and_saveexec_b64 s[2:3], vcc
	s_cbranch_execnz .LBB157_72
; %bb.61:
	s_or_b64 exec, exec, s[2:3]
	s_and_saveexec_b64 s[2:3], vcc
	s_cbranch_execnz .LBB157_73
.LBB157_62:
	s_or_b64 exec, exec, s[2:3]
	s_and_saveexec_b64 s[2:3], vcc
	s_cbranch_execnz .LBB157_74
.LBB157_63:
	s_or_b64 exec, exec, s[2:3]
	s_and_saveexec_b64 s[2:3], vcc
	s_cbranch_execnz .LBB157_75
.LBB157_64:
	s_or_b64 exec, exec, s[2:3]
	s_and_saveexec_b64 s[2:3], vcc
	s_cbranch_execnz .LBB157_76
.LBB157_65:
	s_or_b64 exec, exec, s[2:3]
	s_and_saveexec_b64 s[2:3], vcc
	s_cbranch_execnz .LBB157_77
.LBB157_66:
	s_or_b64 exec, exec, s[2:3]
	s_and_saveexec_b64 s[2:3], vcc
	s_cbranch_execz .LBB157_68
.LBB157_67:
	ds_read_b32 v9, v9 offset:384
	s_waitcnt lgkmcnt(0)
	v_add_f32_e32 v8, v8, v9
.LBB157_68:
	s_or_b64 exec, exec, s[2:3]
.LBB157_69:
	s_or_b64 exec, exec, s[0:1]
	v_cmp_eq_u32_e32 vcc, 0, v1
	s_barrier
	s_and_saveexec_b64 s[0:1], vcc
	s_cbranch_execz .LBB157_71
; %bb.70:
	s_mul_i32 s0, s10, s11
	s_mul_i32 s0, s0, s5
	s_mulk_i32 s0, 0x70
	s_ashr_i32 s1, s0, 31
	s_lshl_b64 s[0:1], s[0:1], 1
	s_add_u32 s2, s18, s0
	s_mul_i32 s0, s11, s16
	s_addc_u32 s3, s19, s1
	s_ashr_i32 s1, s0, 31
	s_lshl_b64 s[0:1], s[0:1], 1
	s_add_u32 s2, s2, s0
	s_mul_i32 s0, s4, 0x70
	s_addc_u32 s3, s3, s1
	s_ashr_i32 s1, s0, 31
	s_lshl_b64 s[0:1], s[0:1], 1
	s_add_u32 s0, s2, s0
	s_addc_u32 s1, s3, s1
	v_lshlrev_b32_e32 v0, 1, v0
	v_cvt_pk_bf16_f32 v1, v6, s0
	global_store_short v0, v1, s[0:1]
	v_cvt_pk_bf16_f32 v1, v7, s0
	global_store_short v0, v1, s[0:1] offset:32
	v_cvt_pk_bf16_f32 v1, v4, s0
	global_store_short v0, v1, s[0:1] offset:64
	;; [unrolled: 2-line block ×6, first 2 shown]
.LBB157_71:
	s_endpgm
.LBB157_72:
	ds_read_b32 v10, v9
	s_waitcnt lgkmcnt(0)
	v_add_f32_e32 v6, v6, v10
	s_or_b64 exec, exec, s[2:3]
	s_and_saveexec_b64 s[2:3], vcc
	s_cbranch_execz .LBB157_62
.LBB157_73:
	ds_read_b32 v10, v9 offset:64
	s_waitcnt lgkmcnt(0)
	v_add_f32_e32 v7, v7, v10
	s_or_b64 exec, exec, s[2:3]
	s_and_saveexec_b64 s[2:3], vcc
	s_cbranch_execz .LBB157_63
.LBB157_74:
	ds_read_b32 v10, v9 offset:128
	s_waitcnt lgkmcnt(0)
	v_add_f32_e32 v4, v4, v10
	s_or_b64 exec, exec, s[2:3]
	s_and_saveexec_b64 s[2:3], vcc
	s_cbranch_execz .LBB157_64
.LBB157_75:
	ds_read_b32 v10, v9 offset:192
	s_waitcnt lgkmcnt(0)
	v_add_f32_e32 v5, v5, v10
	s_or_b64 exec, exec, s[2:3]
	s_and_saveexec_b64 s[2:3], vcc
	s_cbranch_execz .LBB157_65
.LBB157_76:
	ds_read_b32 v10, v9 offset:256
	s_waitcnt lgkmcnt(0)
	v_add_f32_e32 v2, v2, v10
	s_or_b64 exec, exec, s[2:3]
	s_and_saveexec_b64 s[2:3], vcc
	s_cbranch_execz .LBB157_66
.LBB157_77:
	ds_read_b32 v10, v9 offset:320
	s_waitcnt lgkmcnt(0)
	v_add_f32_e32 v3, v3, v10
	s_or_b64 exec, exec, s[2:3]
	s_and_saveexec_b64 s[2:3], vcc
	s_cbranch_execnz .LBB157_67
	s_branch .LBB157_68
	.section	.rodata,"a",@progbits
	.p2align	6, 0x0
	.amdhsa_kernel _ZN4vllm25paged_attention_v1_kernelI14__hip_bfloat16S1_Li112ELi32ELi128ELNS_18Fp8KVCacheDataTypeE0ELb0EEEvPT_PKS3_PKT0_S9_ifPKiSB_iPKfiiiSD_SD_iiiii
		.amdhsa_group_segment_fixed_size 240
		.amdhsa_private_segment_fixed_size 0
		.amdhsa_kernarg_size 384
		.amdhsa_user_sgpr_count 2
		.amdhsa_user_sgpr_dispatch_ptr 0
		.amdhsa_user_sgpr_queue_ptr 0
		.amdhsa_user_sgpr_kernarg_segment_ptr 1
		.amdhsa_user_sgpr_dispatch_id 0
		.amdhsa_user_sgpr_kernarg_preload_length 0
		.amdhsa_user_sgpr_kernarg_preload_offset 0
		.amdhsa_user_sgpr_private_segment_size 0
		.amdhsa_uses_dynamic_stack 0
		.amdhsa_enable_private_segment 0
		.amdhsa_system_sgpr_workgroup_id_x 1
		.amdhsa_system_sgpr_workgroup_id_y 1
		.amdhsa_system_sgpr_workgroup_id_z 1
		.amdhsa_system_sgpr_workgroup_info 0
		.amdhsa_system_vgpr_workitem_id 0
		.amdhsa_next_free_vgpr 124
		.amdhsa_next_free_sgpr 35
		.amdhsa_accum_offset 124
		.amdhsa_reserve_vcc 1
		.amdhsa_float_round_mode_32 0
		.amdhsa_float_round_mode_16_64 0
		.amdhsa_float_denorm_mode_32 3
		.amdhsa_float_denorm_mode_16_64 3
		.amdhsa_dx10_clamp 1
		.amdhsa_ieee_mode 1
		.amdhsa_fp16_overflow 0
		.amdhsa_tg_split 0
		.amdhsa_exception_fp_ieee_invalid_op 0
		.amdhsa_exception_fp_denorm_src 0
		.amdhsa_exception_fp_ieee_div_zero 0
		.amdhsa_exception_fp_ieee_overflow 0
		.amdhsa_exception_fp_ieee_underflow 0
		.amdhsa_exception_fp_ieee_inexact 0
		.amdhsa_exception_int_div_zero 0
	.end_amdhsa_kernel
	.section	.text._ZN4vllm25paged_attention_v1_kernelI14__hip_bfloat16S1_Li112ELi32ELi128ELNS_18Fp8KVCacheDataTypeE0ELb0EEEvPT_PKS3_PKT0_S9_ifPKiSB_iPKfiiiSD_SD_iiiii,"axG",@progbits,_ZN4vllm25paged_attention_v1_kernelI14__hip_bfloat16S1_Li112ELi32ELi128ELNS_18Fp8KVCacheDataTypeE0ELb0EEEvPT_PKS3_PKT0_S9_ifPKiSB_iPKfiiiSD_SD_iiiii,comdat
.Lfunc_end157:
	.size	_ZN4vllm25paged_attention_v1_kernelI14__hip_bfloat16S1_Li112ELi32ELi128ELNS_18Fp8KVCacheDataTypeE0ELb0EEEvPT_PKS3_PKT0_S9_ifPKiSB_iPKfiiiSD_SD_iiiii, .Lfunc_end157-_ZN4vllm25paged_attention_v1_kernelI14__hip_bfloat16S1_Li112ELi32ELi128ELNS_18Fp8KVCacheDataTypeE0ELb0EEEvPT_PKS3_PKT0_S9_ifPKiSB_iPKfiiiSD_SD_iiiii
                                        ; -- End function
	.set _ZN4vllm25paged_attention_v1_kernelI14__hip_bfloat16S1_Li112ELi32ELi128ELNS_18Fp8KVCacheDataTypeE0ELb0EEEvPT_PKS3_PKT0_S9_ifPKiSB_iPKfiiiSD_SD_iiiii.num_vgpr, 124
	.set _ZN4vllm25paged_attention_v1_kernelI14__hip_bfloat16S1_Li112ELi32ELi128ELNS_18Fp8KVCacheDataTypeE0ELb0EEEvPT_PKS3_PKT0_S9_ifPKiSB_iPKfiiiSD_SD_iiiii.num_agpr, 0
	.set _ZN4vllm25paged_attention_v1_kernelI14__hip_bfloat16S1_Li112ELi32ELi128ELNS_18Fp8KVCacheDataTypeE0ELb0EEEvPT_PKS3_PKT0_S9_ifPKiSB_iPKfiiiSD_SD_iiiii.numbered_sgpr, 35
	.set _ZN4vllm25paged_attention_v1_kernelI14__hip_bfloat16S1_Li112ELi32ELi128ELNS_18Fp8KVCacheDataTypeE0ELb0EEEvPT_PKS3_PKT0_S9_ifPKiSB_iPKfiiiSD_SD_iiiii.num_named_barrier, 0
	.set _ZN4vllm25paged_attention_v1_kernelI14__hip_bfloat16S1_Li112ELi32ELi128ELNS_18Fp8KVCacheDataTypeE0ELb0EEEvPT_PKS3_PKT0_S9_ifPKiSB_iPKfiiiSD_SD_iiiii.private_seg_size, 0
	.set _ZN4vllm25paged_attention_v1_kernelI14__hip_bfloat16S1_Li112ELi32ELi128ELNS_18Fp8KVCacheDataTypeE0ELb0EEEvPT_PKS3_PKT0_S9_ifPKiSB_iPKfiiiSD_SD_iiiii.uses_vcc, 1
	.set _ZN4vllm25paged_attention_v1_kernelI14__hip_bfloat16S1_Li112ELi32ELi128ELNS_18Fp8KVCacheDataTypeE0ELb0EEEvPT_PKS3_PKT0_S9_ifPKiSB_iPKfiiiSD_SD_iiiii.uses_flat_scratch, 0
	.set _ZN4vllm25paged_attention_v1_kernelI14__hip_bfloat16S1_Li112ELi32ELi128ELNS_18Fp8KVCacheDataTypeE0ELb0EEEvPT_PKS3_PKT0_S9_ifPKiSB_iPKfiiiSD_SD_iiiii.has_dyn_sized_stack, 0
	.set _ZN4vllm25paged_attention_v1_kernelI14__hip_bfloat16S1_Li112ELi32ELi128ELNS_18Fp8KVCacheDataTypeE0ELb0EEEvPT_PKS3_PKT0_S9_ifPKiSB_iPKfiiiSD_SD_iiiii.has_recursion, 0
	.set _ZN4vllm25paged_attention_v1_kernelI14__hip_bfloat16S1_Li112ELi32ELi128ELNS_18Fp8KVCacheDataTypeE0ELb0EEEvPT_PKS3_PKT0_S9_ifPKiSB_iPKfiiiSD_SD_iiiii.has_indirect_call, 0
	.section	.AMDGPU.csdata,"",@progbits
; Kernel info:
; codeLenInByte = 7488
; TotalNumSgprs: 41
; NumVgprs: 124
; NumAgprs: 0
; TotalNumVgprs: 124
; ScratchSize: 0
; MemoryBound: 0
; FloatMode: 240
; IeeeMode: 1
; LDSByteSize: 240 bytes/workgroup (compile time only)
; SGPRBlocks: 5
; VGPRBlocks: 15
; NumSGPRsForWavesPerEU: 41
; NumVGPRsForWavesPerEU: 124
; AccumOffset: 124
; Occupancy: 4
; WaveLimiterHint : 1
; COMPUTE_PGM_RSRC2:SCRATCH_EN: 0
; COMPUTE_PGM_RSRC2:USER_SGPR: 2
; COMPUTE_PGM_RSRC2:TRAP_HANDLER: 0
; COMPUTE_PGM_RSRC2:TGID_X_EN: 1
; COMPUTE_PGM_RSRC2:TGID_Y_EN: 1
; COMPUTE_PGM_RSRC2:TGID_Z_EN: 1
; COMPUTE_PGM_RSRC2:TIDIG_COMP_CNT: 0
; COMPUTE_PGM_RSRC3_GFX90A:ACCUM_OFFSET: 30
; COMPUTE_PGM_RSRC3_GFX90A:TG_SPLIT: 0
	.section	.text._ZN4vllm25paged_attention_v1_kernelI14__hip_bfloat16S1_Li120ELi32ELi128ELNS_18Fp8KVCacheDataTypeE0ELb0EEEvPT_PKS3_PKT0_S9_ifPKiSB_iPKfiiiSD_SD_iiiii,"axG",@progbits,_ZN4vllm25paged_attention_v1_kernelI14__hip_bfloat16S1_Li120ELi32ELi128ELNS_18Fp8KVCacheDataTypeE0ELb0EEEvPT_PKS3_PKT0_S9_ifPKiSB_iPKfiiiSD_SD_iiiii,comdat
	.protected	_ZN4vllm25paged_attention_v1_kernelI14__hip_bfloat16S1_Li120ELi32ELi128ELNS_18Fp8KVCacheDataTypeE0ELb0EEEvPT_PKS3_PKT0_S9_ifPKiSB_iPKfiiiSD_SD_iiiii ; -- Begin function _ZN4vllm25paged_attention_v1_kernelI14__hip_bfloat16S1_Li120ELi32ELi128ELNS_18Fp8KVCacheDataTypeE0ELb0EEEvPT_PKS3_PKT0_S9_ifPKiSB_iPKfiiiSD_SD_iiiii
	.globl	_ZN4vllm25paged_attention_v1_kernelI14__hip_bfloat16S1_Li120ELi32ELi128ELNS_18Fp8KVCacheDataTypeE0ELb0EEEvPT_PKS3_PKT0_S9_ifPKiSB_iPKfiiiSD_SD_iiiii
	.p2align	8
	.type	_ZN4vllm25paged_attention_v1_kernelI14__hip_bfloat16S1_Li120ELi32ELi128ELNS_18Fp8KVCacheDataTypeE0ELb0EEEvPT_PKS3_PKT0_S9_ifPKiSB_iPKfiiiSD_SD_iiiii,@function
_ZN4vllm25paged_attention_v1_kernelI14__hip_bfloat16S1_Li120ELi32ELi128ELNS_18Fp8KVCacheDataTypeE0ELb0EEEvPT_PKS3_PKT0_S9_ifPKiSB_iPKfiiiSD_SD_iiiii: ; @_ZN4vllm25paged_attention_v1_kernelI14__hip_bfloat16S1_Li120ELi32ELi128ELNS_18Fp8KVCacheDataTypeE0ELb0EEEvPT_PKS3_PKT0_S9_ifPKiSB_iPKfiiiSD_SD_iiiii
; %bb.0:
	s_load_dword s5, s[0:1], 0x80
	s_load_dwordx2 s[6:7], s[0:1], 0x30
	s_load_dwordx2 s[8:9], s[0:1], 0x20
	s_mov_b32 s10, s3
	s_ashr_i32 s11, s3, 31
	s_lshl_b64 s[12:13], s[10:11], 2
	s_waitcnt lgkmcnt(0)
	s_add_u32 s6, s6, s12
	s_addc_u32 s7, s7, s13
	s_abs_i32 s3, s8
	v_cvt_f32_u32_e32 v1, s3
	s_sub_i32 s12, 0, s3
	s_abs_i32 s11, s5
	s_xor_b32 s8, s5, s8
	v_rcp_iflag_f32_e32 v1, v1
	s_ashr_i32 s8, s8, 31
	v_mul_f32_e32 v1, 0x4f7ffffe, v1
	v_cvt_u32_f32_e32 v1, v1
	s_nop 0
	v_readfirstlane_b32 s13, v1
	s_mul_i32 s12, s12, s13
	s_mul_hi_u32 s12, s13, s12
	s_add_i32 s13, s13, s12
	s_mul_hi_u32 s12, s11, s13
	s_mul_i32 s13, s12, s3
	s_sub_i32 s11, s11, s13
	s_add_i32 s13, s12, 1
	s_sub_i32 s14, s11, s3
	s_cmp_ge_u32 s11, s3
	s_cselect_b32 s12, s13, s12
	s_cselect_b32 s11, s14, s11
	s_add_i32 s13, s12, 1
	s_cmp_ge_u32 s11, s3
	s_cselect_b32 s3, s13, s12
	s_xor_b32 s3, s3, s8
	s_sub_i32 s14, s3, s8
	s_abs_i32 s11, s14
	v_cvt_f32_u32_e32 v1, s11
	s_load_dwordx2 s[12:13], s[0:1], 0x40
	s_sub_i32 s3, 0, s11
	s_abs_i32 s18, s2
	v_rcp_iflag_f32_e32 v1, v1
	s_mov_b32 s8, 0
	v_mul_f32_e32 v1, 0x4f7ffffe, v1
	v_cvt_u32_f32_e32 v1, v1
	s_nop 0
	v_readfirstlane_b32 s15, v1
	s_mul_i32 s3, s3, s15
	s_mul_hi_u32 s3, s15, s3
	s_add_i32 s15, s15, s3
	s_waitcnt lgkmcnt(0)
	s_cmp_eq_u64 s[12:13], 0
	s_mul_hi_u32 s19, s18, s15
	s_cbranch_scc1 .LBB158_2
; %bb.1:
	s_ashr_i32 s3, s2, 31
	s_lshl_b64 s[16:17], s[2:3], 2
	s_add_u32 s12, s12, s16
	s_addc_u32 s13, s13, s17
	s_load_dword s8, s[12:13], 0x0
.LBB158_2:
	s_load_dword s33, s[6:7], 0x0
	s_ashr_i32 s7, s14, 31
	s_load_dwordx4 s[12:15], s[0:1], 0x48
	s_ashr_i32 s6, s2, 31
	v_and_b32_e32 v2, 1, v0
	s_waitcnt lgkmcnt(0)
	s_movk_i32 s15, 0x78
	s_mul_i32 s16, s2, 0x78
	v_cmp_gt_u32_e32 vcc, 30, v0
	v_lshlrev_b32_e32 v28, 3, v0
	s_and_saveexec_b64 s[2:3], vcc
	s_cbranch_execz .LBB158_4
; %bb.3:
	s_load_dwordx2 s[20:21], s[0:1], 0x8
	s_mul_i32 s22, s12, s10
	s_ashr_i32 s23, s22, 31
	s_lshl_b64 s[22:23], s[22:23], 1
	v_lshlrev_b32_e32 v1, 2, v0
	s_waitcnt lgkmcnt(0)
	s_add_u32 s12, s20, s22
	s_addc_u32 s22, s21, s23
	s_ashr_i32 s17, s16, 31
	s_lshl_b64 s[20:21], s[16:17], 1
	s_add_u32 s20, s12, s20
	s_addc_u32 s21, s22, s21
	global_load_dwordx2 v[4:5], v28, s[20:21]
	v_and_b32_e32 v1, 0xff8, v1
	v_mad_u32_u24 v1, v2, s15, v1
	s_waitcnt vmcnt(0)
	ds_write_b64 v1, v[4:5]
.LBB158_4:
	s_or_b64 exec, exec, s[2:3]
	s_add_i32 s3, s33, 31
	s_ashr_i32 s12, s3, 31
	s_lshr_b32 s12, s12, 27
	s_add_i32 s3, s3, s12
	s_ashr_i32 s17, s3, 5
	s_xor_b32 s3, s6, s7
	s_mul_i32 s6, s19, s11
	s_sub_i32 s6, s18, s6
	s_add_i32 s7, s19, 1
	s_sub_i32 s12, s6, s11
	s_load_dwordx2 s[20:21], s[0:1], 0x28
	s_load_dword s2, s[0:1], 0x38
	s_cmp_ge_u32 s6, s11
	s_cselect_b32 s7, s7, s19
	s_cselect_b32 s6, s12, s6
	s_add_i32 s12, s7, 1
	s_cmp_ge_u32 s6, s11
	s_cselect_b32 s6, s12, s7
	v_lshrrev_b32_e32 v1, 6, v0
	s_xor_b32 s6, s6, s3
	s_waitcnt lgkmcnt(0)
	s_mul_i32 s22, s2, s10
	s_sub_i32 s12, s6, s3
	s_ashr_i32 s23, s22, 31
	v_cmp_le_i32_e64 s[6:7], s17, v1
	v_mbcnt_lo_u32_b32 v4, -1, 0
	s_barrier
                                        ; implicit-def: $vgpr30
                                        ; implicit-def: $vgpr31
                                        ; implicit-def: $vgpr32
	s_and_saveexec_b64 s[2:3], s[6:7]
	s_xor_b64 s[2:3], exec, s[2:3]
; %bb.5:
	v_mbcnt_hi_u32_b32 v30, -1, v4
	v_and_b32_e32 v31, 64, v30
	v_add_u32_e32 v32, 64, v31
                                        ; implicit-def: $vgpr2
                                        ; implicit-def: $vgpr4
; %bb.6:
	s_or_saveexec_b64 s[26:27], s[2:3]
	s_load_dwordx2 s[18:19], s[0:1], 0x0
	s_load_dwordx2 s[24:25], s[0:1], 0x18
	s_load_dword s11, s[0:1], 0x88
	v_mov_b32_e32 v93, 0xff7fffff
	s_mul_i32 s14, s12, s14
	v_lshrrev_b32_e32 v29, 4, v0
	s_xor_b64 exec, exec, s[26:27]
	s_cbranch_execz .LBB158_12
; %bb.7:
	v_mul_u32_u24_e32 v3, 0x78, v2
	ds_read2_b64 v[6:9], v3 offset1:1
	ds_read2_b64 v[10:13], v3 offset0:2 offset1:3
	s_load_dwordx2 s[0:1], s[0:1], 0x10
	s_ashr_i32 s15, s14, 31
	s_lshl_b64 s[2:3], s[14:15], 1
	s_waitcnt lgkmcnt(0)
	v_lshlrev_b32_e32 v33, 16, v6
	v_and_b32_e32 v34, 0xffff0000, v6
	v_lshlrev_b32_e32 v35, 16, v7
	v_and_b32_e32 v36, 0xffff0000, v7
	;; [unrolled: 2-line block ×4, first 2 shown]
	ds_read2_b64 v[6:9], v3 offset0:4 offset1:5
	v_lshlrev_b32_e32 v41, 16, v10
	v_and_b32_e32 v42, 0xffff0000, v10
	v_lshlrev_b32_e32 v43, 16, v11
	v_and_b32_e32 v44, 0xffff0000, v11
	v_lshlrev_b32_e32 v45, 16, v12
	v_and_b32_e32 v46, 0xffff0000, v12
	v_lshlrev_b32_e32 v47, 16, v13
	v_and_b32_e32 v48, 0xffff0000, v13
	ds_read2_b64 v[10:13], v3 offset0:6 offset1:7
	s_waitcnt lgkmcnt(1)
	v_lshlrev_b32_e32 v49, 16, v6
	v_and_b32_e32 v50, 0xffff0000, v6
	v_lshlrev_b32_e32 v51, 16, v7
	v_and_b32_e32 v52, 0xffff0000, v7
	v_lshlrev_b32_e32 v53, 16, v8
	v_and_b32_e32 v54, 0xffff0000, v8
	v_lshlrev_b32_e32 v55, 16, v9
	v_and_b32_e32 v56, 0xffff0000, v9
	ds_read2_b64 v[6:9], v3 offset0:8 offset1:9
	s_waitcnt lgkmcnt(1)
	;; [unrolled: 10-line block ×3, first 2 shown]
	v_lshlrev_b32_e32 v65, 16, v6
	v_and_b32_e32 v66, 0xffff0000, v6
	v_lshlrev_b32_e32 v67, 16, v7
	v_and_b32_e32 v68, 0xffff0000, v7
	;; [unrolled: 2-line block ×4, first 2 shown]
	ds_read2_b64 v[6:9], v3 offset0:12 offset1:13
	v_mbcnt_hi_u32_b32 v30, -1, v4
	s_add_u32 s0, s0, s2
	v_bfe_u32 v5, v0, 1, 5
	v_and_b32_e32 v31, 64, v30
	s_waitcnt lgkmcnt(1)
	v_lshlrev_b32_e32 v73, 16, v10
	v_and_b32_e32 v74, 0xffff0000, v10
	v_lshlrev_b32_e32 v75, 16, v11
	v_and_b32_e32 v76, 0xffff0000, v11
	ds_read_b64 v[10:11], v3 offset:112
	s_waitcnt lgkmcnt(1)
	v_lshlrev_b32_e32 v81, 16, v6
	v_and_b32_e32 v82, 0xffff0000, v6
	v_lshlrev_b32_e32 v83, 16, v7
	v_and_b32_e32 v84, 0xffff0000, v7
	s_addc_u32 s1, s1, s3
	v_lshlrev_b32_e32 v6, 4, v5
	v_mov_b32_e32 v7, 0
	v_xor_b32_e32 v4, 1, v30
	v_add_u32_e32 v32, 64, v31
	v_cmp_eq_u32_e32 vcc, 0, v2
	v_lshl_add_u64 v[2:3], s[0:1], 0, v[6:7]
	v_cmp_lt_i32_e64 s[0:1], v4, v32
	s_sub_i32 s15, 1, s33
	v_and_b32_e32 v6, 8, v28
	v_cndmask_b32_e64 v4, v30, v4, s[0:1]
	s_lshl_b64 s[0:1], s[22:23], 2
	v_lshlrev_b32_e32 v94, 2, v4
	v_lshlrev_b32_e32 v4, 2, v5
	s_add_u32 s0, s20, s0
	v_lshl_add_u64 v[2:3], v[2:3], 0, v[6:7]
	v_lshl_or_b32 v4, v1, 7, v4
	v_and_b32_e32 v6, 60, v29
	s_addc_u32 s1, s21, s1
	v_lshlrev_b32_e32 v77, 16, v12
	v_and_b32_e32 v78, 0xffff0000, v12
	v_lshlrev_b32_e32 v79, 16, v13
	v_and_b32_e32 v80, 0xffff0000, v13
	;; [unrolled: 2-line block ×4, first 2 shown]
	s_waitcnt lgkmcnt(0)
	v_lshlrev_b32_e32 v89, 16, v10
	v_and_b32_e32 v90, 0xffff0000, v10
	v_lshlrev_b32_e32 v91, 16, v11
	v_and_b32_e32 v92, 0xffff0000, v11
	s_mov_b32 s12, s13
	v_cmp_neq_f32_e64 s[2:3], s8, 0
	v_lshl_or_b32 v95, v1, 5, v5
	v_add_u32_e32 v96, 0x100, v4
	v_lshl_add_u64 v[4:5], s[0:1], 0, v[6:7]
	s_mov_b64 s[28:29], 0
	s_movk_i32 s34, 0x1000
	v_mov_b32_e32 v93, 0xff7fffff
	v_mov_b32_e32 v97, v1
	s_branch .LBB158_9
.LBB158_8:                              ;   in Loop: Header=BB158_9 Depth=1
	s_or_b64 exec, exec, s[30:31]
	v_add_u32_e32 v97, 2, v97
	v_cmp_le_i32_e64 s[0:1], s17, v97
	v_add_u32_e32 v95, 64, v95
	v_add_u32_e32 v96, 0x100, v96
	s_or_b64 s[28:29], s[0:1], s[28:29]
	v_lshl_add_u64 v[4:5], v[4:5], 0, 8
	s_andn2_b64 exec, exec, s[28:29]
	s_cbranch_execz .LBB158_11
.LBB158_9:                              ; =>This Inner Loop Header: Depth=1
	global_load_dword v6, v[4:5], off
	s_waitcnt vmcnt(0) lgkmcnt(0)
	v_mad_i64_i32 v[6:7], s[0:1], v6, s12, 0
	v_lshl_add_u64 v[6:7], v[6:7], 1, v[2:3]
	global_load_dwordx2 v[98:99], v[6:7], off
	global_load_dwordx2 v[100:101], v[6:7], off offset:512
	global_load_dwordx2 v[102:103], v[6:7], off offset:1024
	;; [unrolled: 1-line block ×7, first 2 shown]
	v_add_co_u32_e64 v6, s[0:1], s34, v6
	s_waitcnt vmcnt(7)
	v_lshlrev_b32_e32 v106, 16, v98
	v_addc_co_u32_e64 v7, s[0:1], 0, v7, s[0:1]
	global_load_dwordx2 v[18:19], v[6:7], off
	global_load_dwordx2 v[16:17], v[6:7], off offset:512
	global_load_dwordx2 v[14:15], v[6:7], off offset:1024
	;; [unrolled: 1-line block ×5, first 2 shown]
	s_nop 0
	global_load_dwordx2 v[6:7], v[6:7], off offset:3072
	v_and_b32_e32 v107, 0xffff0000, v98
	v_lshlrev_b32_e32 v108, 16, v99
	v_and_b32_e32 v109, 0xffff0000, v99
	s_waitcnt vmcnt(13)
	v_lshlrev_b32_e32 v98, 16, v100
	v_and_b32_e32 v99, 0xffff0000, v100
	v_mul_f32_e32 v98, v37, v98
	v_mul_f32_e32 v99, v38, v99
	v_lshlrev_b32_e32 v100, 16, v101
	v_fmac_f32_e32 v98, v33, v106
	v_fmac_f32_e32 v99, v34, v107
	v_and_b32_e32 v101, 0xffff0000, v101
	v_mul_f32_e32 v100, v39, v100
	s_waitcnt vmcnt(12)
	v_lshlrev_b32_e32 v106, 16, v102
	v_and_b32_e32 v102, 0xffff0000, v102
	v_fmac_f32_e32 v100, v35, v108
	v_mul_f32_e32 v101, v40, v101
	v_fmac_f32_e32 v99, v42, v102
	v_lshlrev_b32_e32 v102, 16, v103
	v_fmac_f32_e32 v101, v36, v109
	v_fmac_f32_e32 v98, v41, v106
	v_and_b32_e32 v103, 0xffff0000, v103
	v_fmac_f32_e32 v100, v43, v102
	s_waitcnt vmcnt(11)
	v_lshlrev_b32_e32 v102, 16, v104
	v_fmac_f32_e32 v101, v44, v103
	v_and_b32_e32 v103, 0xffff0000, v104
	v_fmac_f32_e32 v98, v45, v102
	v_lshlrev_b32_e32 v102, 16, v105
	v_fmac_f32_e32 v99, v46, v103
	v_fmac_f32_e32 v100, v47, v102
	s_waitcnt vmcnt(10)
	v_lshlrev_b32_e32 v102, 16, v26
	v_and_b32_e32 v26, 0xffff0000, v26
	v_fmac_f32_e32 v99, v50, v26
	v_lshlrev_b32_e32 v26, 16, v27
	v_fmac_f32_e32 v100, v51, v26
	s_waitcnt vmcnt(9)
	v_lshlrev_b32_e32 v26, 16, v24
	v_and_b32_e32 v24, 0xffff0000, v24
	v_fmac_f32_e32 v99, v54, v24
	v_lshlrev_b32_e32 v24, 16, v25
	;; [unrolled: 6-line block ×4, first 2 shown]
	v_fmac_f32_e32 v100, v63, v20
	v_and_b32_e32 v103, 0xffff0000, v105
	v_fmac_f32_e32 v98, v49, v102
	v_fmac_f32_e32 v101, v48, v103
	v_and_b32_e32 v27, 0xffff0000, v27
	v_fmac_f32_e32 v98, v53, v26
	;; [unrolled: 3-line block ×5, first 2 shown]
	s_waitcnt vmcnt(6)
	v_lshlrev_b32_e32 v20, 16, v18
	v_and_b32_e32 v18, 0xffff0000, v18
	v_fmac_f32_e32 v99, v66, v18
	v_lshlrev_b32_e32 v18, 16, v19
	v_fmac_f32_e32 v100, v67, v18
	s_waitcnt vmcnt(5)
	v_lshlrev_b32_e32 v18, 16, v16
	v_and_b32_e32 v16, 0xffff0000, v16
	v_fmac_f32_e32 v99, v70, v16
	v_lshlrev_b32_e32 v16, 16, v17
	v_fmac_f32_e32 v100, v71, v16
	s_waitcnt vmcnt(4)
	v_lshlrev_b32_e32 v16, 16, v14
	v_and_b32_e32 v14, 0xffff0000, v14
	v_fmac_f32_e32 v99, v74, v14
	v_lshlrev_b32_e32 v14, 16, v15
	v_fmac_f32_e32 v100, v75, v14
	s_waitcnt vmcnt(3)
	v_lshlrev_b32_e32 v14, 16, v12
	v_and_b32_e32 v12, 0xffff0000, v12
	v_fmac_f32_e32 v98, v65, v20
	v_fmac_f32_e32 v99, v78, v12
	v_lshlrev_b32_e32 v12, 16, v13
	v_and_b32_e32 v19, 0xffff0000, v19
	v_fmac_f32_e32 v98, v69, v18
	v_fmac_f32_e32 v100, v79, v12
	s_waitcnt vmcnt(2)
	v_lshlrev_b32_e32 v12, 16, v10
	v_and_b32_e32 v10, 0xffff0000, v10
	v_fmac_f32_e32 v101, v68, v19
	v_and_b32_e32 v17, 0xffff0000, v17
	v_fmac_f32_e32 v98, v73, v16
	v_fmac_f32_e32 v99, v82, v10
	v_lshlrev_b32_e32 v10, 16, v11
	v_fmac_f32_e32 v101, v72, v17
	v_and_b32_e32 v15, 0xffff0000, v15
	v_fmac_f32_e32 v98, v77, v14
	v_fmac_f32_e32 v100, v83, v10
	s_waitcnt vmcnt(1)
	v_lshlrev_b32_e32 v10, 16, v8
	v_and_b32_e32 v8, 0xffff0000, v8
	v_fmac_f32_e32 v101, v76, v15
	v_and_b32_e32 v13, 0xffff0000, v13
	v_fmac_f32_e32 v98, v81, v12
	v_fmac_f32_e32 v99, v86, v8
	v_lshlrev_b32_e32 v8, 16, v9
	v_fmac_f32_e32 v101, v80, v13
	;; [unrolled: 12-line block ×3, first 2 shown]
	v_and_b32_e32 v7, 0xffff0000, v7
	v_fmac_f32_e32 v100, v91, v6
	v_add_f32_e32 v6, v98, v99
	v_fmac_f32_e32 v101, v92, v7
	v_add_f32_e32 v6, v6, v100
	v_add_f32_e32 v6, v101, v6
	ds_bpermute_b32 v7, v94, v6
	s_and_saveexec_b64 s[30:31], vcc
	s_cbranch_execz .LBB158_8
; %bb.10:                               ;   in Loop: Header=BB158_9 Depth=1
	v_add_u32_e32 v8, s15, v95
	v_cvt_f32_i32_e32 v8, v8
	s_waitcnt lgkmcnt(0)
	v_add_f32_e32 v6, v6, v7
	v_cmp_gt_i32_e64 s[0:1], s33, v95
	v_max_f32_e32 v7, v93, v93
	v_mul_f32_e32 v8, s8, v8
	v_cndmask_b32_e64 v8, 0, v8, s[2:3]
	v_fmac_f32_e32 v8, s9, v6
	v_cndmask_b32_e64 v6, 0, v8, s[0:1]
	ds_write_b32 v96, v6
	v_max_f32_e32 v6, v7, v8
	v_cndmask_b32_e64 v93, v93, v6, s[0:1]
	s_branch .LBB158_8
.LBB158_11:
	s_or_b64 exec, exec, s[28:29]
.LBB158_12:
	s_or_b64 exec, exec, s[26:27]
	v_xor_b32_e32 v2, 32, v30
	v_cmp_lt_i32_e32 vcc, v2, v32
	v_xor_b32_e32 v5, 16, v30
	v_max_f32_e32 v4, v93, v93
	v_cndmask_b32_e32 v2, v30, v2, vcc
	v_lshlrev_b32_e32 v2, 2, v2
	ds_bpermute_b32 v3, v2, v93
	v_cmp_lt_i32_e32 vcc, v5, v32
	v_xor_b32_e32 v6, 8, v30
	s_waitcnt lgkmcnt(0)
	v_xor_b32_e32 v7, 4, v30
	v_xor_b32_e32 v9, 2, v30
	v_max_f32_e32 v3, v3, v3
	v_max_f32_e32 v4, v4, v3
	v_cndmask_b32_e32 v3, v30, v5, vcc
	v_lshlrev_b32_e32 v3, 2, v3
	ds_bpermute_b32 v5, v3, v4
	v_cmp_lt_i32_e32 vcc, v6, v32
	s_waitcnt lgkmcnt(0)
	v_max_f32_e32 v5, v5, v5
	v_max_f32_e32 v4, v4, v5
	v_cndmask_b32_e32 v5, v30, v6, vcc
	v_lshlrev_b32_e32 v5, 2, v5
	ds_bpermute_b32 v6, v5, v4
	v_cmp_lt_i32_e32 vcc, v7, v32
	s_waitcnt lgkmcnt(0)
	;; [unrolled: 7-line block ×3, first 2 shown]
	v_max_f32_e32 v7, v7, v7
	v_max_f32_e32 v8, v4, v7
	v_cndmask_b32_e32 v4, v30, v9, vcc
	v_lshlrev_b32_e32 v54, 2, v4
	ds_bpermute_b32 v9, v54, v8
	v_and_b32_e32 v4, 63, v0
	v_cmp_eq_u32_e32 vcc, 0, v4
	v_lshlrev_b32_e32 v7, 2, v1
	s_and_saveexec_b64 s[0:1], vcc
	s_cbranch_execz .LBB158_14
; %bb.13:
	s_waitcnt lgkmcnt(0)
	v_max_f32_e32 v9, v9, v9
	v_max_f32_e32 v8, v8, v8
	;; [unrolled: 1-line block ×3, first 2 shown]
	ds_write_b32 v7, v8 offset:240
.LBB158_14:
	s_or_b64 exec, exec, s[0:1]
	v_cmp_gt_u32_e64 s[0:1], 2, v4
	s_waitcnt lgkmcnt(0)
	v_mov_b32_e32 v9, 0xff7fffff
	v_lshlrev_b32_e32 v8, 2, v4
	s_barrier
	s_and_saveexec_b64 s[2:3], s[0:1]
; %bb.15:
	ds_read_b32 v9, v8 offset:240
; %bb.16:
	s_or_b64 exec, exec, s[2:3]
	v_xor_b32_e32 v10, 1, v30
	v_cmp_lt_i32_e64 s[2:3], v10, v32
	s_nop 1
	v_cndmask_b32_e64 v10, v30, v10, s[2:3]
	v_lshlrev_b32_e32 v55, 2, v10
	s_waitcnt lgkmcnt(0)
	ds_bpermute_b32 v10, v55, v9
	v_max_f32_e32 v9, v9, v9
	s_lshl_b32 s2, s17, 5
	s_min_i32 s12, s2, s33
	v_cmp_gt_i32_e64 s[2:3], s12, v0
	s_waitcnt lgkmcnt(0)
	v_max_f32_e32 v10, v10, v10
	v_max_f32_e32 v9, v9, v10
	v_lshlrev_b32_e32 v10, 2, v31
	ds_bpermute_b32 v10, v10, v9
	v_mov_b32_e32 v9, 0
	s_and_saveexec_b64 s[26:27], s[2:3]
	s_cbranch_execz .LBB158_20
; %bb.17:
	v_mov_b32_e32 v9, 0x100
	v_lshl_add_u32 v11, v0, 2, v9
	v_mov_b32_e32 v9, 0
	s_mov_b64 s[28:29], 0
	v_mov_b32_e32 v12, v0
.LBB158_18:                             ; =>This Inner Loop Header: Depth=1
	ds_read_b32 v13, v11
	v_add_u32_e32 v12, 0x80, v12
	v_cmp_le_i32_e64 s[8:9], s12, v12
	s_or_b64 s[28:29], s[8:9], s[28:29]
	s_waitcnt lgkmcnt(0)
	v_sub_f32_e32 v13, v13, v10
	v_mul_f32_e32 v13, 0x3fb8aa3b, v13
	v_exp_f32_e32 v13, v13
	ds_write_b32 v11, v13
	v_add_f32_e32 v9, v9, v13
	v_add_u32_e32 v11, 0x200, v11
	s_andn2_b64 exec, exec, s[28:29]
	s_cbranch_execnz .LBB158_18
; %bb.19:
	s_or_b64 exec, exec, s[28:29]
.LBB158_20:
	s_or_b64 exec, exec, s[26:27]
	ds_bpermute_b32 v2, v2, v9
	s_waitcnt lgkmcnt(0)
	v_add_f32_e32 v2, v9, v2
	ds_bpermute_b32 v3, v3, v2
	s_waitcnt lgkmcnt(0)
	v_add_f32_e32 v2, v2, v3
	;; [unrolled: 3-line block ×6, first 2 shown]
	s_and_saveexec_b64 s[8:9], vcc
; %bb.21:
	ds_write_b32 v7, v2 offset:248
; %bb.22:
	s_or_b64 exec, exec, s[8:9]
	s_waitcnt lgkmcnt(0)
	s_barrier
	s_and_saveexec_b64 s[8:9], s[0:1]
; %bb.23:
	ds_read_b32 v2, v8 offset:248
; %bb.24:
	s_or_b64 exec, exec, s[8:9]
	s_waitcnt lgkmcnt(0)
	ds_bpermute_b32 v3, v55, v2
	v_lshlrev_b32_e32 v5, 2, v30
	s_waitcnt lgkmcnt(0)
	v_add_f32_e32 v2, v2, v3
	v_and_b32_e32 v3, 0xffffff00, v5
	ds_bpermute_b32 v2, v3, v2
	s_and_saveexec_b64 s[0:1], s[2:3]
	s_cbranch_execz .LBB158_37
; %bb.25:
	s_waitcnt lgkmcnt(0)
	v_add_f32_e32 v2, 0x358637bd, v2
	v_div_scale_f32 v3, s[2:3], v2, v2, 1.0
	v_rcp_f32_e32 v5, v3
	v_div_scale_f32 v6, vcc, 1.0, v2, 1.0
	s_movk_i32 s2, 0x7f
	v_fma_f32 v7, -v3, v5, 1.0
	v_fmac_f32_e32 v5, v7, v5
	v_mul_f32_e32 v7, v6, v5
	v_fma_f32 v8, -v3, v7, v6
	v_fmac_f32_e32 v7, v8, v5
	v_fma_f32 v3, -v3, v7, v6
	v_div_fmas_f32 v3, v3, v5, v7
	v_xad_u32 v5, v0, -1, s12
	v_div_fixup_f32 v2, v3, v2, 1.0
	v_cmp_lt_u32_e32 vcc, s2, v5
	s_mov_b64 s[8:9], -1
	v_mov_b32_e32 v3, v0
	s_and_saveexec_b64 s[2:3], vcc
	s_cbranch_execz .LBB158_34
; %bb.26:
	v_lshrrev_b32_e32 v5, 7, v5
	v_add_u32_e32 v7, -1, v5
	v_lshrrev_b32_e32 v6, 1, v7
	v_mov_b32_e32 v3, v2
	v_add_u32_e32 v6, 1, v6
	v_cmp_lt_u32_e32 vcc, 13, v7
	v_mov_b32_e32 v9, 0
	s_and_saveexec_b64 s[8:9], vcc
	s_cbranch_execz .LBB158_30
; %bb.27:
	v_mov_b32_e32 v8, 0x100
	v_and_b32_e32 v7, -8, v6
	v_lshl_add_u32 v8, v0, 2, v8
	s_mov_b32 s15, 0
	s_mov_b64 s[26:27], 0
.LBB158_28:                             ; =>This Inner Loop Header: Depth=1
	ds_read2st64_b32 v[10:11], v8 offset1:2
	ds_read2st64_b32 v[12:13], v8 offset0:4 offset1:6
	ds_read2st64_b32 v[14:15], v8 offset0:8 offset1:10
	;; [unrolled: 1-line block ×3, first 2 shown]
	v_add_u32_e32 v7, -8, v7
	s_waitcnt lgkmcnt(3)
	v_pk_mul_f32 v[10:11], v[2:3], v[10:11]
	s_waitcnt lgkmcnt(2)
	v_pk_mul_f32 v[12:13], v[2:3], v[12:13]
	ds_write2st64_b32 v8, v10, v11 offset1:2
	ds_write2st64_b32 v8, v12, v13 offset0:4 offset1:6
	ds_read2st64_b32 v[12:13], v8 offset0:16 offset1:18
	s_waitcnt lgkmcnt(4)
	v_pk_mul_f32 v[10:11], v[2:3], v[14:15]
	ds_write2st64_b32 v8, v10, v11 offset0:8 offset1:10
	s_waitcnt lgkmcnt(4)
	v_pk_mul_f32 v[10:11], v[2:3], v[16:17]
	ds_write2st64_b32 v8, v10, v11 offset0:12 offset1:14
	ds_read2st64_b32 v[10:11], v8 offset0:20 offset1:22
	s_waitcnt lgkmcnt(3)
	v_pk_mul_f32 v[12:13], v[2:3], v[12:13]
	ds_read2st64_b32 v[14:15], v8 offset0:24 offset1:26
	ds_write2st64_b32 v8, v12, v13 offset0:16 offset1:18
	ds_read2st64_b32 v[12:13], v8 offset0:28 offset1:30
	s_waitcnt lgkmcnt(3)
	v_pk_mul_f32 v[10:11], v[2:3], v[10:11]
	ds_write2st64_b32 v8, v10, v11 offset0:20 offset1:22
	s_waitcnt lgkmcnt(3)
	v_pk_mul_f32 v[10:11], v[2:3], v[14:15]
	ds_write2st64_b32 v8, v10, v11 offset0:24 offset1:26
	s_waitcnt lgkmcnt(2)
	v_pk_mul_f32 v[10:11], v[2:3], v[12:13]
	s_add_i32 s15, s15, 16
	v_cmp_eq_u32_e32 vcc, 0, v7
	ds_write2st64_b32 v8, v10, v11 offset0:28 offset1:30
	v_add_u32_e32 v8, 0x2000, v8
	s_or_b64 s[26:27], vcc, s[26:27]
	v_mov_b32_e32 v9, s15
	s_andn2_b64 exec, exec, s[26:27]
	s_cbranch_execnz .LBB158_28
; %bb.29:
	s_or_b64 exec, exec, s[26:27]
.LBB158_30:
	s_or_b64 exec, exec, s[8:9]
	v_and_b32_e32 v6, 7, v6
	v_cmp_ne_u32_e32 vcc, 0, v6
	s_and_saveexec_b64 s[8:9], vcc
	s_cbranch_execz .LBB158_33
; %bb.31:
	v_lshlrev_b32_e32 v7, 9, v9
	v_lshlrev_b32_e32 v8, 2, v0
	s_movk_i32 s15, 0x100
	v_add3_u32 v7, v7, v8, s15
	s_mov_b64 s[26:27], 0
.LBB158_32:                             ; =>This Inner Loop Header: Depth=1
	ds_read2st64_b32 v[8:9], v7 offset1:2
	v_add_u32_e32 v6, -1, v6
	v_cmp_eq_u32_e32 vcc, 0, v6
	s_or_b64 s[26:27], vcc, s[26:27]
	s_waitcnt lgkmcnt(0)
	v_pk_mul_f32 v[8:9], v[2:3], v[8:9]
	ds_write2st64_b32 v7, v8, v9 offset1:2
	v_add_u32_e32 v7, 0x400, v7
	s_andn2_b64 exec, exec, s[26:27]
	s_cbranch_execnz .LBB158_32
.LBB158_33:
	s_or_b64 exec, exec, s[8:9]
	v_add_u32_e32 v5, 1, v5
	v_and_b32_e32 v6, 0x3fffffe, v5
	v_cmp_ne_u32_e32 vcc, v5, v6
	v_lshl_add_u32 v3, v6, 7, v0
	s_orn2_b64 s[8:9], vcc, exec
.LBB158_34:
	s_or_b64 exec, exec, s[2:3]
	s_and_b64 exec, exec, s[8:9]
	s_cbranch_execz .LBB158_37
; %bb.35:
	v_mov_b32_e32 v5, 0x100
	v_lshl_add_u32 v5, v3, 2, v5
	s_mov_b64 s[2:3], 0
.LBB158_36:                             ; =>This Inner Loop Header: Depth=1
	ds_read_b32 v6, v5
	v_add_u32_e32 v3, 0x80, v3
	v_cmp_le_i32_e32 vcc, s12, v3
	s_or_b64 s[2:3], vcc, s[2:3]
	s_waitcnt lgkmcnt(0)
	v_mul_f32_e32 v6, v2, v6
	ds_write_b32 v5, v6
	v_add_u32_e32 v5, 0x200, v5
	s_andn2_b64 exec, exec, s[2:3]
	s_cbranch_execnz .LBB158_36
.LBB158_37:
	s_or_b64 exec, exec, s[0:1]
	v_lshrrev_b32_e32 v56, 2, v4
	s_waitcnt lgkmcnt(0)
	s_barrier
	s_and_saveexec_b64 s[0:1], s[6:7]
	s_xor_b64 s[0:1], exec, s[0:1]
; %bb.38:
	v_lshrrev_b32_e32 v56, 2, v4
                                        ; implicit-def: $vgpr1
                                        ; implicit-def: $vgpr28
                                        ; implicit-def: $vgpr29
; %bb.39:
	s_or_saveexec_b64 s[8:9], s[0:1]
	v_mov_b32_e32 v39, 0
	v_and_b32_e32 v57, 3, v0
	v_mov_b32_e32 v38, 0
	v_mov_b32_e32 v41, 0
	;; [unrolled: 1-line block ×7, first 2 shown]
	s_xor_b64 exec, exec, s[8:9]
	s_cbranch_execz .LBB158_61
; %bb.40:
	s_ashr_i32 s15, s14, 31
	s_lshl_b64 s[0:1], s[14:15], 1
	s_add_u32 s12, s24, s0
	v_and_b32_e32 v3, 24, v28
	s_mov_b32 s26, s13
	s_addc_u32 s13, s25, s1
	s_add_i32 s24, s17, -1
	v_or_b32_e32 v4, 0x70, v56
	s_movk_i32 s0, 0x78
	s_lshl_b64 s[2:3], s[22:23], 2
	v_lshl_or_b32 v2, v56, 5, v3
	v_cmp_gt_u32_e64 s[0:1], s0, v4
	v_lshl_or_b32 v4, v4, 5, v3
	v_lshl_or_b32 v58, v1, 5, v3
	v_lshlrev_b32_e32 v3, 5, v57
	s_add_u32 s2, s20, s2
	v_mov_b32_e32 v47, 0
	v_lshl_or_b32 v3, v1, 7, v3
	v_and_b32_e32 v46, 60, v29
	s_addc_u32 s3, s21, s3
	s_mov_b32 s25, s33
	v_add_u32_e32 v59, 0x100, v3
	v_lshl_add_u64 v[48:49], s[2:3], 0, v[46:47]
	s_mov_b64 s[14:15], 0
	v_lshlrev_b32_e32 v50, 1, v2
	v_mov_b32_e32 v51, v47
	s_mov_b32 s22, 0x5040100
	v_lshlrev_b32_e32 v46, 1, v4
	v_mov_b32_e32 v39, v47
	v_mov_b32_e32 v38, v47
	v_mov_b32_e32 v41, v47
	v_mov_b32_e32 v40, v47
	v_mov_b32_e32 v43, v47
	v_mov_b32_e32 v42, v47
	v_mov_b32_e32 v45, v47
	v_mov_b32_e32 v44, v47
	s_branch .LBB158_43
.LBB158_41:                             ;   in Loop: Header=BB158_43 Depth=1
	s_or_b64 exec, exec, s[20:21]
	s_waitcnt vmcnt(0)
	v_and_b32_e32 v25, 0xffff0000, v18
	v_and_b32_e32 v52, 0xffff0000, v60
	v_mul_f32_e32 v25, v52, v25
	v_lshlrev_b32_e32 v18, 16, v18
	v_lshlrev_b32_e32 v52, 16, v60
	v_mul_f32_e32 v18, v52, v18
	v_and_b32_e32 v52, 0xffff0000, v19
	v_and_b32_e32 v53, 0xffff0000, v24
	v_mul_f32_e32 v52, v53, v52
	v_lshlrev_b32_e32 v19, 16, v19
	v_lshlrev_b32_e32 v53, 16, v24
	v_mul_f32_e32 v19, v53, v19
	;; [unrolled: 6-line block ×3, first 2 shown]
	v_and_b32_e32 v61, 0xffff0000, v21
	v_and_b32_e32 v62, 0xffff0000, v22
	v_cvt_pk_bf16_f32 v25, v25, s0
	v_cvt_pk_bf16_f32 v18, v18, s0
	;; [unrolled: 1-line block ×4, first 2 shown]
	v_mul_f32_e32 v61, v62, v61
	v_lshlrev_b32_e32 v21, 16, v21
	v_lshlrev_b32_e32 v62, 16, v22
	v_cvt_pk_bf16_f32 v53, v53, s0
	v_cvt_pk_bf16_f32 v20, v20, s0
	v_mul_f32_e32 v21, v62, v21
	v_lshlrev_b32_e32 v18, 16, v18
	v_lshlrev_b32_e32 v25, 16, v25
	;; [unrolled: 1-line block ×4, first 2 shown]
	v_cvt_pk_bf16_f32 v61, v61, s0
	v_cvt_pk_bf16_f32 v21, v21, s0
	v_lshlrev_b32_e32 v20, 16, v20
	v_lshlrev_b32_e32 v53, 16, v53
	v_add_f32_e32 v18, v25, v18
	v_add_f32_e32 v19, v52, v19
	v_lshlrev_b32_e32 v21, 16, v21
	v_lshlrev_b32_e32 v61, 16, v61
	v_add_f32_e32 v18, v19, v18
	v_add_f32_e32 v19, v53, v20
	;; [unrolled: 1-line block ×6, first 2 shown]
.LBB158_42:                             ;   in Loop: Header=BB158_43 Depth=1
	s_or_b64 exec, exec, s[6:7]
	s_waitcnt vmcnt(0)
	v_and_b32_e32 v18, 0xffff0000, v34
	v_and_b32_e32 v19, 0xffff0000, v60
	v_lshlrev_b32_e32 v20, 16, v34
	v_lshlrev_b32_e32 v21, 16, v60
	v_mul_f32_e32 v18, v19, v18
	v_mul_f32_e32 v20, v21, v20
	v_and_b32_e32 v25, 0xffff0000, v35
	v_and_b32_e32 v34, 0xffff0000, v24
	v_lshlrev_b32_e32 v35, 16, v35
	v_lshlrev_b32_e32 v24, 16, v24
	v_cvt_pk_bf16_f32 v18, v18, s0
	v_cvt_pk_bf16_f32 v20, v20, s0
	v_mul_f32_e32 v25, v34, v25
	v_mul_f32_e32 v35, v24, v35
	v_cvt_pk_bf16_f32 v25, v25, s0
	v_cvt_pk_bf16_f32 v35, v35, s0
	v_and_b32_e32 v52, 0xffff0000, v36
	v_and_b32_e32 v53, 0xffff0000, v23
	v_lshlrev_b32_e32 v36, 16, v36
	v_lshlrev_b32_e32 v23, 16, v23
	;; [unrolled: 1-line block ×4, first 2 shown]
	v_mul_f32_e32 v52, v53, v52
	v_mul_f32_e32 v36, v23, v36
	v_add_f32_e32 v18, v20, v18
	v_lshlrev_b32_e32 v20, 16, v35
	v_lshlrev_b32_e32 v25, 16, v25
	v_cvt_pk_bf16_f32 v52, v52, s0
	v_cvt_pk_bf16_f32 v36, v36, s0
	v_and_b32_e32 v60, 0xffff0000, v37
	v_and_b32_e32 v61, 0xffff0000, v22
	v_lshlrev_b32_e32 v37, 16, v37
	v_lshlrev_b32_e32 v22, 16, v22
	v_add_f32_e32 v20, v20, v25
	v_mul_f32_e32 v60, v61, v60
	v_mul_f32_e32 v37, v22, v37
	v_add_f32_e32 v18, v20, v18
	v_lshlrev_b32_e32 v20, 16, v36
	v_lshlrev_b32_e32 v25, 16, v52
	v_cvt_pk_bf16_f32 v60, v60, s0
	v_cvt_pk_bf16_f32 v37, v37, s0
	v_add_f32_e32 v20, v20, v25
	v_add_f32_e32 v18, v20, v18
	v_lshlrev_b32_e32 v20, 16, v37
	v_lshlrev_b32_e32 v25, 16, v60
	v_add_f32_e32 v20, v20, v25
	v_add_f32_e32 v18, v20, v18
	v_add_f32_e32 v38, v38, v18
	v_and_b32_e32 v18, 0xffff0000, v30
	v_lshlrev_b32_e32 v20, 16, v30
	v_mul_f32_e32 v18, v19, v18
	v_mul_f32_e32 v20, v21, v20
	v_and_b32_e32 v25, 0xffff0000, v31
	v_lshlrev_b32_e32 v30, 16, v31
	v_cvt_pk_bf16_f32 v18, v18, s0
	v_cvt_pk_bf16_f32 v20, v20, s0
	v_mul_f32_e32 v25, v34, v25
	v_mul_f32_e32 v30, v24, v30
	v_cvt_pk_bf16_f32 v25, v25, s0
	v_cvt_pk_bf16_f32 v30, v30, s0
	v_and_b32_e32 v31, 0xffff0000, v32
	v_lshlrev_b32_e32 v32, 16, v32
	v_lshlrev_b32_e32 v20, 16, v20
	v_lshlrev_b32_e32 v18, 16, v18
	v_mul_f32_e32 v31, v53, v31
	v_mul_f32_e32 v32, v23, v32
	v_add_f32_e32 v18, v20, v18
	v_lshlrev_b32_e32 v20, 16, v30
	v_lshlrev_b32_e32 v25, 16, v25
	v_cvt_pk_bf16_f32 v31, v31, s0
	v_cvt_pk_bf16_f32 v32, v32, s0
	v_and_b32_e32 v35, 0xffff0000, v33
	v_lshlrev_b32_e32 v33, 16, v33
	v_add_f32_e32 v20, v20, v25
	v_mul_f32_e32 v35, v61, v35
	v_mul_f32_e32 v33, v22, v33
	v_add_f32_e32 v18, v20, v18
	v_lshlrev_b32_e32 v20, 16, v32
	v_lshlrev_b32_e32 v25, 16, v31
	v_cvt_pk_bf16_f32 v35, v35, s0
	v_cvt_pk_bf16_f32 v33, v33, s0
	v_add_f32_e32 v20, v20, v25
	v_add_f32_e32 v18, v20, v18
	v_lshlrev_b32_e32 v20, 16, v33
	v_lshlrev_b32_e32 v25, 16, v35
	v_add_f32_e32 v20, v20, v25
	v_add_f32_e32 v18, v20, v18
	v_add_f32_e32 v41, v41, v18
	v_and_b32_e32 v18, 0xffff0000, v26
	v_lshlrev_b32_e32 v20, 16, v26
	v_mul_f32_e32 v18, v19, v18
	v_mul_f32_e32 v20, v21, v20
	v_and_b32_e32 v25, 0xffff0000, v27
	v_lshlrev_b32_e32 v26, 16, v27
	v_cvt_pk_bf16_f32 v18, v18, s0
	v_cvt_pk_bf16_f32 v20, v20, s0
	v_mul_f32_e32 v25, v34, v25
	v_mul_f32_e32 v26, v24, v26
	v_cvt_pk_bf16_f32 v25, v25, s0
	v_cvt_pk_bf16_f32 v26, v26, s0
	v_and_b32_e32 v27, 0xffff0000, v28
	v_lshlrev_b32_e32 v28, 16, v28
	v_lshlrev_b32_e32 v20, 16, v20
	v_lshlrev_b32_e32 v18, 16, v18
	v_mul_f32_e32 v27, v53, v27
	v_mul_f32_e32 v28, v23, v28
	v_add_f32_e32 v18, v20, v18
	v_lshlrev_b32_e32 v20, 16, v26
	v_lshlrev_b32_e32 v25, 16, v25
	v_cvt_pk_bf16_f32 v27, v27, s0
	v_cvt_pk_bf16_f32 v28, v28, s0
	v_and_b32_e32 v30, 0xffff0000, v29
	;; [unrolled: 40-line block ×6, first 2 shown]
	v_lshlrev_b32_e32 v5, 16, v5
	v_add_f32_e32 v3, v3, v6
	v_mul_f32_e32 v9, v61, v9
	v_mul_f32_e32 v5, v22, v5
	v_add_f32_e32 v2, v3, v2
	v_lshlrev_b32_e32 v3, 16, v4
	v_lshlrev_b32_e32 v4, 16, v8
	v_cvt_pk_bf16_f32 v9, v9, s0
	v_cvt_pk_bf16_f32 v5, v5, s0
	v_add_f32_e32 v3, v3, v4
	v_add_f32_e32 v2, v3, v2
	v_lshlrev_b32_e32 v3, 16, v5
	v_lshlrev_b32_e32 v4, 16, v9
	v_add_f32_e32 v3, v3, v4
	v_add_u32_e32 v1, 2, v1
	v_add_f32_e32 v2, v3, v2
	v_cmp_le_i32_e32 vcc, s17, v1
	v_add_f32_e32 v44, v44, v2
	v_add_u32_e32 v58, 64, v58
	v_add_u32_e32 v59, 0x100, v59
	s_or_b64 s[14:15], vcc, s[14:15]
	v_lshl_add_u64 v[48:49], v[48:49], 0, 8
	s_andn2_b64 exec, exec, s[14:15]
	s_cbranch_execz .LBB158_60
.LBB158_43:                             ; =>This Inner Loop Header: Depth=1
	global_load_dword v2, v[48:49], off
	s_waitcnt vmcnt(0)
	v_mad_i64_i32 v[2:3], s[2:3], v2, s26, 0
	v_lshl_add_u64 v[52:53], v[2:3], 1, s[12:13]
	v_lshl_add_u64 v[34:35], v[52:53], 0, v[50:51]
	global_load_dwordx4 v[2:5], v[34:35], off
	ds_read2_b64 v[22:25], v59 offset1:1
	ds_read2_b64 v[18:21], v59 offset0:2 offset1:3
	v_cmp_eq_u32_e64 s[2:3], s24, v1
	s_and_saveexec_b64 s[20:21], s[2:3]
	s_cbranch_execnz .LBB158_57
; %bb.44:                               ;   in Loop: Header=BB158_43 Depth=1
	s_or_b64 exec, exec, s[20:21]
	global_load_dwordx4 v[6:9], v[34:35], off offset:1024
	s_and_saveexec_b64 s[20:21], s[2:3]
	s_cbranch_execnz .LBB158_58
.LBB158_45:                             ;   in Loop: Header=BB158_43 Depth=1
	s_or_b64 exec, exec, s[20:21]
	global_load_dwordx4 v[10:13], v[34:35], off offset:2048
	s_and_saveexec_b64 s[20:21], s[2:3]
	s_cbranch_execnz .LBB158_59
.LBB158_46:                             ;   in Loop: Header=BB158_43 Depth=1
	s_or_b64 exec, exec, s[20:21]
	global_load_dwordx4 v[14:17], v[34:35], off offset:3072
	s_and_saveexec_b64 s[20:21], s[2:3]
	s_cbranch_execz .LBB158_48
.LBB158_47:                             ;   in Loop: Header=BB158_43 Depth=1
	v_add_u32_e32 v26, 1, v58
	v_cmp_gt_i32_e32 vcc, s25, v26
	v_or_b32_e32 v27, 2, v58
	v_cmp_gt_i32_e64 s[6:7], s33, v27
	s_waitcnt vmcnt(0)
	v_cndmask_b32_sdwa v26, v47, v14, vcc dst_sel:DWORD dst_unused:UNUSED_PAD src0_sel:DWORD src1_sel:WORD_1
	v_cmp_gt_i32_e32 vcc, s33, v58
	v_or_b32_e32 v27, 4, v58
	s_nop 0
	v_cndmask_b32_e32 v14, 0, v14, vcc
	v_perm_b32 v14, v26, v14, s22
	v_or_b32_e32 v26, 3, v58
	v_cmp_gt_i32_e32 vcc, s25, v26
	v_cndmask_b32_e64 v26, 0, v15, s[6:7]
	v_cmp_gt_i32_e64 s[6:7], s33, v27
	v_cndmask_b32_sdwa v15, v47, v15, vcc dst_sel:DWORD dst_unused:UNUSED_PAD src0_sel:DWORD src1_sel:WORD_1
	v_perm_b32 v15, v15, v26, s22
	v_or_b32_e32 v26, 5, v58
	v_cmp_gt_i32_e32 vcc, s25, v26
	v_cndmask_b32_e64 v26, 0, v16, s[6:7]
	v_or_b32_e32 v27, 6, v58
	v_cndmask_b32_sdwa v16, v47, v16, vcc dst_sel:DWORD dst_unused:UNUSED_PAD src0_sel:DWORD src1_sel:WORD_1
	v_perm_b32 v16, v16, v26, s22
	v_or_b32_e32 v26, 7, v58
	v_cmp_gt_i32_e32 vcc, s25, v26
	v_cmp_gt_i32_e64 s[6:7], s33, v27
	s_nop 1
	v_cndmask_b32_e64 v26, 0, v17, s[6:7]
	v_cndmask_b32_sdwa v17, v47, v17, vcc dst_sel:DWORD dst_unused:UNUSED_PAD src0_sel:DWORD src1_sel:WORD_1
	v_perm_b32 v17, v17, v26, s22
.LBB158_48:                             ;   in Loop: Header=BB158_43 Depth=1
	s_or_b64 exec, exec, s[20:21]
	v_add_co_u32_e32 v26, vcc, 0x1000, v34
	s_nop 1
	v_addc_co_u32_e32 v27, vcc, 0, v35, vcc
	global_load_dwordx4 v[26:29], v[26:27], off
	s_and_saveexec_b64 s[20:21], s[2:3]
	s_cbranch_execz .LBB158_50
; %bb.49:                               ;   in Loop: Header=BB158_43 Depth=1
	v_add_u32_e32 v30, 1, v58
	v_cmp_gt_i32_e32 vcc, s25, v30
	v_or_b32_e32 v31, 2, v58
	v_cmp_gt_i32_e64 s[6:7], s33, v31
	s_waitcnt vmcnt(0)
	v_cndmask_b32_sdwa v30, v47, v26, vcc dst_sel:DWORD dst_unused:UNUSED_PAD src0_sel:DWORD src1_sel:WORD_1
	v_cmp_gt_i32_e32 vcc, s33, v58
	v_or_b32_e32 v31, 4, v58
	s_nop 0
	v_cndmask_b32_e32 v26, 0, v26, vcc
	v_perm_b32 v26, v30, v26, s22
	v_or_b32_e32 v30, 3, v58
	v_cmp_gt_i32_e32 vcc, s25, v30
	v_cndmask_b32_e64 v30, 0, v27, s[6:7]
	v_cmp_gt_i32_e64 s[6:7], s33, v31
	v_cndmask_b32_sdwa v27, v47, v27, vcc dst_sel:DWORD dst_unused:UNUSED_PAD src0_sel:DWORD src1_sel:WORD_1
	v_perm_b32 v27, v27, v30, s22
	v_or_b32_e32 v30, 5, v58
	v_cmp_gt_i32_e32 vcc, s25, v30
	v_cndmask_b32_e64 v30, 0, v28, s[6:7]
	v_or_b32_e32 v31, 6, v58
	v_cndmask_b32_sdwa v28, v47, v28, vcc dst_sel:DWORD dst_unused:UNUSED_PAD src0_sel:DWORD src1_sel:WORD_1
	v_perm_b32 v28, v28, v30, s22
	v_or_b32_e32 v30, 7, v58
	v_cmp_gt_i32_e32 vcc, s25, v30
	v_cmp_gt_i32_e64 s[6:7], s33, v31
	s_nop 1
	v_cndmask_b32_e64 v30, 0, v29, s[6:7]
	v_cndmask_b32_sdwa v29, v47, v29, vcc dst_sel:DWORD dst_unused:UNUSED_PAD src0_sel:DWORD src1_sel:WORD_1
	v_perm_b32 v29, v29, v30, s22
.LBB158_50:                             ;   in Loop: Header=BB158_43 Depth=1
	s_or_b64 exec, exec, s[20:21]
	v_add_co_u32_e32 v30, vcc, 0x1000, v34
	s_nop 1
	v_addc_co_u32_e32 v31, vcc, 0, v35, vcc
	global_load_dwordx4 v[30:33], v[30:31], off offset:1024
	s_and_saveexec_b64 s[20:21], s[2:3]
	s_cbranch_execz .LBB158_52
; %bb.51:                               ;   in Loop: Header=BB158_43 Depth=1
	v_add_u32_e32 v36, 1, v58
	v_cmp_gt_i32_e32 vcc, s25, v36
	v_or_b32_e32 v37, 2, v58
	v_cmp_gt_i32_e64 s[6:7], s33, v37
	s_waitcnt vmcnt(0)
	v_cndmask_b32_sdwa v36, v47, v30, vcc dst_sel:DWORD dst_unused:UNUSED_PAD src0_sel:DWORD src1_sel:WORD_1
	v_cmp_gt_i32_e32 vcc, s33, v58
	v_or_b32_e32 v37, 4, v58
	s_nop 0
	v_cndmask_b32_e32 v30, 0, v30, vcc
	v_perm_b32 v30, v36, v30, s22
	v_or_b32_e32 v36, 3, v58
	v_cmp_gt_i32_e32 vcc, s25, v36
	v_cndmask_b32_e64 v36, 0, v31, s[6:7]
	v_cmp_gt_i32_e64 s[6:7], s33, v37
	v_cndmask_b32_sdwa v31, v47, v31, vcc dst_sel:DWORD dst_unused:UNUSED_PAD src0_sel:DWORD src1_sel:WORD_1
	v_perm_b32 v31, v31, v36, s22
	v_or_b32_e32 v36, 5, v58
	v_cmp_gt_i32_e32 vcc, s25, v36
	v_cndmask_b32_e64 v36, 0, v32, s[6:7]
	v_or_b32_e32 v37, 6, v58
	v_cndmask_b32_sdwa v32, v47, v32, vcc dst_sel:DWORD dst_unused:UNUSED_PAD src0_sel:DWORD src1_sel:WORD_1
	v_perm_b32 v32, v32, v36, s22
	v_or_b32_e32 v36, 7, v58
	v_cmp_gt_i32_e32 vcc, s25, v36
	v_cmp_gt_i32_e64 s[6:7], s33, v37
	s_nop 1
	v_cndmask_b32_e64 v36, 0, v33, s[6:7]
	v_cndmask_b32_sdwa v33, v47, v33, vcc dst_sel:DWORD dst_unused:UNUSED_PAD src0_sel:DWORD src1_sel:WORD_1
	v_perm_b32 v33, v33, v36, s22
.LBB158_52:                             ;   in Loop: Header=BB158_43 Depth=1
	s_or_b64 exec, exec, s[20:21]
	v_add_co_u32_e32 v34, vcc, 0x1000, v34
	s_nop 1
	v_addc_co_u32_e32 v35, vcc, 0, v35, vcc
	global_load_dwordx4 v[34:37], v[34:35], off offset:2048
	s_and_saveexec_b64 s[20:21], s[2:3]
	s_cbranch_execz .LBB158_54
; %bb.53:                               ;   in Loop: Header=BB158_43 Depth=1
	v_add_u32_e32 v60, 1, v58
	v_cmp_gt_i32_e32 vcc, s25, v60
	v_or_b32_e32 v61, 2, v58
	v_cmp_gt_i32_e64 s[6:7], s33, v61
	s_waitcnt vmcnt(0)
	v_cndmask_b32_sdwa v60, v47, v34, vcc dst_sel:DWORD dst_unused:UNUSED_PAD src0_sel:DWORD src1_sel:WORD_1
	v_cmp_gt_i32_e32 vcc, s33, v58
	v_or_b32_e32 v61, 4, v58
	s_nop 0
	v_cndmask_b32_e32 v34, 0, v34, vcc
	v_perm_b32 v34, v60, v34, s22
	v_or_b32_e32 v60, 3, v58
	v_cmp_gt_i32_e32 vcc, s25, v60
	v_cndmask_b32_e64 v60, 0, v35, s[6:7]
	v_cmp_gt_i32_e64 s[6:7], s33, v61
	v_cndmask_b32_sdwa v35, v47, v35, vcc dst_sel:DWORD dst_unused:UNUSED_PAD src0_sel:DWORD src1_sel:WORD_1
	v_perm_b32 v35, v35, v60, s22
	v_or_b32_e32 v60, 5, v58
	v_cmp_gt_i32_e32 vcc, s25, v60
	v_cndmask_b32_e64 v60, 0, v36, s[6:7]
	v_or_b32_e32 v61, 6, v58
	v_cndmask_b32_sdwa v36, v47, v36, vcc dst_sel:DWORD dst_unused:UNUSED_PAD src0_sel:DWORD src1_sel:WORD_1
	v_perm_b32 v36, v36, v60, s22
	v_or_b32_e32 v60, 7, v58
	v_cmp_gt_i32_e32 vcc, s25, v60
	v_cmp_gt_i32_e64 s[6:7], s33, v61
	s_nop 1
	v_cndmask_b32_e64 v60, 0, v37, s[6:7]
	v_cndmask_b32_sdwa v37, v47, v37, vcc dst_sel:DWORD dst_unused:UNUSED_PAD src0_sel:DWORD src1_sel:WORD_1
	v_perm_b32 v37, v37, v60, s22
.LBB158_54:                             ;   in Loop: Header=BB158_43 Depth=1
	s_or_b64 exec, exec, s[20:21]
	s_waitcnt lgkmcnt(1)
	v_cvt_pk_bf16_f32 v60, v22, v23
	v_cvt_pk_bf16_f32 v24, v24, v25
	s_waitcnt lgkmcnt(0)
	v_cvt_pk_bf16_f32 v23, v18, v19
	v_cvt_pk_bf16_f32 v22, v20, v21
	s_and_saveexec_b64 s[6:7], s[0:1]
	s_cbranch_execz .LBB158_42
; %bb.55:                               ;   in Loop: Header=BB158_43 Depth=1
	v_lshl_add_u64 v[18:19], v[52:53], 0, v[46:47]
	global_load_dwordx4 v[18:21], v[18:19], off
	s_and_saveexec_b64 s[20:21], s[2:3]
	s_cbranch_execz .LBB158_41
; %bb.56:                               ;   in Loop: Header=BB158_43 Depth=1
	v_add_u32_e32 v25, 1, v58
	v_cmp_gt_i32_e32 vcc, s25, v25
	v_or_b32_e32 v52, 2, v58
	v_cmp_gt_i32_e64 s[2:3], s33, v52
	s_waitcnt vmcnt(0)
	v_cndmask_b32_sdwa v25, v47, v18, vcc dst_sel:DWORD dst_unused:UNUSED_PAD src0_sel:DWORD src1_sel:WORD_1
	v_cmp_gt_i32_e32 vcc, s33, v58
	v_or_b32_e32 v52, 4, v58
	s_nop 0
	v_cndmask_b32_e32 v18, 0, v18, vcc
	v_perm_b32 v18, v25, v18, s22
	v_or_b32_e32 v25, 3, v58
	v_cmp_gt_i32_e32 vcc, s25, v25
	v_cndmask_b32_e64 v25, 0, v19, s[2:3]
	v_cmp_gt_i32_e64 s[2:3], s33, v52
	v_cndmask_b32_sdwa v19, v47, v19, vcc dst_sel:DWORD dst_unused:UNUSED_PAD src0_sel:DWORD src1_sel:WORD_1
	v_perm_b32 v19, v19, v25, s22
	v_or_b32_e32 v25, 5, v58
	v_cmp_gt_i32_e32 vcc, s25, v25
	v_cndmask_b32_e64 v25, 0, v20, s[2:3]
	v_or_b32_e32 v52, 6, v58
	v_cndmask_b32_sdwa v20, v47, v20, vcc dst_sel:DWORD dst_unused:UNUSED_PAD src0_sel:DWORD src1_sel:WORD_1
	v_perm_b32 v20, v20, v25, s22
	v_or_b32_e32 v25, 7, v58
	v_cmp_gt_i32_e32 vcc, s25, v25
	v_cmp_gt_i32_e64 s[2:3], s33, v52
	s_nop 1
	v_cndmask_b32_e64 v25, 0, v21, s[2:3]
	v_cndmask_b32_sdwa v21, v47, v21, vcc dst_sel:DWORD dst_unused:UNUSED_PAD src0_sel:DWORD src1_sel:WORD_1
	v_perm_b32 v21, v21, v25, s22
	s_branch .LBB158_41
.LBB158_57:                             ;   in Loop: Header=BB158_43 Depth=1
	v_add_u32_e32 v6, 1, v58
	v_cmp_gt_i32_e32 vcc, s25, v6
	v_or_b32_e32 v7, 2, v58
	v_cmp_gt_i32_e64 s[6:7], s33, v7
	s_waitcnt vmcnt(0)
	v_cndmask_b32_sdwa v6, v47, v2, vcc dst_sel:DWORD dst_unused:UNUSED_PAD src0_sel:DWORD src1_sel:WORD_1
	v_cmp_gt_i32_e32 vcc, s33, v58
	v_or_b32_e32 v7, 4, v58
	s_nop 0
	v_cndmask_b32_e32 v2, 0, v2, vcc
	v_perm_b32 v2, v6, v2, s22
	v_or_b32_e32 v6, 3, v58
	v_cmp_gt_i32_e32 vcc, s25, v6
	v_cndmask_b32_e64 v6, 0, v3, s[6:7]
	v_cmp_gt_i32_e64 s[6:7], s33, v7
	v_cndmask_b32_sdwa v3, v47, v3, vcc dst_sel:DWORD dst_unused:UNUSED_PAD src0_sel:DWORD src1_sel:WORD_1
	v_perm_b32 v3, v3, v6, s22
	v_or_b32_e32 v6, 5, v58
	v_cmp_gt_i32_e32 vcc, s25, v6
	v_cndmask_b32_e64 v6, 0, v4, s[6:7]
	v_or_b32_e32 v7, 6, v58
	v_cndmask_b32_sdwa v4, v47, v4, vcc dst_sel:DWORD dst_unused:UNUSED_PAD src0_sel:DWORD src1_sel:WORD_1
	v_perm_b32 v4, v4, v6, s22
	v_or_b32_e32 v6, 7, v58
	v_cmp_gt_i32_e32 vcc, s25, v6
	v_cmp_gt_i32_e64 s[6:7], s33, v7
	s_nop 1
	v_cndmask_b32_e64 v6, 0, v5, s[6:7]
	v_cndmask_b32_sdwa v5, v47, v5, vcc dst_sel:DWORD dst_unused:UNUSED_PAD src0_sel:DWORD src1_sel:WORD_1
	v_perm_b32 v5, v5, v6, s22
	s_or_b64 exec, exec, s[20:21]
	global_load_dwordx4 v[6:9], v[34:35], off offset:1024
	s_and_saveexec_b64 s[20:21], s[2:3]
	s_cbranch_execz .LBB158_45
.LBB158_58:                             ;   in Loop: Header=BB158_43 Depth=1
	v_add_u32_e32 v10, 1, v58
	v_cmp_gt_i32_e32 vcc, s25, v10
	v_or_b32_e32 v11, 2, v58
	v_cmp_gt_i32_e64 s[6:7], s33, v11
	s_waitcnt vmcnt(0)
	v_cndmask_b32_sdwa v10, v47, v6, vcc dst_sel:DWORD dst_unused:UNUSED_PAD src0_sel:DWORD src1_sel:WORD_1
	v_cmp_gt_i32_e32 vcc, s33, v58
	v_or_b32_e32 v11, 4, v58
	s_nop 0
	v_cndmask_b32_e32 v6, 0, v6, vcc
	v_perm_b32 v6, v10, v6, s22
	v_or_b32_e32 v10, 3, v58
	v_cmp_gt_i32_e32 vcc, s25, v10
	v_cndmask_b32_e64 v10, 0, v7, s[6:7]
	v_cmp_gt_i32_e64 s[6:7], s33, v11
	v_cndmask_b32_sdwa v7, v47, v7, vcc dst_sel:DWORD dst_unused:UNUSED_PAD src0_sel:DWORD src1_sel:WORD_1
	v_perm_b32 v7, v7, v10, s22
	v_or_b32_e32 v10, 5, v58
	v_cmp_gt_i32_e32 vcc, s25, v10
	v_cndmask_b32_e64 v10, 0, v8, s[6:7]
	v_or_b32_e32 v11, 6, v58
	v_cndmask_b32_sdwa v8, v47, v8, vcc dst_sel:DWORD dst_unused:UNUSED_PAD src0_sel:DWORD src1_sel:WORD_1
	v_perm_b32 v8, v8, v10, s22
	v_or_b32_e32 v10, 7, v58
	v_cmp_gt_i32_e32 vcc, s25, v10
	v_cmp_gt_i32_e64 s[6:7], s33, v11
	s_nop 1
	v_cndmask_b32_e64 v10, 0, v9, s[6:7]
	v_cndmask_b32_sdwa v9, v47, v9, vcc dst_sel:DWORD dst_unused:UNUSED_PAD src0_sel:DWORD src1_sel:WORD_1
	v_perm_b32 v9, v9, v10, s22
	s_or_b64 exec, exec, s[20:21]
	global_load_dwordx4 v[10:13], v[34:35], off offset:2048
	s_and_saveexec_b64 s[20:21], s[2:3]
	s_cbranch_execz .LBB158_46
.LBB158_59:                             ;   in Loop: Header=BB158_43 Depth=1
	v_add_u32_e32 v14, 1, v58
	v_cmp_gt_i32_e32 vcc, s25, v14
	v_or_b32_e32 v15, 2, v58
	v_cmp_gt_i32_e64 s[6:7], s33, v15
	s_waitcnt vmcnt(0)
	v_cndmask_b32_sdwa v14, v47, v10, vcc dst_sel:DWORD dst_unused:UNUSED_PAD src0_sel:DWORD src1_sel:WORD_1
	v_cmp_gt_i32_e32 vcc, s33, v58
	v_or_b32_e32 v15, 4, v58
	s_nop 0
	v_cndmask_b32_e32 v10, 0, v10, vcc
	v_perm_b32 v10, v14, v10, s22
	v_or_b32_e32 v14, 3, v58
	v_cmp_gt_i32_e32 vcc, s25, v14
	v_cndmask_b32_e64 v14, 0, v11, s[6:7]
	v_cmp_gt_i32_e64 s[6:7], s33, v15
	v_cndmask_b32_sdwa v11, v47, v11, vcc dst_sel:DWORD dst_unused:UNUSED_PAD src0_sel:DWORD src1_sel:WORD_1
	v_perm_b32 v11, v11, v14, s22
	v_or_b32_e32 v14, 5, v58
	v_cmp_gt_i32_e32 vcc, s25, v14
	v_cndmask_b32_e64 v14, 0, v12, s[6:7]
	v_or_b32_e32 v15, 6, v58
	v_cndmask_b32_sdwa v12, v47, v12, vcc dst_sel:DWORD dst_unused:UNUSED_PAD src0_sel:DWORD src1_sel:WORD_1
	v_perm_b32 v12, v12, v14, s22
	v_or_b32_e32 v14, 7, v58
	v_cmp_gt_i32_e32 vcc, s25, v14
	v_cmp_gt_i32_e64 s[6:7], s33, v15
	s_nop 1
	v_cndmask_b32_e64 v14, 0, v13, s[6:7]
	v_cndmask_b32_sdwa v13, v47, v13, vcc dst_sel:DWORD dst_unused:UNUSED_PAD src0_sel:DWORD src1_sel:WORD_1
	v_perm_b32 v13, v13, v14, s22
	s_or_b64 exec, exec, s[20:21]
	global_load_dwordx4 v[14:17], v[34:35], off offset:3072
	s_and_saveexec_b64 s[20:21], s[2:3]
	s_cbranch_execnz .LBB158_47
	s_branch .LBB158_48
.LBB158_60:
	s_or_b64 exec, exec, s[14:15]
.LBB158_61:
	s_or_b64 exec, exec, s[8:9]
	ds_bpermute_b32 v2, v54, v44
	ds_bpermute_b32 v3, v54, v45
	;; [unrolled: 1-line block ×8, first 2 shown]
	s_waitcnt lgkmcnt(6)
	v_pk_add_f32 v[2:3], v[44:45], v[2:3]
	s_waitcnt lgkmcnt(4)
	v_pk_add_f32 v[4:5], v[42:43], v[4:5]
	;; [unrolled: 2-line block ×3, first 2 shown]
	ds_bpermute_b32 v6, v55, v2
	s_waitcnt lgkmcnt(1)
	v_pk_add_f32 v[12:13], v[38:39], v[12:13]
	ds_bpermute_b32 v7, v55, v3
	ds_bpermute_b32 v10, v55, v4
	;; [unrolled: 1-line block ×7, first 2 shown]
	v_and_b32_e32 v1, 0x3c0, v0
	s_waitcnt lgkmcnt(6)
	v_pk_add_f32 v[8:9], v[2:3], v[6:7]
	s_waitcnt lgkmcnt(4)
	v_pk_add_f32 v[6:7], v[4:5], v[10:11]
	;; [unrolled: 2-line block ×4, first 2 shown]
	v_cmp_eq_u32_e64 s[0:1], 64, v1
	v_cmp_eq_u32_e32 vcc, 0, v57
	s_barrier
	s_and_saveexec_b64 s[2:3], s[0:1]
	s_cbranch_execz .LBB158_66
; %bb.62:
	s_and_saveexec_b64 s[0:1], vcc
	s_cbranch_execz .LBB158_64
; %bb.63:
	v_mov_b32_e32 v1, 0x100
	v_lshl_add_u32 v1, v56, 2, v1
	ds_write2_b32 v1, v8, v9 offset1:16
	ds_write2_b32 v1, v6, v7 offset0:32 offset1:48
	ds_write2_b32 v1, v4, v5 offset0:64 offset1:80
	ds_write_b32 v1, v2 offset:384
.LBB158_64:
	s_or_b64 exec, exec, s[0:1]
	v_or_b32_e32 v1, 0x70, v56
	s_movk_i32 s0, 0x78
	v_cmp_gt_u32_e64 s[0:1], s0, v1
	s_and_b64 s[0:1], vcc, s[0:1]
	s_and_b64 exec, exec, s[0:1]
; %bb.65:
	v_mov_b32_e32 v1, 0x100
	v_lshl_add_u32 v1, v56, 2, v1
	ds_write_b32 v1, v3 offset:448
.LBB158_66:
	s_or_b64 exec, exec, s[2:3]
	v_cmp_gt_u32_e64 s[0:1], 64, v0
	v_lshrrev_b32_e32 v0, 2, v0
	s_waitcnt lgkmcnt(0)
	s_barrier
	s_and_saveexec_b64 s[6:7], s[0:1]
	s_cbranch_execz .LBB158_84
; %bb.67:
	s_and_saveexec_b64 s[2:3], vcc
	s_cbranch_execz .LBB158_69
; %bb.68:
	v_mov_b32_e32 v1, 0x100
	v_lshl_add_u32 v1, v0, 2, v1
	ds_read_b32 v1, v1
	s_waitcnt lgkmcnt(0)
	v_add_f32_e32 v8, v8, v1
.LBB158_69:
	s_or_b64 exec, exec, s[2:3]
	v_or_b32_e32 v1, 16, v0
	s_movk_i32 s8, 0x78
	v_cmp_gt_u32_e64 s[2:3], s8, v1
	s_and_b64 s[12:13], vcc, s[2:3]
	s_and_saveexec_b64 s[2:3], s[12:13]
	s_cbranch_execz .LBB158_71
; %bb.70:
	v_mov_b32_e32 v1, 0x100
	v_lshl_add_u32 v1, v0, 2, v1
	ds_read_b32 v1, v1 offset:64
	s_waitcnt lgkmcnt(0)
	v_add_f32_e32 v9, v9, v1
.LBB158_71:
	s_or_b64 exec, exec, s[2:3]
	v_or_b32_e32 v1, 32, v0
	v_cmp_gt_u32_e64 s[2:3], s8, v1
	s_and_b64 s[8:9], vcc, s[2:3]
	s_and_saveexec_b64 s[2:3], s[8:9]
	s_cbranch_execz .LBB158_73
; %bb.72:
	v_mov_b32_e32 v1, 0x100
	v_lshl_add_u32 v1, v0, 2, v1
	ds_read_b32 v1, v1 offset:128
	s_waitcnt lgkmcnt(0)
	v_add_f32_e32 v6, v6, v1
.LBB158_73:
	s_or_b64 exec, exec, s[2:3]
	v_or_b32_e32 v1, 48, v0
	s_movk_i32 s8, 0x78
	v_cmp_gt_u32_e64 s[2:3], s8, v1
	s_and_b64 s[12:13], vcc, s[2:3]
	s_and_saveexec_b64 s[2:3], s[12:13]
	s_cbranch_execz .LBB158_75
; %bb.74:
	v_mov_b32_e32 v1, 0x100
	v_lshl_add_u32 v1, v0, 2, v1
	ds_read_b32 v1, v1 offset:192
	s_waitcnt lgkmcnt(0)
	v_add_f32_e32 v7, v7, v1
.LBB158_75:
	s_or_b64 exec, exec, s[2:3]
	v_or_b32_e32 v1, 64, v0
	v_cmp_gt_u32_e64 s[2:3], s8, v1
	s_and_b64 s[8:9], vcc, s[2:3]
	s_and_saveexec_b64 s[2:3], s[8:9]
	s_cbranch_execz .LBB158_77
; %bb.76:
	v_mov_b32_e32 v1, 0x100
	v_lshl_add_u32 v1, v0, 2, v1
	ds_read_b32 v1, v1 offset:256
	s_waitcnt lgkmcnt(0)
	v_add_f32_e32 v4, v4, v1
.LBB158_77:
	;; [unrolled: 27-line block ×3, first 2 shown]
	s_or_b64 exec, exec, s[2:3]
	v_or_b32_e32 v1, 0x70, v0
	s_movk_i32 s2, 0x78
	v_cmp_gt_u32_e64 s[2:3], s2, v1
	s_and_b64 s[8:9], vcc, s[2:3]
	s_and_saveexec_b64 s[2:3], s[8:9]
	s_cbranch_execz .LBB158_83
; %bb.82:
	v_mov_b32_e32 v1, 0x100
	v_lshl_add_u32 v1, v0, 2, v1
	ds_read_b32 v1, v1 offset:448
	s_waitcnt lgkmcnt(0)
	v_add_f32_e32 v3, v3, v1
.LBB158_83:
	s_or_b64 exec, exec, s[2:3]
.LBB158_84:
	s_or_b64 exec, exec, s[6:7]
	s_barrier
	s_and_saveexec_b64 s[2:3], s[0:1]
	s_cbranch_execz .LBB158_101
; %bb.85:
	s_mul_i32 s0, s10, s11
	s_mul_i32 s0, s0, s5
	s_mulk_i32 s0, 0x78
	s_ashr_i32 s1, s0, 31
	s_lshl_b64 s[0:1], s[0:1], 1
	s_add_u32 s2, s18, s0
	s_mul_i32 s0, s11, s16
	s_addc_u32 s3, s19, s1
	s_ashr_i32 s1, s0, 31
	s_lshl_b64 s[0:1], s[0:1], 1
	s_add_u32 s2, s2, s0
	s_mul_i32 s0, s4, 0x78
	s_addc_u32 s3, s3, s1
	s_ashr_i32 s1, s0, 31
	s_lshl_b64 s[0:1], s[0:1], 1
	s_add_u32 s2, s2, s0
	s_movk_i32 s5, 0x78
	s_addc_u32 s3, s3, s1
	v_lshlrev_b32_e32 v1, 1, v0
	s_and_saveexec_b64 s[0:1], vcc
	s_cbranch_execz .LBB158_87
; %bb.86:
	v_cvt_pk_bf16_f32 v8, v8, s0
	global_store_short v1, v8, s[2:3]
.LBB158_87:
	s_or_b64 exec, exec, s[0:1]
	v_or_b32_e32 v8, 16, v0
	v_cmp_gt_u32_e64 s[0:1], s5, v8
	s_and_b64 s[4:5], vcc, s[0:1]
	s_and_saveexec_b64 s[0:1], s[4:5]
	s_cbranch_execz .LBB158_89
; %bb.88:
	v_cvt_pk_bf16_f32 v8, v9, s0
	global_store_short v1, v8, s[2:3] offset:32
.LBB158_89:
	s_or_b64 exec, exec, s[0:1]
	v_or_b32_e32 v8, 32, v0
	s_movk_i32 s4, 0x78
	v_cmp_gt_u32_e64 s[0:1], s4, v8
	s_and_b64 s[6:7], vcc, s[0:1]
	s_and_saveexec_b64 s[0:1], s[6:7]
	s_cbranch_execz .LBB158_91
; %bb.90:
	v_cvt_pk_bf16_f32 v6, v6, s0
	global_store_short v1, v6, s[2:3] offset:64
.LBB158_91:
	s_or_b64 exec, exec, s[0:1]
	v_or_b32_e32 v6, 48, v0
	v_cmp_gt_u32_e64 s[0:1], s4, v6
	s_and_b64 s[4:5], vcc, s[0:1]
	s_and_saveexec_b64 s[0:1], s[4:5]
	s_cbranch_execz .LBB158_93
; %bb.92:
	v_cvt_pk_bf16_f32 v6, v7, s0
	global_store_short v1, v6, s[2:3] offset:96
.LBB158_93:
	s_or_b64 exec, exec, s[0:1]
	v_or_b32_e32 v6, 64, v0
	s_movk_i32 s4, 0x78
	v_cmp_gt_u32_e64 s[0:1], s4, v6
	s_and_b64 s[6:7], vcc, s[0:1]
	s_and_saveexec_b64 s[0:1], s[6:7]
	s_cbranch_execz .LBB158_95
; %bb.94:
	v_cvt_pk_bf16_f32 v4, v4, s0
	global_store_short v1, v4, s[2:3] offset:128
.LBB158_95:
	;; [unrolled: 21-line block ×3, first 2 shown]
	s_or_b64 exec, exec, s[0:1]
	v_or_b32_e32 v0, 0x70, v0
	v_cmp_gt_u32_e64 s[0:1], s4, v0
	s_and_b64 s[0:1], vcc, s[0:1]
	s_and_b64 exec, exec, s[0:1]
	s_cbranch_execz .LBB158_101
; %bb.100:
	v_cvt_pk_bf16_f32 v0, v3, s0
	global_store_short v1, v0, s[2:3] offset:224
.LBB158_101:
	s_endpgm
	.section	.rodata,"a",@progbits
	.p2align	6, 0x0
	.amdhsa_kernel _ZN4vllm25paged_attention_v1_kernelI14__hip_bfloat16S1_Li120ELi32ELi128ELNS_18Fp8KVCacheDataTypeE0ELb0EEEvPT_PKS3_PKT0_S9_ifPKiSB_iPKfiiiSD_SD_iiiii
		.amdhsa_group_segment_fixed_size 256
		.amdhsa_private_segment_fixed_size 0
		.amdhsa_kernarg_size 384
		.amdhsa_user_sgpr_count 2
		.amdhsa_user_sgpr_dispatch_ptr 0
		.amdhsa_user_sgpr_queue_ptr 0
		.amdhsa_user_sgpr_kernarg_segment_ptr 1
		.amdhsa_user_sgpr_dispatch_id 0
		.amdhsa_user_sgpr_kernarg_preload_length 0
		.amdhsa_user_sgpr_kernarg_preload_offset 0
		.amdhsa_user_sgpr_private_segment_size 0
		.amdhsa_uses_dynamic_stack 0
		.amdhsa_enable_private_segment 0
		.amdhsa_system_sgpr_workgroup_id_x 1
		.amdhsa_system_sgpr_workgroup_id_y 1
		.amdhsa_system_sgpr_workgroup_id_z 1
		.amdhsa_system_sgpr_workgroup_info 0
		.amdhsa_system_vgpr_workitem_id 0
		.amdhsa_next_free_vgpr 110
		.amdhsa_next_free_sgpr 35
		.amdhsa_accum_offset 112
		.amdhsa_reserve_vcc 1
		.amdhsa_float_round_mode_32 0
		.amdhsa_float_round_mode_16_64 0
		.amdhsa_float_denorm_mode_32 3
		.amdhsa_float_denorm_mode_16_64 3
		.amdhsa_dx10_clamp 1
		.amdhsa_ieee_mode 1
		.amdhsa_fp16_overflow 0
		.amdhsa_tg_split 0
		.amdhsa_exception_fp_ieee_invalid_op 0
		.amdhsa_exception_fp_denorm_src 0
		.amdhsa_exception_fp_ieee_div_zero 0
		.amdhsa_exception_fp_ieee_overflow 0
		.amdhsa_exception_fp_ieee_underflow 0
		.amdhsa_exception_fp_ieee_inexact 0
		.amdhsa_exception_int_div_zero 0
	.end_amdhsa_kernel
	.section	.text._ZN4vllm25paged_attention_v1_kernelI14__hip_bfloat16S1_Li120ELi32ELi128ELNS_18Fp8KVCacheDataTypeE0ELb0EEEvPT_PKS3_PKT0_S9_ifPKiSB_iPKfiiiSD_SD_iiiii,"axG",@progbits,_ZN4vllm25paged_attention_v1_kernelI14__hip_bfloat16S1_Li120ELi32ELi128ELNS_18Fp8KVCacheDataTypeE0ELb0EEEvPT_PKS3_PKT0_S9_ifPKiSB_iPKfiiiSD_SD_iiiii,comdat
.Lfunc_end158:
	.size	_ZN4vllm25paged_attention_v1_kernelI14__hip_bfloat16S1_Li120ELi32ELi128ELNS_18Fp8KVCacheDataTypeE0ELb0EEEvPT_PKS3_PKT0_S9_ifPKiSB_iPKfiiiSD_SD_iiiii, .Lfunc_end158-_ZN4vllm25paged_attention_v1_kernelI14__hip_bfloat16S1_Li120ELi32ELi128ELNS_18Fp8KVCacheDataTypeE0ELb0EEEvPT_PKS3_PKT0_S9_ifPKiSB_iPKfiiiSD_SD_iiiii
                                        ; -- End function
	.set _ZN4vllm25paged_attention_v1_kernelI14__hip_bfloat16S1_Li120ELi32ELi128ELNS_18Fp8KVCacheDataTypeE0ELb0EEEvPT_PKS3_PKT0_S9_ifPKiSB_iPKfiiiSD_SD_iiiii.num_vgpr, 110
	.set _ZN4vllm25paged_attention_v1_kernelI14__hip_bfloat16S1_Li120ELi32ELi128ELNS_18Fp8KVCacheDataTypeE0ELb0EEEvPT_PKS3_PKT0_S9_ifPKiSB_iPKfiiiSD_SD_iiiii.num_agpr, 0
	.set _ZN4vllm25paged_attention_v1_kernelI14__hip_bfloat16S1_Li120ELi32ELi128ELNS_18Fp8KVCacheDataTypeE0ELb0EEEvPT_PKS3_PKT0_S9_ifPKiSB_iPKfiiiSD_SD_iiiii.numbered_sgpr, 35
	.set _ZN4vllm25paged_attention_v1_kernelI14__hip_bfloat16S1_Li120ELi32ELi128ELNS_18Fp8KVCacheDataTypeE0ELb0EEEvPT_PKS3_PKT0_S9_ifPKiSB_iPKfiiiSD_SD_iiiii.num_named_barrier, 0
	.set _ZN4vllm25paged_attention_v1_kernelI14__hip_bfloat16S1_Li120ELi32ELi128ELNS_18Fp8KVCacheDataTypeE0ELb0EEEvPT_PKS3_PKT0_S9_ifPKiSB_iPKfiiiSD_SD_iiiii.private_seg_size, 0
	.set _ZN4vllm25paged_attention_v1_kernelI14__hip_bfloat16S1_Li120ELi32ELi128ELNS_18Fp8KVCacheDataTypeE0ELb0EEEvPT_PKS3_PKT0_S9_ifPKiSB_iPKfiiiSD_SD_iiiii.uses_vcc, 1
	.set _ZN4vllm25paged_attention_v1_kernelI14__hip_bfloat16S1_Li120ELi32ELi128ELNS_18Fp8KVCacheDataTypeE0ELb0EEEvPT_PKS3_PKT0_S9_ifPKiSB_iPKfiiiSD_SD_iiiii.uses_flat_scratch, 0
	.set _ZN4vllm25paged_attention_v1_kernelI14__hip_bfloat16S1_Li120ELi32ELi128ELNS_18Fp8KVCacheDataTypeE0ELb0EEEvPT_PKS3_PKT0_S9_ifPKiSB_iPKfiiiSD_SD_iiiii.has_dyn_sized_stack, 0
	.set _ZN4vllm25paged_attention_v1_kernelI14__hip_bfloat16S1_Li120ELi32ELi128ELNS_18Fp8KVCacheDataTypeE0ELb0EEEvPT_PKS3_PKT0_S9_ifPKiSB_iPKfiiiSD_SD_iiiii.has_recursion, 0
	.set _ZN4vllm25paged_attention_v1_kernelI14__hip_bfloat16S1_Li120ELi32ELi128ELNS_18Fp8KVCacheDataTypeE0ELb0EEEvPT_PKS3_PKT0_S9_ifPKiSB_iPKfiiiSD_SD_iiiii.has_indirect_call, 0
	.section	.AMDGPU.csdata,"",@progbits
; Kernel info:
; codeLenInByte = 8808
; TotalNumSgprs: 41
; NumVgprs: 110
; NumAgprs: 0
; TotalNumVgprs: 110
; ScratchSize: 0
; MemoryBound: 0
; FloatMode: 240
; IeeeMode: 1
; LDSByteSize: 256 bytes/workgroup (compile time only)
; SGPRBlocks: 5
; VGPRBlocks: 13
; NumSGPRsForWavesPerEU: 41
; NumVGPRsForWavesPerEU: 110
; AccumOffset: 112
; Occupancy: 4
; WaveLimiterHint : 1
; COMPUTE_PGM_RSRC2:SCRATCH_EN: 0
; COMPUTE_PGM_RSRC2:USER_SGPR: 2
; COMPUTE_PGM_RSRC2:TRAP_HANDLER: 0
; COMPUTE_PGM_RSRC2:TGID_X_EN: 1
; COMPUTE_PGM_RSRC2:TGID_Y_EN: 1
; COMPUTE_PGM_RSRC2:TGID_Z_EN: 1
; COMPUTE_PGM_RSRC2:TIDIG_COMP_CNT: 0
; COMPUTE_PGM_RSRC3_GFX90A:ACCUM_OFFSET: 27
; COMPUTE_PGM_RSRC3_GFX90A:TG_SPLIT: 0
	.section	.text._ZN4vllm25paged_attention_v1_kernelI14__hip_bfloat16S1_Li128ELi32ELi128ELNS_18Fp8KVCacheDataTypeE0ELb0EEEvPT_PKS3_PKT0_S9_ifPKiSB_iPKfiiiSD_SD_iiiii,"axG",@progbits,_ZN4vllm25paged_attention_v1_kernelI14__hip_bfloat16S1_Li128ELi32ELi128ELNS_18Fp8KVCacheDataTypeE0ELb0EEEvPT_PKS3_PKT0_S9_ifPKiSB_iPKfiiiSD_SD_iiiii,comdat
	.protected	_ZN4vllm25paged_attention_v1_kernelI14__hip_bfloat16S1_Li128ELi32ELi128ELNS_18Fp8KVCacheDataTypeE0ELb0EEEvPT_PKS3_PKT0_S9_ifPKiSB_iPKfiiiSD_SD_iiiii ; -- Begin function _ZN4vllm25paged_attention_v1_kernelI14__hip_bfloat16S1_Li128ELi32ELi128ELNS_18Fp8KVCacheDataTypeE0ELb0EEEvPT_PKS3_PKT0_S9_ifPKiSB_iPKfiiiSD_SD_iiiii
	.globl	_ZN4vllm25paged_attention_v1_kernelI14__hip_bfloat16S1_Li128ELi32ELi128ELNS_18Fp8KVCacheDataTypeE0ELb0EEEvPT_PKS3_PKT0_S9_ifPKiSB_iPKfiiiSD_SD_iiiii
	.p2align	8
	.type	_ZN4vllm25paged_attention_v1_kernelI14__hip_bfloat16S1_Li128ELi32ELi128ELNS_18Fp8KVCacheDataTypeE0ELb0EEEvPT_PKS3_PKT0_S9_ifPKiSB_iPKfiiiSD_SD_iiiii,@function
_ZN4vllm25paged_attention_v1_kernelI14__hip_bfloat16S1_Li128ELi32ELi128ELNS_18Fp8KVCacheDataTypeE0ELb0EEEvPT_PKS3_PKT0_S9_ifPKiSB_iPKfiiiSD_SD_iiiii: ; @_ZN4vllm25paged_attention_v1_kernelI14__hip_bfloat16S1_Li128ELi32ELi128ELNS_18Fp8KVCacheDataTypeE0ELb0EEEvPT_PKS3_PKT0_S9_ifPKiSB_iPKfiiiSD_SD_iiiii
; %bb.0:
	s_load_dword s5, s[0:1], 0x80
	s_load_dwordx2 s[6:7], s[0:1], 0x30
	s_load_dwordx2 s[8:9], s[0:1], 0x20
	s_mov_b32 s10, s3
	s_ashr_i32 s11, s3, 31
	s_lshl_b64 s[12:13], s[10:11], 2
	s_waitcnt lgkmcnt(0)
	s_add_u32 s6, s6, s12
	s_addc_u32 s7, s7, s13
	s_abs_i32 s3, s8
	v_cvt_f32_u32_e32 v1, s3
	s_sub_i32 s12, 0, s3
	s_abs_i32 s11, s5
	s_xor_b32 s8, s5, s8
	v_rcp_iflag_f32_e32 v1, v1
	s_ashr_i32 s8, s8, 31
	v_mul_f32_e32 v1, 0x4f7ffffe, v1
	v_cvt_u32_f32_e32 v1, v1
	s_nop 0
	v_readfirstlane_b32 s13, v1
	s_mul_i32 s12, s12, s13
	s_mul_hi_u32 s12, s13, s12
	s_add_i32 s13, s13, s12
	s_mul_hi_u32 s12, s11, s13
	s_mul_i32 s13, s12, s3
	s_sub_i32 s11, s11, s13
	s_add_i32 s13, s12, 1
	s_sub_i32 s14, s11, s3
	s_cmp_ge_u32 s11, s3
	s_cselect_b32 s12, s13, s12
	s_cselect_b32 s11, s14, s11
	s_add_i32 s13, s12, 1
	s_cmp_ge_u32 s11, s3
	s_cselect_b32 s3, s13, s12
	s_xor_b32 s3, s3, s8
	s_sub_i32 s14, s3, s8
	s_abs_i32 s11, s14
	v_cvt_f32_u32_e32 v1, s11
	s_load_dwordx2 s[12:13], s[0:1], 0x40
	s_sub_i32 s3, 0, s11
	s_abs_i32 s18, s2
	v_rcp_iflag_f32_e32 v1, v1
	s_mov_b32 s8, 0
	v_mul_f32_e32 v1, 0x4f7ffffe, v1
	v_cvt_u32_f32_e32 v1, v1
	s_nop 0
	v_readfirstlane_b32 s15, v1
	s_mul_i32 s3, s3, s15
	s_mul_hi_u32 s3, s15, s3
	s_add_i32 s15, s15, s3
	s_waitcnt lgkmcnt(0)
	s_cmp_eq_u64 s[12:13], 0
	s_mul_hi_u32 s19, s18, s15
	s_cbranch_scc1 .LBB159_2
; %bb.1:
	s_ashr_i32 s3, s2, 31
	s_lshl_b64 s[16:17], s[2:3], 2
	s_add_u32 s12, s12, s16
	s_addc_u32 s13, s13, s17
	s_load_dword s8, s[12:13], 0x0
.LBB159_2:
	s_load_dword s33, s[6:7], 0x0
	s_ashr_i32 s7, s14, 31
	s_load_dwordx4 s[12:15], s[0:1], 0x48
	s_ashr_i32 s6, s2, 31
	v_and_b32_e32 v2, 1, v0
	s_lshl_b32 s16, s2, 7
	v_cmp_gt_u32_e32 vcc, 32, v0
	v_lshlrev_b32_e32 v32, 3, v0
	s_and_saveexec_b64 s[2:3], vcc
	s_cbranch_execz .LBB159_4
; %bb.3:
	s_load_dwordx2 s[20:21], s[0:1], 0x8
	s_waitcnt lgkmcnt(0)
	s_mul_i32 s22, s12, s10
	s_ashr_i32 s23, s22, 31
	s_lshl_b64 s[22:23], s[22:23], 1
	v_lshlrev_b32_e32 v1, 2, v0
	s_add_u32 s12, s20, s22
	s_addc_u32 s15, s21, s23
	s_ashr_i32 s17, s16, 31
	s_lshl_b64 s[20:21], s[16:17], 1
	s_add_u32 s20, s12, s20
	s_addc_u32 s21, s15, s21
	global_load_dwordx2 v[4:5], v32, s[20:21]
	v_and_b32_e32 v1, 0xff8, v1
	v_lshl_add_u32 v1, v2, 7, v1
	s_waitcnt vmcnt(0)
	ds_write_b64 v1, v[4:5]
.LBB159_4:
	s_or_b64 exec, exec, s[2:3]
	s_waitcnt lgkmcnt(0)
	s_add_i32 s3, s33, 31
	s_ashr_i32 s12, s3, 31
	s_lshr_b32 s12, s12, 27
	s_add_i32 s3, s3, s12
	s_ashr_i32 s17, s3, 5
	s_xor_b32 s3, s6, s7
	s_mul_i32 s6, s19, s11
	s_sub_i32 s6, s18, s6
	s_add_i32 s7, s19, 1
	s_sub_i32 s12, s6, s11
	s_load_dwordx2 s[20:21], s[0:1], 0x28
	s_load_dword s2, s[0:1], 0x38
	s_cmp_ge_u32 s6, s11
	s_cselect_b32 s7, s7, s19
	s_cselect_b32 s6, s12, s6
	s_add_i32 s12, s7, 1
	s_cmp_ge_u32 s6, s11
	s_cselect_b32 s6, s12, s7
	v_lshrrev_b32_e32 v1, 6, v0
	s_xor_b32 s6, s6, s3
	s_waitcnt lgkmcnt(0)
	s_mul_i32 s22, s2, s10
	s_sub_i32 s12, s6, s3
	s_ashr_i32 s23, s22, 31
	v_cmp_gt_i32_e64 s[6:7], s17, v1
	v_cmp_le_i32_e32 vcc, s17, v1
	v_mbcnt_lo_u32_b32 v4, -1, 0
	s_barrier
                                        ; implicit-def: $vgpr34
                                        ; implicit-def: $vgpr35
                                        ; implicit-def: $vgpr36
	s_and_saveexec_b64 s[2:3], vcc
	s_xor_b64 s[2:3], exec, s[2:3]
; %bb.5:
	v_mbcnt_hi_u32_b32 v34, -1, v4
	v_and_b32_e32 v35, 64, v34
	v_add_u32_e32 v36, 64, v35
                                        ; implicit-def: $vgpr2
                                        ; implicit-def: $vgpr4
; %bb.6:
	s_or_saveexec_b64 s[26:27], s[2:3]
	s_load_dwordx2 s[18:19], s[0:1], 0x0
	s_load_dwordx2 s[24:25], s[0:1], 0x18
	s_load_dword s11, s[0:1], 0x88
	v_mov_b32_e32 v101, 0xff7fffff
	s_mul_i32 s14, s12, s14
	v_lshrrev_b32_e32 v33, 4, v0
	s_xor_b64 exec, exec, s[26:27]
	s_cbranch_execz .LBB159_12
; %bb.7:
	v_lshlrev_b32_e32 v3, 7, v2
	ds_read_b128 v[6:9], v3
	ds_read_b128 v[10:13], v3 offset:16
	ds_read_b128 v[14:17], v3 offset:32
	;; [unrolled: 1-line block ×3, first 2 shown]
	s_load_dwordx2 s[0:1], s[0:1], 0x10
	s_waitcnt lgkmcnt(0)
	v_lshlrev_b32_e32 v37, 16, v6
	v_and_b32_e32 v38, 0xffff0000, v6
	v_lshlrev_b32_e32 v39, 16, v7
	v_and_b32_e32 v40, 0xffff0000, v7
	;; [unrolled: 2-line block ×4, first 2 shown]
	ds_read_b128 v[6:9], v3 offset:64
	v_lshlrev_b32_e32 v45, 16, v10
	v_and_b32_e32 v46, 0xffff0000, v10
	v_lshlrev_b32_e32 v47, 16, v11
	v_and_b32_e32 v48, 0xffff0000, v11
	;; [unrolled: 2-line block ×4, first 2 shown]
	ds_read_b128 v[10:13], v3 offset:80
	s_waitcnt lgkmcnt(1)
	v_lshlrev_b32_e32 v69, 16, v6
	v_and_b32_e32 v70, 0xffff0000, v6
	v_lshlrev_b32_e32 v71, 16, v7
	v_and_b32_e32 v72, 0xffff0000, v7
	;; [unrolled: 2-line block ×4, first 2 shown]
	ds_read_b128 v[6:9], v3 offset:96
	s_ashr_i32 s15, s14, 31
	s_lshl_b64 s[2:3], s[14:15], 1
	v_mbcnt_hi_u32_b32 v34, -1, v4
	s_add_u32 s0, s0, s2
	v_bfe_u32 v5, v0, 1, 5
	v_and_b32_e32 v35, 64, v34
	s_waitcnt lgkmcnt(1)
	v_lshlrev_b32_e32 v77, 16, v10
	v_and_b32_e32 v78, 0xffff0000, v10
	v_lshlrev_b32_e32 v79, 16, v11
	v_and_b32_e32 v80, 0xffff0000, v11
	v_lshlrev_b32_e32 v81, 16, v12
	v_and_b32_e32 v82, 0xffff0000, v12
	v_lshlrev_b32_e32 v83, 16, v13
	v_and_b32_e32 v84, 0xffff0000, v13
	ds_read_b128 v[10:13], v3 offset:112
	s_waitcnt lgkmcnt(1)
	v_lshlrev_b32_e32 v85, 16, v6
	v_and_b32_e32 v86, 0xffff0000, v6
	v_lshlrev_b32_e32 v87, 16, v7
	v_and_b32_e32 v88, 0xffff0000, v7
	s_addc_u32 s1, s1, s3
	v_lshlrev_b32_e32 v6, 4, v5
	v_mov_b32_e32 v7, 0
	v_xor_b32_e32 v4, 1, v34
	v_add_u32_e32 v36, 64, v35
	v_cmp_eq_u32_e32 vcc, 0, v2
	v_lshl_add_u64 v[2:3], s[0:1], 0, v[6:7]
	v_cmp_lt_i32_e64 s[0:1], v4, v36
	s_sub_i32 s15, 1, s33
	v_and_b32_e32 v6, 8, v32
	v_cndmask_b32_e64 v4, v34, v4, s[0:1]
	s_lshl_b64 s[0:1], s[22:23], 2
	v_lshlrev_b32_e32 v102, 2, v4
	v_lshlrev_b32_e32 v4, 2, v5
	s_add_u32 s0, s20, s0
	v_lshl_add_u64 v[2:3], v[2:3], 0, v[6:7]
	v_lshl_or_b32 v4, v1, 7, v4
	v_and_b32_e32 v6, 60, v33
	s_addc_u32 s1, s21, s1
	v_lshlrev_b32_e32 v53, 16, v14
	v_and_b32_e32 v54, 0xffff0000, v14
	v_lshlrev_b32_e32 v55, 16, v15
	v_and_b32_e32 v56, 0xffff0000, v15
	;; [unrolled: 2-line block ×10, first 2 shown]
	s_waitcnt lgkmcnt(0)
	v_lshlrev_b32_e32 v93, 16, v10
	v_and_b32_e32 v94, 0xffff0000, v10
	v_lshlrev_b32_e32 v95, 16, v11
	v_and_b32_e32 v96, 0xffff0000, v11
	;; [unrolled: 2-line block ×4, first 2 shown]
	s_mov_b32 s12, s13
	v_cmp_neq_f32_e64 s[2:3], s8, 0
	v_lshl_or_b32 v103, v1, 5, v5
	v_add_u32_e32 v104, 0x110, v4
	v_lshl_add_u64 v[4:5], s[0:1], 0, v[6:7]
	s_mov_b64 s[28:29], 0
	s_movk_i32 s34, 0x1000
	v_mov_b32_e32 v101, 0xff7fffff
	v_mov_b32_e32 v105, v1
	s_branch .LBB159_9
.LBB159_8:                              ;   in Loop: Header=BB159_9 Depth=1
	s_or_b64 exec, exec, s[30:31]
	v_add_u32_e32 v105, 2, v105
	v_cmp_le_i32_e64 s[0:1], s17, v105
	v_add_u32_e32 v103, 64, v103
	v_add_u32_e32 v104, 0x100, v104
	s_or_b64 s[28:29], s[0:1], s[28:29]
	v_lshl_add_u64 v[4:5], v[4:5], 0, 8
	s_andn2_b64 exec, exec, s[28:29]
	s_cbranch_execz .LBB159_11
.LBB159_9:                              ; =>This Inner Loop Header: Depth=1
	global_load_dword v6, v[4:5], off
	s_waitcnt vmcnt(0) lgkmcnt(0)
	v_mad_i64_i32 v[6:7], s[0:1], v6, s12, 0
	v_lshl_add_u64 v[6:7], v[6:7], 1, v[2:3]
	global_load_dwordx2 v[106:107], v[6:7], off
	global_load_dwordx2 v[108:109], v[6:7], off offset:512
	global_load_dwordx2 v[110:111], v[6:7], off offset:1024
	;; [unrolled: 1-line block ×7, first 2 shown]
	v_add_co_u32_e64 v6, s[0:1], s34, v6
	s_waitcnt vmcnt(7)
	v_lshlrev_b32_e32 v112, 16, v106
	v_addc_co_u32_e64 v7, s[0:1], 0, v7, s[0:1]
	global_load_dwordx2 v[20:21], v[6:7], off
	global_load_dwordx2 v[18:19], v[6:7], off offset:512
	global_load_dwordx2 v[16:17], v[6:7], off offset:1024
	global_load_dwordx2 v[14:15], v[6:7], off offset:1536
	global_load_dwordx2 v[12:13], v[6:7], off offset:2048
	global_load_dwordx2 v[10:11], v[6:7], off offset:2560
	global_load_dwordx2 v[8:9], v[6:7], off offset:3072
	s_nop 0
	global_load_dwordx2 v[6:7], v[6:7], off offset:3584
	v_and_b32_e32 v113, 0xffff0000, v106
	v_lshlrev_b32_e32 v114, 16, v107
	v_and_b32_e32 v115, 0xffff0000, v107
	s_waitcnt vmcnt(14)
	v_lshlrev_b32_e32 v106, 16, v108
	v_and_b32_e32 v107, 0xffff0000, v108
	v_mul_f32_e32 v106, v41, v106
	v_mul_f32_e32 v107, v42, v107
	v_lshlrev_b32_e32 v108, 16, v109
	v_fmac_f32_e32 v106, v37, v112
	v_fmac_f32_e32 v107, v38, v113
	v_mul_f32_e32 v108, v43, v108
	s_waitcnt vmcnt(13)
	v_lshlrev_b32_e32 v112, 16, v110
	v_and_b32_e32 v110, 0xffff0000, v110
	v_fmac_f32_e32 v108, v39, v114
	v_fmac_f32_e32 v107, v46, v110
	v_lshlrev_b32_e32 v110, 16, v111
	v_fmac_f32_e32 v108, v47, v110
	s_waitcnt vmcnt(12)
	v_lshlrev_b32_e32 v110, 16, v30
	v_and_b32_e32 v30, 0xffff0000, v30
	v_fmac_f32_e32 v107, v50, v30
	v_lshlrev_b32_e32 v30, 16, v31
	v_fmac_f32_e32 v108, v51, v30
	s_waitcnt vmcnt(11)
	v_lshlrev_b32_e32 v30, 16, v28
	v_and_b32_e32 v28, 0xffff0000, v28
	;; [unrolled: 6-line block ×5, first 2 shown]
	v_fmac_f32_e32 v107, v66, v22
	v_lshlrev_b32_e32 v22, 16, v23
	v_fmac_f32_e32 v108, v67, v22
	v_and_b32_e32 v109, 0xffff0000, v109
	v_mul_f32_e32 v109, v44, v109
	v_fmac_f32_e32 v106, v45, v112
	v_fmac_f32_e32 v109, v40, v115
	v_and_b32_e32 v111, 0xffff0000, v111
	v_fmac_f32_e32 v106, v49, v110
	v_fmac_f32_e32 v109, v48, v111
	v_and_b32_e32 v31, 0xffff0000, v31
	;; [unrolled: 3-line block ×6, first 2 shown]
	v_fmac_f32_e32 v109, v68, v23
	s_waitcnt vmcnt(7)
	v_lshlrev_b32_e32 v22, 16, v20
	v_and_b32_e32 v20, 0xffff0000, v20
	v_fmac_f32_e32 v107, v70, v20
	v_lshlrev_b32_e32 v20, 16, v21
	v_fmac_f32_e32 v108, v71, v20
	s_waitcnt vmcnt(6)
	v_lshlrev_b32_e32 v20, 16, v18
	v_and_b32_e32 v18, 0xffff0000, v18
	v_fmac_f32_e32 v107, v74, v18
	v_lshlrev_b32_e32 v18, 16, v19
	;; [unrolled: 6-line block ×4, first 2 shown]
	v_fmac_f32_e32 v106, v69, v22
	v_fmac_f32_e32 v108, v83, v14
	s_waitcnt vmcnt(3)
	v_lshlrev_b32_e32 v14, 16, v12
	v_and_b32_e32 v12, 0xffff0000, v12
	v_and_b32_e32 v21, 0xffff0000, v21
	v_fmac_f32_e32 v106, v73, v20
	v_fmac_f32_e32 v107, v86, v12
	v_lshlrev_b32_e32 v12, 16, v13
	v_fmac_f32_e32 v109, v72, v21
	v_and_b32_e32 v19, 0xffff0000, v19
	v_fmac_f32_e32 v106, v77, v18
	v_fmac_f32_e32 v108, v87, v12
	s_waitcnt vmcnt(2)
	v_lshlrev_b32_e32 v12, 16, v10
	v_and_b32_e32 v10, 0xffff0000, v10
	v_fmac_f32_e32 v109, v76, v19
	v_and_b32_e32 v17, 0xffff0000, v17
	v_fmac_f32_e32 v106, v81, v16
	v_fmac_f32_e32 v107, v90, v10
	v_lshlrev_b32_e32 v10, 16, v11
	v_fmac_f32_e32 v109, v80, v17
	v_and_b32_e32 v15, 0xffff0000, v15
	v_fmac_f32_e32 v106, v85, v14
	v_fmac_f32_e32 v108, v91, v10
	s_waitcnt vmcnt(1)
	v_lshlrev_b32_e32 v10, 16, v8
	v_and_b32_e32 v8, 0xffff0000, v8
	v_fmac_f32_e32 v109, v84, v15
	;; [unrolled: 12-line block ×3, first 2 shown]
	v_and_b32_e32 v9, 0xffff0000, v9
	v_fmac_f32_e32 v106, v97, v8
	v_fmac_f32_e32 v107, v98, v6
	v_lshlrev_b32_e32 v6, 16, v7
	v_fmac_f32_e32 v109, v96, v9
	v_and_b32_e32 v7, 0xffff0000, v7
	v_fmac_f32_e32 v108, v99, v6
	v_add_f32_e32 v6, v106, v107
	v_fmac_f32_e32 v109, v100, v7
	v_add_f32_e32 v6, v6, v108
	v_add_f32_e32 v6, v109, v6
	ds_bpermute_b32 v7, v102, v6
	s_and_saveexec_b64 s[30:31], vcc
	s_cbranch_execz .LBB159_8
; %bb.10:                               ;   in Loop: Header=BB159_9 Depth=1
	v_add_u32_e32 v8, s15, v103
	v_cvt_f32_i32_e32 v8, v8
	s_waitcnt lgkmcnt(0)
	v_add_f32_e32 v6, v6, v7
	v_cmp_gt_i32_e64 s[0:1], s33, v103
	v_max_f32_e32 v7, v101, v101
	v_mul_f32_e32 v8, s8, v8
	v_cndmask_b32_e64 v8, 0, v8, s[2:3]
	v_fmac_f32_e32 v8, s9, v6
	v_cndmask_b32_e64 v6, 0, v8, s[0:1]
	ds_write_b32 v104, v6
	v_max_f32_e32 v6, v7, v8
	v_cndmask_b32_e64 v101, v101, v6, s[0:1]
	s_branch .LBB159_8
.LBB159_11:
	s_or_b64 exec, exec, s[28:29]
.LBB159_12:
	s_or_b64 exec, exec, s[26:27]
	v_xor_b32_e32 v2, 32, v34
	v_cmp_lt_i32_e32 vcc, v2, v36
	v_xor_b32_e32 v5, 16, v34
	v_max_f32_e32 v4, v101, v101
	v_cndmask_b32_e32 v2, v34, v2, vcc
	v_lshlrev_b32_e32 v2, 2, v2
	ds_bpermute_b32 v3, v2, v101
	v_cmp_lt_i32_e32 vcc, v5, v36
	v_xor_b32_e32 v6, 8, v34
	s_waitcnt lgkmcnt(0)
	v_xor_b32_e32 v7, 4, v34
	v_xor_b32_e32 v8, 2, v34
	v_max_f32_e32 v3, v3, v3
	v_max_f32_e32 v4, v4, v3
	v_cndmask_b32_e32 v3, v34, v5, vcc
	v_lshlrev_b32_e32 v3, 2, v3
	ds_bpermute_b32 v5, v3, v4
	v_cmp_lt_i32_e32 vcc, v6, v36
	v_and_b32_e32 v56, 63, v0
	s_waitcnt lgkmcnt(0)
	v_max_f32_e32 v5, v5, v5
	v_max_f32_e32 v5, v4, v5
	v_cndmask_b32_e32 v4, v34, v6, vcc
	v_lshlrev_b32_e32 v4, 2, v4
	ds_bpermute_b32 v6, v4, v5
	v_cmp_lt_i32_e32 vcc, v7, v36
	s_waitcnt lgkmcnt(0)
	v_max_f32_e32 v6, v6, v6
	v_max_f32_e32 v6, v5, v6
	v_cndmask_b32_e32 v5, v34, v7, vcc
	v_lshlrev_b32_e32 v5, 2, v5
	ds_bpermute_b32 v7, v5, v6
	v_cmp_lt_i32_e32 vcc, v8, v36
	s_waitcnt lgkmcnt(0)
	v_max_f32_e32 v7, v7, v7
	v_max_f32_e32 v7, v6, v7
	v_cndmask_b32_e32 v6, v34, v8, vcc
	v_lshlrev_b32_e32 v57, 2, v6
	ds_bpermute_b32 v8, v57, v7
	v_cmp_eq_u32_e32 vcc, 0, v56
	v_lshlrev_b32_e32 v6, 2, v1
	s_and_saveexec_b64 s[0:1], vcc
	s_cbranch_execz .LBB159_14
; %bb.13:
	s_waitcnt lgkmcnt(0)
	v_max_f32_e32 v8, v8, v8
	v_max_f32_e32 v7, v7, v7
	;; [unrolled: 1-line block ×3, first 2 shown]
	ds_write_b32 v6, v7 offset:256
.LBB159_14:
	s_or_b64 exec, exec, s[0:1]
	v_cmp_gt_u32_e64 s[0:1], 2, v56
	s_waitcnt lgkmcnt(0)
	v_mov_b32_e32 v8, 0xff7fffff
	v_lshlrev_b32_e32 v7, 2, v56
	s_barrier
	s_and_saveexec_b64 s[2:3], s[0:1]
; %bb.15:
	ds_read_b32 v8, v7 offset:256
; %bb.16:
	s_or_b64 exec, exec, s[2:3]
	v_xor_b32_e32 v9, 1, v34
	v_cmp_lt_i32_e64 s[2:3], v9, v36
	s_nop 1
	v_cndmask_b32_e64 v9, v34, v9, s[2:3]
	v_lshlrev_b32_e32 v58, 2, v9
	s_waitcnt lgkmcnt(0)
	ds_bpermute_b32 v9, v58, v8
	v_max_f32_e32 v8, v8, v8
	s_lshl_b32 s2, s17, 5
	s_min_i32 s12, s2, s33
	v_cmp_gt_i32_e64 s[2:3], s12, v0
	s_waitcnt lgkmcnt(0)
	v_max_f32_e32 v9, v9, v9
	v_max_f32_e32 v8, v8, v9
	v_lshlrev_b32_e32 v9, 2, v35
	ds_bpermute_b32 v9, v9, v8
	v_mov_b32_e32 v8, 0
	s_and_saveexec_b64 s[26:27], s[2:3]
	s_cbranch_execz .LBB159_20
; %bb.17:
	v_mov_b32_e32 v8, 0x110
	v_lshl_add_u32 v10, v0, 2, v8
	v_mov_b32_e32 v8, 0
	s_mov_b64 s[28:29], 0
	v_mov_b32_e32 v11, v0
.LBB159_18:                             ; =>This Inner Loop Header: Depth=1
	ds_read_b32 v12, v10
	v_add_u32_e32 v11, 0x80, v11
	v_cmp_le_i32_e64 s[8:9], s12, v11
	s_or_b64 s[28:29], s[8:9], s[28:29]
	s_waitcnt lgkmcnt(0)
	v_sub_f32_e32 v12, v12, v9
	v_mul_f32_e32 v12, 0x3fb8aa3b, v12
	v_exp_f32_e32 v12, v12
	ds_write_b32 v10, v12
	v_add_f32_e32 v8, v8, v12
	v_add_u32_e32 v10, 0x200, v10
	s_andn2_b64 exec, exec, s[28:29]
	s_cbranch_execnz .LBB159_18
; %bb.19:
	s_or_b64 exec, exec, s[28:29]
.LBB159_20:
	s_or_b64 exec, exec, s[26:27]
	ds_bpermute_b32 v2, v2, v8
	s_waitcnt lgkmcnt(0)
	v_add_f32_e32 v2, v8, v2
	ds_bpermute_b32 v3, v3, v2
	s_waitcnt lgkmcnt(0)
	v_add_f32_e32 v2, v2, v3
	;; [unrolled: 3-line block ×6, first 2 shown]
	s_and_saveexec_b64 s[8:9], vcc
; %bb.21:
	ds_write_b32 v6, v2 offset:264
; %bb.22:
	s_or_b64 exec, exec, s[8:9]
	s_waitcnt lgkmcnt(0)
	s_barrier
	s_and_saveexec_b64 s[8:9], s[0:1]
; %bb.23:
	ds_read_b32 v2, v7 offset:264
; %bb.24:
	s_or_b64 exec, exec, s[8:9]
	s_waitcnt lgkmcnt(0)
	ds_bpermute_b32 v3, v58, v2
	v_lshlrev_b32_e32 v4, 2, v34
	s_waitcnt lgkmcnt(0)
	v_add_f32_e32 v2, v2, v3
	v_and_b32_e32 v3, 0xffffff00, v4
	ds_bpermute_b32 v2, v3, v2
	s_and_saveexec_b64 s[0:1], s[2:3]
	s_cbranch_execz .LBB159_37
; %bb.25:
	s_waitcnt lgkmcnt(0)
	v_add_f32_e32 v2, 0x358637bd, v2
	v_div_scale_f32 v3, s[2:3], v2, v2, 1.0
	v_rcp_f32_e32 v4, v3
	v_div_scale_f32 v5, vcc, 1.0, v2, 1.0
	s_movk_i32 s2, 0x7f
	v_fma_f32 v6, -v3, v4, 1.0
	v_fmac_f32_e32 v4, v6, v4
	v_mul_f32_e32 v6, v5, v4
	v_fma_f32 v7, -v3, v6, v5
	v_fmac_f32_e32 v6, v7, v4
	v_fma_f32 v3, -v3, v6, v5
	v_div_fmas_f32 v3, v3, v4, v6
	v_xad_u32 v4, v0, -1, s12
	v_div_fixup_f32 v2, v3, v2, 1.0
	v_cmp_lt_u32_e32 vcc, s2, v4
	s_mov_b64 s[8:9], -1
	v_mov_b32_e32 v3, v0
	s_and_saveexec_b64 s[2:3], vcc
	s_cbranch_execz .LBB159_34
; %bb.26:
	v_lshrrev_b32_e32 v4, 7, v4
	v_add_u32_e32 v6, -1, v4
	v_lshrrev_b32_e32 v5, 1, v6
	v_mov_b32_e32 v3, v2
	v_add_u32_e32 v5, 1, v5
	v_cmp_lt_u32_e32 vcc, 13, v6
	v_mov_b32_e32 v8, 0
	s_and_saveexec_b64 s[8:9], vcc
	s_cbranch_execz .LBB159_30
; %bb.27:
	v_mov_b32_e32 v7, 0x110
	v_and_b32_e32 v6, -8, v5
	v_lshl_add_u32 v7, v0, 2, v7
	s_mov_b32 s15, 0
	s_mov_b64 s[26:27], 0
.LBB159_28:                             ; =>This Inner Loop Header: Depth=1
	ds_read2st64_b32 v[8:9], v7 offset1:2
	ds_read2st64_b32 v[10:11], v7 offset0:4 offset1:6
	ds_read2st64_b32 v[12:13], v7 offset0:8 offset1:10
	;; [unrolled: 1-line block ×3, first 2 shown]
	v_add_u32_e32 v6, -8, v6
	s_waitcnt lgkmcnt(3)
	v_pk_mul_f32 v[8:9], v[2:3], v[8:9]
	s_waitcnt lgkmcnt(2)
	v_pk_mul_f32 v[10:11], v[2:3], v[10:11]
	ds_write2st64_b32 v7, v8, v9 offset1:2
	ds_write2st64_b32 v7, v10, v11 offset0:4 offset1:6
	ds_read2st64_b32 v[10:11], v7 offset0:16 offset1:18
	s_waitcnt lgkmcnt(4)
	v_pk_mul_f32 v[8:9], v[2:3], v[12:13]
	ds_write2st64_b32 v7, v8, v9 offset0:8 offset1:10
	s_waitcnt lgkmcnt(4)
	v_pk_mul_f32 v[8:9], v[2:3], v[14:15]
	ds_write2st64_b32 v7, v8, v9 offset0:12 offset1:14
	ds_read2st64_b32 v[8:9], v7 offset0:20 offset1:22
	s_waitcnt lgkmcnt(3)
	v_pk_mul_f32 v[10:11], v[2:3], v[10:11]
	ds_read2st64_b32 v[12:13], v7 offset0:24 offset1:26
	ds_write2st64_b32 v7, v10, v11 offset0:16 offset1:18
	ds_read2st64_b32 v[10:11], v7 offset0:28 offset1:30
	s_waitcnt lgkmcnt(3)
	v_pk_mul_f32 v[8:9], v[2:3], v[8:9]
	ds_write2st64_b32 v7, v8, v9 offset0:20 offset1:22
	s_waitcnt lgkmcnt(3)
	v_pk_mul_f32 v[8:9], v[2:3], v[12:13]
	ds_write2st64_b32 v7, v8, v9 offset0:24 offset1:26
	s_waitcnt lgkmcnt(2)
	v_pk_mul_f32 v[8:9], v[2:3], v[10:11]
	s_add_i32 s15, s15, 16
	v_cmp_eq_u32_e32 vcc, 0, v6
	ds_write2st64_b32 v7, v8, v9 offset0:28 offset1:30
	v_add_u32_e32 v7, 0x2000, v7
	s_or_b64 s[26:27], vcc, s[26:27]
	v_mov_b32_e32 v8, s15
	s_andn2_b64 exec, exec, s[26:27]
	s_cbranch_execnz .LBB159_28
; %bb.29:
	s_or_b64 exec, exec, s[26:27]
.LBB159_30:
	s_or_b64 exec, exec, s[8:9]
	v_and_b32_e32 v5, 7, v5
	v_cmp_ne_u32_e32 vcc, 0, v5
	s_and_saveexec_b64 s[8:9], vcc
	s_cbranch_execz .LBB159_33
; %bb.31:
	v_lshlrev_b32_e32 v6, 9, v8
	v_lshlrev_b32_e32 v7, 2, v0
	s_movk_i32 s15, 0x110
	v_add3_u32 v6, v6, v7, s15
	s_mov_b64 s[26:27], 0
.LBB159_32:                             ; =>This Inner Loop Header: Depth=1
	ds_read2st64_b32 v[8:9], v6 offset1:2
	v_add_u32_e32 v5, -1, v5
	v_cmp_eq_u32_e32 vcc, 0, v5
	s_or_b64 s[26:27], vcc, s[26:27]
	s_waitcnt lgkmcnt(0)
	v_pk_mul_f32 v[8:9], v[2:3], v[8:9]
	ds_write2st64_b32 v6, v8, v9 offset1:2
	v_add_u32_e32 v6, 0x400, v6
	s_andn2_b64 exec, exec, s[26:27]
	s_cbranch_execnz .LBB159_32
.LBB159_33:
	s_or_b64 exec, exec, s[8:9]
	v_add_u32_e32 v4, 1, v4
	v_and_b32_e32 v5, 0x3fffffe, v4
	v_cmp_ne_u32_e32 vcc, v4, v5
	v_lshl_add_u32 v3, v5, 7, v0
	s_orn2_b64 s[8:9], vcc, exec
.LBB159_34:
	s_or_b64 exec, exec, s[2:3]
	s_and_b64 exec, exec, s[8:9]
	s_cbranch_execz .LBB159_37
; %bb.35:
	v_mov_b32_e32 v4, 0x110
	v_lshl_add_u32 v4, v3, 2, v4
	s_mov_b64 s[2:3], 0
.LBB159_36:                             ; =>This Inner Loop Header: Depth=1
	ds_read_b32 v5, v4
	v_add_u32_e32 v3, 0x80, v3
	v_cmp_le_i32_e32 vcc, s12, v3
	s_or_b64 s[2:3], vcc, s[2:3]
	s_waitcnt lgkmcnt(0)
	v_mul_f32_e32 v5, v2, v5
	ds_write_b32 v4, v5
	v_add_u32_e32 v4, 0x200, v4
	s_andn2_b64 exec, exec, s[2:3]
	s_cbranch_execnz .LBB159_36
.LBB159_37:
	s_or_b64 exec, exec, s[0:1]
	v_mov_b32_e32 v43, 0
	v_and_b32_e32 v59, 3, v0
	v_mov_b32_e32 v42, 0
	v_mov_b32_e32 v45, 0
	;; [unrolled: 1-line block ×7, first 2 shown]
	s_waitcnt lgkmcnt(0)
	s_barrier
	s_and_saveexec_b64 s[8:9], s[6:7]
	s_cbranch_execz .LBB159_57
; %bb.38:
	s_ashr_i32 s15, s14, 31
	s_lshl_b64 s[0:1], s[14:15], 1
	s_add_u32 s0, s24, s0
	v_lshlrev_b32_e32 v3, 4, v0
	s_addc_u32 s1, s25, s1
	v_and_b32_e32 v50, 0x3f0, v3
	v_mov_b32_e32 v51, 0
	v_and_b32_e32 v2, 24, v32
	s_add_i32 s14, s17, -1
	v_lshl_add_u64 v[52:53], s[0:1], 0, v[50:51]
	s_lshl_b64 s[0:1], s[22:23], 2
	v_lshl_or_b32 v60, v1, 5, v2
	v_lshlrev_b32_e32 v2, 5, v59
	s_add_u32 s0, s20, s0
	v_lshl_or_b32 v2, v1, 7, v2
	v_and_b32_e32 v50, 60, v33
	s_addc_u32 s1, s21, s1
	s_mov_b32 s26, s13
	s_mov_b32 s15, s33
	v_add_u32_e32 v61, 0x110, v2
	v_lshl_add_u64 v[54:55], s[0:1], 0, v[50:51]
	s_mov_b64 s[6:7], 0
	s_mov_b32 s20, 0x5040100
	v_mov_b32_e32 v43, 0
	v_mov_b32_e32 v42, 0
	;; [unrolled: 1-line block ×8, first 2 shown]
	s_branch .LBB159_40
.LBB159_39:                             ;   in Loop: Header=BB159_40 Depth=1
	s_or_b64 exec, exec, s[2:3]
	s_waitcnt lgkmcnt(1)
	v_cvt_pk_bf16_f32 v19, v19, s0
	s_waitcnt lgkmcnt(0)
	v_cvt_pk_bf16_f32 v50, v14, s0
	v_cvt_pk_bf16_f32 v62, v15, s0
	s_waitcnt vmcnt(1)
	v_and_b32_e32 v15, 0xffff0000, v38
	v_lshlrev_b32_e32 v14, 16, v19
	v_cvt_pk_bf16_f32 v18, v18, s0
	v_mul_f32_e32 v15, v14, v15
	v_cvt_pk_bf16_f32 v64, v15, s0
	v_lshlrev_b32_e32 v15, 16, v38
	v_lshlrev_b32_e32 v18, 16, v18
	v_cvt_pk_bf16_f32 v21, v21, s0
	v_mul_f32_e32 v15, v18, v15
	v_cvt_pk_bf16_f32 v63, v16, s0
	v_cvt_pk_bf16_f32 v38, v15, s0
	v_and_b32_e32 v16, 0xffff0000, v39
	v_lshlrev_b32_e32 v15, 16, v21
	v_cvt_pk_bf16_f32 v20, v20, s0
	v_mul_f32_e32 v16, v15, v16
	v_cvt_pk_bf16_f32 v65, v16, s0
	v_lshlrev_b32_e32 v16, 16, v39
	v_lshlrev_b32_e32 v19, 16, v20
	v_mul_f32_e32 v16, v19, v16
	v_cvt_pk_bf16_f32 v39, v16, s0
	v_and_b32_e32 v20, 0xffff0000, v40
	v_lshlrev_b32_e32 v16, 16, v62
	v_mul_f32_e32 v20, v16, v20
	v_cvt_pk_bf16_f32 v62, v20, s0
	v_lshlrev_b32_e32 v21, 16, v40
	v_lshlrev_b32_e32 v20, 16, v50
	v_cvt_pk_bf16_f32 v17, v17, s0
	v_mul_f32_e32 v21, v20, v21
	v_cvt_pk_bf16_f32 v40, v21, s0
	v_and_b32_e32 v21, 0xffff0000, v41
	v_lshlrev_b32_e32 v17, 16, v17
	v_mul_f32_e32 v21, v17, v21
	v_cvt_pk_bf16_f32 v50, v21, s0
	v_lshlrev_b32_e32 v21, 16, v63
	v_lshlrev_b32_e32 v38, 16, v38
	;; [unrolled: 1-line block ×3, first 2 shown]
	v_add_f32_e32 v38, v38, v63
	v_lshlrev_b32_e32 v39, 16, v39
	v_lshlrev_b32_e32 v63, 16, v65
	v_lshlrev_b32_e32 v41, 16, v41
	v_add_f32_e32 v39, v39, v63
	v_mul_f32_e32 v41, v21, v41
	v_add_f32_e32 v38, v39, v38
	v_lshlrev_b32_e32 v39, 16, v40
	v_lshlrev_b32_e32 v40, 16, v62
	v_cvt_pk_bf16_f32 v41, v41, s0
	v_add_f32_e32 v39, v39, v40
	v_add_f32_e32 v38, v39, v38
	v_lshlrev_b32_e32 v39, 16, v41
	v_lshlrev_b32_e32 v40, 16, v50
	v_add_f32_e32 v39, v39, v40
	v_add_f32_e32 v38, v39, v38
	v_add_f32_e32 v42, v42, v38
	v_and_b32_e32 v38, 0xffff0000, v34
	v_lshlrev_b32_e32 v34, 16, v34
	v_mul_f32_e32 v38, v14, v38
	v_mul_f32_e32 v34, v18, v34
	v_and_b32_e32 v39, 0xffff0000, v35
	v_lshlrev_b32_e32 v35, 16, v35
	v_cvt_pk_bf16_f32 v38, v38, s0
	v_cvt_pk_bf16_f32 v34, v34, s0
	v_mul_f32_e32 v39, v15, v39
	v_mul_f32_e32 v35, v19, v35
	v_cvt_pk_bf16_f32 v39, v39, s0
	v_cvt_pk_bf16_f32 v35, v35, s0
	v_and_b32_e32 v40, 0xffff0000, v36
	v_lshlrev_b32_e32 v36, 16, v36
	v_lshlrev_b32_e32 v34, 16, v34
	v_lshlrev_b32_e32 v38, 16, v38
	v_mul_f32_e32 v40, v16, v40
	v_mul_f32_e32 v36, v20, v36
	v_add_f32_e32 v34, v34, v38
	v_lshlrev_b32_e32 v35, 16, v35
	v_lshlrev_b32_e32 v38, 16, v39
	v_cvt_pk_bf16_f32 v40, v40, s0
	v_cvt_pk_bf16_f32 v36, v36, s0
	v_and_b32_e32 v41, 0xffff0000, v37
	v_lshlrev_b32_e32 v37, 16, v37
	v_add_f32_e32 v35, v35, v38
	v_mul_f32_e32 v41, v17, v41
	v_mul_f32_e32 v37, v21, v37
	v_add_f32_e32 v34, v35, v34
	v_lshlrev_b32_e32 v35, 16, v36
	v_lshlrev_b32_e32 v36, 16, v40
	v_cvt_pk_bf16_f32 v41, v41, s0
	v_cvt_pk_bf16_f32 v37, v37, s0
	v_add_f32_e32 v35, v35, v36
	v_add_f32_e32 v34, v35, v34
	v_lshlrev_b32_e32 v35, 16, v37
	v_lshlrev_b32_e32 v36, 16, v41
	v_add_f32_e32 v35, v35, v36
	v_add_f32_e32 v34, v35, v34
	v_add_f32_e32 v45, v45, v34
	v_and_b32_e32 v34, 0xffff0000, v30
	v_lshlrev_b32_e32 v30, 16, v30
	v_mul_f32_e32 v34, v14, v34
	v_mul_f32_e32 v30, v18, v30
	v_and_b32_e32 v35, 0xffff0000, v31
	v_lshlrev_b32_e32 v31, 16, v31
	v_cvt_pk_bf16_f32 v34, v34, s0
	v_cvt_pk_bf16_f32 v30, v30, s0
	v_mul_f32_e32 v35, v15, v35
	v_mul_f32_e32 v31, v19, v31
	v_cvt_pk_bf16_f32 v35, v35, s0
	v_cvt_pk_bf16_f32 v31, v31, s0
	v_and_b32_e32 v36, 0xffff0000, v32
	v_lshlrev_b32_e32 v32, 16, v32
	v_lshlrev_b32_e32 v30, 16, v30
	v_lshlrev_b32_e32 v34, 16, v34
	v_mul_f32_e32 v36, v16, v36
	v_mul_f32_e32 v32, v20, v32
	v_add_f32_e32 v30, v30, v34
	v_lshlrev_b32_e32 v31, 16, v31
	v_lshlrev_b32_e32 v34, 16, v35
	v_cvt_pk_bf16_f32 v36, v36, s0
	v_cvt_pk_bf16_f32 v32, v32, s0
	v_and_b32_e32 v37, 0xffff0000, v33
	v_lshlrev_b32_e32 v33, 16, v33
	v_add_f32_e32 v31, v31, v34
	v_mul_f32_e32 v37, v17, v37
	v_mul_f32_e32 v33, v21, v33
	v_add_f32_e32 v30, v31, v30
	v_lshlrev_b32_e32 v31, 16, v32
	v_lshlrev_b32_e32 v32, 16, v36
	v_cvt_pk_bf16_f32 v37, v37, s0
	;; [unrolled: 40-line block ×5, first 2 shown]
	v_cvt_pk_bf16_f32 v9, v9, s0
	v_add_f32_e32 v7, v7, v8
	v_add_f32_e32 v6, v7, v6
	v_lshlrev_b32_e32 v7, 16, v9
	v_lshlrev_b32_e32 v8, 16, v13
	v_add_f32_e32 v7, v7, v8
	v_add_f32_e32 v6, v7, v6
	;; [unrolled: 1-line block ×3, first 2 shown]
	v_and_b32_e32 v6, 0xffff0000, v2
	v_lshlrev_b32_e32 v2, 16, v2
	v_mul_f32_e32 v6, v14, v6
	v_mul_f32_e32 v2, v18, v2
	v_and_b32_e32 v7, 0xffff0000, v3
	v_lshlrev_b32_e32 v3, 16, v3
	v_cvt_pk_bf16_f32 v6, v6, s0
	v_cvt_pk_bf16_f32 v2, v2, s0
	v_mul_f32_e32 v7, v15, v7
	v_mul_f32_e32 v3, v19, v3
	v_cvt_pk_bf16_f32 v7, v7, s0
	v_cvt_pk_bf16_f32 v3, v3, s0
	v_and_b32_e32 v8, 0xffff0000, v4
	v_lshlrev_b32_e32 v4, 16, v4
	v_lshlrev_b32_e32 v2, 16, v2
	;; [unrolled: 1-line block ×3, first 2 shown]
	v_mul_f32_e32 v8, v16, v8
	v_mul_f32_e32 v4, v20, v4
	v_add_f32_e32 v2, v2, v6
	v_lshlrev_b32_e32 v3, 16, v3
	v_lshlrev_b32_e32 v6, 16, v7
	v_cvt_pk_bf16_f32 v8, v8, s0
	v_cvt_pk_bf16_f32 v4, v4, s0
	v_and_b32_e32 v9, 0xffff0000, v5
	v_lshlrev_b32_e32 v5, 16, v5
	v_add_f32_e32 v3, v3, v6
	v_mul_f32_e32 v5, v21, v5
	v_add_f32_e32 v2, v3, v2
	v_lshlrev_b32_e32 v3, 16, v4
	v_lshlrev_b32_e32 v4, 16, v8
	v_cvt_pk_bf16_f32 v5, v5, s0
	v_add_f32_e32 v3, v3, v4
	v_add_f32_e32 v2, v3, v2
	v_lshlrev_b32_e32 v3, 16, v5
	s_waitcnt vmcnt(0)
	v_and_b32_e32 v5, 0xffff0000, v27
	v_mul_f32_e32 v5, v15, v5
	v_mul_f32_e32 v9, v17, v9
	v_cvt_pk_bf16_f32 v6, v5, s0
	v_lshlrev_b32_e32 v5, 16, v28
	v_cvt_pk_bf16_f32 v9, v9, s0
	v_mul_f32_e32 v5, v20, v5
	v_lshlrev_b32_e32 v4, 16, v9
	v_cvt_pk_bf16_f32 v7, v5, s0
	v_and_b32_e32 v5, 0xffff0000, v28
	v_add_f32_e32 v3, v3, v4
	v_mul_f32_e32 v5, v16, v5
	v_add_f32_e32 v2, v3, v2
	v_cvt_pk_bf16_f32 v8, v5, s0
	v_lshlrev_b32_e32 v5, 16, v29
	v_add_f32_e32 v48, v48, v2
	v_lshlrev_b32_e32 v2, 16, v26
	v_and_b32_e32 v3, 0xffff0000, v26
	v_lshlrev_b32_e32 v4, 16, v27
	v_mul_f32_e32 v5, v21, v5
	v_mul_f32_e32 v2, v18, v2
	;; [unrolled: 1-line block ×4, first 2 shown]
	v_cvt_pk_bf16_f32 v9, v5, s0
	v_and_b32_e32 v5, 0xffff0000, v29
	v_cvt_pk_bf16_f32 v2, v2, s0
	v_cvt_pk_bf16_f32 v3, v3, s0
	;; [unrolled: 1-line block ×3, first 2 shown]
	v_mul_f32_e32 v5, v17, v5
	v_cvt_pk_bf16_f32 v10, v5, s0
	v_lshlrev_b32_e32 v3, 16, v3
	v_lshlrev_b32_e32 v5, 16, v2
	;; [unrolled: 1-line block ×4, first 2 shown]
	v_pk_add_f32 v[2:3], v[4:5], v[2:3]
	v_lshlrev_b32_e32 v5, 16, v8
	v_lshlrev_b32_e32 v7, 16, v7
	;; [unrolled: 1-line block ×4, first 2 shown]
	v_pk_add_f32 v[4:5], v[6:7], v[4:5]
	v_add_f32_e32 v2, v2, v3
	v_add_f32_e32 v2, v5, v2
	v_add_u32_e32 v1, 2, v1
	v_add_f32_e32 v2, v4, v2
	v_cmp_le_i32_e32 vcc, s17, v1
	v_add_f32_e32 v43, v43, v2
	v_add_u32_e32 v60, 64, v60
	v_add_u32_e32 v61, 0x100, v61
	s_or_b64 s[6:7], vcc, s[6:7]
	v_lshl_add_u64 v[54:55], v[54:55], 0, 8
	s_andn2_b64 exec, exec, s[6:7]
	s_cbranch_execz .LBB159_56
.LBB159_40:                             ; =>This Inner Loop Header: Depth=1
	global_load_dword v2, v[54:55], off
	v_add_u32_e32 v67, 1, v60
	v_or_b32_e32 v65, 3, v60
	v_or_b32_e32 v66, 2, v60
	;; [unrolled: 1-line block ×6, first 2 shown]
	s_waitcnt vmcnt(0)
	v_mad_i64_i32 v[2:3], s[0:1], v2, s26, 0
	v_lshl_add_u64 v[26:27], v[2:3], 1, v[52:53]
	global_load_dwordx4 v[2:5], v[26:27], off
	ds_read2_b64 v[18:21], v61 offset1:1
	ds_read2_b64 v[14:17], v61 offset0:2 offset1:3
	v_cmp_eq_u32_e64 s[0:1], s14, v1
	s_and_saveexec_b64 s[12:13], s[0:1]
	s_cbranch_execnz .LBB159_53
; %bb.41:                               ;   in Loop: Header=BB159_40 Depth=1
	s_or_b64 exec, exec, s[12:13]
	global_load_dwordx4 v[6:9], v[26:27], off offset:1024
	s_and_saveexec_b64 s[12:13], s[0:1]
	s_cbranch_execnz .LBB159_54
.LBB159_42:                             ;   in Loop: Header=BB159_40 Depth=1
	s_or_b64 exec, exec, s[12:13]
	global_load_dwordx4 v[10:13], v[26:27], off offset:2048
	s_and_saveexec_b64 s[12:13], s[0:1]
	s_cbranch_execnz .LBB159_55
.LBB159_43:                             ;   in Loop: Header=BB159_40 Depth=1
	s_or_b64 exec, exec, s[12:13]
	global_load_dwordx4 v[22:25], v[26:27], off offset:3072
	s_and_saveexec_b64 s[12:13], s[0:1]
	s_cbranch_execz .LBB159_45
.LBB159_44:                             ;   in Loop: Header=BB159_40 Depth=1
	v_cmp_gt_i32_e32 vcc, s15, v67
	v_cmp_gt_i32_e64 s[2:3], s33, v66
	s_waitcnt vmcnt(0)
	v_cndmask_b32_sdwa v28, v51, v22, vcc dst_sel:DWORD dst_unused:UNUSED_PAD src0_sel:DWORD src1_sel:WORD_1
	v_cmp_gt_i32_e32 vcc, s33, v60
	s_nop 1
	v_cndmask_b32_e32 v22, 0, v22, vcc
	v_cmp_gt_i32_e32 vcc, s15, v65
	v_perm_b32 v22, v28, v22, s20
	v_cndmask_b32_e64 v28, 0, v23, s[2:3]
	v_cndmask_b32_sdwa v23, v51, v23, vcc dst_sel:DWORD dst_unused:UNUSED_PAD src0_sel:DWORD src1_sel:WORD_1
	v_cmp_gt_i32_e32 vcc, s15, v63
	v_cmp_gt_i32_e64 s[2:3], s33, v64
	v_perm_b32 v23, v23, v28, s20
	s_nop 0
	v_cndmask_b32_e64 v28, 0, v24, s[2:3]
	v_cndmask_b32_sdwa v24, v51, v24, vcc dst_sel:DWORD dst_unused:UNUSED_PAD src0_sel:DWORD src1_sel:WORD_1
	v_cmp_gt_i32_e32 vcc, s15, v50
	v_cmp_gt_i32_e64 s[2:3], s33, v62
	v_perm_b32 v24, v24, v28, s20
	s_nop 0
	v_cndmask_b32_e64 v28, 0, v25, s[2:3]
	v_cndmask_b32_sdwa v25, v51, v25, vcc dst_sel:DWORD dst_unused:UNUSED_PAD src0_sel:DWORD src1_sel:WORD_1
	v_perm_b32 v25, v25, v28, s20
.LBB159_45:                             ;   in Loop: Header=BB159_40 Depth=1
	s_or_b64 exec, exec, s[12:13]
	v_add_co_u32_e32 v28, vcc, 0x1000, v26
	s_nop 1
	v_addc_co_u32_e32 v29, vcc, 0, v27, vcc
	global_load_dwordx4 v[30:33], v[28:29], off
	s_and_saveexec_b64 s[12:13], s[0:1]
	s_cbranch_execz .LBB159_47
; %bb.46:                               ;   in Loop: Header=BB159_40 Depth=1
	v_cmp_gt_i32_e32 vcc, s15, v67
	v_cmp_gt_i32_e64 s[2:3], s33, v66
	s_waitcnt vmcnt(0)
	v_cndmask_b32_sdwa v28, v51, v30, vcc dst_sel:DWORD dst_unused:UNUSED_PAD src0_sel:DWORD src1_sel:WORD_1
	v_cmp_gt_i32_e32 vcc, s33, v60
	s_nop 1
	v_cndmask_b32_e32 v29, 0, v30, vcc
	v_cmp_gt_i32_e32 vcc, s15, v65
	v_perm_b32 v30, v28, v29, s20
	v_cndmask_b32_e64 v28, 0, v31, s[2:3]
	v_cndmask_b32_sdwa v29, v51, v31, vcc dst_sel:DWORD dst_unused:UNUSED_PAD src0_sel:DWORD src1_sel:WORD_1
	v_cmp_gt_i32_e32 vcc, s15, v63
	v_cmp_gt_i32_e64 s[2:3], s33, v64
	v_perm_b32 v31, v29, v28, s20
	v_cndmask_b32_sdwa v29, v51, v32, vcc dst_sel:DWORD dst_unused:UNUSED_PAD src0_sel:DWORD src1_sel:WORD_1
	v_cndmask_b32_e64 v28, 0, v32, s[2:3]
	v_cmp_gt_i32_e32 vcc, s15, v50
	v_cmp_gt_i32_e64 s[2:3], s33, v62
	v_perm_b32 v32, v29, v28, s20
	v_cndmask_b32_sdwa v29, v51, v33, vcc dst_sel:DWORD dst_unused:UNUSED_PAD src0_sel:DWORD src1_sel:WORD_1
	v_cndmask_b32_e64 v28, 0, v33, s[2:3]
	v_perm_b32 v33, v29, v28, s20
.LBB159_47:                             ;   in Loop: Header=BB159_40 Depth=1
	s_or_b64 exec, exec, s[12:13]
	v_add_co_u32_e32 v28, vcc, 0x1000, v26
	s_nop 1
	v_addc_co_u32_e32 v29, vcc, 0, v27, vcc
	global_load_dwordx4 v[34:37], v[28:29], off offset:1024
	s_and_saveexec_b64 s[12:13], s[0:1]
	s_cbranch_execz .LBB159_49
; %bb.48:                               ;   in Loop: Header=BB159_40 Depth=1
	v_cmp_gt_i32_e32 vcc, s15, v67
	v_cmp_gt_i32_e64 s[2:3], s33, v66
	s_waitcnt vmcnt(0)
	v_cndmask_b32_sdwa v28, v51, v34, vcc dst_sel:DWORD dst_unused:UNUSED_PAD src0_sel:DWORD src1_sel:WORD_1
	v_cmp_gt_i32_e32 vcc, s33, v60
	s_nop 1
	v_cndmask_b32_e32 v29, 0, v34, vcc
	v_cmp_gt_i32_e32 vcc, s15, v65
	v_perm_b32 v34, v28, v29, s20
	v_cndmask_b32_e64 v28, 0, v35, s[2:3]
	v_cndmask_b32_sdwa v29, v51, v35, vcc dst_sel:DWORD dst_unused:UNUSED_PAD src0_sel:DWORD src1_sel:WORD_1
	v_cmp_gt_i32_e32 vcc, s15, v63
	v_cmp_gt_i32_e64 s[2:3], s33, v64
	v_perm_b32 v35, v29, v28, s20
	v_cndmask_b32_sdwa v29, v51, v36, vcc dst_sel:DWORD dst_unused:UNUSED_PAD src0_sel:DWORD src1_sel:WORD_1
	v_cndmask_b32_e64 v28, 0, v36, s[2:3]
	v_cmp_gt_i32_e32 vcc, s15, v50
	v_cmp_gt_i32_e64 s[2:3], s33, v62
	v_perm_b32 v36, v29, v28, s20
	v_cndmask_b32_sdwa v29, v51, v37, vcc dst_sel:DWORD dst_unused:UNUSED_PAD src0_sel:DWORD src1_sel:WORD_1
	v_cndmask_b32_e64 v28, 0, v37, s[2:3]
	v_perm_b32 v37, v29, v28, s20
.LBB159_49:                             ;   in Loop: Header=BB159_40 Depth=1
	s_or_b64 exec, exec, s[12:13]
	v_add_co_u32_e32 v28, vcc, 0x1000, v26
	s_nop 1
	v_addc_co_u32_e32 v29, vcc, 0, v27, vcc
	global_load_dwordx4 v[38:41], v[28:29], off offset:2048
	;; [unrolled: 31-line block ×3, first 2 shown]
	s_and_saveexec_b64 s[2:3], s[0:1]
	s_cbranch_execz .LBB159_39
; %bb.52:                               ;   in Loop: Header=BB159_40 Depth=1
	v_cmp_gt_i32_e32 vcc, s15, v67
	v_cmp_gt_i32_e64 s[0:1], s33, v66
	s_waitcnt vmcnt(0)
	v_cndmask_b32_sdwa v67, v51, v26, vcc dst_sel:DWORD dst_unused:UNUSED_PAD src0_sel:DWORD src1_sel:WORD_1
	v_cmp_gt_i32_e32 vcc, s33, v60
	s_nop 1
	v_cndmask_b32_e32 v26, 0, v26, vcc
	v_cmp_gt_i32_e32 vcc, s15, v65
	v_cndmask_b32_e64 v65, 0, v27, s[0:1]
	v_cmp_gt_i32_e64 s[0:1], s33, v64
	v_cndmask_b32_sdwa v27, v51, v27, vcc dst_sel:DWORD dst_unused:UNUSED_PAD src0_sel:DWORD src1_sel:WORD_1
	v_cmp_gt_i32_e32 vcc, s15, v63
	v_cndmask_b32_e64 v63, 0, v28, s[0:1]
	v_cmp_gt_i32_e64 s[0:1], s33, v62
	v_cndmask_b32_sdwa v28, v51, v28, vcc dst_sel:DWORD dst_unused:UNUSED_PAD src0_sel:DWORD src1_sel:WORD_1
	v_cmp_gt_i32_e32 vcc, s15, v50
	v_cndmask_b32_e64 v50, 0, v29, s[0:1]
	v_perm_b32 v26, v67, v26, s20
	v_cndmask_b32_sdwa v29, v51, v29, vcc dst_sel:DWORD dst_unused:UNUSED_PAD src0_sel:DWORD src1_sel:WORD_1
	v_perm_b32 v27, v27, v65, s20
	v_perm_b32 v28, v28, v63, s20
	;; [unrolled: 1-line block ×3, first 2 shown]
	s_branch .LBB159_39
.LBB159_53:                             ;   in Loop: Header=BB159_40 Depth=1
	v_cmp_gt_i32_e32 vcc, s15, v67
	v_cmp_gt_i32_e64 s[2:3], s33, v66
	s_waitcnt vmcnt(0)
	v_cndmask_b32_sdwa v6, v51, v2, vcc dst_sel:DWORD dst_unused:UNUSED_PAD src0_sel:DWORD src1_sel:WORD_1
	v_cmp_gt_i32_e32 vcc, s33, v60
	s_nop 1
	v_cndmask_b32_e32 v2, 0, v2, vcc
	v_cmp_gt_i32_e32 vcc, s15, v65
	v_perm_b32 v2, v6, v2, s20
	v_cndmask_b32_e64 v6, 0, v3, s[2:3]
	v_cndmask_b32_sdwa v3, v51, v3, vcc dst_sel:DWORD dst_unused:UNUSED_PAD src0_sel:DWORD src1_sel:WORD_1
	v_cmp_gt_i32_e32 vcc, s15, v63
	v_cmp_gt_i32_e64 s[2:3], s33, v64
	v_perm_b32 v3, v3, v6, s20
	s_nop 0
	v_cndmask_b32_e64 v6, 0, v4, s[2:3]
	v_cndmask_b32_sdwa v4, v51, v4, vcc dst_sel:DWORD dst_unused:UNUSED_PAD src0_sel:DWORD src1_sel:WORD_1
	v_cmp_gt_i32_e32 vcc, s15, v50
	v_cmp_gt_i32_e64 s[2:3], s33, v62
	v_perm_b32 v4, v4, v6, s20
	s_nop 0
	v_cndmask_b32_e64 v6, 0, v5, s[2:3]
	v_cndmask_b32_sdwa v5, v51, v5, vcc dst_sel:DWORD dst_unused:UNUSED_PAD src0_sel:DWORD src1_sel:WORD_1
	v_perm_b32 v5, v5, v6, s20
	s_or_b64 exec, exec, s[12:13]
	global_load_dwordx4 v[6:9], v[26:27], off offset:1024
	s_and_saveexec_b64 s[12:13], s[0:1]
	s_cbranch_execz .LBB159_42
.LBB159_54:                             ;   in Loop: Header=BB159_40 Depth=1
	v_cmp_gt_i32_e32 vcc, s15, v67
	v_cmp_gt_i32_e64 s[2:3], s33, v66
	s_waitcnt vmcnt(0)
	v_cndmask_b32_sdwa v10, v51, v6, vcc dst_sel:DWORD dst_unused:UNUSED_PAD src0_sel:DWORD src1_sel:WORD_1
	v_cmp_gt_i32_e32 vcc, s33, v60
	s_nop 1
	v_cndmask_b32_e32 v6, 0, v6, vcc
	v_cmp_gt_i32_e32 vcc, s15, v65
	v_perm_b32 v6, v10, v6, s20
	v_cndmask_b32_e64 v10, 0, v7, s[2:3]
	v_cndmask_b32_sdwa v7, v51, v7, vcc dst_sel:DWORD dst_unused:UNUSED_PAD src0_sel:DWORD src1_sel:WORD_1
	v_cmp_gt_i32_e32 vcc, s15, v63
	v_cmp_gt_i32_e64 s[2:3], s33, v64
	v_perm_b32 v7, v7, v10, s20
	s_nop 0
	v_cndmask_b32_e64 v10, 0, v8, s[2:3]
	v_cndmask_b32_sdwa v8, v51, v8, vcc dst_sel:DWORD dst_unused:UNUSED_PAD src0_sel:DWORD src1_sel:WORD_1
	v_cmp_gt_i32_e32 vcc, s15, v50
	v_cmp_gt_i32_e64 s[2:3], s33, v62
	v_perm_b32 v8, v8, v10, s20
	s_nop 0
	v_cndmask_b32_e64 v10, 0, v9, s[2:3]
	v_cndmask_b32_sdwa v9, v51, v9, vcc dst_sel:DWORD dst_unused:UNUSED_PAD src0_sel:DWORD src1_sel:WORD_1
	v_perm_b32 v9, v9, v10, s20
	s_or_b64 exec, exec, s[12:13]
	global_load_dwordx4 v[10:13], v[26:27], off offset:2048
	s_and_saveexec_b64 s[12:13], s[0:1]
	s_cbranch_execz .LBB159_43
.LBB159_55:                             ;   in Loop: Header=BB159_40 Depth=1
	v_cmp_gt_i32_e32 vcc, s15, v67
	v_cmp_gt_i32_e64 s[2:3], s33, v66
	s_waitcnt vmcnt(0)
	v_cndmask_b32_sdwa v22, v51, v10, vcc dst_sel:DWORD dst_unused:UNUSED_PAD src0_sel:DWORD src1_sel:WORD_1
	v_cmp_gt_i32_e32 vcc, s33, v60
	s_nop 1
	v_cndmask_b32_e32 v10, 0, v10, vcc
	v_cmp_gt_i32_e32 vcc, s15, v65
	v_perm_b32 v10, v22, v10, s20
	v_cndmask_b32_e64 v22, 0, v11, s[2:3]
	v_cndmask_b32_sdwa v11, v51, v11, vcc dst_sel:DWORD dst_unused:UNUSED_PAD src0_sel:DWORD src1_sel:WORD_1
	v_cmp_gt_i32_e32 vcc, s15, v63
	v_cmp_gt_i32_e64 s[2:3], s33, v64
	v_perm_b32 v11, v11, v22, s20
	s_nop 0
	v_cndmask_b32_e64 v22, 0, v12, s[2:3]
	v_cndmask_b32_sdwa v12, v51, v12, vcc dst_sel:DWORD dst_unused:UNUSED_PAD src0_sel:DWORD src1_sel:WORD_1
	v_cmp_gt_i32_e32 vcc, s15, v50
	v_cmp_gt_i32_e64 s[2:3], s33, v62
	v_perm_b32 v12, v12, v22, s20
	s_nop 0
	v_cndmask_b32_e64 v22, 0, v13, s[2:3]
	v_cndmask_b32_sdwa v13, v51, v13, vcc dst_sel:DWORD dst_unused:UNUSED_PAD src0_sel:DWORD src1_sel:WORD_1
	v_perm_b32 v13, v13, v22, s20
	s_or_b64 exec, exec, s[12:13]
	global_load_dwordx4 v[22:25], v[26:27], off offset:3072
	s_and_saveexec_b64 s[12:13], s[0:1]
	s_cbranch_execnz .LBB159_44
	s_branch .LBB159_45
.LBB159_56:
	s_or_b64 exec, exec, s[6:7]
.LBB159_57:
	s_or_b64 exec, exec, s[8:9]
	ds_bpermute_b32 v2, v57, v48
	ds_bpermute_b32 v3, v57, v49
	;; [unrolled: 1-line block ×6, first 2 shown]
	s_waitcnt lgkmcnt(4)
	v_pk_add_f32 v[2:3], v[48:49], v[2:3]
	ds_bpermute_b32 v8, v58, v2
	ds_bpermute_b32 v9, v58, v3
	s_waitcnt lgkmcnt(4)
	v_pk_add_f32 v[4:5], v[46:47], v[4:5]
	ds_bpermute_b32 v16, v57, v42
	ds_bpermute_b32 v17, v57, v43
	;; [unrolled: 1-line block ×4, first 2 shown]
	s_waitcnt lgkmcnt(6)
	v_pk_add_f32 v[12:13], v[44:45], v[6:7]
	ds_bpermute_b32 v14, v58, v12
	ds_bpermute_b32 v15, v58, v13
	s_waitcnt lgkmcnt(6)
	v_pk_add_f32 v[6:7], v[2:3], v[8:9]
	s_waitcnt lgkmcnt(4)
	v_pk_add_f32 v[8:9], v[42:43], v[16:17]
	;; [unrolled: 2-line block ×3, first 2 shown]
	ds_bpermute_b32 v10, v58, v8
	ds_bpermute_b32 v11, v58, v9
	v_and_b32_e32 v1, 0x3c3, v0
	s_waitcnt lgkmcnt(2)
	v_pk_add_f32 v[2:3], v[12:13], v[14:15]
	v_cmp_ne_u32_e32 vcc, 64, v1
	s_waitcnt lgkmcnt(0)
	s_barrier
	s_and_saveexec_b64 s[0:1], vcc
	s_xor_b64 s[0:1], exec, s[0:1]
; %bb.58:
                                        ; implicit-def: $vgpr56
; %bb.59:
	s_or_saveexec_b64 s[0:1], s[0:1]
	v_pk_add_f32 v[8:9], v[8:9], v[10:11]
	s_xor_b64 exec, exec, s[0:1]
	s_cbranch_execz .LBB159_61
; %bb.60:
	v_add_u32_e32 v10, 0x110, v56
	ds_write2_b32 v10, v6, v7 offset1:16
	ds_write2_b32 v10, v4, v5 offset0:32 offset1:48
	ds_write2_b32 v10, v2, v3 offset0:64 offset1:80
	;; [unrolled: 1-line block ×3, first 2 shown]
.LBB159_61:
	s_or_b64 exec, exec, s[0:1]
	v_cmp_gt_u32_e32 vcc, 64, v0
	v_lshrrev_b32_e32 v0, 2, v0
	s_waitcnt lgkmcnt(0)
	s_barrier
	s_and_saveexec_b64 s[0:1], vcc
	s_cbranch_execz .LBB159_72
; %bb.62:
	v_mov_b32_e32 v10, 0x110
	v_cmp_eq_u32_e32 vcc, 0, v59
	v_lshl_add_u32 v10, v0, 2, v10
	s_and_saveexec_b64 s[2:3], vcc
	s_cbranch_execnz .LBB159_75
; %bb.63:
	s_or_b64 exec, exec, s[2:3]
	s_and_saveexec_b64 s[2:3], vcc
	s_cbranch_execnz .LBB159_76
.LBB159_64:
	s_or_b64 exec, exec, s[2:3]
	s_and_saveexec_b64 s[2:3], vcc
	s_cbranch_execnz .LBB159_77
.LBB159_65:
	s_or_b64 exec, exec, s[2:3]
	s_and_saveexec_b64 s[2:3], vcc
	s_cbranch_execnz .LBB159_78
.LBB159_66:
	s_or_b64 exec, exec, s[2:3]
	s_and_saveexec_b64 s[2:3], vcc
	s_cbranch_execnz .LBB159_79
.LBB159_67:
	s_or_b64 exec, exec, s[2:3]
	s_and_saveexec_b64 s[2:3], vcc
	s_cbranch_execnz .LBB159_80
.LBB159_68:
	s_or_b64 exec, exec, s[2:3]
	s_and_saveexec_b64 s[2:3], vcc
	s_cbranch_execnz .LBB159_81
.LBB159_69:
	s_or_b64 exec, exec, s[2:3]
	s_and_saveexec_b64 s[2:3], vcc
	s_cbranch_execz .LBB159_71
.LBB159_70:
	ds_read_b32 v10, v10 offset:448
	s_waitcnt lgkmcnt(0)
	v_add_f32_e32 v9, v9, v10
.LBB159_71:
	s_or_b64 exec, exec, s[2:3]
.LBB159_72:
	s_or_b64 exec, exec, s[0:1]
	v_cmp_eq_u32_e32 vcc, 0, v1
	s_barrier
	s_and_saveexec_b64 s[0:1], vcc
	s_cbranch_execz .LBB159_74
; %bb.73:
	s_mul_i32 s0, s10, s11
	s_mul_i32 s0, s0, s5
	s_lshl_b32 s0, s0, 7
	s_ashr_i32 s1, s0, 31
	s_lshl_b64 s[0:1], s[0:1], 1
	s_add_u32 s2, s18, s0
	s_mul_i32 s0, s11, s16
	s_addc_u32 s3, s19, s1
	s_ashr_i32 s1, s0, 31
	s_lshl_b64 s[0:1], s[0:1], 1
	s_add_u32 s2, s2, s0
	s_addc_u32 s3, s3, s1
	s_lshl_b32 s0, s4, 7
	s_ashr_i32 s1, s0, 31
	s_lshl_b64 s[0:1], s[0:1], 1
	s_add_u32 s0, s2, s0
	s_addc_u32 s1, s3, s1
	v_lshlrev_b32_e32 v0, 1, v0
	v_cvt_pk_bf16_f32 v1, v6, s0
	global_store_short v0, v1, s[0:1]
	v_cvt_pk_bf16_f32 v1, v7, s0
	global_store_short v0, v1, s[0:1] offset:32
	v_cvt_pk_bf16_f32 v1, v4, s0
	global_store_short v0, v1, s[0:1] offset:64
	;; [unrolled: 2-line block ×7, first 2 shown]
.LBB159_74:
	s_endpgm
.LBB159_75:
	ds_read_b32 v11, v10
	s_waitcnt lgkmcnt(0)
	v_add_f32_e32 v6, v6, v11
	s_or_b64 exec, exec, s[2:3]
	s_and_saveexec_b64 s[2:3], vcc
	s_cbranch_execz .LBB159_64
.LBB159_76:
	ds_read_b32 v11, v10 offset:64
	s_waitcnt lgkmcnt(0)
	v_add_f32_e32 v7, v7, v11
	s_or_b64 exec, exec, s[2:3]
	s_and_saveexec_b64 s[2:3], vcc
	s_cbranch_execz .LBB159_65
.LBB159_77:
	ds_read_b32 v11, v10 offset:128
	s_waitcnt lgkmcnt(0)
	v_add_f32_e32 v4, v4, v11
	s_or_b64 exec, exec, s[2:3]
	s_and_saveexec_b64 s[2:3], vcc
	s_cbranch_execz .LBB159_66
.LBB159_78:
	ds_read_b32 v11, v10 offset:192
	s_waitcnt lgkmcnt(0)
	v_add_f32_e32 v5, v5, v11
	s_or_b64 exec, exec, s[2:3]
	s_and_saveexec_b64 s[2:3], vcc
	s_cbranch_execz .LBB159_67
.LBB159_79:
	ds_read_b32 v11, v10 offset:256
	s_waitcnt lgkmcnt(0)
	v_add_f32_e32 v2, v2, v11
	s_or_b64 exec, exec, s[2:3]
	s_and_saveexec_b64 s[2:3], vcc
	s_cbranch_execz .LBB159_68
.LBB159_80:
	ds_read_b32 v11, v10 offset:320
	s_waitcnt lgkmcnt(0)
	v_add_f32_e32 v3, v3, v11
	s_or_b64 exec, exec, s[2:3]
	s_and_saveexec_b64 s[2:3], vcc
	s_cbranch_execz .LBB159_69
.LBB159_81:
	ds_read_b32 v11, v10 offset:384
	s_waitcnt lgkmcnt(0)
	v_add_f32_e32 v8, v8, v11
	s_or_b64 exec, exec, s[2:3]
	s_and_saveexec_b64 s[2:3], vcc
	s_cbranch_execnz .LBB159_70
	s_branch .LBB159_71
	.section	.rodata,"a",@progbits
	.p2align	6, 0x0
	.amdhsa_kernel _ZN4vllm25paged_attention_v1_kernelI14__hip_bfloat16S1_Li128ELi32ELi128ELNS_18Fp8KVCacheDataTypeE0ELb0EEEvPT_PKS3_PKT0_S9_ifPKiSB_iPKfiiiSD_SD_iiiii
		.amdhsa_group_segment_fixed_size 272
		.amdhsa_private_segment_fixed_size 0
		.amdhsa_kernarg_size 384
		.amdhsa_user_sgpr_count 2
		.amdhsa_user_sgpr_dispatch_ptr 0
		.amdhsa_user_sgpr_queue_ptr 0
		.amdhsa_user_sgpr_kernarg_segment_ptr 1
		.amdhsa_user_sgpr_dispatch_id 0
		.amdhsa_user_sgpr_kernarg_preload_length 0
		.amdhsa_user_sgpr_kernarg_preload_offset 0
		.amdhsa_user_sgpr_private_segment_size 0
		.amdhsa_uses_dynamic_stack 0
		.amdhsa_enable_private_segment 0
		.amdhsa_system_sgpr_workgroup_id_x 1
		.amdhsa_system_sgpr_workgroup_id_y 1
		.amdhsa_system_sgpr_workgroup_id_z 1
		.amdhsa_system_sgpr_workgroup_info 0
		.amdhsa_system_vgpr_workitem_id 0
		.amdhsa_next_free_vgpr 116
		.amdhsa_next_free_sgpr 35
		.amdhsa_accum_offset 116
		.amdhsa_reserve_vcc 1
		.amdhsa_float_round_mode_32 0
		.amdhsa_float_round_mode_16_64 0
		.amdhsa_float_denorm_mode_32 3
		.amdhsa_float_denorm_mode_16_64 3
		.amdhsa_dx10_clamp 1
		.amdhsa_ieee_mode 1
		.amdhsa_fp16_overflow 0
		.amdhsa_tg_split 0
		.amdhsa_exception_fp_ieee_invalid_op 0
		.amdhsa_exception_fp_denorm_src 0
		.amdhsa_exception_fp_ieee_div_zero 0
		.amdhsa_exception_fp_ieee_overflow 0
		.amdhsa_exception_fp_ieee_underflow 0
		.amdhsa_exception_fp_ieee_inexact 0
		.amdhsa_exception_int_div_zero 0
	.end_amdhsa_kernel
	.section	.text._ZN4vllm25paged_attention_v1_kernelI14__hip_bfloat16S1_Li128ELi32ELi128ELNS_18Fp8KVCacheDataTypeE0ELb0EEEvPT_PKS3_PKT0_S9_ifPKiSB_iPKfiiiSD_SD_iiiii,"axG",@progbits,_ZN4vllm25paged_attention_v1_kernelI14__hip_bfloat16S1_Li128ELi32ELi128ELNS_18Fp8KVCacheDataTypeE0ELb0EEEvPT_PKS3_PKT0_S9_ifPKiSB_iPKfiiiSD_SD_iiiii,comdat
.Lfunc_end159:
	.size	_ZN4vllm25paged_attention_v1_kernelI14__hip_bfloat16S1_Li128ELi32ELi128ELNS_18Fp8KVCacheDataTypeE0ELb0EEEvPT_PKS3_PKT0_S9_ifPKiSB_iPKfiiiSD_SD_iiiii, .Lfunc_end159-_ZN4vllm25paged_attention_v1_kernelI14__hip_bfloat16S1_Li128ELi32ELi128ELNS_18Fp8KVCacheDataTypeE0ELb0EEEvPT_PKS3_PKT0_S9_ifPKiSB_iPKfiiiSD_SD_iiiii
                                        ; -- End function
	.set _ZN4vllm25paged_attention_v1_kernelI14__hip_bfloat16S1_Li128ELi32ELi128ELNS_18Fp8KVCacheDataTypeE0ELb0EEEvPT_PKS3_PKT0_S9_ifPKiSB_iPKfiiiSD_SD_iiiii.num_vgpr, 116
	.set _ZN4vllm25paged_attention_v1_kernelI14__hip_bfloat16S1_Li128ELi32ELi128ELNS_18Fp8KVCacheDataTypeE0ELb0EEEvPT_PKS3_PKT0_S9_ifPKiSB_iPKfiiiSD_SD_iiiii.num_agpr, 0
	.set _ZN4vllm25paged_attention_v1_kernelI14__hip_bfloat16S1_Li128ELi32ELi128ELNS_18Fp8KVCacheDataTypeE0ELb0EEEvPT_PKS3_PKT0_S9_ifPKiSB_iPKfiiiSD_SD_iiiii.numbered_sgpr, 35
	.set _ZN4vllm25paged_attention_v1_kernelI14__hip_bfloat16S1_Li128ELi32ELi128ELNS_18Fp8KVCacheDataTypeE0ELb0EEEvPT_PKS3_PKT0_S9_ifPKiSB_iPKfiiiSD_SD_iiiii.num_named_barrier, 0
	.set _ZN4vllm25paged_attention_v1_kernelI14__hip_bfloat16S1_Li128ELi32ELi128ELNS_18Fp8KVCacheDataTypeE0ELb0EEEvPT_PKS3_PKT0_S9_ifPKiSB_iPKfiiiSD_SD_iiiii.private_seg_size, 0
	.set _ZN4vllm25paged_attention_v1_kernelI14__hip_bfloat16S1_Li128ELi32ELi128ELNS_18Fp8KVCacheDataTypeE0ELb0EEEvPT_PKS3_PKT0_S9_ifPKiSB_iPKfiiiSD_SD_iiiii.uses_vcc, 1
	.set _ZN4vllm25paged_attention_v1_kernelI14__hip_bfloat16S1_Li128ELi32ELi128ELNS_18Fp8KVCacheDataTypeE0ELb0EEEvPT_PKS3_PKT0_S9_ifPKiSB_iPKfiiiSD_SD_iiiii.uses_flat_scratch, 0
	.set _ZN4vllm25paged_attention_v1_kernelI14__hip_bfloat16S1_Li128ELi32ELi128ELNS_18Fp8KVCacheDataTypeE0ELb0EEEvPT_PKS3_PKT0_S9_ifPKiSB_iPKfiiiSD_SD_iiiii.has_dyn_sized_stack, 0
	.set _ZN4vllm25paged_attention_v1_kernelI14__hip_bfloat16S1_Li128ELi32ELi128ELNS_18Fp8KVCacheDataTypeE0ELb0EEEvPT_PKS3_PKT0_S9_ifPKiSB_iPKfiiiSD_SD_iiiii.has_recursion, 0
	.set _ZN4vllm25paged_attention_v1_kernelI14__hip_bfloat16S1_Li128ELi32ELi128ELNS_18Fp8KVCacheDataTypeE0ELb0EEEvPT_PKS3_PKT0_S9_ifPKiSB_iPKfiiiSD_SD_iiiii.has_indirect_call, 0
	.section	.AMDGPU.csdata,"",@progbits
; Kernel info:
; codeLenInByte = 8116
; TotalNumSgprs: 41
; NumVgprs: 116
; NumAgprs: 0
; TotalNumVgprs: 116
; ScratchSize: 0
; MemoryBound: 0
; FloatMode: 240
; IeeeMode: 1
; LDSByteSize: 272 bytes/workgroup (compile time only)
; SGPRBlocks: 5
; VGPRBlocks: 14
; NumSGPRsForWavesPerEU: 41
; NumVGPRsForWavesPerEU: 116
; AccumOffset: 116
; Occupancy: 4
; WaveLimiterHint : 1
; COMPUTE_PGM_RSRC2:SCRATCH_EN: 0
; COMPUTE_PGM_RSRC2:USER_SGPR: 2
; COMPUTE_PGM_RSRC2:TRAP_HANDLER: 0
; COMPUTE_PGM_RSRC2:TGID_X_EN: 1
; COMPUTE_PGM_RSRC2:TGID_Y_EN: 1
; COMPUTE_PGM_RSRC2:TGID_Z_EN: 1
; COMPUTE_PGM_RSRC2:TIDIG_COMP_CNT: 0
; COMPUTE_PGM_RSRC3_GFX90A:ACCUM_OFFSET: 28
; COMPUTE_PGM_RSRC3_GFX90A:TG_SPLIT: 0
	.section	.text._ZN4vllm25paged_attention_v1_kernelI14__hip_bfloat16S1_Li192ELi32ELi128ELNS_18Fp8KVCacheDataTypeE0ELb0EEEvPT_PKS3_PKT0_S9_ifPKiSB_iPKfiiiSD_SD_iiiii,"axG",@progbits,_ZN4vllm25paged_attention_v1_kernelI14__hip_bfloat16S1_Li192ELi32ELi128ELNS_18Fp8KVCacheDataTypeE0ELb0EEEvPT_PKS3_PKT0_S9_ifPKiSB_iPKfiiiSD_SD_iiiii,comdat
	.protected	_ZN4vllm25paged_attention_v1_kernelI14__hip_bfloat16S1_Li192ELi32ELi128ELNS_18Fp8KVCacheDataTypeE0ELb0EEEvPT_PKS3_PKT0_S9_ifPKiSB_iPKfiiiSD_SD_iiiii ; -- Begin function _ZN4vllm25paged_attention_v1_kernelI14__hip_bfloat16S1_Li192ELi32ELi128ELNS_18Fp8KVCacheDataTypeE0ELb0EEEvPT_PKS3_PKT0_S9_ifPKiSB_iPKfiiiSD_SD_iiiii
	.globl	_ZN4vllm25paged_attention_v1_kernelI14__hip_bfloat16S1_Li192ELi32ELi128ELNS_18Fp8KVCacheDataTypeE0ELb0EEEvPT_PKS3_PKT0_S9_ifPKiSB_iPKfiiiSD_SD_iiiii
	.p2align	8
	.type	_ZN4vllm25paged_attention_v1_kernelI14__hip_bfloat16S1_Li192ELi32ELi128ELNS_18Fp8KVCacheDataTypeE0ELb0EEEvPT_PKS3_PKT0_S9_ifPKiSB_iPKfiiiSD_SD_iiiii,@function
_ZN4vllm25paged_attention_v1_kernelI14__hip_bfloat16S1_Li192ELi32ELi128ELNS_18Fp8KVCacheDataTypeE0ELb0EEEvPT_PKS3_PKT0_S9_ifPKiSB_iPKfiiiSD_SD_iiiii: ; @_ZN4vllm25paged_attention_v1_kernelI14__hip_bfloat16S1_Li192ELi32ELi128ELNS_18Fp8KVCacheDataTypeE0ELb0EEEvPT_PKS3_PKT0_S9_ifPKiSB_iPKfiiiSD_SD_iiiii
; %bb.0:
	s_load_dword s5, s[0:1], 0x80
	s_load_dwordx2 s[6:7], s[0:1], 0x30
	s_load_dwordx2 s[8:9], s[0:1], 0x20
	s_mov_b32 s10, s3
	s_ashr_i32 s11, s3, 31
	s_lshl_b64 s[12:13], s[10:11], 2
	s_waitcnt lgkmcnt(0)
	s_add_u32 s6, s6, s12
	s_addc_u32 s7, s7, s13
	s_abs_i32 s3, s8
	v_mov_b32_e32 v24, v0
	v_cvt_f32_u32_e32 v0, s3
	s_sub_i32 s12, 0, s3
	s_abs_i32 s11, s5
	s_xor_b32 s8, s5, s8
	v_rcp_iflag_f32_e32 v0, v0
	s_ashr_i32 s8, s8, 31
	v_mul_f32_e32 v0, 0x4f7ffffe, v0
	v_cvt_u32_f32_e32 v0, v0
	s_nop 0
	v_readfirstlane_b32 s13, v0
	s_mul_i32 s12, s12, s13
	s_mul_hi_u32 s12, s13, s12
	s_add_i32 s13, s13, s12
	s_mul_hi_u32 s12, s11, s13
	s_mul_i32 s13, s12, s3
	s_sub_i32 s11, s11, s13
	s_add_i32 s13, s12, 1
	s_sub_i32 s14, s11, s3
	s_cmp_ge_u32 s11, s3
	s_cselect_b32 s12, s13, s12
	s_cselect_b32 s11, s14, s11
	s_add_i32 s13, s12, 1
	s_cmp_ge_u32 s11, s3
	s_cselect_b32 s3, s13, s12
	s_xor_b32 s3, s3, s8
	s_sub_i32 s14, s3, s8
	s_abs_i32 s11, s14
	v_cvt_f32_u32_e32 v0, s11
	s_load_dwordx2 s[12:13], s[0:1], 0x40
	s_sub_i32 s3, 0, s11
	s_abs_i32 s18, s2
	v_rcp_iflag_f32_e32 v0, v0
	s_mov_b32 s8, 0
	v_mul_f32_e32 v0, 0x4f7ffffe, v0
	v_cvt_u32_f32_e32 v0, v0
	s_nop 0
	v_readfirstlane_b32 s15, v0
	s_mul_i32 s3, s3, s15
	s_mul_hi_u32 s3, s15, s3
	s_add_i32 s15, s15, s3
	s_waitcnt lgkmcnt(0)
	s_cmp_eq_u64 s[12:13], 0
	s_mul_hi_u32 s19, s18, s15
	s_cbranch_scc1 .LBB160_2
; %bb.1:
	s_ashr_i32 s3, s2, 31
	s_lshl_b64 s[16:17], s[2:3], 2
	s_add_u32 s12, s12, s16
	s_addc_u32 s13, s13, s17
	s_load_dword s8, s[12:13], 0x0
.LBB160_2:
	s_load_dword s33, s[6:7], 0x0
	s_ashr_i32 s7, s14, 31
	s_load_dwordx4 s[12:15], s[0:1], 0x48
	s_ashr_i32 s6, s2, 31
	v_and_b32_e32 v1, 1, v24
	s_waitcnt lgkmcnt(0)
	s_movk_i32 s15, 0xc0
	s_mul_i32 s16, s2, 0xc0
	v_cmp_gt_u32_e32 vcc, 48, v24
	v_lshlrev_b32_e32 v22, 3, v24
	s_and_saveexec_b64 s[2:3], vcc
	s_cbranch_execz .LBB160_4
; %bb.3:
	s_load_dwordx2 s[20:21], s[0:1], 0x8
	s_mul_i32 s22, s12, s10
	s_ashr_i32 s23, s22, 31
	s_lshl_b64 s[22:23], s[22:23], 1
	v_lshlrev_b32_e32 v0, 2, v24
	s_waitcnt lgkmcnt(0)
	s_add_u32 s12, s20, s22
	s_addc_u32 s22, s21, s23
	s_ashr_i32 s17, s16, 31
	s_lshl_b64 s[20:21], s[16:17], 1
	s_add_u32 s20, s12, s20
	s_addc_u32 s21, s22, s21
	global_load_dwordx2 v[2:3], v22, s[20:21]
	v_and_b32_e32 v0, 0xff8, v0
	v_mad_u32_u24 v0, v1, s15, v0
	s_waitcnt vmcnt(0)
	ds_write_b64 v0, v[2:3]
.LBB160_4:
	s_or_b64 exec, exec, s[2:3]
	s_add_i32 s3, s33, 31
	s_ashr_i32 s12, s3, 31
	s_lshr_b32 s12, s12, 27
	s_add_i32 s3, s3, s12
	s_ashr_i32 s17, s3, 5
	s_xor_b32 s3, s6, s7
	s_mul_i32 s6, s19, s11
	s_sub_i32 s6, s18, s6
	s_add_i32 s7, s19, 1
	s_sub_i32 s12, s6, s11
	s_load_dwordx2 s[20:21], s[0:1], 0x28
	s_load_dword s2, s[0:1], 0x38
	s_cmp_ge_u32 s6, s11
	s_cselect_b32 s7, s7, s19
	s_cselect_b32 s6, s12, s6
	s_add_i32 s12, s7, 1
	s_cmp_ge_u32 s6, s11
	s_cselect_b32 s6, s12, s7
	v_lshrrev_b32_e32 v76, 6, v24
	s_xor_b32 s6, s6, s3
	s_waitcnt lgkmcnt(0)
	s_mul_i32 s22, s2, s10
	s_sub_i32 s12, s6, s3
	s_ashr_i32 s23, s22, 31
	v_cmp_gt_i32_e64 s[6:7], s17, v76
	v_cmp_le_i32_e32 vcc, s17, v76
	v_mbcnt_lo_u32_b32 v4, -1, 0
	s_barrier
                                        ; implicit-def: $vgpr12
                                        ; implicit-def: $vgpr9
                                        ; implicit-def: $vgpr10
	s_and_saveexec_b64 s[2:3], vcc
	s_xor_b64 s[2:3], exec, s[2:3]
; %bb.5:
	v_mbcnt_hi_u32_b32 v12, -1, v4
	v_and_b32_e32 v9, 64, v12
	v_add_u32_e32 v10, 64, v9
                                        ; implicit-def: $vgpr1
                                        ; implicit-def: $vgpr4
; %bb.6:
	s_or_saveexec_b64 s[26:27], s[2:3]
	s_load_dwordx2 s[18:19], s[0:1], 0x0
	s_load_dwordx2 s[24:25], s[0:1], 0x18
	s_load_dword s11, s[0:1], 0x88
	v_mov_b32_e32 v70, 0xff7fffff
	s_mul_i32 s14, s12, s14
	v_lshrrev_b32_e32 v23, 4, v24
	s_xor_b64 exec, exec, s[26:27]
	s_cbranch_execz .LBB160_12
; %bb.7:
	v_mul_u32_u24_e32 v2, 0xc0, v1
	ds_read_b128 v[6:9], v2
	ds_read_b128 v[10:13], v2 offset:16
	ds_read_b128 v[14:17], v2 offset:32
	;; [unrolled: 1-line block ×3, first 2 shown]
	s_load_dwordx2 s[0:1], s[0:1], 0x10
	s_waitcnt lgkmcnt(0)
	v_lshlrev_b32_e32 v0, 16, v6
	scratch_store_dword off, v0, off        ; 4-byte Folded Spill
	v_and_b32_e32 v0, 0xffff0000, v6
	scratch_store_dword off, v0, off offset:4 ; 4-byte Folded Spill
	v_lshlrev_b32_e32 v0, 16, v7
	scratch_store_dword off, v0, off offset:8 ; 4-byte Folded Spill
	v_and_b32_e32 v0, 0xffff0000, v7
	scratch_store_dword off, v0, off offset:12 ; 4-byte Folded Spill
	v_lshlrev_b32_e32 v0, 16, v8
	scratch_store_dword off, v0, off offset:16 ; 4-byte Folded Spill
	;; [unrolled: 4-line block ×4, first 2 shown]
	v_and_b32_e32 v0, 0xffff0000, v10
	scratch_store_dword off, v0, off offset:36 ; 4-byte Folded Spill
	v_lshlrev_b32_e32 v0, 16, v11
	ds_read_b128 v[6:9], v2 offset:64
	scratch_store_dword off, v0, off offset:40 ; 4-byte Folded Spill
	v_and_b32_e32 v0, 0xffff0000, v11
	scratch_store_dword off, v0, off offset:44 ; 4-byte Folded Spill
	v_lshlrev_b32_e32 v0, 16, v12
	scratch_store_dword off, v0, off offset:48 ; 4-byte Folded Spill
	v_and_b32_e32 v0, 0xffff0000, v12
	scratch_store_dword off, v0, off offset:52 ; 4-byte Folded Spill
	v_lshlrev_b32_e32 v0, 16, v13
	scratch_store_dword off, v0, off offset:56 ; 4-byte Folded Spill
	v_and_b32_e32 v0, 0xffff0000, v13
	ds_read_b128 v[10:13], v2 offset:80
	s_waitcnt lgkmcnt(1)
	v_lshlrev_b32_e32 v87, 16, v6
	v_and_b32_e32 v88, 0xffff0000, v6
	v_lshlrev_b32_e32 v89, 16, v7
	v_and_b32_e32 v90, 0xffff0000, v7
	v_lshlrev_b32_e32 v91, 16, v8
	v_and_b32_e32 v92, 0xffff0000, v8
	v_lshlrev_b32_e32 v93, 16, v9
	v_and_b32_e32 v94, 0xffff0000, v9
	ds_read_b128 v[6:9], v2 offset:96
	scratch_store_dword off, v0, off offset:60 ; 4-byte Folded Spill
	v_lshlrev_b32_e32 v0, 16, v14
	scratch_store_dword off, v0, off offset:64 ; 4-byte Folded Spill
	v_and_b32_e32 v0, 0xffff0000, v14
	scratch_store_dword off, v0, off offset:68 ; 4-byte Folded Spill
	v_lshlrev_b32_e32 v0, 16, v15
	scratch_store_dword off, v0, off offset:72 ; 4-byte Folded Spill
	v_and_b32_e32 v0, 0xffff0000, v15
	scratch_store_dword off, v0, off offset:76 ; 4-byte Folded Spill
	v_lshlrev_b32_e32 v0, 16, v16
	s_waitcnt lgkmcnt(1)
	v_lshlrev_b32_e32 v95, 16, v10
	v_and_b32_e32 v96, 0xffff0000, v10
	v_lshlrev_b32_e32 v97, 16, v11
	v_and_b32_e32 v98, 0xffff0000, v11
	;; [unrolled: 2-line block ×4, first 2 shown]
	ds_read_b128 v[10:13], v2 offset:112
	s_waitcnt lgkmcnt(1)
	v_lshlrev_b32_e32 v103, 16, v6
	v_and_b32_e32 v104, 0xffff0000, v6
	v_lshlrev_b32_e32 v105, 16, v7
	v_and_b32_e32 v106, 0xffff0000, v7
	;; [unrolled: 2-line block ×4, first 2 shown]
	ds_read_b128 v[6:9], v2 offset:128
	scratch_store_dword off, v0, off offset:80 ; 4-byte Folded Spill
	v_and_b32_e32 v0, 0xffff0000, v16
	scratch_store_dword off, v0, off offset:84 ; 4-byte Folded Spill
	v_lshlrev_b32_e32 v0, 16, v17
	scratch_store_dword off, v0, off offset:88 ; 4-byte Folded Spill
	v_and_b32_e32 v0, 0xffff0000, v17
	scratch_store_dword off, v0, off offset:92 ; 4-byte Folded Spill
	v_lshlrev_b32_e32 v0, 16, v18
	scratch_store_dword off, v0, off offset:96 ; 4-byte Folded Spill
	v_and_b32_e32 v0, 0xffff0000, v18
	s_waitcnt lgkmcnt(1)
	v_lshlrev_b32_e32 v111, 16, v10
	v_and_b32_e32 v112, 0xffff0000, v10
	v_lshlrev_b32_e32 v113, 16, v11
	v_and_b32_e32 v114, 0xffff0000, v11
	;; [unrolled: 2-line block ×4, first 2 shown]
	ds_read_b128 v[10:13], v2 offset:144
	s_waitcnt lgkmcnt(1)
	v_lshlrev_b32_e32 v119, 16, v6
	v_and_b32_e32 v120, 0xffff0000, v6
	v_lshlrev_b32_e32 v121, 16, v7
	v_and_b32_e32 v122, 0xffff0000, v7
	;; [unrolled: 2-line block ×4, first 2 shown]
	ds_read_b128 v[6:9], v2 offset:160
	scratch_store_dword off, v0, off offset:100 ; 4-byte Folded Spill
	v_lshlrev_b32_e32 v0, 16, v19
	scratch_store_dword off, v0, off offset:104 ; 4-byte Folded Spill
	v_and_b32_e32 v0, 0xffff0000, v19
	s_ashr_i32 s15, s14, 31
	scratch_store_dword off, v0, off offset:108 ; 4-byte Folded Spill
	v_lshlrev_b32_e32 v0, 16, v20
	s_lshl_b64 s[2:3], s[14:15], 1
	scratch_store_dword off, v0, off offset:112 ; 4-byte Folded Spill
	v_and_b32_e32 v0, 0xffff0000, v20
	v_cmp_eq_u32_e32 vcc, 0, v1
	s_add_u32 s0, s0, s2
	v_bfe_u32 v1, v24, 1, 5
	scratch_store_dword off, v0, off offset:116 ; 4-byte Folded Spill
	s_waitcnt lgkmcnt(1)
	v_lshlrev_b32_e32 v127, 16, v10
	v_and_b32_e32 v51, 0xffff0000, v10
	v_lshlrev_b32_e32 v50, 16, v11
	v_and_b32_e32 v81, 0xffff0000, v11
	;; [unrolled: 2-line block ×4, first 2 shown]
	ds_read_b128 v[10:13], v2 offset:176
	s_waitcnt lgkmcnt(1)
	v_lshlrev_b32_e32 v54, 16, v6
	v_and_b32_e32 v55, 0xffff0000, v6
	v_lshlrev_b32_e32 v56, 16, v7
	v_and_b32_e32 v57, 0xffff0000, v7
	s_addc_u32 s1, s1, s3
	v_lshlrev_b32_e32 v6, 4, v1
	v_mov_b32_e32 v7, 0
	v_lshl_add_u64 v[2:3], s[0:1], 0, v[6:7]
	v_and_b32_e32 v6, 8, v22
	v_mbcnt_hi_u32_b32 v5, -1, v4
	v_lshl_add_u64 v[2:3], v[2:3], 0, v[6:7]
	v_and_b32_e32 v6, 64, v5
	v_xor_b32_e32 v4, 1, v5
	scratch_store_dword off, v6, off offset:136 ; 4-byte Folded Spill
	v_add_u32_e32 v6, 64, v6
	v_cmp_lt_i32_e64 s[0:1], v4, v6
	s_sub_i32 s15, 1, s33
	v_lshl_or_b32 v72, v76, 5, v1
	v_cndmask_b32_e64 v4, v5, v4, s[0:1]
	s_lshl_b64 s[0:1], s[22:23], 2
	v_lshlrev_b32_e32 v1, 2, v1
	s_add_u32 s0, s20, s0
	scratch_store_dword off, v6, off offset:140 ; 4-byte Folded Spill
	v_lshl_or_b32 v1, v76, 7, v1
	v_and_b32_e32 v6, 60, v23
	s_addc_u32 s1, s21, s1
	v_lshlrev_b32_e32 v84, 16, v21
	v_and_b32_e32 v85, 0xffff0000, v21
	v_lshlrev_b32_e32 v58, 16, v8
	v_and_b32_e32 v59, 0xffff0000, v8
	;; [unrolled: 2-line block ×3, first 2 shown]
	s_waitcnt lgkmcnt(0)
	v_lshlrev_b32_e32 v62, 16, v10
	v_and_b32_e32 v63, 0xffff0000, v10
	v_lshlrev_b32_e32 v64, 16, v11
	v_and_b32_e32 v65, 0xffff0000, v11
	;; [unrolled: 2-line block ×4, first 2 shown]
	s_mov_b32 s12, s13
	scratch_store_dword off, v5, off offset:132 ; 4-byte Folded Spill
	v_lshlrev_b32_e32 v71, 2, v4
	v_cmp_neq_f32_e64 s[2:3], s8, 0
	v_add_u32_e32 v73, 0x190, v1
	v_lshl_add_u64 v[4:5], s[0:1], 0, v[6:7]
	s_mov_b64 s[28:29], 0
	s_movk_i32 s34, 0x1000
	s_movk_i32 s35, 0x2000
	v_mov_b32_e32 v70, 0xff7fffff
	v_mov_b32_e32 v1, v76
	scratch_store_dword off, v24, off offset:120 ; 4-byte Folded Spill
	scratch_store_dword off, v22, off offset:124 ; 4-byte Folded Spill
	;; [unrolled: 1-line block ×3, first 2 shown]
	s_branch .LBB160_9
.LBB160_8:                              ;   in Loop: Header=BB160_9 Depth=1
	s_or_b64 exec, exec, s[30:31]
	v_add_u32_e32 v1, 2, v1
	v_cmp_le_i32_e64 s[0:1], s17, v1
	v_add_u32_e32 v72, 64, v72
	v_add_u32_e32 v73, 0x100, v73
	s_or_b64 s[28:29], s[0:1], s[28:29]
	v_lshl_add_u64 v[4:5], v[4:5], 0, 8
	s_andn2_b64 exec, exec, s[28:29]
	s_cbranch_execz .LBB160_11
.LBB160_9:                              ; =>This Inner Loop Header: Depth=1
	global_load_dword v6, v[4:5], off
	s_waitcnt vmcnt(0) lgkmcnt(0)
	v_mad_i64_i32 v[6:7], s[0:1], v6, s12, 0
	v_lshl_add_u64 v[6:7], v[6:7], 1, v[2:3]
	global_load_dwordx2 v[74:75], v[6:7], off
	global_load_dwordx2 v[78:79], v[6:7], off offset:512
	global_load_dwordx2 v[48:49], v[6:7], off offset:1024
	;; [unrolled: 1-line block ×7, first 2 shown]
	v_add_co_u32_e64 v8, s[0:1], s34, v6
	s_waitcnt vmcnt(7)
	v_lshlrev_b32_e32 v82, 16, v75
	v_addc_co_u32_e64 v9, s[0:1], 0, v7, s[0:1]
	v_add_co_u32_e64 v6, s[0:1], s35, v6
	v_and_b32_e32 v83, 0xffff0000, v75
	s_nop 0
	v_addc_co_u32_e64 v7, s[0:1], 0, v7, s[0:1]
	global_load_dwordx2 v[36:37], v[6:7], off offset:-4096
	global_load_dwordx2 v[34:35], v[8:9], off offset:512
	global_load_dwordx2 v[32:33], v[8:9], off offset:1024
	;; [unrolled: 1-line block ×7, first 2 shown]
	global_load_dwordx2 v[20:21], v[6:7], off
	global_load_dwordx2 v[18:19], v[6:7], off offset:512
	global_load_dwordx2 v[16:17], v[6:7], off offset:1024
	;; [unrolled: 1-line block ×6, first 2 shown]
	s_nop 0
	global_load_dwordx2 v[6:7], v[6:7], off offset:3584
	v_lshlrev_b32_e32 v77, 16, v74
	scratch_load_dword v75, off, off offset:16 ; 4-byte Folded Reload
	v_and_b32_e32 v80, 0xffff0000, v74
	s_waitcnt vmcnt(23)
	v_lshlrev_b32_e32 v74, 16, v78
	v_and_b32_e32 v78, 0xffff0000, v78
	s_waitcnt vmcnt(0)
	v_mul_f32_e32 v75, v75, v74
	scratch_load_dword v74, off, off        ; 4-byte Folded Reload
	s_waitcnt vmcnt(0)
	v_fmac_f32_e32 v75, v74, v77
	scratch_load_dword v74, off, off offset:20 ; 4-byte Folded Reload
	scratch_load_dword v77, off, off offset:4 ; 4-byte Folded Reload
	s_waitcnt vmcnt(1)
	v_mul_f32_e32 v74, v74, v78
	s_waitcnt vmcnt(0)
	v_fmac_f32_e32 v74, v77, v80
	v_lshlrev_b32_e32 v77, 16, v79
	v_and_b32_e32 v78, 0xffff0000, v79
	scratch_load_dword v79, off, off offset:24 ; 4-byte Folded Reload
	scratch_load_dword v80, off, off offset:32 ; 4-byte Folded Reload
	s_waitcnt vmcnt(1)
	v_mul_f32_e32 v77, v79, v77
	scratch_load_dword v79, off, off offset:8 ; 4-byte Folded Reload
	s_waitcnt vmcnt(0)
	v_fmac_f32_e32 v77, v79, v82
	scratch_load_dword v79, off, off offset:28 ; 4-byte Folded Reload
	s_waitcnt vmcnt(0)
	v_mul_f32_e32 v78, v79, v78
	scratch_load_dword v79, off, off offset:12 ; 4-byte Folded Reload
	s_waitcnt vmcnt(0)
	v_fmac_f32_e32 v78, v79, v83
	v_lshlrev_b32_e32 v79, 16, v48
	v_fmac_f32_e32 v75, v80, v79
	scratch_load_dword v79, off, off offset:36 ; 4-byte Folded Reload
	v_and_b32_e32 v48, 0xffff0000, v48
	s_waitcnt vmcnt(0)
	v_fmac_f32_e32 v74, v79, v48
	scratch_load_dword v79, off, off offset:40 ; 4-byte Folded Reload
	v_lshlrev_b32_e32 v48, 16, v49
	v_and_b32_e32 v49, 0xffff0000, v49
	s_waitcnt vmcnt(0)
	v_fmac_f32_e32 v77, v79, v48
	scratch_load_dword v48, off, off offset:44 ; 4-byte Folded Reload
	s_waitcnt vmcnt(0)
	v_fmac_f32_e32 v78, v48, v49
	scratch_load_dword v49, off, off offset:48 ; 4-byte Folded Reload
	v_lshlrev_b32_e32 v48, 16, v46
	v_and_b32_e32 v46, 0xffff0000, v46
	s_waitcnt vmcnt(0)
	v_fmac_f32_e32 v75, v49, v48
	scratch_load_dword v48, off, off offset:52 ; 4-byte Folded Reload
	;; [unrolled: 8-line block ×10, first 2 shown]
	s_waitcnt vmcnt(0)
	v_fmac_f32_e32 v74, v40, v38
	v_lshlrev_b32_e32 v38, 16, v39
	v_fmac_f32_e32 v77, v84, v38
	v_lshlrev_b32_e32 v38, 16, v36
	v_and_b32_e32 v36, 0xffff0000, v36
	v_fmac_f32_e32 v74, v88, v36
	v_lshlrev_b32_e32 v36, 16, v37
	v_fmac_f32_e32 v77, v89, v36
	v_lshlrev_b32_e32 v36, 16, v34
	v_and_b32_e32 v34, 0xffff0000, v34
	;; [unrolled: 5-line block ×8, first 2 shown]
	v_fmac_f32_e32 v74, v116, v22
	v_lshlrev_b32_e32 v22, 16, v23
	v_and_b32_e32 v39, 0xffff0000, v39
	v_fmac_f32_e32 v75, v87, v38
	v_fmac_f32_e32 v77, v117, v22
	v_lshlrev_b32_e32 v22, 16, v20
	v_and_b32_e32 v20, 0xffff0000, v20
	v_fmac_f32_e32 v78, v85, v39
	v_and_b32_e32 v37, 0xffff0000, v37
	v_fmac_f32_e32 v75, v91, v36
	v_fmac_f32_e32 v74, v120, v20
	v_lshlrev_b32_e32 v20, 16, v21
	v_fmac_f32_e32 v78, v90, v37
	v_and_b32_e32 v35, 0xffff0000, v35
	v_fmac_f32_e32 v75, v95, v34
	v_fmac_f32_e32 v77, v121, v20
	v_lshlrev_b32_e32 v20, 16, v18
	v_and_b32_e32 v18, 0xffff0000, v18
	v_fmac_f32_e32 v78, v94, v35
	v_and_b32_e32 v33, 0xffff0000, v33
	v_fmac_f32_e32 v75, v99, v32
	v_fmac_f32_e32 v74, v124, v18
	v_lshlrev_b32_e32 v18, 16, v19
	v_fmac_f32_e32 v78, v98, v33
	;; [unrolled: 11-line block ×8, first 2 shown]
	v_and_b32_e32 v7, 0xffff0000, v7
	v_fmac_f32_e32 v77, v68, v6
	v_add_f32_e32 v6, v75, v74
	v_fmac_f32_e32 v78, v69, v7
	v_add_f32_e32 v6, v6, v77
	v_add_f32_e32 v6, v78, v6
	ds_bpermute_b32 v7, v71, v6
	s_and_saveexec_b64 s[30:31], vcc
	s_cbranch_execz .LBB160_8
; %bb.10:                               ;   in Loop: Header=BB160_9 Depth=1
	v_add_u32_e32 v8, s15, v72
	v_cvt_f32_i32_e32 v8, v8
	s_waitcnt lgkmcnt(0)
	v_add_f32_e32 v6, v6, v7
	v_cmp_gt_i32_e64 s[0:1], s33, v72
	v_max_f32_e32 v7, v70, v70
	v_mul_f32_e32 v8, s8, v8
	v_cndmask_b32_e64 v8, 0, v8, s[2:3]
	v_fmac_f32_e32 v8, s9, v6
	v_cndmask_b32_e64 v6, 0, v8, s[0:1]
	ds_write_b32 v73, v6
	v_max_f32_e32 v6, v7, v8
	v_cndmask_b32_e64 v70, v70, v6, s[0:1]
	s_branch .LBB160_8
.LBB160_11:
	s_or_b64 exec, exec, s[28:29]
	scratch_load_dword v24, off, off offset:120 ; 4-byte Folded Reload
	scratch_load_dword v22, off, off offset:124 ; 4-byte Folded Reload
	;; [unrolled: 1-line block ×6, first 2 shown]
.LBB160_12:
	s_or_b64 exec, exec, s[26:27]
	s_waitcnt vmcnt(2)
	v_xor_b32_e32 v0, 32, v12
	s_waitcnt vmcnt(0)
	v_cmp_lt_i32_e32 vcc, v0, v10
	v_xor_b32_e32 v3, 16, v12
	v_max_f32_e32 v2, v70, v70
	v_cndmask_b32_e32 v0, v12, v0, vcc
	v_lshlrev_b32_e32 v1, 2, v0
	ds_bpermute_b32 v0, v1, v70
	v_cmp_lt_i32_e32 vcc, v3, v10
	v_xor_b32_e32 v4, 8, v12
	v_xor_b32_e32 v5, 4, v12
	s_waitcnt lgkmcnt(0)
	v_xor_b32_e32 v7, 2, v12
	v_max_f32_e32 v0, v0, v0
	v_max_f32_e32 v0, v2, v0
	v_cndmask_b32_e32 v2, v12, v3, vcc
	v_lshlrev_b32_e32 v2, 2, v2
	ds_bpermute_b32 v3, v2, v0
	v_cmp_lt_i32_e32 vcc, v4, v10
	s_waitcnt lgkmcnt(0)
	v_max_f32_e32 v3, v3, v3
	v_max_f32_e32 v0, v0, v3
	v_cndmask_b32_e32 v3, v12, v4, vcc
	v_lshlrev_b32_e32 v3, 2, v3
	ds_bpermute_b32 v4, v3, v0
	v_cmp_lt_i32_e32 vcc, v5, v10
	s_waitcnt lgkmcnt(0)
	;; [unrolled: 7-line block ×3, first 2 shown]
	v_max_f32_e32 v5, v5, v5
	v_max_f32_e32 v6, v0, v5
	v_cndmask_b32_e32 v0, v12, v7, vcc
	v_lshlrev_b32_e32 v77, 2, v0
	ds_bpermute_b32 v7, v77, v6
	v_and_b32_e32 v0, 63, v24
	v_cmp_eq_u32_e32 vcc, 0, v0
	v_lshlrev_b32_e32 v5, 2, v76
	s_and_saveexec_b64 s[0:1], vcc
	s_cbranch_execz .LBB160_14
; %bb.13:
	s_waitcnt lgkmcnt(0)
	v_max_f32_e32 v7, v7, v7
	v_max_f32_e32 v6, v6, v6
	;; [unrolled: 1-line block ×3, first 2 shown]
	ds_write_b32 v5, v6 offset:384
.LBB160_14:
	s_or_b64 exec, exec, s[0:1]
	v_cmp_gt_u32_e64 s[0:1], 2, v0
	s_waitcnt lgkmcnt(0)
	v_mov_b32_e32 v7, 0xff7fffff
	v_lshlrev_b32_e32 v6, 2, v0
	s_barrier
	s_and_saveexec_b64 s[2:3], s[0:1]
; %bb.15:
	ds_read_b32 v7, v6 offset:384
; %bb.16:
	s_or_b64 exec, exec, s[2:3]
	v_xor_b32_e32 v8, 1, v12
	v_cmp_lt_i32_e64 s[2:3], v8, v10
	s_nop 1
	v_cndmask_b32_e64 v8, v12, v8, s[2:3]
	v_lshlrev_b32_e32 v78, 2, v8
	s_waitcnt lgkmcnt(0)
	ds_bpermute_b32 v8, v78, v7
	v_max_f32_e32 v7, v7, v7
	s_lshl_b32 s2, s17, 5
	s_min_i32 s12, s2, s33
	v_cmp_gt_i32_e64 s[2:3], s12, v24
	s_waitcnt lgkmcnt(0)
	v_max_f32_e32 v8, v8, v8
	v_max_f32_e32 v7, v7, v8
	v_lshlrev_b32_e32 v8, 2, v9
	ds_bpermute_b32 v8, v8, v7
	v_mov_b32_e32 v7, 0
	s_and_saveexec_b64 s[26:27], s[2:3]
	s_cbranch_execz .LBB160_20
; %bb.17:
	v_mov_b32_e32 v7, 0x190
	v_lshl_add_u32 v9, v24, 2, v7
	v_mov_b32_e32 v7, 0
	s_mov_b64 s[28:29], 0
	v_mov_b32_e32 v10, v24
.LBB160_18:                             ; =>This Inner Loop Header: Depth=1
	ds_read_b32 v11, v9
	v_add_u32_e32 v10, 0x80, v10
	v_cmp_le_i32_e64 s[8:9], s12, v10
	s_or_b64 s[28:29], s[8:9], s[28:29]
	s_waitcnt lgkmcnt(0)
	v_sub_f32_e32 v11, v11, v8
	v_mul_f32_e32 v11, 0x3fb8aa3b, v11
	v_exp_f32_e32 v11, v11
	ds_write_b32 v9, v11
	v_add_f32_e32 v7, v7, v11
	v_add_u32_e32 v9, 0x200, v9
	s_andn2_b64 exec, exec, s[28:29]
	s_cbranch_execnz .LBB160_18
; %bb.19:
	s_or_b64 exec, exec, s[28:29]
.LBB160_20:
	s_or_b64 exec, exec, s[26:27]
	ds_bpermute_b32 v1, v1, v7
	s_waitcnt lgkmcnt(0)
	v_add_f32_e32 v1, v7, v1
	ds_bpermute_b32 v2, v2, v1
	s_waitcnt lgkmcnt(0)
	v_add_f32_e32 v1, v1, v2
	;; [unrolled: 3-line block ×6, first 2 shown]
	s_and_saveexec_b64 s[8:9], vcc
; %bb.21:
	ds_write_b32 v5, v1 offset:392
; %bb.22:
	s_or_b64 exec, exec, s[8:9]
	s_waitcnt lgkmcnt(0)
	s_barrier
	s_and_saveexec_b64 s[8:9], s[0:1]
; %bb.23:
	ds_read_b32 v1, v6 offset:392
; %bb.24:
	s_or_b64 exec, exec, s[8:9]
	s_waitcnt lgkmcnt(0)
	ds_bpermute_b32 v2, v78, v1
	v_lshlrev_b32_e32 v3, 2, v12
	s_waitcnt lgkmcnt(0)
	v_add_f32_e32 v1, v1, v2
	v_and_b32_e32 v2, 0xffffff00, v3
	ds_bpermute_b32 v1, v2, v1
	s_and_saveexec_b64 s[0:1], s[2:3]
	s_cbranch_execz .LBB160_37
; %bb.25:
	s_waitcnt lgkmcnt(0)
	v_add_f32_e32 v1, 0x358637bd, v1
	v_div_scale_f32 v2, s[2:3], v1, v1, 1.0
	v_rcp_f32_e32 v3, v2
	v_div_scale_f32 v4, vcc, 1.0, v1, 1.0
	s_movk_i32 s2, 0x7f
	v_fma_f32 v5, -v2, v3, 1.0
	v_fmac_f32_e32 v3, v5, v3
	v_mul_f32_e32 v5, v4, v3
	v_fma_f32 v6, -v2, v5, v4
	v_fmac_f32_e32 v5, v6, v3
	v_fma_f32 v2, -v2, v5, v4
	v_div_fmas_f32 v2, v2, v3, v5
	v_xad_u32 v3, v24, -1, s12
	v_div_fixup_f32 v2, v2, v1, 1.0
	v_cmp_lt_u32_e32 vcc, s2, v3
	s_mov_b64 s[8:9], -1
	v_mov_b32_e32 v1, v24
	s_and_saveexec_b64 s[2:3], vcc
	s_cbranch_execz .LBB160_34
; %bb.26:
	v_lshrrev_b32_e32 v1, 7, v3
	v_add_u32_e32 v5, -1, v1
	v_lshrrev_b32_e32 v4, 1, v5
	v_mov_b32_e32 v3, v2
	v_add_u32_e32 v4, 1, v4
	v_cmp_lt_u32_e32 vcc, 13, v5
	v_mov_b32_e32 v7, 0
	s_and_saveexec_b64 s[8:9], vcc
	s_cbranch_execz .LBB160_30
; %bb.27:
	v_mov_b32_e32 v6, 0x190
	v_and_b32_e32 v5, -8, v4
	v_lshl_add_u32 v6, v24, 2, v6
	s_mov_b32 s15, 0
	s_mov_b64 s[26:27], 0
.LBB160_28:                             ; =>This Inner Loop Header: Depth=1
	ds_read2st64_b32 v[8:9], v6 offset1:2
	ds_read2st64_b32 v[10:11], v6 offset0:4 offset1:6
	ds_read2st64_b32 v[12:13], v6 offset0:8 offset1:10
	;; [unrolled: 1-line block ×3, first 2 shown]
	v_add_u32_e32 v5, -8, v5
	s_waitcnt lgkmcnt(3)
	v_pk_mul_f32 v[8:9], v[2:3], v[8:9]
	s_waitcnt lgkmcnt(2)
	v_pk_mul_f32 v[10:11], v[2:3], v[10:11]
	ds_write2st64_b32 v6, v8, v9 offset1:2
	ds_write2st64_b32 v6, v10, v11 offset0:4 offset1:6
	ds_read2st64_b32 v[10:11], v6 offset0:16 offset1:18
	s_waitcnt lgkmcnt(4)
	v_pk_mul_f32 v[8:9], v[2:3], v[12:13]
	ds_write2st64_b32 v6, v8, v9 offset0:8 offset1:10
	s_waitcnt lgkmcnt(4)
	v_pk_mul_f32 v[8:9], v[2:3], v[14:15]
	ds_write2st64_b32 v6, v8, v9 offset0:12 offset1:14
	ds_read2st64_b32 v[8:9], v6 offset0:20 offset1:22
	s_waitcnt lgkmcnt(3)
	v_pk_mul_f32 v[10:11], v[2:3], v[10:11]
	ds_read2st64_b32 v[12:13], v6 offset0:24 offset1:26
	ds_write2st64_b32 v6, v10, v11 offset0:16 offset1:18
	ds_read2st64_b32 v[10:11], v6 offset0:28 offset1:30
	s_waitcnt lgkmcnt(3)
	v_pk_mul_f32 v[8:9], v[2:3], v[8:9]
	ds_write2st64_b32 v6, v8, v9 offset0:20 offset1:22
	s_waitcnt lgkmcnt(3)
	v_pk_mul_f32 v[8:9], v[2:3], v[12:13]
	ds_write2st64_b32 v6, v8, v9 offset0:24 offset1:26
	s_waitcnt lgkmcnt(2)
	v_pk_mul_f32 v[8:9], v[2:3], v[10:11]
	s_add_i32 s15, s15, 16
	v_cmp_eq_u32_e32 vcc, 0, v5
	ds_write2st64_b32 v6, v8, v9 offset0:28 offset1:30
	v_add_u32_e32 v6, 0x2000, v6
	s_or_b64 s[26:27], vcc, s[26:27]
	v_mov_b32_e32 v7, s15
	s_andn2_b64 exec, exec, s[26:27]
	s_cbranch_execnz .LBB160_28
; %bb.29:
	s_or_b64 exec, exec, s[26:27]
.LBB160_30:
	s_or_b64 exec, exec, s[8:9]
	v_and_b32_e32 v4, 7, v4
	v_cmp_ne_u32_e32 vcc, 0, v4
	s_and_saveexec_b64 s[8:9], vcc
	s_cbranch_execz .LBB160_33
; %bb.31:
	v_lshlrev_b32_e32 v5, 9, v7
	v_lshlrev_b32_e32 v6, 2, v24
	s_movk_i32 s15, 0x190
	v_add3_u32 v5, v5, v6, s15
	s_mov_b64 s[26:27], 0
.LBB160_32:                             ; =>This Inner Loop Header: Depth=1
	ds_read2st64_b32 v[6:7], v5 offset1:2
	v_add_u32_e32 v4, -1, v4
	v_cmp_eq_u32_e32 vcc, 0, v4
	s_or_b64 s[26:27], vcc, s[26:27]
	s_waitcnt lgkmcnt(0)
	v_pk_mul_f32 v[6:7], v[2:3], v[6:7]
	ds_write2st64_b32 v5, v6, v7 offset1:2
	v_add_u32_e32 v5, 0x400, v5
	s_andn2_b64 exec, exec, s[26:27]
	s_cbranch_execnz .LBB160_32
.LBB160_33:
	s_or_b64 exec, exec, s[8:9]
	v_add_u32_e32 v3, 1, v1
	v_and_b32_e32 v4, 0x3fffffe, v3
	v_cmp_ne_u32_e32 vcc, v3, v4
	v_lshl_add_u32 v1, v4, 7, v24
	s_orn2_b64 s[8:9], vcc, exec
.LBB160_34:
	s_or_b64 exec, exec, s[2:3]
	s_and_b64 exec, exec, s[8:9]
	s_cbranch_execz .LBB160_37
; %bb.35:
	v_mov_b32_e32 v3, 0x190
	v_lshl_add_u32 v3, v1, 2, v3
	s_mov_b64 s[2:3], 0
.LBB160_36:                             ; =>This Inner Loop Header: Depth=1
	ds_read_b32 v4, v3
	v_add_u32_e32 v1, 0x80, v1
	v_cmp_le_i32_e32 vcc, s12, v1
	s_or_b64 s[2:3], vcc, s[2:3]
	s_waitcnt lgkmcnt(0)
	v_mul_f32_e32 v4, v2, v4
	ds_write_b32 v3, v4
	v_add_u32_e32 v3, 0x200, v3
	s_andn2_b64 exec, exec, s[2:3]
	s_cbranch_execnz .LBB160_36
.LBB160_37:
	s_or_b64 exec, exec, s[0:1]
	v_mov_b32_e32 v59, 0
	v_and_b32_e32 v79, 3, v24
	v_mov_b32_e32 v58, 0
	v_mov_b32_e32 v61, 0
	;; [unrolled: 1-line block ×11, first 2 shown]
	s_waitcnt lgkmcnt(0)
	s_barrier
	s_and_saveexec_b64 s[8:9], s[6:7]
	s_cbranch_execz .LBB160_65
; %bb.38:
	s_ashr_i32 s15, s14, 31
	s_lshl_b64 s[0:1], s[14:15], 1
	s_add_u32 s0, s24, s0
	v_lshlrev_b32_e32 v2, 4, v24
	s_addc_u32 s1, s25, s1
	v_and_b32_e32 v70, 0x3f0, v2
	v_mov_b32_e32 v71, 0
	v_and_b32_e32 v1, 24, v22
	s_add_i32 s14, s17, -1
	v_lshl_add_u64 v[72:73], s[0:1], 0, v[70:71]
	s_lshl_b64 s[0:1], s[22:23], 2
	v_lshl_or_b32 v80, v76, 5, v1
	v_lshlrev_b32_e32 v1, 5, v79
	s_add_u32 s0, s20, s0
	v_lshl_or_b32 v1, v76, 7, v1
	v_and_b32_e32 v70, 60, v23
	s_addc_u32 s1, s21, s1
	s_mov_b32 s26, s13
	v_mov_b32_e32 v87, v24
	s_mov_b32 s15, s33
	v_add_u32_e32 v81, 0x190, v1
	v_lshl_add_u64 v[74:75], s[0:1], 0, v[70:71]
	s_mov_b64 s[6:7], 0
	s_mov_b32 s20, 0x5040100
	v_mov_b32_e32 v59, 0
	v_mov_b32_e32 v58, 0
	;; [unrolled: 1-line block ×12, first 2 shown]
	s_branch .LBB160_40
.LBB160_39:                             ;   in Loop: Header=BB160_40 Depth=1
	s_or_b64 exec, exec, s[2:3]
	s_waitcnt lgkmcnt(1)
	v_cvt_pk_bf16_f32 v1, v27, s0
	v_cvt_pk_bf16_f32 v27, v28, s0
	;; [unrolled: 1-line block ×3, first 2 shown]
	s_waitcnt lgkmcnt(0)
	v_cvt_pk_bf16_f32 v29, v22, s0
	s_waitcnt vmcnt(1)
	v_and_b32_e32 v22, 0xffff0000, v54
	v_lshlrev_b32_e32 v1, 16, v1
	v_cvt_pk_bf16_f32 v26, v26, s0
	v_mul_f32_e32 v22, v1, v22
	v_cvt_pk_bf16_f32 v70, v24, s0
	v_cvt_pk_bf16_f32 v24, v25, s0
	;; [unrolled: 1-line block ×3, first 2 shown]
	v_lshlrev_b32_e32 v22, 16, v54
	v_lshlrev_b32_e32 v25, 16, v26
	v_mul_f32_e32 v22, v25, v22
	v_cvt_pk_bf16_f32 v54, v22, s0
	v_and_b32_e32 v26, 0xffff0000, v55
	v_lshlrev_b32_e32 v22, 16, v28
	v_mul_f32_e32 v26, v22, v26
	v_cvt_pk_bf16_f32 v83, v26, s0
	v_lshlrev_b32_e32 v28, 16, v55
	v_lshlrev_b32_e32 v26, 16, v27
	v_cvt_pk_bf16_f32 v23, v23, s0
	v_mul_f32_e32 v27, v26, v28
	v_cvt_pk_bf16_f32 v55, v27, s0
	v_and_b32_e32 v27, 0xffff0000, v56
	v_lshlrev_b32_e32 v23, 16, v23
	v_mul_f32_e32 v27, v23, v27
	v_cvt_pk_bf16_f32 v84, v27, s0
	v_lshlrev_b32_e32 v28, 16, v56
	v_lshlrev_b32_e32 v27, 16, v29
	v_mul_f32_e32 v28, v27, v28
	v_cvt_pk_bf16_f32 v29, v28, s0
	v_and_b32_e32 v28, 0xffff0000, v57
	v_lshlrev_b32_e32 v24, 16, v24
	v_mul_f32_e32 v28, v24, v28
	v_cvt_pk_bf16_f32 v56, v28, s0
	v_lshlrev_b32_e32 v28, 16, v70
	v_lshlrev_b32_e32 v54, 16, v54
	;; [unrolled: 1-line block ×3, first 2 shown]
	v_add_f32_e32 v54, v54, v70
	v_lshlrev_b32_e32 v55, 16, v55
	v_lshlrev_b32_e32 v70, 16, v83
	;; [unrolled: 1-line block ×3, first 2 shown]
	v_add_f32_e32 v55, v55, v70
	v_mul_f32_e32 v57, v28, v57
	v_add_f32_e32 v54, v55, v54
	v_lshlrev_b32_e32 v29, 16, v29
	v_lshlrev_b32_e32 v55, 16, v84
	v_cvt_pk_bf16_f32 v57, v57, s0
	v_add_f32_e32 v29, v29, v55
	v_add_f32_e32 v29, v29, v54
	v_lshlrev_b32_e32 v54, 16, v57
	v_lshlrev_b32_e32 v55, 16, v56
	v_add_f32_e32 v54, v54, v55
	v_add_f32_e32 v29, v54, v29
	v_add_f32_e32 v58, v58, v29
	v_and_b32_e32 v29, 0xffff0000, v50
	v_lshlrev_b32_e32 v50, 16, v50
	v_mul_f32_e32 v29, v1, v29
	v_mul_f32_e32 v50, v25, v50
	v_and_b32_e32 v54, 0xffff0000, v51
	v_lshlrev_b32_e32 v51, 16, v51
	v_cvt_pk_bf16_f32 v29, v29, s0
	v_cvt_pk_bf16_f32 v50, v50, s0
	v_mul_f32_e32 v54, v22, v54
	v_mul_f32_e32 v51, v26, v51
	v_cvt_pk_bf16_f32 v54, v54, s0
	v_cvt_pk_bf16_f32 v51, v51, s0
	v_and_b32_e32 v55, 0xffff0000, v52
	v_lshlrev_b32_e32 v52, 16, v52
	v_lshlrev_b32_e32 v50, 16, v50
	v_lshlrev_b32_e32 v29, 16, v29
	v_mul_f32_e32 v55, v23, v55
	v_mul_f32_e32 v52, v27, v52
	v_add_f32_e32 v29, v50, v29
	v_lshlrev_b32_e32 v50, 16, v51
	v_lshlrev_b32_e32 v51, 16, v54
	v_cvt_pk_bf16_f32 v55, v55, s0
	v_cvt_pk_bf16_f32 v52, v52, s0
	v_and_b32_e32 v56, 0xffff0000, v53
	v_lshlrev_b32_e32 v53, 16, v53
	v_add_f32_e32 v50, v50, v51
	v_mul_f32_e32 v56, v24, v56
	v_mul_f32_e32 v53, v28, v53
	v_add_f32_e32 v29, v50, v29
	v_lshlrev_b32_e32 v50, 16, v52
	v_lshlrev_b32_e32 v51, 16, v55
	v_cvt_pk_bf16_f32 v56, v56, s0
	v_cvt_pk_bf16_f32 v53, v53, s0
	v_add_f32_e32 v50, v50, v51
	v_add_f32_e32 v29, v50, v29
	v_lshlrev_b32_e32 v50, 16, v53
	v_lshlrev_b32_e32 v51, 16, v56
	v_add_f32_e32 v50, v50, v51
	v_add_f32_e32 v29, v50, v29
	v_add_f32_e32 v61, v61, v29
	v_and_b32_e32 v29, 0xffff0000, v46
	v_lshlrev_b32_e32 v46, 16, v46
	v_mul_f32_e32 v29, v1, v29
	v_mul_f32_e32 v46, v25, v46
	v_and_b32_e32 v50, 0xffff0000, v47
	v_lshlrev_b32_e32 v47, 16, v47
	v_cvt_pk_bf16_f32 v29, v29, s0
	v_cvt_pk_bf16_f32 v46, v46, s0
	v_mul_f32_e32 v50, v22, v50
	v_mul_f32_e32 v47, v26, v47
	v_cvt_pk_bf16_f32 v50, v50, s0
	v_cvt_pk_bf16_f32 v47, v47, s0
	v_and_b32_e32 v51, 0xffff0000, v48
	v_lshlrev_b32_e32 v48, 16, v48
	v_lshlrev_b32_e32 v46, 16, v46
	v_lshlrev_b32_e32 v29, 16, v29
	v_mul_f32_e32 v51, v23, v51
	v_mul_f32_e32 v48, v27, v48
	v_add_f32_e32 v29, v46, v29
	v_lshlrev_b32_e32 v46, 16, v47
	v_lshlrev_b32_e32 v47, 16, v50
	v_cvt_pk_bf16_f32 v51, v51, s0
	v_cvt_pk_bf16_f32 v48, v48, s0
	v_and_b32_e32 v52, 0xffff0000, v49
	v_lshlrev_b32_e32 v49, 16, v49
	v_add_f32_e32 v46, v46, v47
	v_mul_f32_e32 v52, v24, v52
	v_mul_f32_e32 v49, v28, v49
	v_add_f32_e32 v29, v46, v29
	v_lshlrev_b32_e32 v46, 16, v48
	v_lshlrev_b32_e32 v47, 16, v51
	v_cvt_pk_bf16_f32 v52, v52, s0
	;; [unrolled: 40-line block ×10, first 2 shown]
	v_cvt_pk_bf16_f32 v5, v5, s0
	v_add_f32_e32 v3, v3, v4
	v_add_f32_e32 v2, v3, v2
	v_lshlrev_b32_e32 v3, 16, v5
	v_lshlrev_b32_e32 v4, 16, v9
	v_add_f32_e32 v3, v3, v4
	v_add_f32_e32 v2, v3, v2
	s_waitcnt vmcnt(0)
	v_and_b32_e32 v3, 0xffff0000, v38
	v_mul_f32_e32 v1, v1, v3
	v_lshlrev_b32_e32 v3, 16, v39
	v_mul_f32_e32 v3, v26, v3
	v_cvt_pk_bf16_f32 v4, v3, s0
	v_and_b32_e32 v3, 0xffff0000, v39
	v_mul_f32_e32 v3, v22, v3
	v_cvt_pk_bf16_f32 v6, v3, s0
	v_lshlrev_b32_e32 v3, 16, v40
	v_mul_f32_e32 v3, v27, v3
	v_cvt_pk_bf16_f32 v7, v3, s0
	v_and_b32_e32 v3, 0xffff0000, v40
	v_mul_f32_e32 v3, v23, v3
	v_cvt_pk_bf16_f32 v8, v3, s0
	v_lshlrev_b32_e32 v3, 16, v41
	v_add_f32_e32 v68, v68, v2
	v_lshlrev_b32_e32 v2, 16, v38
	v_mul_f32_e32 v3, v28, v3
	v_mul_f32_e32 v2, v25, v2
	v_cvt_pk_bf16_f32 v9, v3, s0
	v_and_b32_e32 v3, 0xffff0000, v41
	v_cvt_pk_bf16_f32 v2, v2, s0
	v_cvt_pk_bf16_f32 v1, v1, s0
	v_mul_f32_e32 v3, v24, v3
	v_cvt_pk_bf16_f32 v10, v3, s0
	v_lshlrev_b32_e32 v3, 16, v1
	v_lshlrev_b32_e32 v5, 16, v2
	;; [unrolled: 1-line block ×4, first 2 shown]
	v_pk_add_f32 v[2:3], v[4:5], v[2:3]
	v_lshlrev_b32_e32 v5, 16, v8
	v_lshlrev_b32_e32 v7, 16, v7
	;; [unrolled: 1-line block ×4, first 2 shown]
	v_pk_add_f32 v[4:5], v[6:7], v[4:5]
	v_add_f32_e32 v1, v2, v3
	v_add_f32_e32 v1, v5, v1
	v_add_u32_e32 v76, 2, v76
	v_add_f32_e32 v1, v4, v1
	v_cmp_le_i32_e32 vcc, s17, v76
	v_add_f32_e32 v59, v59, v1
	v_add_u32_e32 v80, 64, v80
	v_add_u32_e32 v81, 0x100, v81
	s_or_b64 s[6:7], vcc, s[6:7]
	v_lshl_add_u64 v[74:75], v[74:75], 0, 8
	s_andn2_b64 exec, exec, s[6:7]
	s_cbranch_execz .LBB160_64
.LBB160_40:                             ; =>This Inner Loop Header: Depth=1
	global_load_dword v1, v[74:75], off
	v_add_u32_e32 v86, 1, v80
	v_or_b32_e32 v84, 3, v80
	v_or_b32_e32 v85, 2, v80
	;; [unrolled: 1-line block ×5, first 2 shown]
	s_waitcnt vmcnt(0)
	v_mad_i64_i32 v[2:3], s[0:1], v1, s26, 0
	v_lshl_add_u64 v[38:39], v[2:3], 1, v[72:73]
	global_load_dwordx4 v[2:5], v[38:39], off
	ds_read2_b64 v[26:29], v81 offset1:1
	ds_read2_b64 v[22:25], v81 offset0:2 offset1:3
	v_cmp_eq_u32_e64 s[0:1], s14, v76
	v_or_b32_e32 v1, 7, v80
	s_and_saveexec_b64 s[12:13], s[0:1]
	s_cbranch_execnz .LBB160_61
; %bb.41:                               ;   in Loop: Header=BB160_40 Depth=1
	s_or_b64 exec, exec, s[12:13]
	global_load_dwordx4 v[6:9], v[38:39], off offset:1024
	s_and_saveexec_b64 s[12:13], s[0:1]
	s_cbranch_execnz .LBB160_62
.LBB160_42:                             ;   in Loop: Header=BB160_40 Depth=1
	s_or_b64 exec, exec, s[12:13]
	global_load_dwordx4 v[10:13], v[38:39], off offset:2048
	s_and_saveexec_b64 s[12:13], s[0:1]
	s_cbranch_execnz .LBB160_63
.LBB160_43:                             ;   in Loop: Header=BB160_40 Depth=1
	s_or_b64 exec, exec, s[12:13]
	global_load_dwordx4 v[14:17], v[38:39], off offset:3072
	s_and_saveexec_b64 s[12:13], s[0:1]
	s_cbranch_execz .LBB160_45
.LBB160_44:                             ;   in Loop: Header=BB160_40 Depth=1
	v_cmp_gt_i32_e32 vcc, s15, v86
	v_cmp_gt_i32_e64 s[2:3], s33, v85
	s_waitcnt vmcnt(0)
	v_cndmask_b32_sdwa v18, v71, v14, vcc dst_sel:DWORD dst_unused:UNUSED_PAD src0_sel:DWORD src1_sel:WORD_1
	v_cmp_gt_i32_e32 vcc, s33, v80
	s_nop 1
	v_cndmask_b32_e32 v14, 0, v14, vcc
	v_cmp_gt_i32_e32 vcc, s15, v84
	v_perm_b32 v14, v18, v14, s20
	v_cndmask_b32_e64 v18, 0, v15, s[2:3]
	v_cndmask_b32_sdwa v15, v71, v15, vcc dst_sel:DWORD dst_unused:UNUSED_PAD src0_sel:DWORD src1_sel:WORD_1
	v_cmp_gt_i32_e32 vcc, s15, v82
	v_cmp_gt_i32_e64 s[2:3], s33, v83
	v_perm_b32 v15, v15, v18, s20
	s_nop 0
	v_cndmask_b32_e64 v18, 0, v16, s[2:3]
	v_cndmask_b32_sdwa v16, v71, v16, vcc dst_sel:DWORD dst_unused:UNUSED_PAD src0_sel:DWORD src1_sel:WORD_1
	v_cmp_gt_i32_e32 vcc, s15, v1
	v_cmp_gt_i32_e64 s[2:3], s33, v70
	v_perm_b32 v16, v16, v18, s20
	s_nop 0
	v_cndmask_b32_e64 v18, 0, v17, s[2:3]
	v_cndmask_b32_sdwa v17, v71, v17, vcc dst_sel:DWORD dst_unused:UNUSED_PAD src0_sel:DWORD src1_sel:WORD_1
	v_perm_b32 v17, v17, v18, s20
.LBB160_45:                             ;   in Loop: Header=BB160_40 Depth=1
	s_or_b64 exec, exec, s[12:13]
	v_add_co_u32_e32 v18, vcc, 0x1000, v38
	s_nop 1
	v_addc_co_u32_e32 v19, vcc, 0, v39, vcc
	global_load_dwordx4 v[18:21], v[18:19], off
	s_and_saveexec_b64 s[12:13], s[0:1]
	s_cbranch_execz .LBB160_47
; %bb.46:                               ;   in Loop: Header=BB160_40 Depth=1
	v_cmp_gt_i32_e32 vcc, s15, v86
	v_cmp_gt_i32_e64 s[2:3], s33, v85
	s_waitcnt vmcnt(0)
	v_cndmask_b32_sdwa v30, v71, v18, vcc dst_sel:DWORD dst_unused:UNUSED_PAD src0_sel:DWORD src1_sel:WORD_1
	v_cmp_gt_i32_e32 vcc, s33, v80
	s_nop 1
	v_cndmask_b32_e32 v18, 0, v18, vcc
	v_cmp_gt_i32_e32 vcc, s15, v84
	v_perm_b32 v18, v30, v18, s20
	v_cndmask_b32_e64 v30, 0, v19, s[2:3]
	v_cndmask_b32_sdwa v19, v71, v19, vcc dst_sel:DWORD dst_unused:UNUSED_PAD src0_sel:DWORD src1_sel:WORD_1
	v_cmp_gt_i32_e32 vcc, s15, v82
	v_cmp_gt_i32_e64 s[2:3], s33, v83
	v_perm_b32 v19, v19, v30, s20
	s_nop 0
	v_cndmask_b32_e64 v30, 0, v20, s[2:3]
	v_cndmask_b32_sdwa v20, v71, v20, vcc dst_sel:DWORD dst_unused:UNUSED_PAD src0_sel:DWORD src1_sel:WORD_1
	v_cmp_gt_i32_e32 vcc, s15, v1
	v_cmp_gt_i32_e64 s[2:3], s33, v70
	v_perm_b32 v20, v20, v30, s20
	s_nop 0
	v_cndmask_b32_e64 v30, 0, v21, s[2:3]
	v_cndmask_b32_sdwa v21, v71, v21, vcc dst_sel:DWORD dst_unused:UNUSED_PAD src0_sel:DWORD src1_sel:WORD_1
	v_perm_b32 v21, v21, v30, s20
.LBB160_47:                             ;   in Loop: Header=BB160_40 Depth=1
	s_or_b64 exec, exec, s[12:13]
	v_add_co_u32_e32 v30, vcc, 0x1000, v38
	s_nop 1
	v_addc_co_u32_e32 v31, vcc, 0, v39, vcc
	global_load_dwordx4 v[30:33], v[30:31], off offset:1024
	s_and_saveexec_b64 s[12:13], s[0:1]
	s_cbranch_execz .LBB160_49
; %bb.48:                               ;   in Loop: Header=BB160_40 Depth=1
	v_cmp_gt_i32_e32 vcc, s15, v86
	v_cmp_gt_i32_e64 s[2:3], s33, v85
	s_waitcnt vmcnt(0)
	v_cndmask_b32_sdwa v34, v71, v30, vcc dst_sel:DWORD dst_unused:UNUSED_PAD src0_sel:DWORD src1_sel:WORD_1
	v_cmp_gt_i32_e32 vcc, s33, v80
	s_nop 1
	v_cndmask_b32_e32 v30, 0, v30, vcc
	v_cmp_gt_i32_e32 vcc, s15, v84
	v_perm_b32 v30, v34, v30, s20
	v_cndmask_b32_e64 v34, 0, v31, s[2:3]
	v_cndmask_b32_sdwa v31, v71, v31, vcc dst_sel:DWORD dst_unused:UNUSED_PAD src0_sel:DWORD src1_sel:WORD_1
	v_cmp_gt_i32_e32 vcc, s15, v82
	v_cmp_gt_i32_e64 s[2:3], s33, v83
	v_perm_b32 v31, v31, v34, s20
	s_nop 0
	v_cndmask_b32_e64 v34, 0, v32, s[2:3]
	v_cndmask_b32_sdwa v32, v71, v32, vcc dst_sel:DWORD dst_unused:UNUSED_PAD src0_sel:DWORD src1_sel:WORD_1
	v_cmp_gt_i32_e32 vcc, s15, v1
	v_cmp_gt_i32_e64 s[2:3], s33, v70
	v_perm_b32 v32, v32, v34, s20
	s_nop 0
	v_cndmask_b32_e64 v34, 0, v33, s[2:3]
	v_cndmask_b32_sdwa v33, v71, v33, vcc dst_sel:DWORD dst_unused:UNUSED_PAD src0_sel:DWORD src1_sel:WORD_1
	v_perm_b32 v33, v33, v34, s20
.LBB160_49:                             ;   in Loop: Header=BB160_40 Depth=1
	s_or_b64 exec, exec, s[12:13]
	v_add_co_u32_e32 v34, vcc, 0x1000, v38
	s_nop 1
	v_addc_co_u32_e32 v35, vcc, 0, v39, vcc
	global_load_dwordx4 v[34:37], v[34:35], off offset:2048
	;; [unrolled: 33-line block ×3, first 2 shown]
	s_and_saveexec_b64 s[12:13], s[0:1]
	s_cbranch_execz .LBB160_53
; %bb.52:                               ;   in Loop: Header=BB160_40 Depth=1
	v_cmp_gt_i32_e32 vcc, s15, v86
	v_cmp_gt_i32_e64 s[2:3], s33, v85
	s_waitcnt vmcnt(0)
	v_cndmask_b32_sdwa v40, v71, v42, vcc dst_sel:DWORD dst_unused:UNUSED_PAD src0_sel:DWORD src1_sel:WORD_1
	v_cmp_gt_i32_e32 vcc, s33, v80
	s_nop 1
	v_cndmask_b32_e32 v41, 0, v42, vcc
	v_cmp_gt_i32_e32 vcc, s15, v84
	v_perm_b32 v42, v40, v41, s20
	v_cndmask_b32_e64 v40, 0, v43, s[2:3]
	v_cndmask_b32_sdwa v41, v71, v43, vcc dst_sel:DWORD dst_unused:UNUSED_PAD src0_sel:DWORD src1_sel:WORD_1
	v_cmp_gt_i32_e32 vcc, s15, v82
	v_cmp_gt_i32_e64 s[2:3], s33, v83
	v_perm_b32 v43, v41, v40, s20
	v_cndmask_b32_sdwa v41, v71, v44, vcc dst_sel:DWORD dst_unused:UNUSED_PAD src0_sel:DWORD src1_sel:WORD_1
	v_cndmask_b32_e64 v40, 0, v44, s[2:3]
	v_cmp_gt_i32_e32 vcc, s15, v1
	v_cmp_gt_i32_e64 s[2:3], s33, v70
	v_perm_b32 v44, v41, v40, s20
	v_cndmask_b32_sdwa v41, v71, v45, vcc dst_sel:DWORD dst_unused:UNUSED_PAD src0_sel:DWORD src1_sel:WORD_1
	v_cndmask_b32_e64 v40, 0, v45, s[2:3]
	v_perm_b32 v45, v41, v40, s20
.LBB160_53:                             ;   in Loop: Header=BB160_40 Depth=1
	s_or_b64 exec, exec, s[12:13]
	v_add_co_u32_e32 v40, vcc, 0x2000, v38
	s_nop 1
	v_addc_co_u32_e32 v41, vcc, 0, v39, vcc
	global_load_dwordx4 v[46:49], v[40:41], off
	s_and_saveexec_b64 s[12:13], s[0:1]
	s_cbranch_execz .LBB160_55
; %bb.54:                               ;   in Loop: Header=BB160_40 Depth=1
	v_cmp_gt_i32_e32 vcc, s15, v86
	v_cmp_gt_i32_e64 s[2:3], s33, v85
	s_waitcnt vmcnt(0)
	v_cndmask_b32_sdwa v40, v71, v46, vcc dst_sel:DWORD dst_unused:UNUSED_PAD src0_sel:DWORD src1_sel:WORD_1
	v_cmp_gt_i32_e32 vcc, s33, v80
	s_nop 1
	v_cndmask_b32_e32 v41, 0, v46, vcc
	v_cmp_gt_i32_e32 vcc, s15, v84
	v_perm_b32 v46, v40, v41, s20
	v_cndmask_b32_e64 v40, 0, v47, s[2:3]
	v_cndmask_b32_sdwa v41, v71, v47, vcc dst_sel:DWORD dst_unused:UNUSED_PAD src0_sel:DWORD src1_sel:WORD_1
	v_cmp_gt_i32_e32 vcc, s15, v82
	v_cmp_gt_i32_e64 s[2:3], s33, v83
	v_perm_b32 v47, v41, v40, s20
	v_cndmask_b32_sdwa v41, v71, v48, vcc dst_sel:DWORD dst_unused:UNUSED_PAD src0_sel:DWORD src1_sel:WORD_1
	v_cndmask_b32_e64 v40, 0, v48, s[2:3]
	v_cmp_gt_i32_e32 vcc, s15, v1
	v_cmp_gt_i32_e64 s[2:3], s33, v70
	v_perm_b32 v48, v41, v40, s20
	v_cndmask_b32_sdwa v41, v71, v49, vcc dst_sel:DWORD dst_unused:UNUSED_PAD src0_sel:DWORD src1_sel:WORD_1
	v_cndmask_b32_e64 v40, 0, v49, s[2:3]
	v_perm_b32 v49, v41, v40, s20
.LBB160_55:                             ;   in Loop: Header=BB160_40 Depth=1
	s_or_b64 exec, exec, s[12:13]
	v_add_co_u32_e32 v40, vcc, 0x2000, v38
	s_nop 1
	v_addc_co_u32_e32 v41, vcc, 0, v39, vcc
	global_load_dwordx4 v[50:53], v[40:41], off offset:1024
	s_and_saveexec_b64 s[12:13], s[0:1]
	s_cbranch_execz .LBB160_57
; %bb.56:                               ;   in Loop: Header=BB160_40 Depth=1
	v_cmp_gt_i32_e32 vcc, s15, v86
	v_cmp_gt_i32_e64 s[2:3], s33, v85
	s_waitcnt vmcnt(0)
	v_cndmask_b32_sdwa v40, v71, v50, vcc dst_sel:DWORD dst_unused:UNUSED_PAD src0_sel:DWORD src1_sel:WORD_1
	v_cmp_gt_i32_e32 vcc, s33, v80
	s_nop 1
	v_cndmask_b32_e32 v41, 0, v50, vcc
	v_cmp_gt_i32_e32 vcc, s15, v84
	v_perm_b32 v50, v40, v41, s20
	v_cndmask_b32_e64 v40, 0, v51, s[2:3]
	v_cndmask_b32_sdwa v41, v71, v51, vcc dst_sel:DWORD dst_unused:UNUSED_PAD src0_sel:DWORD src1_sel:WORD_1
	v_cmp_gt_i32_e32 vcc, s15, v82
	v_cmp_gt_i32_e64 s[2:3], s33, v83
	v_perm_b32 v51, v41, v40, s20
	v_cndmask_b32_sdwa v41, v71, v52, vcc dst_sel:DWORD dst_unused:UNUSED_PAD src0_sel:DWORD src1_sel:WORD_1
	v_cndmask_b32_e64 v40, 0, v52, s[2:3]
	v_cmp_gt_i32_e32 vcc, s15, v1
	v_cmp_gt_i32_e64 s[2:3], s33, v70
	v_perm_b32 v52, v41, v40, s20
	v_cndmask_b32_sdwa v41, v71, v53, vcc dst_sel:DWORD dst_unused:UNUSED_PAD src0_sel:DWORD src1_sel:WORD_1
	v_cndmask_b32_e64 v40, 0, v53, s[2:3]
	v_perm_b32 v53, v41, v40, s20
.LBB160_57:                             ;   in Loop: Header=BB160_40 Depth=1
	s_or_b64 exec, exec, s[12:13]
	v_add_co_u32_e32 v40, vcc, 0x2000, v38
	s_nop 1
	v_addc_co_u32_e32 v41, vcc, 0, v39, vcc
	global_load_dwordx4 v[54:57], v[40:41], off offset:2048
	;; [unrolled: 31-line block ×3, first 2 shown]
	s_and_saveexec_b64 s[2:3], s[0:1]
	s_cbranch_execz .LBB160_39
; %bb.60:                               ;   in Loop: Header=BB160_40 Depth=1
	v_cmp_gt_i32_e32 vcc, s15, v86
	v_cmp_gt_i32_e64 s[0:1], s33, v85
	s_waitcnt vmcnt(0)
	v_cndmask_b32_sdwa v86, v71, v38, vcc dst_sel:DWORD dst_unused:UNUSED_PAD src0_sel:DWORD src1_sel:WORD_1
	v_cmp_gt_i32_e32 vcc, s33, v80
	s_nop 1
	v_cndmask_b32_e32 v38, 0, v38, vcc
	v_cmp_gt_i32_e32 vcc, s15, v84
	v_cndmask_b32_e64 v84, 0, v39, s[0:1]
	v_cmp_gt_i32_e64 s[0:1], s33, v83
	v_cndmask_b32_sdwa v39, v71, v39, vcc dst_sel:DWORD dst_unused:UNUSED_PAD src0_sel:DWORD src1_sel:WORD_1
	v_cmp_gt_i32_e32 vcc, s15, v82
	v_cndmask_b32_e64 v82, 0, v40, s[0:1]
	v_cmp_gt_i32_e64 s[0:1], s33, v70
	v_cndmask_b32_sdwa v40, v71, v40, vcc dst_sel:DWORD dst_unused:UNUSED_PAD src0_sel:DWORD src1_sel:WORD_1
	v_cmp_gt_i32_e32 vcc, s15, v1
	v_cndmask_b32_e64 v1, 0, v41, s[0:1]
	v_perm_b32 v38, v86, v38, s20
	v_cndmask_b32_sdwa v41, v71, v41, vcc dst_sel:DWORD dst_unused:UNUSED_PAD src0_sel:DWORD src1_sel:WORD_1
	v_perm_b32 v39, v39, v84, s20
	v_perm_b32 v40, v40, v82, s20
	;; [unrolled: 1-line block ×3, first 2 shown]
	s_branch .LBB160_39
.LBB160_61:                             ;   in Loop: Header=BB160_40 Depth=1
	v_cmp_gt_i32_e32 vcc, s15, v86
	v_cmp_gt_i32_e64 s[2:3], s33, v85
	s_waitcnt vmcnt(0)
	v_cndmask_b32_sdwa v6, v71, v2, vcc dst_sel:DWORD dst_unused:UNUSED_PAD src0_sel:DWORD src1_sel:WORD_1
	v_cmp_gt_i32_e32 vcc, s33, v80
	s_nop 1
	v_cndmask_b32_e32 v2, 0, v2, vcc
	v_cmp_gt_i32_e32 vcc, s15, v84
	v_perm_b32 v2, v6, v2, s20
	v_cndmask_b32_e64 v6, 0, v3, s[2:3]
	v_cndmask_b32_sdwa v3, v71, v3, vcc dst_sel:DWORD dst_unused:UNUSED_PAD src0_sel:DWORD src1_sel:WORD_1
	v_cmp_gt_i32_e32 vcc, s15, v82
	v_cmp_gt_i32_e64 s[2:3], s33, v83
	v_perm_b32 v3, v3, v6, s20
	s_nop 0
	v_cndmask_b32_e64 v6, 0, v4, s[2:3]
	v_cndmask_b32_sdwa v4, v71, v4, vcc dst_sel:DWORD dst_unused:UNUSED_PAD src0_sel:DWORD src1_sel:WORD_1
	v_cmp_gt_i32_e32 vcc, s15, v1
	v_cmp_gt_i32_e64 s[2:3], s33, v70
	v_perm_b32 v4, v4, v6, s20
	s_nop 0
	v_cndmask_b32_e64 v6, 0, v5, s[2:3]
	v_cndmask_b32_sdwa v5, v71, v5, vcc dst_sel:DWORD dst_unused:UNUSED_PAD src0_sel:DWORD src1_sel:WORD_1
	v_perm_b32 v5, v5, v6, s20
	s_or_b64 exec, exec, s[12:13]
	global_load_dwordx4 v[6:9], v[38:39], off offset:1024
	s_and_saveexec_b64 s[12:13], s[0:1]
	s_cbranch_execz .LBB160_42
.LBB160_62:                             ;   in Loop: Header=BB160_40 Depth=1
	v_cmp_gt_i32_e32 vcc, s15, v86
	v_cmp_gt_i32_e64 s[2:3], s33, v85
	s_waitcnt vmcnt(0)
	v_cndmask_b32_sdwa v10, v71, v6, vcc dst_sel:DWORD dst_unused:UNUSED_PAD src0_sel:DWORD src1_sel:WORD_1
	v_cmp_gt_i32_e32 vcc, s33, v80
	s_nop 1
	v_cndmask_b32_e32 v6, 0, v6, vcc
	v_cmp_gt_i32_e32 vcc, s15, v84
	v_perm_b32 v6, v10, v6, s20
	v_cndmask_b32_e64 v10, 0, v7, s[2:3]
	v_cndmask_b32_sdwa v7, v71, v7, vcc dst_sel:DWORD dst_unused:UNUSED_PAD src0_sel:DWORD src1_sel:WORD_1
	v_cmp_gt_i32_e32 vcc, s15, v82
	v_cmp_gt_i32_e64 s[2:3], s33, v83
	v_perm_b32 v7, v7, v10, s20
	s_nop 0
	v_cndmask_b32_e64 v10, 0, v8, s[2:3]
	v_cndmask_b32_sdwa v8, v71, v8, vcc dst_sel:DWORD dst_unused:UNUSED_PAD src0_sel:DWORD src1_sel:WORD_1
	v_cmp_gt_i32_e32 vcc, s15, v1
	v_cmp_gt_i32_e64 s[2:3], s33, v70
	v_perm_b32 v8, v8, v10, s20
	s_nop 0
	v_cndmask_b32_e64 v10, 0, v9, s[2:3]
	v_cndmask_b32_sdwa v9, v71, v9, vcc dst_sel:DWORD dst_unused:UNUSED_PAD src0_sel:DWORD src1_sel:WORD_1
	v_perm_b32 v9, v9, v10, s20
	s_or_b64 exec, exec, s[12:13]
	global_load_dwordx4 v[10:13], v[38:39], off offset:2048
	s_and_saveexec_b64 s[12:13], s[0:1]
	s_cbranch_execz .LBB160_43
.LBB160_63:                             ;   in Loop: Header=BB160_40 Depth=1
	v_cmp_gt_i32_e32 vcc, s15, v86
	v_cmp_gt_i32_e64 s[2:3], s33, v85
	s_waitcnt vmcnt(0)
	v_cndmask_b32_sdwa v14, v71, v10, vcc dst_sel:DWORD dst_unused:UNUSED_PAD src0_sel:DWORD src1_sel:WORD_1
	v_cmp_gt_i32_e32 vcc, s33, v80
	s_nop 1
	v_cndmask_b32_e32 v10, 0, v10, vcc
	v_cmp_gt_i32_e32 vcc, s15, v84
	v_perm_b32 v10, v14, v10, s20
	v_cndmask_b32_e64 v14, 0, v11, s[2:3]
	v_cndmask_b32_sdwa v11, v71, v11, vcc dst_sel:DWORD dst_unused:UNUSED_PAD src0_sel:DWORD src1_sel:WORD_1
	v_cmp_gt_i32_e32 vcc, s15, v82
	v_cmp_gt_i32_e64 s[2:3], s33, v83
	v_perm_b32 v11, v11, v14, s20
	s_nop 0
	v_cndmask_b32_e64 v14, 0, v12, s[2:3]
	v_cndmask_b32_sdwa v12, v71, v12, vcc dst_sel:DWORD dst_unused:UNUSED_PAD src0_sel:DWORD src1_sel:WORD_1
	v_cmp_gt_i32_e32 vcc, s15, v1
	v_cmp_gt_i32_e64 s[2:3], s33, v70
	v_perm_b32 v12, v12, v14, s20
	s_nop 0
	v_cndmask_b32_e64 v14, 0, v13, s[2:3]
	v_cndmask_b32_sdwa v13, v71, v13, vcc dst_sel:DWORD dst_unused:UNUSED_PAD src0_sel:DWORD src1_sel:WORD_1
	v_perm_b32 v13, v13, v14, s20
	s_or_b64 exec, exec, s[12:13]
	global_load_dwordx4 v[14:17], v[38:39], off offset:3072
	s_and_saveexec_b64 s[12:13], s[0:1]
	s_cbranch_execnz .LBB160_44
	s_branch .LBB160_45
.LBB160_64:
	s_or_b64 exec, exec, s[6:7]
	v_mov_b32_e32 v24, v87
.LBB160_65:
	s_or_b64 exec, exec, s[8:9]
	ds_bpermute_b32 v2, v77, v68
	ds_bpermute_b32 v3, v77, v69
	;; [unrolled: 1-line block ×6, first 2 shown]
	s_waitcnt lgkmcnt(4)
	v_pk_add_f32 v[2:3], v[68:69], v[2:3]
	ds_bpermute_b32 v6, v78, v2
	ds_bpermute_b32 v7, v78, v3
	;; [unrolled: 1-line block ×4, first 2 shown]
	s_waitcnt lgkmcnt(4)
	v_pk_add_f32 v[4:5], v[66:67], v[4:5]
	ds_bpermute_b32 v22, v77, v58
	s_waitcnt lgkmcnt(3)
	v_pk_add_f32 v[2:3], v[2:3], v[6:7]
	v_pk_add_f32 v[6:7], v[64:65], v[8:9]
	ds_bpermute_b32 v8, v77, v62
	ds_bpermute_b32 v9, v77, v63
	;; [unrolled: 1-line block ×4, first 2 shown]
	s_waitcnt lgkmcnt(5)
	v_pk_add_f32 v[14:15], v[60:61], v[14:15]
	ds_bpermute_b32 v23, v77, v59
	ds_bpermute_b32 v10, v78, v4
	;; [unrolled: 1-line block ×5, first 2 shown]
	s_waitcnt lgkmcnt(7)
	v_pk_add_f32 v[16:17], v[62:63], v[8:9]
	ds_bpermute_b32 v18, v78, v16
	ds_bpermute_b32 v19, v78, v17
	s_waitcnt lgkmcnt(7)
	v_pk_add_f32 v[8:9], v[6:7], v[12:13]
	s_waitcnt lgkmcnt(6)
	v_pk_add_f32 v[12:13], v[58:59], v[22:23]
	;; [unrolled: 2-line block ×4, first 2 shown]
	ds_bpermute_b32 v14, v78, v12
	ds_bpermute_b32 v15, v78, v13
	v_and_b32_e32 v1, 0x3c3, v24
	s_waitcnt lgkmcnt(2)
	v_pk_add_f32 v[6:7], v[16:17], v[18:19]
	v_cmp_ne_u32_e32 vcc, 64, v1
	s_waitcnt lgkmcnt(0)
	s_barrier
	s_and_saveexec_b64 s[0:1], vcc
	s_xor_b64 s[0:1], exec, s[0:1]
; %bb.66:
                                        ; implicit-def: $vgpr0
; %bb.67:
	s_or_saveexec_b64 s[0:1], s[0:1]
	v_pk_add_f32 v[12:13], v[12:13], v[14:15]
	s_xor_b64 exec, exec, s[0:1]
	s_cbranch_execz .LBB160_69
; %bb.68:
	v_add_u32_e32 v0, 0x190, v0
	ds_write2_b32 v0, v2, v3 offset1:16
	ds_write2_b32 v0, v10, v11 offset0:32 offset1:48
	ds_write2_b32 v0, v8, v9 offset0:64 offset1:80
	ds_write2_b32 v0, v6, v7 offset0:96 offset1:112
	ds_write2_b32 v0, v4, v5 offset0:128 offset1:144
	ds_write2_b32 v0, v12, v13 offset0:160 offset1:176
.LBB160_69:
	s_or_b64 exec, exec, s[0:1]
	v_cmp_gt_u32_e32 vcc, 64, v24
	v_lshrrev_b32_e32 v0, 2, v24
	s_waitcnt lgkmcnt(0)
	s_barrier
	s_and_saveexec_b64 s[0:1], vcc
	s_cbranch_execz .LBB160_84
; %bb.70:
	v_mov_b32_e32 v14, 0x190
	v_cmp_eq_u32_e32 vcc, 0, v79
	v_lshl_add_u32 v14, v0, 2, v14
	s_and_saveexec_b64 s[2:3], vcc
	s_cbranch_execnz .LBB160_87
; %bb.71:
	s_or_b64 exec, exec, s[2:3]
	s_and_saveexec_b64 s[2:3], vcc
	s_cbranch_execnz .LBB160_88
.LBB160_72:
	s_or_b64 exec, exec, s[2:3]
	s_and_saveexec_b64 s[2:3], vcc
	s_cbranch_execnz .LBB160_89
.LBB160_73:
	s_or_b64 exec, exec, s[2:3]
	s_and_saveexec_b64 s[2:3], vcc
	s_cbranch_execnz .LBB160_90
.LBB160_74:
	s_or_b64 exec, exec, s[2:3]
	s_and_saveexec_b64 s[2:3], vcc
	s_cbranch_execnz .LBB160_91
.LBB160_75:
	s_or_b64 exec, exec, s[2:3]
	s_and_saveexec_b64 s[2:3], vcc
	s_cbranch_execnz .LBB160_92
.LBB160_76:
	s_or_b64 exec, exec, s[2:3]
	s_and_saveexec_b64 s[2:3], vcc
	s_cbranch_execnz .LBB160_93
.LBB160_77:
	s_or_b64 exec, exec, s[2:3]
	s_and_saveexec_b64 s[2:3], vcc
	s_cbranch_execnz .LBB160_94
.LBB160_78:
	s_or_b64 exec, exec, s[2:3]
	s_and_saveexec_b64 s[2:3], vcc
	s_cbranch_execnz .LBB160_95
.LBB160_79:
	s_or_b64 exec, exec, s[2:3]
	s_and_saveexec_b64 s[2:3], vcc
	s_cbranch_execnz .LBB160_96
.LBB160_80:
	s_or_b64 exec, exec, s[2:3]
	s_and_saveexec_b64 s[2:3], vcc
	s_cbranch_execnz .LBB160_97
.LBB160_81:
	s_or_b64 exec, exec, s[2:3]
	s_and_saveexec_b64 s[2:3], vcc
	s_cbranch_execz .LBB160_83
.LBB160_82:
	ds_read_b32 v14, v14 offset:704
	s_waitcnt lgkmcnt(0)
	v_add_f32_e32 v13, v13, v14
.LBB160_83:
	s_or_b64 exec, exec, s[2:3]
.LBB160_84:
	s_or_b64 exec, exec, s[0:1]
	v_cmp_eq_u32_e32 vcc, 0, v1
	s_barrier
	s_and_saveexec_b64 s[0:1], vcc
	s_cbranch_execz .LBB160_86
; %bb.85:
	s_mul_i32 s0, s10, s11
	s_mul_i32 s0, s0, s5
	s_mulk_i32 s0, 0xc0
	s_ashr_i32 s1, s0, 31
	s_lshl_b64 s[0:1], s[0:1], 1
	s_add_u32 s2, s18, s0
	s_mul_i32 s0, s11, s16
	s_addc_u32 s3, s19, s1
	s_ashr_i32 s1, s0, 31
	s_lshl_b64 s[0:1], s[0:1], 1
	s_add_u32 s2, s2, s0
	s_mul_i32 s0, s4, 0xc0
	s_addc_u32 s3, s3, s1
	s_ashr_i32 s1, s0, 31
	s_lshl_b64 s[0:1], s[0:1], 1
	s_add_u32 s0, s2, s0
	s_addc_u32 s1, s3, s1
	v_lshlrev_b32_e32 v0, 1, v0
	v_cvt_pk_bf16_f32 v1, v2, s0
	global_store_short v0, v1, s[0:1]
	v_cvt_pk_bf16_f32 v1, v3, s0
	global_store_short v0, v1, s[0:1] offset:32
	v_cvt_pk_bf16_f32 v1, v10, s0
	global_store_short v0, v1, s[0:1] offset:64
	;; [unrolled: 2-line block ×11, first 2 shown]
.LBB160_86:
	s_endpgm
.LBB160_87:
	ds_read_b32 v15, v14
	s_waitcnt lgkmcnt(0)
	v_add_f32_e32 v2, v2, v15
	s_or_b64 exec, exec, s[2:3]
	s_and_saveexec_b64 s[2:3], vcc
	s_cbranch_execz .LBB160_72
.LBB160_88:
	ds_read_b32 v15, v14 offset:64
	s_waitcnt lgkmcnt(0)
	v_add_f32_e32 v3, v3, v15
	s_or_b64 exec, exec, s[2:3]
	s_and_saveexec_b64 s[2:3], vcc
	s_cbranch_execz .LBB160_73
.LBB160_89:
	ds_read_b32 v15, v14 offset:128
	s_waitcnt lgkmcnt(0)
	v_add_f32_e32 v10, v10, v15
	s_or_b64 exec, exec, s[2:3]
	s_and_saveexec_b64 s[2:3], vcc
	s_cbranch_execz .LBB160_74
.LBB160_90:
	ds_read_b32 v15, v14 offset:192
	s_waitcnt lgkmcnt(0)
	v_add_f32_e32 v11, v11, v15
	s_or_b64 exec, exec, s[2:3]
	s_and_saveexec_b64 s[2:3], vcc
	s_cbranch_execz .LBB160_75
.LBB160_91:
	ds_read_b32 v15, v14 offset:256
	s_waitcnt lgkmcnt(0)
	v_add_f32_e32 v8, v8, v15
	s_or_b64 exec, exec, s[2:3]
	s_and_saveexec_b64 s[2:3], vcc
	s_cbranch_execz .LBB160_76
.LBB160_92:
	ds_read_b32 v15, v14 offset:320
	s_waitcnt lgkmcnt(0)
	v_add_f32_e32 v9, v9, v15
	s_or_b64 exec, exec, s[2:3]
	s_and_saveexec_b64 s[2:3], vcc
	s_cbranch_execz .LBB160_77
.LBB160_93:
	ds_read_b32 v15, v14 offset:384
	s_waitcnt lgkmcnt(0)
	v_add_f32_e32 v6, v6, v15
	s_or_b64 exec, exec, s[2:3]
	s_and_saveexec_b64 s[2:3], vcc
	s_cbranch_execz .LBB160_78
.LBB160_94:
	ds_read_b32 v15, v14 offset:448
	s_waitcnt lgkmcnt(0)
	v_add_f32_e32 v7, v7, v15
	s_or_b64 exec, exec, s[2:3]
	s_and_saveexec_b64 s[2:3], vcc
	s_cbranch_execz .LBB160_79
.LBB160_95:
	ds_read_b32 v15, v14 offset:512
	s_waitcnt lgkmcnt(0)
	v_add_f32_e32 v4, v4, v15
	s_or_b64 exec, exec, s[2:3]
	s_and_saveexec_b64 s[2:3], vcc
	s_cbranch_execz .LBB160_80
.LBB160_96:
	ds_read_b32 v15, v14 offset:576
	s_waitcnt lgkmcnt(0)
	v_add_f32_e32 v5, v5, v15
	s_or_b64 exec, exec, s[2:3]
	s_and_saveexec_b64 s[2:3], vcc
	s_cbranch_execz .LBB160_81
.LBB160_97:
	ds_read_b32 v15, v14 offset:640
	s_waitcnt lgkmcnt(0)
	v_add_f32_e32 v12, v12, v15
	s_or_b64 exec, exec, s[2:3]
	s_and_saveexec_b64 s[2:3], vcc
	s_cbranch_execnz .LBB160_82
	s_branch .LBB160_83
	.section	.rodata,"a",@progbits
	.p2align	6, 0x0
	.amdhsa_kernel _ZN4vllm25paged_attention_v1_kernelI14__hip_bfloat16S1_Li192ELi32ELi128ELNS_18Fp8KVCacheDataTypeE0ELb0EEEvPT_PKS3_PKT0_S9_ifPKiSB_iPKfiiiSD_SD_iiiii
		.amdhsa_group_segment_fixed_size 400
		.amdhsa_private_segment_fixed_size 148
		.amdhsa_kernarg_size 384
		.amdhsa_user_sgpr_count 2
		.amdhsa_user_sgpr_dispatch_ptr 0
		.amdhsa_user_sgpr_queue_ptr 0
		.amdhsa_user_sgpr_kernarg_segment_ptr 1
		.amdhsa_user_sgpr_dispatch_id 0
		.amdhsa_user_sgpr_kernarg_preload_length 0
		.amdhsa_user_sgpr_kernarg_preload_offset 0
		.amdhsa_user_sgpr_private_segment_size 0
		.amdhsa_uses_dynamic_stack 0
		.amdhsa_enable_private_segment 1
		.amdhsa_system_sgpr_workgroup_id_x 1
		.amdhsa_system_sgpr_workgroup_id_y 1
		.amdhsa_system_sgpr_workgroup_id_z 1
		.amdhsa_system_sgpr_workgroup_info 0
		.amdhsa_system_vgpr_workitem_id 0
		.amdhsa_next_free_vgpr 128
		.amdhsa_next_free_sgpr 36
		.amdhsa_accum_offset 128
		.amdhsa_reserve_vcc 1
		.amdhsa_float_round_mode_32 0
		.amdhsa_float_round_mode_16_64 0
		.amdhsa_float_denorm_mode_32 3
		.amdhsa_float_denorm_mode_16_64 3
		.amdhsa_dx10_clamp 1
		.amdhsa_ieee_mode 1
		.amdhsa_fp16_overflow 0
		.amdhsa_tg_split 0
		.amdhsa_exception_fp_ieee_invalid_op 0
		.amdhsa_exception_fp_denorm_src 0
		.amdhsa_exception_fp_ieee_div_zero 0
		.amdhsa_exception_fp_ieee_overflow 0
		.amdhsa_exception_fp_ieee_underflow 0
		.amdhsa_exception_fp_ieee_inexact 0
		.amdhsa_exception_int_div_zero 0
	.end_amdhsa_kernel
	.section	.text._ZN4vllm25paged_attention_v1_kernelI14__hip_bfloat16S1_Li192ELi32ELi128ELNS_18Fp8KVCacheDataTypeE0ELb0EEEvPT_PKS3_PKT0_S9_ifPKiSB_iPKfiiiSD_SD_iiiii,"axG",@progbits,_ZN4vllm25paged_attention_v1_kernelI14__hip_bfloat16S1_Li192ELi32ELi128ELNS_18Fp8KVCacheDataTypeE0ELb0EEEvPT_PKS3_PKT0_S9_ifPKiSB_iPKfiiiSD_SD_iiiii,comdat
.Lfunc_end160:
	.size	_ZN4vllm25paged_attention_v1_kernelI14__hip_bfloat16S1_Li192ELi32ELi128ELNS_18Fp8KVCacheDataTypeE0ELb0EEEvPT_PKS3_PKT0_S9_ifPKiSB_iPKfiiiSD_SD_iiiii, .Lfunc_end160-_ZN4vllm25paged_attention_v1_kernelI14__hip_bfloat16S1_Li192ELi32ELi128ELNS_18Fp8KVCacheDataTypeE0ELb0EEEvPT_PKS3_PKT0_S9_ifPKiSB_iPKfiiiSD_SD_iiiii
                                        ; -- End function
	.set _ZN4vllm25paged_attention_v1_kernelI14__hip_bfloat16S1_Li192ELi32ELi128ELNS_18Fp8KVCacheDataTypeE0ELb0EEEvPT_PKS3_PKT0_S9_ifPKiSB_iPKfiiiSD_SD_iiiii.num_vgpr, 128
	.set _ZN4vllm25paged_attention_v1_kernelI14__hip_bfloat16S1_Li192ELi32ELi128ELNS_18Fp8KVCacheDataTypeE0ELb0EEEvPT_PKS3_PKT0_S9_ifPKiSB_iPKfiiiSD_SD_iiiii.num_agpr, 0
	.set _ZN4vllm25paged_attention_v1_kernelI14__hip_bfloat16S1_Li192ELi32ELi128ELNS_18Fp8KVCacheDataTypeE0ELb0EEEvPT_PKS3_PKT0_S9_ifPKiSB_iPKfiiiSD_SD_iiiii.numbered_sgpr, 36
	.set _ZN4vllm25paged_attention_v1_kernelI14__hip_bfloat16S1_Li192ELi32ELi128ELNS_18Fp8KVCacheDataTypeE0ELb0EEEvPT_PKS3_PKT0_S9_ifPKiSB_iPKfiiiSD_SD_iiiii.num_named_barrier, 0
	.set _ZN4vllm25paged_attention_v1_kernelI14__hip_bfloat16S1_Li192ELi32ELi128ELNS_18Fp8KVCacheDataTypeE0ELb0EEEvPT_PKS3_PKT0_S9_ifPKiSB_iPKfiiiSD_SD_iiiii.private_seg_size, 148
	.set _ZN4vllm25paged_attention_v1_kernelI14__hip_bfloat16S1_Li192ELi32ELi128ELNS_18Fp8KVCacheDataTypeE0ELb0EEEvPT_PKS3_PKT0_S9_ifPKiSB_iPKfiiiSD_SD_iiiii.uses_vcc, 1
	.set _ZN4vllm25paged_attention_v1_kernelI14__hip_bfloat16S1_Li192ELi32ELi128ELNS_18Fp8KVCacheDataTypeE0ELb0EEEvPT_PKS3_PKT0_S9_ifPKiSB_iPKfiiiSD_SD_iiiii.uses_flat_scratch, 0
	.set _ZN4vllm25paged_attention_v1_kernelI14__hip_bfloat16S1_Li192ELi32ELi128ELNS_18Fp8KVCacheDataTypeE0ELb0EEEvPT_PKS3_PKT0_S9_ifPKiSB_iPKfiiiSD_SD_iiiii.has_dyn_sized_stack, 0
	.set _ZN4vllm25paged_attention_v1_kernelI14__hip_bfloat16S1_Li192ELi32ELi128ELNS_18Fp8KVCacheDataTypeE0ELb0EEEvPT_PKS3_PKT0_S9_ifPKiSB_iPKfiiiSD_SD_iiiii.has_recursion, 0
	.set _ZN4vllm25paged_attention_v1_kernelI14__hip_bfloat16S1_Li192ELi32ELi128ELNS_18Fp8KVCacheDataTypeE0ELb0EEEvPT_PKS3_PKT0_S9_ifPKiSB_iPKfiiiSD_SD_iiiii.has_indirect_call, 0
	.section	.AMDGPU.csdata,"",@progbits
; Kernel info:
; codeLenInByte = 11392
; TotalNumSgprs: 42
; NumVgprs: 128
; NumAgprs: 0
; TotalNumVgprs: 128
; ScratchSize: 148
; MemoryBound: 0
; FloatMode: 240
; IeeeMode: 1
; LDSByteSize: 400 bytes/workgroup (compile time only)
; SGPRBlocks: 5
; VGPRBlocks: 15
; NumSGPRsForWavesPerEU: 42
; NumVGPRsForWavesPerEU: 128
; AccumOffset: 128
; Occupancy: 4
; WaveLimiterHint : 1
; COMPUTE_PGM_RSRC2:SCRATCH_EN: 1
; COMPUTE_PGM_RSRC2:USER_SGPR: 2
; COMPUTE_PGM_RSRC2:TRAP_HANDLER: 0
; COMPUTE_PGM_RSRC2:TGID_X_EN: 1
; COMPUTE_PGM_RSRC2:TGID_Y_EN: 1
; COMPUTE_PGM_RSRC2:TGID_Z_EN: 1
; COMPUTE_PGM_RSRC2:TIDIG_COMP_CNT: 0
; COMPUTE_PGM_RSRC3_GFX90A:ACCUM_OFFSET: 31
; COMPUTE_PGM_RSRC3_GFX90A:TG_SPLIT: 0
	.section	.text._ZN4vllm25paged_attention_v1_kernelI14__hip_bfloat16S1_Li256ELi32ELi128ELNS_18Fp8KVCacheDataTypeE0ELb0EEEvPT_PKS3_PKT0_S9_ifPKiSB_iPKfiiiSD_SD_iiiii,"axG",@progbits,_ZN4vllm25paged_attention_v1_kernelI14__hip_bfloat16S1_Li256ELi32ELi128ELNS_18Fp8KVCacheDataTypeE0ELb0EEEvPT_PKS3_PKT0_S9_ifPKiSB_iPKfiiiSD_SD_iiiii,comdat
	.protected	_ZN4vllm25paged_attention_v1_kernelI14__hip_bfloat16S1_Li256ELi32ELi128ELNS_18Fp8KVCacheDataTypeE0ELb0EEEvPT_PKS3_PKT0_S9_ifPKiSB_iPKfiiiSD_SD_iiiii ; -- Begin function _ZN4vllm25paged_attention_v1_kernelI14__hip_bfloat16S1_Li256ELi32ELi128ELNS_18Fp8KVCacheDataTypeE0ELb0EEEvPT_PKS3_PKT0_S9_ifPKiSB_iPKfiiiSD_SD_iiiii
	.globl	_ZN4vllm25paged_attention_v1_kernelI14__hip_bfloat16S1_Li256ELi32ELi128ELNS_18Fp8KVCacheDataTypeE0ELb0EEEvPT_PKS3_PKT0_S9_ifPKiSB_iPKfiiiSD_SD_iiiii
	.p2align	8
	.type	_ZN4vllm25paged_attention_v1_kernelI14__hip_bfloat16S1_Li256ELi32ELi128ELNS_18Fp8KVCacheDataTypeE0ELb0EEEvPT_PKS3_PKT0_S9_ifPKiSB_iPKfiiiSD_SD_iiiii,@function
_ZN4vllm25paged_attention_v1_kernelI14__hip_bfloat16S1_Li256ELi32ELi128ELNS_18Fp8KVCacheDataTypeE0ELb0EEEvPT_PKS3_PKT0_S9_ifPKiSB_iPKfiiiSD_SD_iiiii: ; @_ZN4vllm25paged_attention_v1_kernelI14__hip_bfloat16S1_Li256ELi32ELi128ELNS_18Fp8KVCacheDataTypeE0ELb0EEEvPT_PKS3_PKT0_S9_ifPKiSB_iPKfiiiSD_SD_iiiii
; %bb.0:
	s_load_dword s5, s[0:1], 0x80
	s_load_dwordx2 s[6:7], s[0:1], 0x30
	s_load_dwordx2 s[10:11], s[0:1], 0x20
	s_mov_b32 s16, s3
	s_ashr_i32 s17, s3, 31
	s_lshl_b64 s[8:9], s[16:17], 2
	s_waitcnt lgkmcnt(0)
	s_add_u32 s6, s6, s8
	s_addc_u32 s7, s7, s9
	s_abs_i32 s3, s10
	v_mov_b32_e32 v28, v0
	v_cvt_f32_u32_e32 v0, s3
	s_xor_b32 s8, s5, s10
	s_sub_i32 s10, 0, s3
	s_abs_i32 s9, s5
	v_rcp_iflag_f32_e32 v0, v0
	s_ashr_i32 s8, s8, 31
	v_mul_f32_e32 v0, 0x4f7ffffe, v0
	v_cvt_u32_f32_e32 v0, v0
	s_nop 0
	v_readfirstlane_b32 s12, v0
	s_mul_i32 s10, s10, s12
	s_mul_hi_u32 s10, s12, s10
	s_add_i32 s12, s12, s10
	s_mul_hi_u32 s10, s9, s12
	s_mul_i32 s12, s10, s3
	s_sub_i32 s9, s9, s12
	s_add_i32 s12, s10, 1
	s_sub_i32 s13, s9, s3
	s_cmp_ge_u32 s9, s3
	s_cselect_b32 s10, s12, s10
	s_cselect_b32 s9, s13, s9
	s_add_i32 s12, s10, 1
	s_cmp_ge_u32 s9, s3
	s_cselect_b32 s3, s12, s10
	s_xor_b32 s3, s3, s8
	s_sub_i32 s12, s3, s8
	s_abs_i32 s17, s12
	v_cvt_f32_u32_e32 v0, s17
	s_load_dwordx2 s[8:9], s[0:1], 0x40
	s_sub_i32 s3, 0, s17
	s_abs_i32 s20, s2
	v_rcp_iflag_f32_e32 v0, v0
	s_mov_b32 s10, 0
	v_mul_f32_e32 v0, 0x4f7ffffe, v0
	v_cvt_u32_f32_e32 v0, v0
	s_nop 0
	v_readfirstlane_b32 s13, v0
	s_mul_i32 s3, s3, s13
	s_mul_hi_u32 s3, s13, s3
	s_add_i32 s13, s13, s3
	s_waitcnt lgkmcnt(0)
	s_cmp_eq_u64 s[8:9], 0
	s_mul_hi_u32 s21, s20, s13
	s_cbranch_scc1 .LBB161_2
; %bb.1:
	s_ashr_i32 s3, s2, 31
	s_lshl_b64 s[14:15], s[2:3], 2
	s_add_u32 s8, s8, s14
	s_addc_u32 s9, s9, s15
	s_load_dword s10, s[8:9], 0x0
.LBB161_2:
	s_load_dword s33, s[6:7], 0x0
	s_ashr_i32 s9, s12, 31
	s_load_dwordx4 s[12:15], s[0:1], 0x48
	s_ashr_i32 s8, s2, 31
	v_and_b32_e32 v1, 1, v28
	s_lshl_b32 s18, s2, 8
	v_cmp_gt_u32_e64 s[6:7], 64, v28
	v_lshlrev_b32_e32 v22, 3, v28
	s_and_saveexec_b64 s[2:3], s[6:7]
	s_cbranch_execz .LBB161_4
; %bb.3:
	s_load_dwordx2 s[22:23], s[0:1], 0x8
	s_waitcnt lgkmcnt(0)
	s_mul_i32 s24, s12, s16
	s_ashr_i32 s25, s24, 31
	s_lshl_b64 s[24:25], s[24:25], 1
	v_lshlrev_b32_e32 v0, 2, v28
	s_add_u32 s12, s22, s24
	s_addc_u32 s15, s23, s25
	s_ashr_i32 s19, s18, 31
	s_lshl_b64 s[22:23], s[18:19], 1
	s_add_u32 s22, s12, s22
	s_addc_u32 s23, s15, s23
	global_load_dwordx2 v[2:3], v22, s[22:23]
	v_and_b32_e32 v0, 0xff8, v0
	v_lshl_add_u32 v0, v1, 8, v0
	s_waitcnt vmcnt(0)
	ds_write_b64 v0, v[2:3]
.LBB161_4:
	s_or_b64 exec, exec, s[2:3]
	s_waitcnt lgkmcnt(0)
	s_add_i32 s3, s33, 31
	s_ashr_i32 s12, s3, 31
	s_lshr_b32 s12, s12, 27
	s_add_i32 s3, s3, s12
	s_ashr_i32 s19, s3, 5
	s_xor_b32 s3, s8, s9
	s_mul_i32 s8, s21, s17
	s_sub_i32 s8, s20, s8
	s_add_i32 s9, s21, 1
	s_sub_i32 s12, s8, s17
	s_load_dwordx2 s[22:23], s[0:1], 0x28
	s_load_dword s2, s[0:1], 0x38
	s_cmp_ge_u32 s8, s17
	s_cselect_b32 s9, s9, s21
	s_cselect_b32 s8, s12, s8
	s_add_i32 s12, s9, 1
	s_cmp_ge_u32 s8, s17
	s_cselect_b32 s8, s12, s9
	v_lshrrev_b32_e32 v94, 6, v28
	s_xor_b32 s8, s8, s3
	s_waitcnt lgkmcnt(0)
	s_mul_i32 s24, s2, s16
	s_sub_i32 s12, s8, s3
	s_ashr_i32 s25, s24, 31
	v_cmp_gt_i32_e64 s[2:3], s19, v94
	v_cmp_le_i32_e32 vcc, s19, v94
	v_mbcnt_lo_u32_b32 v4, -1, 0
	s_barrier
                                        ; implicit-def: $vgpr11
                                        ; implicit-def: $vgpr8
                                        ; implicit-def: $vgpr9
	s_and_saveexec_b64 s[8:9], vcc
	s_xor_b64 s[8:9], exec, s[8:9]
; %bb.5:
	v_mbcnt_hi_u32_b32 v11, -1, v4
	v_and_b32_e32 v8, 64, v11
	v_add_u32_e32 v9, 64, v8
                                        ; implicit-def: $vgpr1
                                        ; implicit-def: $vgpr4
; %bb.6:
	s_or_saveexec_b64 s[28:29], s[8:9]
	s_load_dwordx2 s[20:21], s[0:1], 0x0
	s_load_dwordx2 s[26:27], s[0:1], 0x18
	s_load_dword s17, s[0:1], 0x88
	v_mov_b32_e32 v82, 0xff7fffff
	s_mul_i32 s14, s12, s14
	v_lshrrev_b32_e32 v23, 4, v28
	s_xor_b64 exec, exec, s[28:29]
	s_cbranch_execz .LBB161_12
; %bb.7:
	v_lshlrev_b32_e32 v0, 8, v1
	ds_read_b128 v[6:9], v0
	ds_read_b128 v[10:13], v0 offset:16
	ds_read_b128 v[14:17], v0 offset:32
	;; [unrolled: 1-line block ×3, first 2 shown]
	s_load_dwordx2 s[0:1], s[0:1], 0x10
	s_waitcnt lgkmcnt(0)
	v_lshlrev_b32_e32 v2, 16, v6
	scratch_store_dword off, v2, off        ; 4-byte Folded Spill
	v_and_b32_e32 v2, 0xffff0000, v6
	scratch_store_dword off, v2, off offset:4 ; 4-byte Folded Spill
	v_lshlrev_b32_e32 v2, 16, v7
	scratch_store_dword off, v2, off offset:8 ; 4-byte Folded Spill
	v_and_b32_e32 v2, 0xffff0000, v7
	scratch_store_dword off, v2, off offset:12 ; 4-byte Folded Spill
	v_lshlrev_b32_e32 v2, 16, v8
	scratch_store_dword off, v2, off offset:16 ; 4-byte Folded Spill
	;; [unrolled: 4-line block ×13, first 2 shown]
	v_and_b32_e32 v2, 0xffff0000, v19
	ds_read_b128 v[6:9], v0 offset:64
	ds_read_b128 v[10:13], v0 offset:80
	scratch_store_dword off, v2, off offset:108 ; 4-byte Folded Spill
	v_lshlrev_b32_e32 v2, 16, v20
	scratch_store_dword off, v2, off offset:112 ; 4-byte Folded Spill
	v_and_b32_e32 v2, 0xffff0000, v20
	scratch_store_dword off, v2, off offset:116 ; 4-byte Folded Spill
	v_lshlrev_b32_e32 v2, 16, v21
	scratch_store_dword off, v2, off offset:120 ; 4-byte Folded Spill
	v_and_b32_e32 v2, 0xffff0000, v21
	scratch_store_dword off, v2, off offset:124 ; 4-byte Folded Spill
	s_waitcnt lgkmcnt(1)
	v_lshlrev_b32_e32 v2, 16, v6
	scratch_store_dword off, v2, off offset:128 ; 4-byte Folded Spill
	v_and_b32_e32 v2, 0xffff0000, v6
	scratch_store_dword off, v2, off offset:132 ; 4-byte Folded Spill
	v_lshlrev_b32_e32 v2, 16, v7
	scratch_store_dword off, v2, off offset:136 ; 4-byte Folded Spill
	v_and_b32_e32 v2, 0xffff0000, v7
	scratch_store_dword off, v2, off offset:140 ; 4-byte Folded Spill
	;; [unrolled: 4-line block ×4, first 2 shown]
	s_waitcnt lgkmcnt(0)
	v_lshlrev_b32_e32 v2, 16, v10
	scratch_store_dword off, v2, off offset:160 ; 4-byte Folded Spill
	v_and_b32_e32 v2, 0xffff0000, v10
	scratch_store_dword off, v2, off offset:164 ; 4-byte Folded Spill
	v_lshlrev_b32_e32 v2, 16, v11
	scratch_store_dword off, v2, off offset:168 ; 4-byte Folded Spill
	v_and_b32_e32 v2, 0xffff0000, v11
	ds_read_b128 v[6:9], v0 offset:96
	scratch_store_dword off, v2, off offset:172 ; 4-byte Folded Spill
	v_lshlrev_b32_e32 v2, 16, v12
	scratch_store_dword off, v2, off offset:176 ; 4-byte Folded Spill
	v_and_b32_e32 v2, 0xffff0000, v12
	scratch_store_dword off, v2, off offset:180 ; 4-byte Folded Spill
	v_lshlrev_b32_e32 v2, 16, v13
	scratch_store_dword off, v2, off offset:184 ; 4-byte Folded Spill
	v_and_b32_e32 v2, 0xffff0000, v13
	scratch_store_dword off, v2, off offset:188 ; 4-byte Folded Spill
	ds_read_b128 v[10:13], v0 offset:112
	s_waitcnt lgkmcnt(1)
	v_lshlrev_b32_e32 v2, 16, v6
	scratch_store_dword off, v2, off offset:192 ; 4-byte Folded Spill
	v_and_b32_e32 v2, 0xffff0000, v6
	scratch_store_dword off, v2, off offset:196 ; 4-byte Folded Spill
	v_lshlrev_b32_e32 v2, 16, v7
	scratch_store_dword off, v2, off offset:200 ; 4-byte Folded Spill
	v_and_b32_e32 v2, 0xffff0000, v7
	scratch_store_dword off, v2, off offset:204 ; 4-byte Folded Spill
	v_lshlrev_b32_e32 v2, 16, v8
	scratch_store_dword off, v2, off offset:208 ; 4-byte Folded Spill
	v_and_b32_e32 v2, 0xffff0000, v8
	scratch_store_dword off, v2, off offset:212 ; 4-byte Folded Spill
	v_lshlrev_b32_e32 v2, 16, v9
	scratch_store_dword off, v2, off offset:216 ; 4-byte Folded Spill
	v_and_b32_e32 v2, 0xffff0000, v9
	scratch_store_dword off, v2, off offset:220 ; 4-byte Folded Spill
	s_waitcnt lgkmcnt(0)
	v_lshlrev_b32_e32 v2, 16, v10
	scratch_store_dword off, v2, off offset:224 ; 4-byte Folded Spill
	v_and_b32_e32 v2, 0xffff0000, v10
	scratch_store_dword off, v2, off offset:228 ; 4-byte Folded Spill
	v_lshlrev_b32_e32 v2, 16, v11
	scratch_store_dword off, v2, off offset:232 ; 4-byte Folded Spill
	v_and_b32_e32 v2, 0xffff0000, v11
	ds_read_b128 v[6:9], v0 offset:128
	scratch_store_dword off, v2, off offset:236 ; 4-byte Folded Spill
	v_lshlrev_b32_e32 v2, 16, v12
	scratch_store_dword off, v2, off offset:240 ; 4-byte Folded Spill
	v_and_b32_e32 v2, 0xffff0000, v12
	scratch_store_dword off, v2, off offset:244 ; 4-byte Folded Spill
	v_lshlrev_b32_e32 v2, 16, v13
	scratch_store_dword off, v2, off offset:248 ; 4-byte Folded Spill
	v_and_b32_e32 v2, 0xffff0000, v13
	scratch_store_dword off, v2, off offset:252 ; 4-byte Folded Spill
	ds_read_b128 v[10:13], v0 offset:144
	s_waitcnt lgkmcnt(1)
	v_lshlrev_b32_e32 v2, 16, v6
	scratch_store_dword off, v2, off offset:256 ; 4-byte Folded Spill
	v_and_b32_e32 v2, 0xffff0000, v6
	scratch_store_dword off, v2, off offset:260 ; 4-byte Folded Spill
	v_lshlrev_b32_e32 v2, 16, v7
	scratch_store_dword off, v2, off offset:264 ; 4-byte Folded Spill
	v_and_b32_e32 v2, 0xffff0000, v7
	scratch_store_dword off, v2, off offset:268 ; 4-byte Folded Spill
	;; [unrolled: 4-line block ×4, first 2 shown]
	s_waitcnt lgkmcnt(0)
	v_lshlrev_b32_e32 v2, 16, v10
	scratch_store_dword off, v2, off offset:288 ; 4-byte Folded Spill
	v_and_b32_e32 v2, 0xffff0000, v10
	scratch_store_dword off, v2, off offset:292 ; 4-byte Folded Spill
	v_lshlrev_b32_e32 v2, 16, v11
	scratch_store_dword off, v2, off offset:296 ; 4-byte Folded Spill
	v_and_b32_e32 v2, 0xffff0000, v11
	scratch_store_dword off, v2, off offset:300 ; 4-byte Folded Spill
	v_lshlrev_b32_e32 v2, 16, v12
	scratch_store_dword off, v2, off offset:304 ; 4-byte Folded Spill
	ds_read_b128 v[6:9], v0 offset:160
	v_and_b32_e32 v2, 0xffff0000, v12
	v_lshlrev_b32_e32 v92, 16, v13
	v_and_b32_e32 v93, 0xffff0000, v13
	ds_read_b128 v[10:13], v0 offset:176
	s_waitcnt lgkmcnt(1)
	v_lshlrev_b32_e32 v87, 16, v6
	v_and_b32_e32 v95, 0xffff0000, v6
	v_lshlrev_b32_e32 v96, 16, v7
	v_and_b32_e32 v97, 0xffff0000, v7
	;; [unrolled: 2-line block ×4, first 2 shown]
	s_waitcnt lgkmcnt(0)
	v_lshlrev_b32_e32 v102, 16, v10
	v_and_b32_e32 v103, 0xffff0000, v10
	v_lshlrev_b32_e32 v104, 16, v11
	v_and_b32_e32 v105, 0xffff0000, v11
	v_lshlrev_b32_e32 v106, 16, v12
	ds_read_b128 v[6:9], v0 offset:192
	v_and_b32_e32 v107, 0xffff0000, v12
	v_lshlrev_b32_e32 v108, 16, v13
	v_and_b32_e32 v109, 0xffff0000, v13
	ds_read_b128 v[10:13], v0 offset:208
	scratch_store_dword off, v2, off offset:308 ; 4-byte Folded Spill
	s_waitcnt lgkmcnt(1)
	v_lshlrev_b32_e32 v110, 16, v6
	v_and_b32_e32 v111, 0xffff0000, v6
	v_lshlrev_b32_e32 v112, 16, v7
	v_and_b32_e32 v113, 0xffff0000, v7
	;; [unrolled: 2-line block ×4, first 2 shown]
	s_waitcnt lgkmcnt(0)
	v_lshlrev_b32_e32 v118, 16, v10
	v_and_b32_e32 v119, 0xffff0000, v10
	v_lshlrev_b32_e32 v120, 16, v11
	v_and_b32_e32 v121, 0xffff0000, v11
	;; [unrolled: 2-line block ×4, first 2 shown]
	ds_read_b128 v[6:9], v0 offset:224
	ds_read_b128 v[10:13], v0 offset:240
	s_ashr_i32 s15, s14, 31
	s_lshl_b64 s[8:9], s[14:15], 1
	v_cmp_eq_u32_e32 vcc, 0, v1
	s_add_u32 s0, s0, s8
	v_bfe_u32 v1, v28, 1, 5
	s_waitcnt lgkmcnt(1)
	v_lshlrev_b32_e32 v126, 16, v6
	v_and_b32_e32 v127, 0xffff0000, v6
	v_lshlrev_b32_e32 v71, 16, v7
	v_and_b32_e32 v70, 0xffff0000, v7
	s_addc_u32 s1, s1, s9
	v_lshlrev_b32_e32 v6, 4, v1
	v_mov_b32_e32 v7, 0
	v_lshl_add_u64 v[2:3], s[0:1], 0, v[6:7]
	v_and_b32_e32 v6, 8, v22
	v_mbcnt_hi_u32_b32 v5, -1, v4
	v_lshl_add_u64 v[2:3], v[2:3], 0, v[6:7]
	v_and_b32_e32 v6, 64, v5
	v_xor_b32_e32 v4, 1, v5
	scratch_store_dword off, v6, off offset:328 ; 4-byte Folded Spill
	v_add_u32_e32 v6, 64, v6
	s_sub_i32 s15, 1, s33
	s_lshl_b64 s[8:9], s[24:25], 2
	v_cmp_lt_i32_e64 s[0:1], v4, v6
	v_lshl_or_b32 v84, v94, 5, v1
	v_lshlrev_b32_e32 v1, 2, v1
	s_add_u32 s8, s22, s8
	scratch_store_dword off, v6, off offset:332 ; 4-byte Folded Spill
	v_cndmask_b32_e64 v4, v5, v4, s[0:1]
	v_lshl_or_b32 v1, v94, 7, v1
	v_and_b32_e32 v6, 60, v23
	s_addc_u32 s9, s23, s9
	v_lshlrev_b32_e32 v86, 16, v8
	v_and_b32_e32 v0, 0xffff0000, v8
	v_lshlrev_b32_e32 v72, 16, v9
	v_and_b32_e32 v73, 0xffff0000, v9
	s_waitcnt lgkmcnt(0)
	v_lshlrev_b32_e32 v74, 16, v10
	v_and_b32_e32 v75, 0xffff0000, v10
	v_lshlrev_b32_e32 v76, 16, v11
	v_and_b32_e32 v77, 0xffff0000, v11
	;; [unrolled: 2-line block ×4, first 2 shown]
	s_mov_b32 s12, s13
	scratch_store_dword off, v5, off offset:324 ; 4-byte Folded Spill
	v_lshlrev_b32_e32 v83, 2, v4
	v_cmp_neq_f32_e64 s[0:1], s10, 0
	v_add_u32_e32 v85, 0x210, v1
	v_lshl_add_u64 v[4:5], s[8:9], 0, v[6:7]
	s_mov_b64 s[30:31], 0
	s_movk_i32 s36, 0x1000
	s_movk_i32 s37, 0x2000
	;; [unrolled: 1-line block ×3, first 2 shown]
	v_mov_b32_e32 v82, 0xff7fffff
	v_mov_b32_e32 v1, v94
	scratch_store_dword off, v28, off offset:312 ; 4-byte Folded Spill
	scratch_store_dword off, v22, off offset:316 ; 4-byte Folded Spill
	scratch_store_dword off, v23, off offset:320 ; 4-byte Folded Spill
	s_branch .LBB161_9
.LBB161_8:                              ;   in Loop: Header=BB161_9 Depth=1
	s_or_b64 exec, exec, s[34:35]
	v_add_u32_e32 v1, 2, v1
	v_cmp_le_i32_e64 s[8:9], s19, v1
	v_add_u32_e32 v84, 64, v84
	v_add_u32_e32 v85, 0x100, v85
	s_or_b64 s[30:31], s[8:9], s[30:31]
	v_lshl_add_u64 v[4:5], v[4:5], 0, 8
	s_andn2_b64 exec, exec, s[30:31]
	s_cbranch_execz .LBB161_11
.LBB161_9:                              ; =>This Inner Loop Header: Depth=1
	global_load_dword v6, v[4:5], off
	s_waitcnt vmcnt(0) lgkmcnt(0)
	v_mad_i64_i32 v[6:7], s[8:9], v6, s12, 0
	v_lshl_add_u64 v[6:7], v[6:7], 1, v[2:3]
	global_load_dwordx2 v[68:69], v[6:7], off
	global_load_dwordx2 v[66:67], v[6:7], off offset:512
	global_load_dwordx2 v[64:65], v[6:7], off offset:1024
	;; [unrolled: 1-line block ×7, first 2 shown]
	v_add_co_u32_e64 v8, s[8:9], s36, v6
	s_waitcnt vmcnt(7)
	v_lshlrev_b32_e32 v88, 16, v68
	v_addc_co_u32_e64 v9, s[8:9], 0, v7, s[8:9]
	v_add_co_u32_e64 v10, s[8:9], s37, v6
	v_and_b32_e32 v89, 0xffff0000, v68
	s_nop 0
	v_addc_co_u32_e64 v11, s[8:9], 0, v7, s[8:9]
	v_add_co_u32_e64 v6, s[8:9], s38, v6
	global_load_dwordx2 v[52:53], v[10:11], off offset:-4096
	global_load_dwordx2 v[50:51], v[8:9], off offset:512
	global_load_dwordx2 v[48:49], v[8:9], off offset:1024
	;; [unrolled: 1-line block ×7, first 2 shown]
	global_load_dwordx2 v[36:37], v[10:11], off
	global_load_dwordx2 v[34:35], v[10:11], off offset:512
	global_load_dwordx2 v[32:33], v[10:11], off offset:1024
	;; [unrolled: 1-line block ×7, first 2 shown]
	v_addc_co_u32_e64 v7, s[8:9], 0, v7, s[8:9]
	global_load_dwordx2 v[20:21], v[6:7], off
	global_load_dwordx2 v[18:19], v[6:7], off offset:512
	global_load_dwordx2 v[16:17], v[6:7], off offset:1024
	;; [unrolled: 1-line block ×6, first 2 shown]
	s_nop 0
	global_load_dwordx2 v[6:7], v[6:7], off offset:3584
	v_lshlrev_b32_e32 v90, 16, v69
	v_and_b32_e32 v91, 0xffff0000, v69
	s_waitcnt vmcnt(30)
	v_lshlrev_b32_e32 v68, 16, v66
	v_and_b32_e32 v69, 0xffff0000, v66
	scratch_load_dword v66, off, off offset:16 ; 4-byte Folded Reload
	s_waitcnt vmcnt(0)
	v_mul_f32_e32 v66, v66, v68
	scratch_load_dword v68, off, off        ; 4-byte Folded Reload
	s_waitcnt vmcnt(0)
	v_fmac_f32_e32 v66, v68, v88
	scratch_load_dword v68, off, off offset:20 ; 4-byte Folded Reload
	v_and_b32_e32 v88, 0xffff0000, v67
	s_waitcnt vmcnt(0)
	v_mul_f32_e32 v68, v68, v69
	scratch_load_dword v69, off, off offset:4 ; 4-byte Folded Reload
	s_waitcnt vmcnt(0)
	v_fmac_f32_e32 v68, v69, v89
	v_lshlrev_b32_e32 v69, 16, v67
	scratch_load_dword v67, off, off offset:24 ; 4-byte Folded Reload
	scratch_load_dword v89, off, off offset:32 ; 4-byte Folded Reload
	s_waitcnt vmcnt(1)
	v_mul_f32_e32 v67, v67, v69
	scratch_load_dword v69, off, off offset:8 ; 4-byte Folded Reload
	s_waitcnt vmcnt(0)
	v_fmac_f32_e32 v67, v69, v90
	scratch_load_dword v69, off, off offset:28 ; 4-byte Folded Reload
	s_waitcnt vmcnt(0)
	v_mul_f32_e32 v69, v69, v88
	scratch_load_dword v88, off, off offset:12 ; 4-byte Folded Reload
	s_waitcnt vmcnt(0)
	v_fmac_f32_e32 v69, v88, v91
	v_lshlrev_b32_e32 v88, 16, v64
	v_fmac_f32_e32 v66, v89, v88
	scratch_load_dword v88, off, off offset:36 ; 4-byte Folded Reload
	v_and_b32_e32 v64, 0xffff0000, v64
	s_waitcnt vmcnt(0)
	v_fmac_f32_e32 v68, v88, v64
	scratch_load_dword v88, off, off offset:40 ; 4-byte Folded Reload
	v_lshlrev_b32_e32 v64, 16, v65
	v_and_b32_e32 v65, 0xffff0000, v65
	s_waitcnt vmcnt(0)
	v_fmac_f32_e32 v67, v88, v64
	scratch_load_dword v64, off, off offset:44 ; 4-byte Folded Reload
	s_waitcnt vmcnt(0)
	v_fmac_f32_e32 v69, v64, v65
	scratch_load_dword v65, off, off offset:48 ; 4-byte Folded Reload
	v_lshlrev_b32_e32 v64, 16, v62
	v_and_b32_e32 v62, 0xffff0000, v62
	s_waitcnt vmcnt(0)
	v_fmac_f32_e32 v66, v65, v64
	scratch_load_dword v64, off, off offset:52 ; 4-byte Folded Reload
	;; [unrolled: 8-line block ×34, first 2 shown]
	s_waitcnt vmcnt(0)
	v_fmac_f32_e32 v68, v32, v30
	v_lshlrev_b32_e32 v30, 16, v31
	v_fmac_f32_e32 v67, v92, v30
	v_lshlrev_b32_e32 v30, 16, v28
	v_and_b32_e32 v28, 0xffff0000, v28
	v_fmac_f32_e32 v68, v95, v28
	v_lshlrev_b32_e32 v28, 16, v29
	v_fmac_f32_e32 v67, v96, v28
	v_lshlrev_b32_e32 v28, 16, v26
	v_and_b32_e32 v26, 0xffff0000, v26
	;; [unrolled: 5-line block ×6, first 2 shown]
	v_fmac_f32_e32 v68, v115, v18
	v_lshlrev_b32_e32 v18, 16, v19
	v_and_b32_e32 v31, 0xffff0000, v31
	v_fmac_f32_e32 v66, v87, v30
	v_fmac_f32_e32 v67, v116, v18
	v_lshlrev_b32_e32 v18, 16, v16
	v_and_b32_e32 v16, 0xffff0000, v16
	v_fmac_f32_e32 v69, v93, v31
	v_and_b32_e32 v29, 0xffff0000, v29
	v_fmac_f32_e32 v66, v98, v28
	v_fmac_f32_e32 v68, v119, v16
	v_lshlrev_b32_e32 v16, 16, v17
	v_fmac_f32_e32 v69, v97, v29
	v_and_b32_e32 v27, 0xffff0000, v27
	v_fmac_f32_e32 v66, v102, v26
	v_fmac_f32_e32 v67, v120, v16
	v_lshlrev_b32_e32 v16, 16, v14
	v_and_b32_e32 v14, 0xffff0000, v14
	v_fmac_f32_e32 v69, v101, v27
	v_and_b32_e32 v25, 0xffff0000, v25
	v_fmac_f32_e32 v66, v106, v24
	v_fmac_f32_e32 v68, v123, v14
	v_lshlrev_b32_e32 v14, 16, v15
	v_fmac_f32_e32 v69, v105, v25
	;; [unrolled: 11-line block ×6, first 2 shown]
	v_and_b32_e32 v7, 0xffff0000, v7
	v_fmac_f32_e32 v67, v80, v6
	v_add_f32_e32 v6, v66, v68
	v_fmac_f32_e32 v69, v81, v7
	v_add_f32_e32 v6, v6, v67
	v_add_f32_e32 v6, v69, v6
	ds_bpermute_b32 v7, v83, v6
	s_and_saveexec_b64 s[34:35], vcc
	s_cbranch_execz .LBB161_8
; %bb.10:                               ;   in Loop: Header=BB161_9 Depth=1
	v_add_u32_e32 v8, s15, v84
	v_cvt_f32_i32_e32 v8, v8
	s_waitcnt lgkmcnt(0)
	v_add_f32_e32 v6, v6, v7
	v_cmp_gt_i32_e64 s[8:9], s33, v84
	v_max_f32_e32 v7, v82, v82
	v_mul_f32_e32 v8, s10, v8
	v_cndmask_b32_e64 v8, 0, v8, s[0:1]
	v_fmac_f32_e32 v8, s11, v6
	v_cndmask_b32_e64 v6, 0, v8, s[8:9]
	ds_write_b32 v85, v6
	v_max_f32_e32 v6, v7, v8
	v_cndmask_b32_e64 v82, v82, v6, s[8:9]
	s_branch .LBB161_8
.LBB161_11:
	s_or_b64 exec, exec, s[30:31]
	scratch_load_dword v28, off, off offset:312 ; 4-byte Folded Reload
	scratch_load_dword v22, off, off offset:316 ; 4-byte Folded Reload
	;; [unrolled: 1-line block ×6, first 2 shown]
.LBB161_12:
	s_or_b64 exec, exec, s[28:29]
	s_waitcnt vmcnt(2)
	v_xor_b32_e32 v0, 32, v11
	s_waitcnt vmcnt(0)
	v_cmp_lt_i32_e32 vcc, v0, v9
	v_xor_b32_e32 v3, 16, v11
	v_max_f32_e32 v2, v82, v82
	v_cndmask_b32_e32 v0, v11, v0, vcc
	v_lshlrev_b32_e32 v0, 2, v0
	ds_bpermute_b32 v1, v0, v82
	v_cmp_lt_i32_e32 vcc, v3, v9
	v_xor_b32_e32 v4, 8, v11
	v_xor_b32_e32 v5, 4, v11
	;; [unrolled: 1-line block ×3, first 2 shown]
	s_waitcnt lgkmcnt(0)
	v_max_f32_e32 v1, v1, v1
	v_max_f32_e32 v2, v2, v1
	v_cndmask_b32_e32 v1, v11, v3, vcc
	v_lshlrev_b32_e32 v1, 2, v1
	ds_bpermute_b32 v3, v1, v2
	v_cmp_lt_i32_e32 vcc, v4, v9
	v_and_b32_e32 v96, 63, v28
	s_waitcnt lgkmcnt(0)
	v_max_f32_e32 v3, v3, v3
	v_max_f32_e32 v3, v2, v3
	v_cndmask_b32_e32 v2, v11, v4, vcc
	v_lshlrev_b32_e32 v2, 2, v2
	ds_bpermute_b32 v4, v2, v3
	v_cmp_lt_i32_e32 vcc, v5, v9
	s_waitcnt lgkmcnt(0)
	v_max_f32_e32 v4, v4, v4
	v_max_f32_e32 v4, v3, v4
	v_cndmask_b32_e32 v3, v11, v5, vcc
	v_lshlrev_b32_e32 v3, 2, v3
	ds_bpermute_b32 v5, v3, v4
	v_cmp_lt_i32_e32 vcc, v6, v9
	s_waitcnt lgkmcnt(0)
	v_max_f32_e32 v5, v5, v5
	v_max_f32_e32 v5, v4, v5
	v_cndmask_b32_e32 v4, v11, v6, vcc
	v_lshlrev_b32_e32 v97, 2, v4
	ds_bpermute_b32 v6, v97, v5
	v_cmp_eq_u32_e32 vcc, 0, v96
	v_lshlrev_b32_e32 v4, 2, v94
	s_and_saveexec_b64 s[0:1], vcc
	s_cbranch_execz .LBB161_14
; %bb.13:
	s_waitcnt lgkmcnt(0)
	v_max_f32_e32 v6, v6, v6
	v_max_f32_e32 v5, v5, v5
	;; [unrolled: 1-line block ×3, first 2 shown]
	ds_write_b32 v4, v5 offset:512
.LBB161_14:
	s_or_b64 exec, exec, s[0:1]
	v_cmp_gt_u32_e64 s[0:1], 2, v96
	s_waitcnt lgkmcnt(0)
	v_mov_b32_e32 v6, 0xff7fffff
	v_lshlrev_b32_e32 v5, 2, v96
	s_barrier
	s_and_saveexec_b64 s[8:9], s[0:1]
; %bb.15:
	ds_read_b32 v6, v5 offset:512
; %bb.16:
	s_or_b64 exec, exec, s[8:9]
	v_xor_b32_e32 v7, 1, v11
	v_cmp_lt_i32_e64 s[8:9], v7, v9
	s_nop 1
	v_cndmask_b32_e64 v7, v11, v7, s[8:9]
	v_lshlrev_b32_e32 v98, 2, v7
	s_waitcnt lgkmcnt(0)
	ds_bpermute_b32 v7, v98, v6
	v_max_f32_e32 v6, v6, v6
	s_lshl_b32 s8, s19, 5
	s_min_i32 s12, s8, s33
	v_cmp_gt_i32_e64 s[8:9], s12, v28
	s_waitcnt lgkmcnt(0)
	v_max_f32_e32 v7, v7, v7
	v_max_f32_e32 v6, v6, v7
	v_lshlrev_b32_e32 v7, 2, v8
	ds_bpermute_b32 v7, v7, v6
	v_mov_b32_e32 v6, 0
	s_and_saveexec_b64 s[28:29], s[8:9]
	s_cbranch_execz .LBB161_20
; %bb.17:
	v_mov_b32_e32 v6, 0x210
	v_lshl_add_u32 v8, v28, 2, v6
	v_mov_b32_e32 v6, 0
	s_mov_b64 s[30:31], 0
	v_mov_b32_e32 v9, v28
.LBB161_18:                             ; =>This Inner Loop Header: Depth=1
	ds_read_b32 v10, v8
	v_add_u32_e32 v9, 0x80, v9
	v_cmp_le_i32_e64 s[10:11], s12, v9
	s_or_b64 s[30:31], s[10:11], s[30:31]
	s_waitcnt lgkmcnt(0)
	v_sub_f32_e32 v10, v10, v7
	v_mul_f32_e32 v10, 0x3fb8aa3b, v10
	v_exp_f32_e32 v10, v10
	ds_write_b32 v8, v10
	v_add_f32_e32 v6, v6, v10
	v_add_u32_e32 v8, 0x200, v8
	s_andn2_b64 exec, exec, s[30:31]
	s_cbranch_execnz .LBB161_18
; %bb.19:
	s_or_b64 exec, exec, s[30:31]
.LBB161_20:
	s_or_b64 exec, exec, s[28:29]
	ds_bpermute_b32 v0, v0, v6
	s_waitcnt lgkmcnt(0)
	v_add_f32_e32 v0, v6, v0
	ds_bpermute_b32 v1, v1, v0
	s_waitcnt lgkmcnt(0)
	v_add_f32_e32 v0, v0, v1
	ds_bpermute_b32 v1, v2, v0
	s_waitcnt lgkmcnt(0)
	v_add_f32_e32 v0, v0, v1
	ds_bpermute_b32 v1, v3, v0
	s_waitcnt lgkmcnt(0)
	v_add_f32_e32 v0, v0, v1
	ds_bpermute_b32 v1, v97, v0
	s_waitcnt lgkmcnt(0)
	v_add_f32_e32 v0, v0, v1
	ds_bpermute_b32 v1, v98, v0
	s_waitcnt lgkmcnt(0)
	v_add_f32_e32 v0, v0, v1
	s_and_saveexec_b64 s[10:11], vcc
; %bb.21:
	ds_write_b32 v4, v0 offset:520
; %bb.22:
	s_or_b64 exec, exec, s[10:11]
	s_waitcnt lgkmcnt(0)
	s_barrier
	s_and_saveexec_b64 s[10:11], s[0:1]
; %bb.23:
	ds_read_b32 v0, v5 offset:520
; %bb.24:
	s_or_b64 exec, exec, s[10:11]
	s_waitcnt lgkmcnt(0)
	ds_bpermute_b32 v1, v98, v0
	v_lshlrev_b32_e32 v2, 2, v11
	s_waitcnt lgkmcnt(0)
	v_add_f32_e32 v0, v0, v1
	v_and_b32_e32 v1, 0xffffff00, v2
	ds_bpermute_b32 v0, v1, v0
	s_and_saveexec_b64 s[0:1], s[8:9]
	s_cbranch_execz .LBB161_37
; %bb.25:
	s_waitcnt lgkmcnt(0)
	v_add_f32_e32 v0, 0x358637bd, v0
	v_div_scale_f32 v1, s[8:9], v0, v0, 1.0
	v_rcp_f32_e32 v2, v1
	v_div_scale_f32 v3, vcc, 1.0, v0, 1.0
	s_movk_i32 s8, 0x7f
	v_fma_f32 v4, -v1, v2, 1.0
	v_fmac_f32_e32 v2, v4, v2
	v_mul_f32_e32 v4, v3, v2
	v_fma_f32 v5, -v1, v4, v3
	v_fmac_f32_e32 v4, v5, v2
	v_fma_f32 v1, -v1, v4, v3
	v_div_fmas_f32 v1, v1, v2, v4
	v_div_fixup_f32 v2, v1, v0, 1.0
	v_xad_u32 v1, v28, -1, s12
	v_cmp_lt_u32_e32 vcc, s8, v1
	s_mov_b64 s[10:11], -1
	v_mov_b32_e32 v0, v28
	s_and_saveexec_b64 s[8:9], vcc
	s_cbranch_execz .LBB161_34
; %bb.26:
	v_lshrrev_b32_e32 v0, 7, v1
	v_add_u32_e32 v4, -1, v0
	v_lshrrev_b32_e32 v1, 1, v4
	v_mov_b32_e32 v3, v2
	v_add_u32_e32 v1, 1, v1
	v_cmp_lt_u32_e32 vcc, 13, v4
	v_mov_b32_e32 v6, 0
	s_and_saveexec_b64 s[10:11], vcc
	s_cbranch_execz .LBB161_30
; %bb.27:
	v_mov_b32_e32 v5, 0x210
	v_and_b32_e32 v4, -8, v1
	v_lshl_add_u32 v5, v28, 2, v5
	s_mov_b32 s15, 0
	s_mov_b64 s[28:29], 0
.LBB161_28:                             ; =>This Inner Loop Header: Depth=1
	ds_read2st64_b32 v[6:7], v5 offset1:2
	ds_read2st64_b32 v[8:9], v5 offset0:4 offset1:6
	ds_read2st64_b32 v[10:11], v5 offset0:8 offset1:10
	ds_read2st64_b32 v[12:13], v5 offset0:12 offset1:14
	v_add_u32_e32 v4, -8, v4
	s_waitcnt lgkmcnt(3)
	v_pk_mul_f32 v[6:7], v[2:3], v[6:7]
	s_waitcnt lgkmcnt(2)
	v_pk_mul_f32 v[8:9], v[2:3], v[8:9]
	ds_write2st64_b32 v5, v6, v7 offset1:2
	ds_write2st64_b32 v5, v8, v9 offset0:4 offset1:6
	ds_read2st64_b32 v[8:9], v5 offset0:16 offset1:18
	s_waitcnt lgkmcnt(4)
	v_pk_mul_f32 v[6:7], v[2:3], v[10:11]
	ds_write2st64_b32 v5, v6, v7 offset0:8 offset1:10
	s_waitcnt lgkmcnt(4)
	v_pk_mul_f32 v[6:7], v[2:3], v[12:13]
	ds_write2st64_b32 v5, v6, v7 offset0:12 offset1:14
	ds_read2st64_b32 v[6:7], v5 offset0:20 offset1:22
	s_waitcnt lgkmcnt(3)
	v_pk_mul_f32 v[8:9], v[2:3], v[8:9]
	ds_read2st64_b32 v[10:11], v5 offset0:24 offset1:26
	ds_write2st64_b32 v5, v8, v9 offset0:16 offset1:18
	ds_read2st64_b32 v[8:9], v5 offset0:28 offset1:30
	s_waitcnt lgkmcnt(3)
	v_pk_mul_f32 v[6:7], v[2:3], v[6:7]
	ds_write2st64_b32 v5, v6, v7 offset0:20 offset1:22
	s_waitcnt lgkmcnt(3)
	v_pk_mul_f32 v[6:7], v[2:3], v[10:11]
	ds_write2st64_b32 v5, v6, v7 offset0:24 offset1:26
	s_waitcnt lgkmcnt(2)
	v_pk_mul_f32 v[6:7], v[2:3], v[8:9]
	s_add_i32 s15, s15, 16
	v_cmp_eq_u32_e32 vcc, 0, v4
	ds_write2st64_b32 v5, v6, v7 offset0:28 offset1:30
	v_add_u32_e32 v5, 0x2000, v5
	s_or_b64 s[28:29], vcc, s[28:29]
	v_mov_b32_e32 v6, s15
	s_andn2_b64 exec, exec, s[28:29]
	s_cbranch_execnz .LBB161_28
; %bb.29:
	s_or_b64 exec, exec, s[28:29]
.LBB161_30:
	s_or_b64 exec, exec, s[10:11]
	v_and_b32_e32 v1, 7, v1
	v_cmp_ne_u32_e32 vcc, 0, v1
	s_and_saveexec_b64 s[10:11], vcc
	s_cbranch_execz .LBB161_33
; %bb.31:
	v_lshlrev_b32_e32 v4, 9, v6
	v_lshlrev_b32_e32 v5, 2, v28
	s_movk_i32 s15, 0x210
	v_add3_u32 v4, v4, v5, s15
	s_mov_b64 s[28:29], 0
.LBB161_32:                             ; =>This Inner Loop Header: Depth=1
	ds_read2st64_b32 v[6:7], v4 offset1:2
	v_add_u32_e32 v1, -1, v1
	v_cmp_eq_u32_e32 vcc, 0, v1
	s_or_b64 s[28:29], vcc, s[28:29]
	s_waitcnt lgkmcnt(0)
	v_pk_mul_f32 v[6:7], v[2:3], v[6:7]
	ds_write2st64_b32 v4, v6, v7 offset1:2
	v_add_u32_e32 v4, 0x400, v4
	s_andn2_b64 exec, exec, s[28:29]
	s_cbranch_execnz .LBB161_32
.LBB161_33:
	s_or_b64 exec, exec, s[10:11]
	v_add_u32_e32 v1, 1, v0
	v_and_b32_e32 v3, 0x3fffffe, v1
	v_cmp_ne_u32_e32 vcc, v1, v3
	v_lshl_add_u32 v0, v3, 7, v28
	s_orn2_b64 s[10:11], vcc, exec
.LBB161_34:
	s_or_b64 exec, exec, s[8:9]
	s_and_b64 exec, exec, s[10:11]
	s_cbranch_execz .LBB161_37
; %bb.35:
	v_mov_b32_e32 v1, 0x210
	v_lshl_add_u32 v1, v0, 2, v1
	s_mov_b64 s[8:9], 0
.LBB161_36:                             ; =>This Inner Loop Header: Depth=1
	ds_read_b32 v3, v1
	v_add_u32_e32 v0, 0x80, v0
	v_cmp_le_i32_e32 vcc, s12, v0
	s_or_b64 s[8:9], vcc, s[8:9]
	s_waitcnt lgkmcnt(0)
	v_mul_f32_e32 v3, v2, v3
	ds_write_b32 v1, v3
	v_add_u32_e32 v1, 0x200, v1
	s_andn2_b64 exec, exec, s[8:9]
	s_cbranch_execnz .LBB161_36
.LBB161_37:
	s_or_b64 exec, exec, s[0:1]
	v_mov_b32_e32 v75, 0
	v_and_b32_e32 v99, 3, v28
	v_mov_b32_e32 v74, 0
	v_mov_b32_e32 v77, 0
	;; [unrolled: 1-line block ×15, first 2 shown]
	s_waitcnt lgkmcnt(0)
	s_barrier
	s_and_saveexec_b64 s[8:9], s[2:3]
	s_cbranch_execz .LBB161_73
; %bb.38:
	s_ashr_i32 s15, s14, 31
	s_lshl_b64 s[0:1], s[14:15], 1
	s_add_u32 s10, s26, s0
	v_and_b32_e32 v1, 24, v22
	s_addc_u32 s11, s27, s1
	s_add_i32 s26, s19, -1
	s_lshl_b64 s[0:1], s[24:25], 2
	v_lshl_or_b32 v100, v94, 5, v1
	v_lshlrev_b32_e32 v1, 5, v99
	s_add_u32 s0, s22, s0
	v_and_b32_e32 v0, 0x1f8, v22
	v_mov_b32_e32 v91, 0
	v_or_b32_e32 v2, 0x1e00, v22
	v_lshl_or_b32 v1, v94, 7, v1
	v_and_b32_e32 v90, 60, v23
	s_addc_u32 s1, s23, s1
	v_mov_b32_e32 v108, v28
	s_mov_b32 s28, s13
	s_mov_b32 s27, s33
	v_add_u32_e32 v101, 0x210, v1
	v_lshl_add_u64 v[92:93], s[0:1], 0, v[90:91]
	s_mov_b64 s[12:13], 0
	v_lshlrev_b32_e32 v0, 1, v0
	v_mov_b32_e32 v1, v91
	s_mov_b32 s22, 0x5040100
	v_lshlrev_b32_e32 v90, 1, v2
	v_mov_b32_e32 v75, v91
	v_mov_b32_e32 v74, v91
	;; [unrolled: 1-line block ×16, first 2 shown]
	s_branch .LBB161_40
.LBB161_39:                             ;   in Loop: Header=BB161_40 Depth=1
	s_or_b64 exec, exec, s[14:15]
	s_waitcnt lgkmcnt(1)
	v_cvt_pk_bf16_f32 v35, v35, s0
	s_waitcnt lgkmcnt(0)
	v_cvt_pk_bf16_f32 v95, v30, s0
	v_cvt_pk_bf16_f32 v102, v31, s0
	s_waitcnt vmcnt(1)
	v_and_b32_e32 v31, 0xffff0000, v70
	v_lshlrev_b32_e32 v30, 16, v35
	v_cvt_pk_bf16_f32 v34, v34, s0
	v_mul_f32_e32 v31, v30, v31
	v_cvt_pk_bf16_f32 v104, v31, s0
	v_lshlrev_b32_e32 v31, 16, v70
	v_lshlrev_b32_e32 v34, 16, v34
	v_cvt_pk_bf16_f32 v37, v37, s0
	v_mul_f32_e32 v31, v34, v31
	v_cvt_pk_bf16_f32 v103, v32, s0
	v_cvt_pk_bf16_f32 v70, v31, s0
	v_and_b32_e32 v32, 0xffff0000, v71
	v_lshlrev_b32_e32 v31, 16, v37
	v_cvt_pk_bf16_f32 v36, v36, s0
	v_mul_f32_e32 v32, v31, v32
	v_cvt_pk_bf16_f32 v105, v32, s0
	v_lshlrev_b32_e32 v32, 16, v71
	v_lshlrev_b32_e32 v35, 16, v36
	v_mul_f32_e32 v32, v35, v32
	v_cvt_pk_bf16_f32 v71, v32, s0
	v_and_b32_e32 v36, 0xffff0000, v72
	v_lshlrev_b32_e32 v32, 16, v102
	v_mul_f32_e32 v36, v32, v36
	v_cvt_pk_bf16_f32 v102, v36, s0
	v_lshlrev_b32_e32 v37, 16, v72
	v_lshlrev_b32_e32 v36, 16, v95
	v_cvt_pk_bf16_f32 v33, v33, s0
	v_mul_f32_e32 v37, v36, v37
	v_cvt_pk_bf16_f32 v72, v37, s0
	v_and_b32_e32 v37, 0xffff0000, v73
	v_lshlrev_b32_e32 v33, 16, v33
	v_mul_f32_e32 v37, v33, v37
	v_cvt_pk_bf16_f32 v95, v37, s0
	v_lshlrev_b32_e32 v37, 16, v103
	v_lshlrev_b32_e32 v70, 16, v70
	;; [unrolled: 1-line block ×3, first 2 shown]
	v_add_f32_e32 v70, v70, v103
	v_lshlrev_b32_e32 v71, 16, v71
	v_lshlrev_b32_e32 v103, 16, v105
	;; [unrolled: 1-line block ×3, first 2 shown]
	v_add_f32_e32 v71, v71, v103
	v_mul_f32_e32 v73, v37, v73
	v_add_f32_e32 v70, v71, v70
	v_lshlrev_b32_e32 v71, 16, v72
	v_lshlrev_b32_e32 v72, 16, v102
	v_cvt_pk_bf16_f32 v73, v73, s0
	v_add_f32_e32 v71, v71, v72
	v_add_f32_e32 v70, v71, v70
	v_lshlrev_b32_e32 v71, 16, v73
	v_lshlrev_b32_e32 v72, 16, v95
	v_add_f32_e32 v71, v71, v72
	v_add_f32_e32 v70, v71, v70
	v_add_f32_e32 v74, v74, v70
	v_and_b32_e32 v70, 0xffff0000, v66
	v_lshlrev_b32_e32 v66, 16, v66
	v_mul_f32_e32 v70, v30, v70
	v_mul_f32_e32 v66, v34, v66
	v_and_b32_e32 v71, 0xffff0000, v67
	v_lshlrev_b32_e32 v67, 16, v67
	v_cvt_pk_bf16_f32 v70, v70, s0
	v_cvt_pk_bf16_f32 v66, v66, s0
	v_mul_f32_e32 v71, v31, v71
	v_mul_f32_e32 v67, v35, v67
	v_cvt_pk_bf16_f32 v71, v71, s0
	v_cvt_pk_bf16_f32 v67, v67, s0
	v_and_b32_e32 v72, 0xffff0000, v68
	v_lshlrev_b32_e32 v68, 16, v68
	v_lshlrev_b32_e32 v66, 16, v66
	v_lshlrev_b32_e32 v70, 16, v70
	v_mul_f32_e32 v72, v32, v72
	v_mul_f32_e32 v68, v36, v68
	v_add_f32_e32 v66, v66, v70
	v_lshlrev_b32_e32 v67, 16, v67
	v_lshlrev_b32_e32 v70, 16, v71
	v_cvt_pk_bf16_f32 v72, v72, s0
	v_cvt_pk_bf16_f32 v68, v68, s0
	v_and_b32_e32 v73, 0xffff0000, v69
	v_lshlrev_b32_e32 v69, 16, v69
	v_add_f32_e32 v67, v67, v70
	v_mul_f32_e32 v73, v33, v73
	v_mul_f32_e32 v69, v37, v69
	v_add_f32_e32 v66, v67, v66
	v_lshlrev_b32_e32 v67, 16, v68
	v_lshlrev_b32_e32 v68, 16, v72
	v_cvt_pk_bf16_f32 v73, v73, s0
	v_cvt_pk_bf16_f32 v69, v69, s0
	v_add_f32_e32 v67, v67, v68
	v_add_f32_e32 v66, v67, v66
	v_lshlrev_b32_e32 v67, 16, v69
	v_lshlrev_b32_e32 v68, 16, v73
	v_add_f32_e32 v67, v67, v68
	v_add_f32_e32 v66, v67, v66
	v_add_f32_e32 v77, v77, v66
	v_and_b32_e32 v66, 0xffff0000, v62
	v_lshlrev_b32_e32 v62, 16, v62
	v_mul_f32_e32 v66, v30, v66
	v_mul_f32_e32 v62, v34, v62
	v_and_b32_e32 v67, 0xffff0000, v63
	v_lshlrev_b32_e32 v63, 16, v63
	v_cvt_pk_bf16_f32 v66, v66, s0
	v_cvt_pk_bf16_f32 v62, v62, s0
	v_mul_f32_e32 v67, v31, v67
	v_mul_f32_e32 v63, v35, v63
	v_cvt_pk_bf16_f32 v67, v67, s0
	v_cvt_pk_bf16_f32 v63, v63, s0
	v_and_b32_e32 v68, 0xffff0000, v64
	v_lshlrev_b32_e32 v64, 16, v64
	v_lshlrev_b32_e32 v62, 16, v62
	v_lshlrev_b32_e32 v66, 16, v66
	v_mul_f32_e32 v68, v32, v68
	v_mul_f32_e32 v64, v36, v64
	v_add_f32_e32 v62, v62, v66
	v_lshlrev_b32_e32 v63, 16, v63
	v_lshlrev_b32_e32 v66, 16, v67
	v_cvt_pk_bf16_f32 v68, v68, s0
	v_cvt_pk_bf16_f32 v64, v64, s0
	v_and_b32_e32 v69, 0xffff0000, v65
	v_lshlrev_b32_e32 v65, 16, v65
	v_add_f32_e32 v63, v63, v66
	v_mul_f32_e32 v69, v33, v69
	v_mul_f32_e32 v65, v37, v65
	v_add_f32_e32 v62, v63, v62
	v_lshlrev_b32_e32 v63, 16, v64
	v_lshlrev_b32_e32 v64, 16, v68
	v_cvt_pk_bf16_f32 v69, v69, s0
	;; [unrolled: 40-line block ×13, first 2 shown]
	v_cvt_pk_bf16_f32 v9, v9, s0
	v_add_f32_e32 v7, v7, v8
	v_add_f32_e32 v6, v7, v6
	v_lshlrev_b32_e32 v7, 16, v9
	v_lshlrev_b32_e32 v8, 16, v13
	v_add_f32_e32 v7, v7, v8
	v_add_f32_e32 v6, v7, v6
	;; [unrolled: 1-line block ×3, first 2 shown]
	v_and_b32_e32 v6, 0xffff0000, v2
	v_lshlrev_b32_e32 v2, 16, v2
	v_mul_f32_e32 v6, v30, v6
	v_mul_f32_e32 v2, v34, v2
	v_and_b32_e32 v7, 0xffff0000, v3
	v_lshlrev_b32_e32 v3, 16, v3
	v_cvt_pk_bf16_f32 v6, v6, s0
	v_cvt_pk_bf16_f32 v2, v2, s0
	v_mul_f32_e32 v7, v31, v7
	v_mul_f32_e32 v3, v35, v3
	v_cvt_pk_bf16_f32 v7, v7, s0
	v_cvt_pk_bf16_f32 v3, v3, s0
	v_and_b32_e32 v8, 0xffff0000, v4
	v_lshlrev_b32_e32 v4, 16, v4
	v_lshlrev_b32_e32 v2, 16, v2
	;; [unrolled: 1-line block ×3, first 2 shown]
	v_mul_f32_e32 v8, v32, v8
	v_mul_f32_e32 v4, v36, v4
	v_add_f32_e32 v2, v2, v6
	v_lshlrev_b32_e32 v3, 16, v3
	v_lshlrev_b32_e32 v6, 16, v7
	v_cvt_pk_bf16_f32 v8, v8, s0
	v_cvt_pk_bf16_f32 v4, v4, s0
	v_and_b32_e32 v9, 0xffff0000, v5
	v_lshlrev_b32_e32 v5, 16, v5
	v_add_f32_e32 v3, v3, v6
	v_mul_f32_e32 v5, v37, v5
	v_add_f32_e32 v2, v3, v2
	v_lshlrev_b32_e32 v3, 16, v4
	v_lshlrev_b32_e32 v4, 16, v8
	v_cvt_pk_bf16_f32 v5, v5, s0
	v_add_f32_e32 v3, v3, v4
	v_add_f32_e32 v2, v3, v2
	v_lshlrev_b32_e32 v3, 16, v5
	s_waitcnt vmcnt(0)
	v_and_b32_e32 v5, 0xffff0000, v47
	v_mul_f32_e32 v5, v31, v5
	v_mul_f32_e32 v9, v33, v9
	v_cvt_pk_bf16_f32 v6, v5, s0
	v_lshlrev_b32_e32 v5, 16, v48
	v_cvt_pk_bf16_f32 v9, v9, s0
	v_mul_f32_e32 v5, v36, v5
	v_lshlrev_b32_e32 v4, 16, v9
	v_cvt_pk_bf16_f32 v7, v5, s0
	v_and_b32_e32 v5, 0xffff0000, v48
	v_add_f32_e32 v3, v3, v4
	v_mul_f32_e32 v5, v32, v5
	v_add_f32_e32 v2, v3, v2
	v_cvt_pk_bf16_f32 v8, v5, s0
	v_lshlrev_b32_e32 v5, 16, v49
	v_add_f32_e32 v88, v88, v2
	v_lshlrev_b32_e32 v2, 16, v46
	v_and_b32_e32 v3, 0xffff0000, v46
	v_lshlrev_b32_e32 v4, 16, v47
	v_mul_f32_e32 v5, v37, v5
	v_mul_f32_e32 v2, v34, v2
	;; [unrolled: 1-line block ×4, first 2 shown]
	v_cvt_pk_bf16_f32 v9, v5, s0
	v_and_b32_e32 v5, 0xffff0000, v49
	v_cvt_pk_bf16_f32 v2, v2, s0
	v_cvt_pk_bf16_f32 v3, v3, s0
	;; [unrolled: 1-line block ×3, first 2 shown]
	v_mul_f32_e32 v5, v33, v5
	v_cvt_pk_bf16_f32 v10, v5, s0
	v_lshlrev_b32_e32 v3, 16, v3
	v_lshlrev_b32_e32 v5, 16, v2
	;; [unrolled: 1-line block ×4, first 2 shown]
	v_pk_add_f32 v[2:3], v[4:5], v[2:3]
	v_lshlrev_b32_e32 v5, 16, v8
	v_lshlrev_b32_e32 v7, 16, v7
	;; [unrolled: 1-line block ×4, first 2 shown]
	v_pk_add_f32 v[4:5], v[6:7], v[4:5]
	v_add_f32_e32 v2, v2, v3
	v_add_f32_e32 v2, v5, v2
	v_add_u32_e32 v94, 2, v94
	v_add_f32_e32 v2, v4, v2
	v_cmp_le_i32_e32 vcc, s19, v94
	v_add_f32_e32 v75, v75, v2
	v_add_u32_e32 v100, 64, v100
	v_add_u32_e32 v101, 0x100, v101
	s_or_b64 s[12:13], vcc, s[12:13]
	v_lshl_add_u64 v[92:93], v[92:93], 0, 8
	s_andn2_b64 exec, exec, s[12:13]
	s_cbranch_execz .LBB161_72
.LBB161_40:                             ; =>This Inner Loop Header: Depth=1
	global_load_dword v2, v[92:93], off
	v_cmp_eq_u32_e64 s[2:3], s26, v94
	v_add_u32_e32 v107, 1, v100
	v_or_b32_e32 v105, 3, v100
	v_or_b32_e32 v106, 2, v100
	;; [unrolled: 1-line block ×6, first 2 shown]
	s_waitcnt vmcnt(0)
	v_mad_i64_i32 v[2:3], s[0:1], v2, s28, 0
	v_lshl_add_u64 v[46:47], v[2:3], 1, s[10:11]
	v_lshl_add_u64 v[48:49], v[46:47], 0, v[0:1]
	global_load_dwordx4 v[2:5], v[48:49], off
	ds_read2_b64 v[34:37], v101 offset1:1
	ds_read2_b64 v[30:33], v101 offset0:2 offset1:3
	s_and_saveexec_b64 s[14:15], s[2:3]
	s_cbranch_execnz .LBB161_69
; %bb.41:                               ;   in Loop: Header=BB161_40 Depth=1
	s_or_b64 exec, exec, s[14:15]
	global_load_dwordx4 v[6:9], v[48:49], off offset:1024
	s_and_saveexec_b64 s[14:15], s[2:3]
	s_cbranch_execnz .LBB161_70
.LBB161_42:                             ;   in Loop: Header=BB161_40 Depth=1
	s_or_b64 exec, exec, s[14:15]
	global_load_dwordx4 v[10:13], v[48:49], off offset:2048
	s_and_saveexec_b64 s[14:15], s[2:3]
	s_cbranch_execnz .LBB161_71
.LBB161_43:                             ;   in Loop: Header=BB161_40 Depth=1
	s_or_b64 exec, exec, s[14:15]
	global_load_dwordx4 v[14:17], v[48:49], off offset:3072
	s_and_saveexec_b64 s[14:15], s[2:3]
	s_cbranch_execz .LBB161_45
.LBB161_44:                             ;   in Loop: Header=BB161_40 Depth=1
	v_cmp_gt_i32_e32 vcc, s27, v107
	v_cmp_gt_i32_e64 s[0:1], s33, v106
	s_waitcnt vmcnt(0)
	v_cndmask_b32_sdwa v18, v91, v14, vcc dst_sel:DWORD dst_unused:UNUSED_PAD src0_sel:DWORD src1_sel:WORD_1
	v_cmp_gt_i32_e32 vcc, s33, v100
	s_nop 1
	v_cndmask_b32_e32 v14, 0, v14, vcc
	v_cmp_gt_i32_e32 vcc, s27, v105
	v_perm_b32 v14, v18, v14, s22
	v_cndmask_b32_e64 v18, 0, v15, s[0:1]
	v_cndmask_b32_sdwa v15, v91, v15, vcc dst_sel:DWORD dst_unused:UNUSED_PAD src0_sel:DWORD src1_sel:WORD_1
	v_cmp_gt_i32_e32 vcc, s27, v103
	v_cmp_gt_i32_e64 s[0:1], s33, v104
	v_perm_b32 v15, v15, v18, s22
	s_nop 0
	v_cndmask_b32_e64 v18, 0, v16, s[0:1]
	v_cndmask_b32_sdwa v16, v91, v16, vcc dst_sel:DWORD dst_unused:UNUSED_PAD src0_sel:DWORD src1_sel:WORD_1
	v_cmp_gt_i32_e32 vcc, s27, v95
	v_cmp_gt_i32_e64 s[0:1], s33, v102
	v_perm_b32 v16, v16, v18, s22
	s_nop 0
	v_cndmask_b32_e64 v18, 0, v17, s[0:1]
	v_cndmask_b32_sdwa v17, v91, v17, vcc dst_sel:DWORD dst_unused:UNUSED_PAD src0_sel:DWORD src1_sel:WORD_1
	v_perm_b32 v17, v17, v18, s22
.LBB161_45:                             ;   in Loop: Header=BB161_40 Depth=1
	s_or_b64 exec, exec, s[14:15]
	v_add_co_u32_e32 v18, vcc, 0x1000, v48
	s_nop 1
	v_addc_co_u32_e32 v19, vcc, 0, v49, vcc
	global_load_dwordx4 v[18:21], v[18:19], off
	s_and_saveexec_b64 s[14:15], s[2:3]
	s_cbranch_execz .LBB161_47
; %bb.46:                               ;   in Loop: Header=BB161_40 Depth=1
	v_cmp_gt_i32_e32 vcc, s27, v107
	v_cmp_gt_i32_e64 s[0:1], s33, v106
	s_waitcnt vmcnt(0)
	v_cndmask_b32_sdwa v22, v91, v18, vcc dst_sel:DWORD dst_unused:UNUSED_PAD src0_sel:DWORD src1_sel:WORD_1
	v_cmp_gt_i32_e32 vcc, s33, v100
	s_nop 1
	v_cndmask_b32_e32 v18, 0, v18, vcc
	v_cmp_gt_i32_e32 vcc, s27, v105
	v_perm_b32 v18, v22, v18, s22
	v_cndmask_b32_e64 v22, 0, v19, s[0:1]
	v_cndmask_b32_sdwa v19, v91, v19, vcc dst_sel:DWORD dst_unused:UNUSED_PAD src0_sel:DWORD src1_sel:WORD_1
	v_cmp_gt_i32_e32 vcc, s27, v103
	v_cmp_gt_i32_e64 s[0:1], s33, v104
	v_perm_b32 v19, v19, v22, s22
	s_nop 0
	v_cndmask_b32_e64 v22, 0, v20, s[0:1]
	v_cndmask_b32_sdwa v20, v91, v20, vcc dst_sel:DWORD dst_unused:UNUSED_PAD src0_sel:DWORD src1_sel:WORD_1
	v_cmp_gt_i32_e32 vcc, s27, v95
	v_cmp_gt_i32_e64 s[0:1], s33, v102
	v_perm_b32 v20, v20, v22, s22
	s_nop 0
	v_cndmask_b32_e64 v22, 0, v21, s[0:1]
	v_cndmask_b32_sdwa v21, v91, v21, vcc dst_sel:DWORD dst_unused:UNUSED_PAD src0_sel:DWORD src1_sel:WORD_1
	v_perm_b32 v21, v21, v22, s22
.LBB161_47:                             ;   in Loop: Header=BB161_40 Depth=1
	s_or_b64 exec, exec, s[14:15]
	v_add_co_u32_e32 v22, vcc, 0x1000, v48
	s_nop 1
	v_addc_co_u32_e32 v23, vcc, 0, v49, vcc
	global_load_dwordx4 v[22:25], v[22:23], off offset:1024
	s_and_saveexec_b64 s[14:15], s[2:3]
	s_cbranch_execz .LBB161_49
; %bb.48:                               ;   in Loop: Header=BB161_40 Depth=1
	v_cmp_gt_i32_e32 vcc, s27, v107
	v_cmp_gt_i32_e64 s[0:1], s33, v106
	s_waitcnt vmcnt(0)
	v_cndmask_b32_sdwa v26, v91, v22, vcc dst_sel:DWORD dst_unused:UNUSED_PAD src0_sel:DWORD src1_sel:WORD_1
	v_cmp_gt_i32_e32 vcc, s33, v100
	s_nop 1
	v_cndmask_b32_e32 v22, 0, v22, vcc
	v_cmp_gt_i32_e32 vcc, s27, v105
	v_perm_b32 v22, v26, v22, s22
	v_cndmask_b32_e64 v26, 0, v23, s[0:1]
	v_cndmask_b32_sdwa v23, v91, v23, vcc dst_sel:DWORD dst_unused:UNUSED_PAD src0_sel:DWORD src1_sel:WORD_1
	v_cmp_gt_i32_e32 vcc, s27, v103
	v_cmp_gt_i32_e64 s[0:1], s33, v104
	v_perm_b32 v23, v23, v26, s22
	s_nop 0
	v_cndmask_b32_e64 v26, 0, v24, s[0:1]
	v_cndmask_b32_sdwa v24, v91, v24, vcc dst_sel:DWORD dst_unused:UNUSED_PAD src0_sel:DWORD src1_sel:WORD_1
	v_cmp_gt_i32_e32 vcc, s27, v95
	v_cmp_gt_i32_e64 s[0:1], s33, v102
	v_perm_b32 v24, v24, v26, s22
	s_nop 0
	v_cndmask_b32_e64 v26, 0, v25, s[0:1]
	v_cndmask_b32_sdwa v25, v91, v25, vcc dst_sel:DWORD dst_unused:UNUSED_PAD src0_sel:DWORD src1_sel:WORD_1
	v_perm_b32 v25, v25, v26, s22
.LBB161_49:                             ;   in Loop: Header=BB161_40 Depth=1
	s_or_b64 exec, exec, s[14:15]
	v_add_co_u32_e32 v26, vcc, 0x1000, v48
	s_nop 1
	v_addc_co_u32_e32 v27, vcc, 0, v49, vcc
	global_load_dwordx4 v[26:29], v[26:27], off offset:2048
	;; [unrolled: 33-line block ×3, first 2 shown]
	s_and_saveexec_b64 s[14:15], s[2:3]
	s_cbranch_execz .LBB161_53
; %bb.52:                               ;   in Loop: Header=BB161_40 Depth=1
	v_cmp_gt_i32_e32 vcc, s27, v107
	v_cmp_gt_i32_e64 s[0:1], s33, v106
	s_waitcnt vmcnt(0)
	v_cndmask_b32_sdwa v42, v91, v38, vcc dst_sel:DWORD dst_unused:UNUSED_PAD src0_sel:DWORD src1_sel:WORD_1
	v_cmp_gt_i32_e32 vcc, s33, v100
	s_nop 1
	v_cndmask_b32_e32 v38, 0, v38, vcc
	v_cmp_gt_i32_e32 vcc, s27, v105
	v_perm_b32 v38, v42, v38, s22
	v_cndmask_b32_e64 v42, 0, v39, s[0:1]
	v_cndmask_b32_sdwa v39, v91, v39, vcc dst_sel:DWORD dst_unused:UNUSED_PAD src0_sel:DWORD src1_sel:WORD_1
	v_cmp_gt_i32_e32 vcc, s27, v103
	v_cmp_gt_i32_e64 s[0:1], s33, v104
	v_perm_b32 v39, v39, v42, s22
	s_nop 0
	v_cndmask_b32_e64 v42, 0, v40, s[0:1]
	v_cndmask_b32_sdwa v40, v91, v40, vcc dst_sel:DWORD dst_unused:UNUSED_PAD src0_sel:DWORD src1_sel:WORD_1
	v_cmp_gt_i32_e32 vcc, s27, v95
	v_cmp_gt_i32_e64 s[0:1], s33, v102
	v_perm_b32 v40, v40, v42, s22
	s_nop 0
	v_cndmask_b32_e64 v42, 0, v41, s[0:1]
	v_cndmask_b32_sdwa v41, v91, v41, vcc dst_sel:DWORD dst_unused:UNUSED_PAD src0_sel:DWORD src1_sel:WORD_1
	v_perm_b32 v41, v41, v42, s22
.LBB161_53:                             ;   in Loop: Header=BB161_40 Depth=1
	s_or_b64 exec, exec, s[14:15]
	v_add_co_u32_e32 v42, vcc, 0x2000, v48
	s_nop 1
	v_addc_co_u32_e32 v43, vcc, 0, v49, vcc
	global_load_dwordx4 v[42:45], v[42:43], off
	s_and_saveexec_b64 s[14:15], s[2:3]
	s_cbranch_execz .LBB161_55
; %bb.54:                               ;   in Loop: Header=BB161_40 Depth=1
	v_cmp_gt_i32_e32 vcc, s27, v107
	v_cmp_gt_i32_e64 s[0:1], s33, v106
	s_waitcnt vmcnt(0)
	v_cndmask_b32_sdwa v50, v91, v42, vcc dst_sel:DWORD dst_unused:UNUSED_PAD src0_sel:DWORD src1_sel:WORD_1
	v_cmp_gt_i32_e32 vcc, s33, v100
	s_nop 1
	v_cndmask_b32_e32 v42, 0, v42, vcc
	v_cmp_gt_i32_e32 vcc, s27, v105
	v_perm_b32 v42, v50, v42, s22
	v_cndmask_b32_e64 v50, 0, v43, s[0:1]
	v_cndmask_b32_sdwa v43, v91, v43, vcc dst_sel:DWORD dst_unused:UNUSED_PAD src0_sel:DWORD src1_sel:WORD_1
	v_cmp_gt_i32_e32 vcc, s27, v103
	v_cmp_gt_i32_e64 s[0:1], s33, v104
	v_perm_b32 v43, v43, v50, s22
	s_nop 0
	v_cndmask_b32_e64 v50, 0, v44, s[0:1]
	v_cndmask_b32_sdwa v44, v91, v44, vcc dst_sel:DWORD dst_unused:UNUSED_PAD src0_sel:DWORD src1_sel:WORD_1
	v_cmp_gt_i32_e32 vcc, s27, v95
	v_cmp_gt_i32_e64 s[0:1], s33, v102
	v_perm_b32 v44, v44, v50, s22
	s_nop 0
	v_cndmask_b32_e64 v50, 0, v45, s[0:1]
	v_cndmask_b32_sdwa v45, v91, v45, vcc dst_sel:DWORD dst_unused:UNUSED_PAD src0_sel:DWORD src1_sel:WORD_1
	v_perm_b32 v45, v45, v50, s22
.LBB161_55:                             ;   in Loop: Header=BB161_40 Depth=1
	s_or_b64 exec, exec, s[14:15]
	v_add_co_u32_e32 v50, vcc, 0x2000, v48
	s_nop 1
	v_addc_co_u32_e32 v51, vcc, 0, v49, vcc
	global_load_dwordx4 v[50:53], v[50:51], off offset:1024
	s_and_saveexec_b64 s[14:15], s[2:3]
	s_cbranch_execz .LBB161_57
; %bb.56:                               ;   in Loop: Header=BB161_40 Depth=1
	v_cmp_gt_i32_e32 vcc, s27, v107
	v_cmp_gt_i32_e64 s[0:1], s33, v106
	s_waitcnt vmcnt(0)
	v_cndmask_b32_sdwa v54, v91, v50, vcc dst_sel:DWORD dst_unused:UNUSED_PAD src0_sel:DWORD src1_sel:WORD_1
	v_cmp_gt_i32_e32 vcc, s33, v100
	s_nop 1
	v_cndmask_b32_e32 v50, 0, v50, vcc
	v_cmp_gt_i32_e32 vcc, s27, v105
	v_perm_b32 v50, v54, v50, s22
	v_cndmask_b32_e64 v54, 0, v51, s[0:1]
	v_cndmask_b32_sdwa v51, v91, v51, vcc dst_sel:DWORD dst_unused:UNUSED_PAD src0_sel:DWORD src1_sel:WORD_1
	v_cmp_gt_i32_e32 vcc, s27, v103
	v_cmp_gt_i32_e64 s[0:1], s33, v104
	v_perm_b32 v51, v51, v54, s22
	s_nop 0
	v_cndmask_b32_e64 v54, 0, v52, s[0:1]
	v_cndmask_b32_sdwa v52, v91, v52, vcc dst_sel:DWORD dst_unused:UNUSED_PAD src0_sel:DWORD src1_sel:WORD_1
	v_cmp_gt_i32_e32 vcc, s27, v95
	v_cmp_gt_i32_e64 s[0:1], s33, v102
	v_perm_b32 v52, v52, v54, s22
	s_nop 0
	v_cndmask_b32_e64 v54, 0, v53, s[0:1]
	v_cndmask_b32_sdwa v53, v91, v53, vcc dst_sel:DWORD dst_unused:UNUSED_PAD src0_sel:DWORD src1_sel:WORD_1
	v_perm_b32 v53, v53, v54, s22
.LBB161_57:                             ;   in Loop: Header=BB161_40 Depth=1
	s_or_b64 exec, exec, s[14:15]
	v_add_co_u32_e32 v54, vcc, 0x2000, v48
	s_nop 1
	v_addc_co_u32_e32 v55, vcc, 0, v49, vcc
	global_load_dwordx4 v[54:57], v[54:55], off offset:2048
	;; [unrolled: 33-line block ×3, first 2 shown]
	s_and_saveexec_b64 s[14:15], s[2:3]
	s_cbranch_execz .LBB161_61
; %bb.60:                               ;   in Loop: Header=BB161_40 Depth=1
	v_cmp_gt_i32_e32 vcc, s27, v107
	v_cmp_gt_i32_e64 s[0:1], s33, v106
	s_waitcnt vmcnt(0)
	v_cndmask_b32_sdwa v62, v91, v58, vcc dst_sel:DWORD dst_unused:UNUSED_PAD src0_sel:DWORD src1_sel:WORD_1
	v_cmp_gt_i32_e32 vcc, s33, v100
	s_nop 1
	v_cndmask_b32_e32 v58, 0, v58, vcc
	v_cmp_gt_i32_e32 vcc, s27, v105
	v_perm_b32 v58, v62, v58, s22
	v_cndmask_b32_e64 v62, 0, v59, s[0:1]
	v_cndmask_b32_sdwa v59, v91, v59, vcc dst_sel:DWORD dst_unused:UNUSED_PAD src0_sel:DWORD src1_sel:WORD_1
	v_cmp_gt_i32_e32 vcc, s27, v103
	v_cmp_gt_i32_e64 s[0:1], s33, v104
	v_perm_b32 v59, v59, v62, s22
	s_nop 0
	v_cndmask_b32_e64 v62, 0, v60, s[0:1]
	v_cndmask_b32_sdwa v60, v91, v60, vcc dst_sel:DWORD dst_unused:UNUSED_PAD src0_sel:DWORD src1_sel:WORD_1
	v_cmp_gt_i32_e32 vcc, s27, v95
	v_cmp_gt_i32_e64 s[0:1], s33, v102
	v_perm_b32 v60, v60, v62, s22
	s_nop 0
	v_cndmask_b32_e64 v62, 0, v61, s[0:1]
	v_cndmask_b32_sdwa v61, v91, v61, vcc dst_sel:DWORD dst_unused:UNUSED_PAD src0_sel:DWORD src1_sel:WORD_1
	v_perm_b32 v61, v61, v62, s22
.LBB161_61:                             ;   in Loop: Header=BB161_40 Depth=1
	s_or_b64 exec, exec, s[14:15]
	v_add_co_u32_e32 v62, vcc, 0x3000, v48
	s_nop 1
	v_addc_co_u32_e32 v63, vcc, 0, v49, vcc
	global_load_dwordx4 v[62:65], v[62:63], off
	s_and_saveexec_b64 s[14:15], s[2:3]
	s_cbranch_execz .LBB161_63
; %bb.62:                               ;   in Loop: Header=BB161_40 Depth=1
	v_cmp_gt_i32_e32 vcc, s27, v107
	v_cmp_gt_i32_e64 s[0:1], s33, v106
	s_waitcnt vmcnt(0)
	v_cndmask_b32_sdwa v66, v91, v62, vcc dst_sel:DWORD dst_unused:UNUSED_PAD src0_sel:DWORD src1_sel:WORD_1
	v_cmp_gt_i32_e32 vcc, s33, v100
	s_nop 1
	v_cndmask_b32_e32 v62, 0, v62, vcc
	v_cmp_gt_i32_e32 vcc, s27, v105
	v_perm_b32 v62, v66, v62, s22
	v_cndmask_b32_e64 v66, 0, v63, s[0:1]
	v_cndmask_b32_sdwa v63, v91, v63, vcc dst_sel:DWORD dst_unused:UNUSED_PAD src0_sel:DWORD src1_sel:WORD_1
	v_cmp_gt_i32_e32 vcc, s27, v103
	v_cmp_gt_i32_e64 s[0:1], s33, v104
	v_perm_b32 v63, v63, v66, s22
	s_nop 0
	v_cndmask_b32_e64 v66, 0, v64, s[0:1]
	v_cndmask_b32_sdwa v64, v91, v64, vcc dst_sel:DWORD dst_unused:UNUSED_PAD src0_sel:DWORD src1_sel:WORD_1
	v_cmp_gt_i32_e32 vcc, s27, v95
	v_cmp_gt_i32_e64 s[0:1], s33, v102
	v_perm_b32 v64, v64, v66, s22
	s_nop 0
	v_cndmask_b32_e64 v66, 0, v65, s[0:1]
	v_cndmask_b32_sdwa v65, v91, v65, vcc dst_sel:DWORD dst_unused:UNUSED_PAD src0_sel:DWORD src1_sel:WORD_1
	v_perm_b32 v65, v65, v66, s22
.LBB161_63:                             ;   in Loop: Header=BB161_40 Depth=1
	s_or_b64 exec, exec, s[14:15]
	v_add_co_u32_e32 v66, vcc, 0x3000, v48
	s_nop 1
	v_addc_co_u32_e32 v67, vcc, 0, v49, vcc
	global_load_dwordx4 v[66:69], v[66:67], off offset:1024
	s_and_saveexec_b64 s[14:15], s[2:3]
	s_cbranch_execz .LBB161_65
; %bb.64:                               ;   in Loop: Header=BB161_40 Depth=1
	v_cmp_gt_i32_e32 vcc, s27, v107
	v_cmp_gt_i32_e64 s[0:1], s33, v106
	s_waitcnt vmcnt(0)
	v_cndmask_b32_sdwa v70, v91, v66, vcc dst_sel:DWORD dst_unused:UNUSED_PAD src0_sel:DWORD src1_sel:WORD_1
	v_cmp_gt_i32_e32 vcc, s33, v100
	s_nop 1
	v_cndmask_b32_e32 v66, 0, v66, vcc
	v_cmp_gt_i32_e32 vcc, s27, v105
	v_perm_b32 v66, v70, v66, s22
	v_cndmask_b32_e64 v70, 0, v67, s[0:1]
	v_cndmask_b32_sdwa v67, v91, v67, vcc dst_sel:DWORD dst_unused:UNUSED_PAD src0_sel:DWORD src1_sel:WORD_1
	v_cmp_gt_i32_e32 vcc, s27, v103
	v_cmp_gt_i32_e64 s[0:1], s33, v104
	v_perm_b32 v67, v67, v70, s22
	s_nop 0
	v_cndmask_b32_e64 v70, 0, v68, s[0:1]
	v_cndmask_b32_sdwa v68, v91, v68, vcc dst_sel:DWORD dst_unused:UNUSED_PAD src0_sel:DWORD src1_sel:WORD_1
	v_cmp_gt_i32_e32 vcc, s27, v95
	v_cmp_gt_i32_e64 s[0:1], s33, v102
	v_perm_b32 v68, v68, v70, s22
	s_nop 0
	v_cndmask_b32_e64 v70, 0, v69, s[0:1]
	v_cndmask_b32_sdwa v69, v91, v69, vcc dst_sel:DWORD dst_unused:UNUSED_PAD src0_sel:DWORD src1_sel:WORD_1
	v_perm_b32 v69, v69, v70, s22
.LBB161_65:                             ;   in Loop: Header=BB161_40 Depth=1
	s_or_b64 exec, exec, s[14:15]
	v_add_co_u32_e32 v48, vcc, 0x3000, v48
	s_nop 1
	v_addc_co_u32_e32 v49, vcc, 0, v49, vcc
	global_load_dwordx4 v[70:73], v[48:49], off offset:2048
	s_and_saveexec_b64 s[14:15], s[2:3]
	s_cbranch_execz .LBB161_67
; %bb.66:                               ;   in Loop: Header=BB161_40 Depth=1
	v_cmp_gt_i32_e32 vcc, s27, v107
	v_cmp_gt_i32_e64 s[0:1], s33, v106
	s_waitcnt vmcnt(0)
	v_cndmask_b32_sdwa v48, v91, v70, vcc dst_sel:DWORD dst_unused:UNUSED_PAD src0_sel:DWORD src1_sel:WORD_1
	v_cmp_gt_i32_e32 vcc, s33, v100
	s_nop 1
	v_cndmask_b32_e32 v49, 0, v70, vcc
	v_cmp_gt_i32_e32 vcc, s27, v105
	v_perm_b32 v70, v48, v49, s22
	v_cndmask_b32_e64 v48, 0, v71, s[0:1]
	v_cndmask_b32_sdwa v49, v91, v71, vcc dst_sel:DWORD dst_unused:UNUSED_PAD src0_sel:DWORD src1_sel:WORD_1
	v_cmp_gt_i32_e32 vcc, s27, v103
	v_cmp_gt_i32_e64 s[0:1], s33, v104
	v_perm_b32 v71, v49, v48, s22
	v_cndmask_b32_sdwa v49, v91, v72, vcc dst_sel:DWORD dst_unused:UNUSED_PAD src0_sel:DWORD src1_sel:WORD_1
	v_cndmask_b32_e64 v48, 0, v72, s[0:1]
	v_cmp_gt_i32_e32 vcc, s27, v95
	v_cmp_gt_i32_e64 s[0:1], s33, v102
	v_perm_b32 v72, v49, v48, s22
	v_cndmask_b32_sdwa v49, v91, v73, vcc dst_sel:DWORD dst_unused:UNUSED_PAD src0_sel:DWORD src1_sel:WORD_1
	v_cndmask_b32_e64 v48, 0, v73, s[0:1]
	v_perm_b32 v73, v49, v48, s22
.LBB161_67:                             ;   in Loop: Header=BB161_40 Depth=1
	s_or_b64 exec, exec, s[14:15]
	v_lshl_add_u64 v[46:47], v[46:47], 0, v[90:91]
	global_load_dwordx4 v[46:49], v[46:47], off
	s_and_saveexec_b64 s[14:15], s[2:3]
	s_cbranch_execz .LBB161_39
; %bb.68:                               ;   in Loop: Header=BB161_40 Depth=1
	v_cmp_gt_i32_e32 vcc, s27, v107
	v_cmp_gt_i32_e64 s[0:1], s33, v106
	s_waitcnt vmcnt(0)
	v_cndmask_b32_sdwa v107, v91, v46, vcc dst_sel:DWORD dst_unused:UNUSED_PAD src0_sel:DWORD src1_sel:WORD_1
	v_cmp_gt_i32_e32 vcc, s33, v100
	s_nop 1
	v_cndmask_b32_e32 v46, 0, v46, vcc
	v_cmp_gt_i32_e32 vcc, s27, v105
	v_cndmask_b32_e64 v105, 0, v47, s[0:1]
	v_cmp_gt_i32_e64 s[0:1], s33, v104
	v_cndmask_b32_sdwa v47, v91, v47, vcc dst_sel:DWORD dst_unused:UNUSED_PAD src0_sel:DWORD src1_sel:WORD_1
	v_cmp_gt_i32_e32 vcc, s27, v103
	v_cndmask_b32_e64 v103, 0, v48, s[0:1]
	v_cmp_gt_i32_e64 s[0:1], s33, v102
	v_cndmask_b32_sdwa v48, v91, v48, vcc dst_sel:DWORD dst_unused:UNUSED_PAD src0_sel:DWORD src1_sel:WORD_1
	v_cmp_gt_i32_e32 vcc, s27, v95
	v_cndmask_b32_e64 v95, 0, v49, s[0:1]
	v_perm_b32 v46, v107, v46, s22
	v_cndmask_b32_sdwa v49, v91, v49, vcc dst_sel:DWORD dst_unused:UNUSED_PAD src0_sel:DWORD src1_sel:WORD_1
	v_perm_b32 v47, v47, v105, s22
	v_perm_b32 v48, v48, v103, s22
	;; [unrolled: 1-line block ×3, first 2 shown]
	s_branch .LBB161_39
.LBB161_69:                             ;   in Loop: Header=BB161_40 Depth=1
	v_cmp_gt_i32_e32 vcc, s27, v107
	v_cmp_gt_i32_e64 s[0:1], s33, v106
	s_waitcnt vmcnt(0)
	v_cndmask_b32_sdwa v6, v91, v2, vcc dst_sel:DWORD dst_unused:UNUSED_PAD src0_sel:DWORD src1_sel:WORD_1
	v_cmp_gt_i32_e32 vcc, s33, v100
	s_nop 1
	v_cndmask_b32_e32 v2, 0, v2, vcc
	v_cmp_gt_i32_e32 vcc, s27, v105
	v_perm_b32 v2, v6, v2, s22
	v_cndmask_b32_e64 v6, 0, v3, s[0:1]
	v_cndmask_b32_sdwa v3, v91, v3, vcc dst_sel:DWORD dst_unused:UNUSED_PAD src0_sel:DWORD src1_sel:WORD_1
	v_cmp_gt_i32_e32 vcc, s27, v103
	v_cmp_gt_i32_e64 s[0:1], s33, v104
	v_perm_b32 v3, v3, v6, s22
	s_nop 0
	v_cndmask_b32_e64 v6, 0, v4, s[0:1]
	v_cndmask_b32_sdwa v4, v91, v4, vcc dst_sel:DWORD dst_unused:UNUSED_PAD src0_sel:DWORD src1_sel:WORD_1
	v_cmp_gt_i32_e32 vcc, s27, v95
	v_cmp_gt_i32_e64 s[0:1], s33, v102
	v_perm_b32 v4, v4, v6, s22
	s_nop 0
	v_cndmask_b32_e64 v6, 0, v5, s[0:1]
	v_cndmask_b32_sdwa v5, v91, v5, vcc dst_sel:DWORD dst_unused:UNUSED_PAD src0_sel:DWORD src1_sel:WORD_1
	v_perm_b32 v5, v5, v6, s22
	s_or_b64 exec, exec, s[14:15]
	global_load_dwordx4 v[6:9], v[48:49], off offset:1024
	s_and_saveexec_b64 s[14:15], s[2:3]
	s_cbranch_execz .LBB161_42
.LBB161_70:                             ;   in Loop: Header=BB161_40 Depth=1
	v_cmp_gt_i32_e32 vcc, s27, v107
	v_cmp_gt_i32_e64 s[0:1], s33, v106
	s_waitcnt vmcnt(0)
	v_cndmask_b32_sdwa v10, v91, v6, vcc dst_sel:DWORD dst_unused:UNUSED_PAD src0_sel:DWORD src1_sel:WORD_1
	v_cmp_gt_i32_e32 vcc, s33, v100
	s_nop 1
	v_cndmask_b32_e32 v6, 0, v6, vcc
	v_cmp_gt_i32_e32 vcc, s27, v105
	v_perm_b32 v6, v10, v6, s22
	v_cndmask_b32_e64 v10, 0, v7, s[0:1]
	v_cndmask_b32_sdwa v7, v91, v7, vcc dst_sel:DWORD dst_unused:UNUSED_PAD src0_sel:DWORD src1_sel:WORD_1
	v_cmp_gt_i32_e32 vcc, s27, v103
	v_cmp_gt_i32_e64 s[0:1], s33, v104
	v_perm_b32 v7, v7, v10, s22
	s_nop 0
	v_cndmask_b32_e64 v10, 0, v8, s[0:1]
	v_cndmask_b32_sdwa v8, v91, v8, vcc dst_sel:DWORD dst_unused:UNUSED_PAD src0_sel:DWORD src1_sel:WORD_1
	v_cmp_gt_i32_e32 vcc, s27, v95
	v_cmp_gt_i32_e64 s[0:1], s33, v102
	v_perm_b32 v8, v8, v10, s22
	s_nop 0
	v_cndmask_b32_e64 v10, 0, v9, s[0:1]
	v_cndmask_b32_sdwa v9, v91, v9, vcc dst_sel:DWORD dst_unused:UNUSED_PAD src0_sel:DWORD src1_sel:WORD_1
	v_perm_b32 v9, v9, v10, s22
	s_or_b64 exec, exec, s[14:15]
	global_load_dwordx4 v[10:13], v[48:49], off offset:2048
	s_and_saveexec_b64 s[14:15], s[2:3]
	s_cbranch_execz .LBB161_43
.LBB161_71:                             ;   in Loop: Header=BB161_40 Depth=1
	v_cmp_gt_i32_e32 vcc, s27, v107
	v_cmp_gt_i32_e64 s[0:1], s33, v106
	s_waitcnt vmcnt(0)
	v_cndmask_b32_sdwa v14, v91, v10, vcc dst_sel:DWORD dst_unused:UNUSED_PAD src0_sel:DWORD src1_sel:WORD_1
	v_cmp_gt_i32_e32 vcc, s33, v100
	s_nop 1
	v_cndmask_b32_e32 v10, 0, v10, vcc
	v_cmp_gt_i32_e32 vcc, s27, v105
	v_perm_b32 v10, v14, v10, s22
	v_cndmask_b32_e64 v14, 0, v11, s[0:1]
	v_cndmask_b32_sdwa v11, v91, v11, vcc dst_sel:DWORD dst_unused:UNUSED_PAD src0_sel:DWORD src1_sel:WORD_1
	v_cmp_gt_i32_e32 vcc, s27, v103
	v_cmp_gt_i32_e64 s[0:1], s33, v104
	v_perm_b32 v11, v11, v14, s22
	s_nop 0
	v_cndmask_b32_e64 v14, 0, v12, s[0:1]
	v_cndmask_b32_sdwa v12, v91, v12, vcc dst_sel:DWORD dst_unused:UNUSED_PAD src0_sel:DWORD src1_sel:WORD_1
	v_cmp_gt_i32_e32 vcc, s27, v95
	v_cmp_gt_i32_e64 s[0:1], s33, v102
	v_perm_b32 v12, v12, v14, s22
	s_nop 0
	v_cndmask_b32_e64 v14, 0, v13, s[0:1]
	v_cndmask_b32_sdwa v13, v91, v13, vcc dst_sel:DWORD dst_unused:UNUSED_PAD src0_sel:DWORD src1_sel:WORD_1
	v_perm_b32 v13, v13, v14, s22
	s_or_b64 exec, exec, s[14:15]
	global_load_dwordx4 v[14:17], v[48:49], off offset:3072
	s_and_saveexec_b64 s[14:15], s[2:3]
	s_cbranch_execnz .LBB161_44
	s_branch .LBB161_45
.LBB161_72:
	s_or_b64 exec, exec, s[12:13]
	v_mov_b32_e32 v28, v108
.LBB161_73:
	s_or_b64 exec, exec, s[8:9]
	ds_bpermute_b32 v0, v97, v88
	ds_bpermute_b32 v1, v97, v89
	;; [unrolled: 1-line block ×6, first 2 shown]
	s_waitcnt lgkmcnt(4)
	v_pk_add_f32 v[0:1], v[88:89], v[0:1]
	ds_bpermute_b32 v4, v98, v0
	ds_bpermute_b32 v5, v98, v1
	s_waitcnt lgkmcnt(4)
	v_pk_add_f32 v[8:9], v[86:87], v[2:3]
	ds_bpermute_b32 v10, v98, v8
	ds_bpermute_b32 v11, v98, v9
	ds_bpermute_b32 v12, v97, v82
	s_waitcnt lgkmcnt(3)
	v_pk_add_f32 v[2:3], v[0:1], v[4:5]
	v_pk_add_f32 v[0:1], v[84:85], v[6:7]
	ds_bpermute_b32 v6, v98, v0
	ds_bpermute_b32 v7, v98, v1
	;; [unrolled: 1-line block ×3, first 2 shown]
	s_waitcnt lgkmcnt(4)
	v_pk_add_f32 v[4:5], v[8:9], v[10:11]
	ds_bpermute_b32 v8, v97, v80
	ds_bpermute_b32 v9, v97, v81
	s_waitcnt lgkmcnt(3)
	v_pk_add_f32 v[6:7], v[0:1], v[6:7]
	s_waitcnt lgkmcnt(2)
	v_pk_add_f32 v[0:1], v[82:83], v[12:13]
	ds_bpermute_b32 v12, v97, v78
	ds_bpermute_b32 v13, v97, v79
	s_waitcnt lgkmcnt(2)
	v_pk_add_f32 v[8:9], v[80:81], v[8:9]
	ds_bpermute_b32 v14, v97, v76
	ds_bpermute_b32 v15, v97, v77
	;; [unrolled: 1-line block ×4, first 2 shown]
	s_waitcnt lgkmcnt(4)
	v_pk_add_f32 v[18:19], v[78:79], v[12:13]
	ds_bpermute_b32 v26, v97, v74
	ds_bpermute_b32 v27, v97, v75
	;; [unrolled: 1-line block ×6, first 2 shown]
	s_waitcnt lgkmcnt(8)
	v_pk_add_f32 v[22:23], v[76:77], v[14:15]
	ds_bpermute_b32 v24, v98, v22
	ds_bpermute_b32 v25, v98, v23
	s_waitcnt lgkmcnt(8)
	v_pk_add_f32 v[12:13], v[8:9], v[16:17]
	s_waitcnt lgkmcnt(6)
	v_pk_add_f32 v[16:17], v[74:75], v[26:27]
	;; [unrolled: 2-line block ×4, first 2 shown]
	ds_bpermute_b32 v18, v98, v16
	ds_bpermute_b32 v19, v98, v17
	v_and_b32_e32 v0, 0x3c3, v28
	s_waitcnt lgkmcnt(2)
	v_pk_add_f32 v[8:9], v[22:23], v[24:25]
	v_cmp_ne_u32_e32 vcc, 64, v0
	s_waitcnt lgkmcnt(0)
	s_barrier
	s_and_saveexec_b64 s[0:1], vcc
	s_xor_b64 s[0:1], exec, s[0:1]
; %bb.74:
                                        ; implicit-def: $vgpr96
; %bb.75:
	s_or_saveexec_b64 s[0:1], s[0:1]
	v_pk_add_f32 v[16:17], v[16:17], v[18:19]
	s_xor_b64 exec, exec, s[0:1]
	s_cbranch_execz .LBB161_77
; %bb.76:
	v_add_u32_e32 v1, 0x210, v96
	ds_write2_b32 v1, v2, v3 offset1:16
	ds_write2_b32 v1, v4, v5 offset0:32 offset1:48
	ds_write2_b32 v1, v6, v7 offset0:64 offset1:80
	;; [unrolled: 1-line block ×7, first 2 shown]
.LBB161_77:
	s_or_b64 exec, exec, s[0:1]
	v_lshrrev_b32_e32 v1, 2, v28
	s_waitcnt lgkmcnt(0)
	s_barrier
	s_and_saveexec_b64 s[0:1], s[6:7]
	s_cbranch_execz .LBB161_96
; %bb.78:
	v_mov_b32_e32 v18, 0x210
	v_cmp_eq_u32_e32 vcc, 0, v99
	v_lshl_add_u32 v18, v1, 2, v18
	s_and_saveexec_b64 s[2:3], vcc
	s_cbranch_execnz .LBB161_99
; %bb.79:
	s_or_b64 exec, exec, s[2:3]
	s_and_saveexec_b64 s[2:3], vcc
	s_cbranch_execnz .LBB161_100
.LBB161_80:
	s_or_b64 exec, exec, s[2:3]
	s_and_saveexec_b64 s[2:3], vcc
	s_cbranch_execnz .LBB161_101
.LBB161_81:
	s_or_b64 exec, exec, s[2:3]
	s_and_saveexec_b64 s[2:3], vcc
	s_cbranch_execnz .LBB161_102
.LBB161_82:
	s_or_b64 exec, exec, s[2:3]
	s_and_saveexec_b64 s[2:3], vcc
	s_cbranch_execnz .LBB161_103
.LBB161_83:
	s_or_b64 exec, exec, s[2:3]
	s_and_saveexec_b64 s[2:3], vcc
	s_cbranch_execnz .LBB161_104
.LBB161_84:
	s_or_b64 exec, exec, s[2:3]
	s_and_saveexec_b64 s[2:3], vcc
	s_cbranch_execnz .LBB161_105
.LBB161_85:
	s_or_b64 exec, exec, s[2:3]
	s_and_saveexec_b64 s[2:3], vcc
	s_cbranch_execnz .LBB161_106
.LBB161_86:
	s_or_b64 exec, exec, s[2:3]
	s_and_saveexec_b64 s[2:3], vcc
	s_cbranch_execnz .LBB161_107
.LBB161_87:
	s_or_b64 exec, exec, s[2:3]
	s_and_saveexec_b64 s[2:3], vcc
	s_cbranch_execnz .LBB161_108
.LBB161_88:
	s_or_b64 exec, exec, s[2:3]
	s_and_saveexec_b64 s[2:3], vcc
	s_cbranch_execnz .LBB161_109
.LBB161_89:
	s_or_b64 exec, exec, s[2:3]
	s_and_saveexec_b64 s[2:3], vcc
	s_cbranch_execnz .LBB161_110
.LBB161_90:
	s_or_b64 exec, exec, s[2:3]
	s_and_saveexec_b64 s[2:3], vcc
	s_cbranch_execnz .LBB161_111
.LBB161_91:
	s_or_b64 exec, exec, s[2:3]
	s_and_saveexec_b64 s[2:3], vcc
	s_cbranch_execnz .LBB161_112
.LBB161_92:
	s_or_b64 exec, exec, s[2:3]
	s_and_saveexec_b64 s[2:3], vcc
	s_cbranch_execnz .LBB161_113
.LBB161_93:
	s_or_b64 exec, exec, s[2:3]
	s_and_saveexec_b64 s[2:3], vcc
	s_cbranch_execz .LBB161_95
.LBB161_94:
	ds_read_b32 v18, v18 offset:960
	s_waitcnt lgkmcnt(0)
	v_add_f32_e32 v17, v17, v18
.LBB161_95:
	s_or_b64 exec, exec, s[2:3]
.LBB161_96:
	s_or_b64 exec, exec, s[0:1]
	v_cmp_eq_u32_e32 vcc, 0, v0
	s_barrier
	s_and_saveexec_b64 s[0:1], vcc
	s_cbranch_execz .LBB161_98
; %bb.97:
	s_mul_i32 s0, s16, s17
	s_mul_i32 s0, s0, s5
	s_lshl_b32 s0, s0, 8
	s_ashr_i32 s1, s0, 31
	s_lshl_b64 s[0:1], s[0:1], 1
	s_add_u32 s2, s20, s0
	s_mul_i32 s0, s17, s18
	s_addc_u32 s3, s21, s1
	s_ashr_i32 s1, s0, 31
	s_lshl_b64 s[0:1], s[0:1], 1
	s_add_u32 s2, s2, s0
	s_addc_u32 s3, s3, s1
	s_lshl_b32 s0, s4, 8
	s_ashr_i32 s1, s0, 31
	s_lshl_b64 s[0:1], s[0:1], 1
	s_add_u32 s0, s2, s0
	s_addc_u32 s1, s3, s1
	v_lshlrev_b32_e32 v0, 1, v1
	v_cvt_pk_bf16_f32 v1, v2, s0
	global_store_short v0, v1, s[0:1]
	v_cvt_pk_bf16_f32 v1, v3, s0
	global_store_short v0, v1, s[0:1] offset:32
	v_cvt_pk_bf16_f32 v1, v4, s0
	global_store_short v0, v1, s[0:1] offset:64
	;; [unrolled: 2-line block ×15, first 2 shown]
.LBB161_98:
	s_endpgm
.LBB161_99:
	ds_read_b32 v19, v18
	s_waitcnt lgkmcnt(0)
	v_add_f32_e32 v2, v2, v19
	s_or_b64 exec, exec, s[2:3]
	s_and_saveexec_b64 s[2:3], vcc
	s_cbranch_execz .LBB161_80
.LBB161_100:
	ds_read_b32 v19, v18 offset:64
	s_waitcnt lgkmcnt(0)
	v_add_f32_e32 v3, v3, v19
	s_or_b64 exec, exec, s[2:3]
	s_and_saveexec_b64 s[2:3], vcc
	s_cbranch_execz .LBB161_81
.LBB161_101:
	ds_read_b32 v19, v18 offset:128
	s_waitcnt lgkmcnt(0)
	v_add_f32_e32 v4, v4, v19
	s_or_b64 exec, exec, s[2:3]
	s_and_saveexec_b64 s[2:3], vcc
	s_cbranch_execz .LBB161_82
.LBB161_102:
	ds_read_b32 v19, v18 offset:192
	s_waitcnt lgkmcnt(0)
	v_add_f32_e32 v5, v5, v19
	s_or_b64 exec, exec, s[2:3]
	s_and_saveexec_b64 s[2:3], vcc
	s_cbranch_execz .LBB161_83
.LBB161_103:
	ds_read_b32 v19, v18 offset:256
	s_waitcnt lgkmcnt(0)
	v_add_f32_e32 v6, v6, v19
	s_or_b64 exec, exec, s[2:3]
	s_and_saveexec_b64 s[2:3], vcc
	s_cbranch_execz .LBB161_84
.LBB161_104:
	ds_read_b32 v19, v18 offset:320
	s_waitcnt lgkmcnt(0)
	v_add_f32_e32 v7, v7, v19
	s_or_b64 exec, exec, s[2:3]
	s_and_saveexec_b64 s[2:3], vcc
	s_cbranch_execz .LBB161_85
.LBB161_105:
	ds_read_b32 v19, v18 offset:384
	s_waitcnt lgkmcnt(0)
	v_add_f32_e32 v14, v14, v19
	s_or_b64 exec, exec, s[2:3]
	s_and_saveexec_b64 s[2:3], vcc
	s_cbranch_execz .LBB161_86
.LBB161_106:
	ds_read_b32 v19, v18 offset:448
	s_waitcnt lgkmcnt(0)
	v_add_f32_e32 v15, v15, v19
	s_or_b64 exec, exec, s[2:3]
	s_and_saveexec_b64 s[2:3], vcc
	s_cbranch_execz .LBB161_87
.LBB161_107:
	ds_read_b32 v19, v18 offset:512
	s_waitcnt lgkmcnt(0)
	v_add_f32_e32 v12, v12, v19
	s_or_b64 exec, exec, s[2:3]
	s_and_saveexec_b64 s[2:3], vcc
	s_cbranch_execz .LBB161_88
.LBB161_108:
	ds_read_b32 v19, v18 offset:576
	s_waitcnt lgkmcnt(0)
	v_add_f32_e32 v13, v13, v19
	s_or_b64 exec, exec, s[2:3]
	s_and_saveexec_b64 s[2:3], vcc
	s_cbranch_execz .LBB161_89
.LBB161_109:
	ds_read_b32 v19, v18 offset:640
	s_waitcnt lgkmcnt(0)
	v_add_f32_e32 v10, v10, v19
	s_or_b64 exec, exec, s[2:3]
	s_and_saveexec_b64 s[2:3], vcc
	s_cbranch_execz .LBB161_90
.LBB161_110:
	ds_read_b32 v19, v18 offset:704
	s_waitcnt lgkmcnt(0)
	v_add_f32_e32 v11, v11, v19
	s_or_b64 exec, exec, s[2:3]
	s_and_saveexec_b64 s[2:3], vcc
	s_cbranch_execz .LBB161_91
.LBB161_111:
	ds_read_b32 v19, v18 offset:768
	s_waitcnt lgkmcnt(0)
	v_add_f32_e32 v8, v8, v19
	s_or_b64 exec, exec, s[2:3]
	s_and_saveexec_b64 s[2:3], vcc
	s_cbranch_execz .LBB161_92
.LBB161_112:
	ds_read_b32 v19, v18 offset:832
	s_waitcnt lgkmcnt(0)
	v_add_f32_e32 v9, v9, v19
	s_or_b64 exec, exec, s[2:3]
	s_and_saveexec_b64 s[2:3], vcc
	s_cbranch_execz .LBB161_93
.LBB161_113:
	ds_read_b32 v19, v18 offset:896
	s_waitcnt lgkmcnt(0)
	v_add_f32_e32 v16, v16, v19
	s_or_b64 exec, exec, s[2:3]
	s_and_saveexec_b64 s[2:3], vcc
	s_cbranch_execnz .LBB161_94
	s_branch .LBB161_95
	.section	.rodata,"a",@progbits
	.p2align	6, 0x0
	.amdhsa_kernel _ZN4vllm25paged_attention_v1_kernelI14__hip_bfloat16S1_Li256ELi32ELi128ELNS_18Fp8KVCacheDataTypeE0ELb0EEEvPT_PKS3_PKT0_S9_ifPKiSB_iPKfiiiSD_SD_iiiii
		.amdhsa_group_segment_fixed_size 528
		.amdhsa_private_segment_fixed_size 340
		.amdhsa_kernarg_size 384
		.amdhsa_user_sgpr_count 2
		.amdhsa_user_sgpr_dispatch_ptr 0
		.amdhsa_user_sgpr_queue_ptr 0
		.amdhsa_user_sgpr_kernarg_segment_ptr 1
		.amdhsa_user_sgpr_dispatch_id 0
		.amdhsa_user_sgpr_kernarg_preload_length 0
		.amdhsa_user_sgpr_kernarg_preload_offset 0
		.amdhsa_user_sgpr_private_segment_size 0
		.amdhsa_uses_dynamic_stack 0
		.amdhsa_enable_private_segment 1
		.amdhsa_system_sgpr_workgroup_id_x 1
		.amdhsa_system_sgpr_workgroup_id_y 1
		.amdhsa_system_sgpr_workgroup_id_z 1
		.amdhsa_system_sgpr_workgroup_info 0
		.amdhsa_system_vgpr_workitem_id 0
		.amdhsa_next_free_vgpr 128
		.amdhsa_next_free_sgpr 39
		.amdhsa_accum_offset 128
		.amdhsa_reserve_vcc 1
		.amdhsa_float_round_mode_32 0
		.amdhsa_float_round_mode_16_64 0
		.amdhsa_float_denorm_mode_32 3
		.amdhsa_float_denorm_mode_16_64 3
		.amdhsa_dx10_clamp 1
		.amdhsa_ieee_mode 1
		.amdhsa_fp16_overflow 0
		.amdhsa_tg_split 0
		.amdhsa_exception_fp_ieee_invalid_op 0
		.amdhsa_exception_fp_denorm_src 0
		.amdhsa_exception_fp_ieee_div_zero 0
		.amdhsa_exception_fp_ieee_overflow 0
		.amdhsa_exception_fp_ieee_underflow 0
		.amdhsa_exception_fp_ieee_inexact 0
		.amdhsa_exception_int_div_zero 0
	.end_amdhsa_kernel
	.section	.text._ZN4vllm25paged_attention_v1_kernelI14__hip_bfloat16S1_Li256ELi32ELi128ELNS_18Fp8KVCacheDataTypeE0ELb0EEEvPT_PKS3_PKT0_S9_ifPKiSB_iPKfiiiSD_SD_iiiii,"axG",@progbits,_ZN4vllm25paged_attention_v1_kernelI14__hip_bfloat16S1_Li256ELi32ELi128ELNS_18Fp8KVCacheDataTypeE0ELb0EEEvPT_PKS3_PKT0_S9_ifPKiSB_iPKfiiiSD_SD_iiiii,comdat
.Lfunc_end161:
	.size	_ZN4vllm25paged_attention_v1_kernelI14__hip_bfloat16S1_Li256ELi32ELi128ELNS_18Fp8KVCacheDataTypeE0ELb0EEEvPT_PKS3_PKT0_S9_ifPKiSB_iPKfiiiSD_SD_iiiii, .Lfunc_end161-_ZN4vllm25paged_attention_v1_kernelI14__hip_bfloat16S1_Li256ELi32ELi128ELNS_18Fp8KVCacheDataTypeE0ELb0EEEvPT_PKS3_PKT0_S9_ifPKiSB_iPKfiiiSD_SD_iiiii
                                        ; -- End function
	.set _ZN4vllm25paged_attention_v1_kernelI14__hip_bfloat16S1_Li256ELi32ELi128ELNS_18Fp8KVCacheDataTypeE0ELb0EEEvPT_PKS3_PKT0_S9_ifPKiSB_iPKfiiiSD_SD_iiiii.num_vgpr, 128
	.set _ZN4vllm25paged_attention_v1_kernelI14__hip_bfloat16S1_Li256ELi32ELi128ELNS_18Fp8KVCacheDataTypeE0ELb0EEEvPT_PKS3_PKT0_S9_ifPKiSB_iPKfiiiSD_SD_iiiii.num_agpr, 0
	.set _ZN4vllm25paged_attention_v1_kernelI14__hip_bfloat16S1_Li256ELi32ELi128ELNS_18Fp8KVCacheDataTypeE0ELb0EEEvPT_PKS3_PKT0_S9_ifPKiSB_iPKfiiiSD_SD_iiiii.numbered_sgpr, 39
	.set _ZN4vllm25paged_attention_v1_kernelI14__hip_bfloat16S1_Li256ELi32ELi128ELNS_18Fp8KVCacheDataTypeE0ELb0EEEvPT_PKS3_PKT0_S9_ifPKiSB_iPKfiiiSD_SD_iiiii.num_named_barrier, 0
	.set _ZN4vllm25paged_attention_v1_kernelI14__hip_bfloat16S1_Li256ELi32ELi128ELNS_18Fp8KVCacheDataTypeE0ELb0EEEvPT_PKS3_PKT0_S9_ifPKiSB_iPKfiiiSD_SD_iiiii.private_seg_size, 340
	.set _ZN4vllm25paged_attention_v1_kernelI14__hip_bfloat16S1_Li256ELi32ELi128ELNS_18Fp8KVCacheDataTypeE0ELb0EEEvPT_PKS3_PKT0_S9_ifPKiSB_iPKfiiiSD_SD_iiiii.uses_vcc, 1
	.set _ZN4vllm25paged_attention_v1_kernelI14__hip_bfloat16S1_Li256ELi32ELi128ELNS_18Fp8KVCacheDataTypeE0ELb0EEEvPT_PKS3_PKT0_S9_ifPKiSB_iPKfiiiSD_SD_iiiii.uses_flat_scratch, 0
	.set _ZN4vllm25paged_attention_v1_kernelI14__hip_bfloat16S1_Li256ELi32ELi128ELNS_18Fp8KVCacheDataTypeE0ELb0EEEvPT_PKS3_PKT0_S9_ifPKiSB_iPKfiiiSD_SD_iiiii.has_dyn_sized_stack, 0
	.set _ZN4vllm25paged_attention_v1_kernelI14__hip_bfloat16S1_Li256ELi32ELi128ELNS_18Fp8KVCacheDataTypeE0ELb0EEEvPT_PKS3_PKT0_S9_ifPKiSB_iPKfiiiSD_SD_iiiii.has_recursion, 0
	.set _ZN4vllm25paged_attention_v1_kernelI14__hip_bfloat16S1_Li256ELi32ELi128ELNS_18Fp8KVCacheDataTypeE0ELb0EEEvPT_PKS3_PKT0_S9_ifPKiSB_iPKfiiiSD_SD_iiiii.has_indirect_call, 0
	.section	.AMDGPU.csdata,"",@progbits
; Kernel info:
; codeLenInByte = 14980
; TotalNumSgprs: 45
; NumVgprs: 128
; NumAgprs: 0
; TotalNumVgprs: 128
; ScratchSize: 340
; MemoryBound: 0
; FloatMode: 240
; IeeeMode: 1
; LDSByteSize: 528 bytes/workgroup (compile time only)
; SGPRBlocks: 5
; VGPRBlocks: 15
; NumSGPRsForWavesPerEU: 45
; NumVGPRsForWavesPerEU: 128
; AccumOffset: 128
; Occupancy: 4
; WaveLimiterHint : 1
; COMPUTE_PGM_RSRC2:SCRATCH_EN: 1
; COMPUTE_PGM_RSRC2:USER_SGPR: 2
; COMPUTE_PGM_RSRC2:TRAP_HANDLER: 0
; COMPUTE_PGM_RSRC2:TGID_X_EN: 1
; COMPUTE_PGM_RSRC2:TGID_Y_EN: 1
; COMPUTE_PGM_RSRC2:TGID_Z_EN: 1
; COMPUTE_PGM_RSRC2:TIDIG_COMP_CNT: 0
; COMPUTE_PGM_RSRC3_GFX90A:ACCUM_OFFSET: 31
; COMPUTE_PGM_RSRC3_GFX90A:TG_SPLIT: 0
	.section	.text._ZN4vllm25paged_attention_v1_kernelIfhLi32ELi8ELi128ELNS_18Fp8KVCacheDataTypeE1ELb1EEEvPT_PKS2_PKT0_S8_ifPKiSA_iPKfiiiSC_SC_iiiii,"axG",@progbits,_ZN4vllm25paged_attention_v1_kernelIfhLi32ELi8ELi128ELNS_18Fp8KVCacheDataTypeE1ELb1EEEvPT_PKS2_PKT0_S8_ifPKiSA_iPKfiiiSC_SC_iiiii,comdat
	.protected	_ZN4vllm25paged_attention_v1_kernelIfhLi32ELi8ELi128ELNS_18Fp8KVCacheDataTypeE1ELb1EEEvPT_PKS2_PKT0_S8_ifPKiSA_iPKfiiiSC_SC_iiiii ; -- Begin function _ZN4vllm25paged_attention_v1_kernelIfhLi32ELi8ELi128ELNS_18Fp8KVCacheDataTypeE1ELb1EEEvPT_PKS2_PKT0_S8_ifPKiSA_iPKfiiiSC_SC_iiiii
	.globl	_ZN4vllm25paged_attention_v1_kernelIfhLi32ELi8ELi128ELNS_18Fp8KVCacheDataTypeE1ELb1EEEvPT_PKS2_PKT0_S8_ifPKiSA_iPKfiiiSC_SC_iiiii
	.p2align	8
	.type	_ZN4vllm25paged_attention_v1_kernelIfhLi32ELi8ELi128ELNS_18Fp8KVCacheDataTypeE1ELb1EEEvPT_PKS2_PKT0_S8_ifPKiSA_iPKfiiiSC_SC_iiiii,@function
_ZN4vllm25paged_attention_v1_kernelIfhLi32ELi8ELi128ELNS_18Fp8KVCacheDataTypeE1ELb1EEEvPT_PKS2_PKT0_S8_ifPKiSA_iPKfiiiSC_SC_iiiii: ; @_ZN4vllm25paged_attention_v1_kernelIfhLi32ELi8ELi128ELNS_18Fp8KVCacheDataTypeE1ELb1EEEvPT_PKS2_PKT0_S8_ifPKiSA_iPKfiiiSC_SC_iiiii
; %bb.0:
	s_load_dword s5, s[0:1], 0x80
	s_load_dwordx2 s[6:7], s[0:1], 0x30
	s_load_dwordx2 s[36:37], s[0:1], 0x20
	s_mov_b32 s10, s3
	s_ashr_i32 s11, s3, 31
	s_lshl_b64 s[8:9], s[10:11], 2
	s_waitcnt lgkmcnt(0)
	s_add_u32 s6, s6, s8
	s_addc_u32 s7, s7, s9
	s_abs_i32 s3, s36
	v_cvt_f32_u32_e32 v1, s3
	s_sub_i32 s11, 0, s3
	s_abs_i32 s9, s5
	s_xor_b32 s8, s5, s36
	v_rcp_iflag_f32_e32 v1, v1
	s_ashr_i32 s8, s8, 31
	s_mov_b32 s44, 0
	v_mul_f32_e32 v1, 0x4f7ffffe, v1
	v_cvt_u32_f32_e32 v1, v1
	s_nop 0
	v_readfirstlane_b32 s12, v1
	s_mul_i32 s11, s11, s12
	s_mul_hi_u32 s11, s12, s11
	s_add_i32 s12, s12, s11
	s_mul_hi_u32 s11, s9, s12
	s_mul_i32 s12, s11, s3
	s_sub_i32 s9, s9, s12
	s_add_i32 s12, s11, 1
	s_sub_i32 s13, s9, s3
	s_cmp_ge_u32 s9, s3
	s_cselect_b32 s11, s12, s11
	s_cselect_b32 s9, s13, s9
	s_add_i32 s12, s11, 1
	s_cmp_ge_u32 s9, s3
	s_cselect_b32 s3, s12, s11
	s_xor_b32 s3, s3, s8
	s_sub_i32 s15, s3, s8
	s_abs_i32 s12, s15
	v_cvt_f32_u32_e32 v1, s12
	s_load_dwordx2 s[8:9], s[0:1], 0x40
	s_sub_i32 s3, 0, s12
	s_abs_i32 s13, s2
	v_rcp_iflag_f32_e32 v1, v1
	s_nop 0
	v_mul_f32_e32 v1, 0x4f7ffffe, v1
	v_cvt_u32_f32_e32 v1, v1
	s_nop 0
	v_readfirstlane_b32 s11, v1
	s_mul_i32 s3, s3, s11
	s_mul_hi_u32 s3, s11, s3
	s_add_i32 s11, s11, s3
	s_waitcnt lgkmcnt(0)
	s_cmp_eq_u64 s[8:9], 0
	s_mul_hi_u32 s14, s13, s11
	s_cbranch_scc1 .LBB162_2
; %bb.1:
	s_ashr_i32 s3, s2, 31
	s_lshl_b64 s[16:17], s[2:3], 2
	s_add_u32 s8, s8, s16
	s_addc_u32 s9, s9, s17
	s_load_dword s44, s[8:9], 0x0
.LBB162_2:
	s_load_dword s11, s[6:7], 0x0
	s_load_dwordx4 s[16:19], s[0:1], 0x48
	s_ashr_i32 s8, s2, 31
	s_ashr_i32 s9, s15, 31
	v_and_b32_e32 v2, 7, v0
	s_lshl_b32 s24, s2, 5
	v_cmp_gt_u32_e32 vcc, 32, v0
	v_lshlrev_b32_e32 v6, 2, v0
	v_lshrrev_b32_e32 v1, 1, v0
	s_and_saveexec_b64 s[6:7], vcc
	s_cbranch_execz .LBB162_4
; %bb.3:
	s_load_dwordx2 s[20:21], s[0:1], 0x8
	s_waitcnt lgkmcnt(0)
	s_mul_i32 s22, s16, s10
	s_ashr_i32 s23, s22, 31
	s_lshl_b64 s[22:23], s[22:23], 2
	v_and_b32_e32 v4, 0x1fc, v1
	s_add_u32 s3, s20, s22
	s_addc_u32 s15, s21, s23
	s_ashr_i32 s25, s24, 31
	s_lshl_b64 s[20:21], s[24:25], 2
	s_add_u32 s20, s3, s20
	s_addc_u32 s21, s15, s21
	global_load_dword v3, v6, s[20:21]
	v_lshl_add_u32 v4, v2, 4, v4
	s_waitcnt vmcnt(0)
	ds_write_b32 v4, v3
.LBB162_4:
	s_or_b64 exec, exec, s[6:7]
	s_mul_i32 s7, s14, s12
	s_sub_i32 s7, s13, s7
	s_xor_b32 s6, s8, s9
	s_add_i32 s8, s14, 1
	s_sub_i32 s9, s7, s12
	s_load_dwordx4 s[20:23], s[0:1], 0x68
	s_load_dword s3, s[0:1], 0x78
	s_cmp_ge_u32 s7, s12
	s_cselect_b32 s8, s8, s14
	s_cselect_b32 s7, s9, s7
	s_add_i32 s9, s8, 1
	s_cmp_ge_u32 s7, s12
	s_cselect_b32 s7, s9, s8
	s_waitcnt lgkmcnt(0)
	s_abs_i32 s25, s23
	v_cvt_f32_u32_e32 v3, s25
	s_xor_b32 s7, s7, s6
	s_sub_i32 s43, s7, s6
	s_sub_i32 s6, 0, s25
	v_rcp_iflag_f32_e32 v3, v3
	s_add_i32 s12, s11, -1
	s_abs_i32 s8, s12
	v_mul_f32_e32 v3, 0x4f7ffffe, v3
	v_cvt_u32_f32_e32 v3, v3
	s_barrier
	v_readfirstlane_b32 s33, v3
	s_mul_i32 s6, s6, s33
	s_mul_hi_u32 s6, s33, s6
	s_add_i32 s33, s33, s6
	s_cmp_lt_i32 s3, 0
	s_mul_hi_u32 s9, s8, s33
	s_cbranch_scc0 .LBB162_6
; %bb.5:
	s_mul_i32 s6, s20, s36
	s_add_i32 s6, s43, s6
	s_mul_i32 s6, s6, s3
	s_sub_i32 s36, 1, s6
	s_mov_b64 s[6:7], 0
	s_branch .LBB162_7
.LBB162_6:
	s_mov_b64 s[6:7], -1
                                        ; implicit-def: $sgpr36
.LBB162_7:
	s_load_dwordx2 s[28:29], s[0:1], 0x28
	s_ashr_i32 s19, s12, 31
	s_andn2_b64 vcc, exec, s[6:7]
	s_ashr_i32 s23, s23, 31
	s_cbranch_vccnz .LBB162_9
; %bb.8:
	s_mul_i32 s6, s5, s20
	s_add_i32 s2, s6, s2
	s_mul_i32 s2, s2, s3
	s_add_i32 s36, s2, 1
.LBB162_9:
	s_load_dword s2, s[0:1], 0x38
	s_load_dwordx2 s[26:27], s[0:1], 0x0
	s_load_dwordx2 s[34:35], s[0:1], 0x18
	s_load_dword s16, s[0:1], 0x88
	s_load_dwordx4 s[12:15], s[0:1], 0x58
	s_mul_i32 s3, s9, s25
	s_waitcnt lgkmcnt(0)
	s_mul_i32 s30, s2, s10
	s_sub_i32 s3, s8, s3
	s_ashr_i32 s31, s30, 31
	s_xor_b32 s2, s19, s23
	s_add_i32 s6, s9, 1
	s_sub_i32 s7, s3, s25
	s_cmp_ge_u32 s3, s25
	s_cselect_b32 s6, s6, s9
	s_cselect_b32 s3, s7, s3
	s_add_i32 s7, s6, 1
	s_cmp_ge_u32 s3, s25
	s_cselect_b32 s3, s7, s6
	s_xor_b32 s3, s3, s2
	s_sub_i32 s42, s3, s2
	s_add_i32 s2, s11, 7
	s_ashr_i32 s3, s2, 31
	s_lshr_b32 s3, s3, 29
	s_add_i32 s2, s2, s3
	s_ashr_i32 s20, s2, 3
	v_lshrrev_b32_e32 v16, 6, v0
	v_cmp_gt_i32_e64 s[2:3], s20, v16
	v_mov_b32_e32 v11, 0xff7fffff
	s_mul_i32 s43, s43, s18
	v_lshrrev_b32_e32 v10, 4, v0
	v_lshlrev_b32_e32 v17, 3, v16
	v_mbcnt_lo_u32_b32 v7, -1, 0
	s_and_saveexec_b64 s[18:19], s[2:3]
	s_cbranch_execz .LBB162_21
; %bb.10:
	s_load_dwordx2 s[0:1], s[0:1], 0x10
	s_sub_i32 s45, s42, s21
	s_ashr_i32 s7, s43, 31
	v_bfe_u32 v8, v0, 3, 3
	v_mov_b32_e32 v5, 0
	s_waitcnt lgkmcnt(0)
	s_add_u32 s6, s0, s43
	s_addc_u32 s7, s1, s7
	s_abs_i32 s46, s22
	v_cvt_f32_u32_e32 v3, s46
	v_lshlrev_b32_e32 v4, 4, v8
	v_lshl_add_u64 v[14:15], s[6:7], 0, v[4:5]
	s_sub_i32 s6, 0, s46
	v_rcp_iflag_f32_e32 v3, v3
	v_cmp_eq_u32_e32 vcc, 0, v2
	v_lshlrev_b32_e32 v9, 4, v2
	v_mbcnt_hi_u32_b32 v19, -1, v7
	v_mul_f32_e32 v3, 0x4f7ffffe, v3
	v_cvt_u32_f32_e32 v11, v3
	v_mov_b32_e32 v3, v5
	v_lshl_add_u64 v[2:3], v[14:15], 0, v[2:3]
	s_mov_b32 s47, s17
	v_mul_lo_u32 v4, s6, v11
	v_mul_hi_u32 v4, v11, v4
	v_add_u32_e32 v12, v11, v4
	v_subrev_u32_e32 v11, s11, v8
	s_lshl_b64 s[6:7], s[30:31], 2
	v_add_u32_e32 v14, 1, v11
	v_lshlrev_b32_e32 v11, 2, v8
	s_add_u32 s6, s28, s6
	v_lshl_or_b32 v11, v16, 5, v11
	v_and_b32_e32 v4, 60, v10
	s_addc_u32 s7, s29, s7
	v_add_u32_e32 v15, 0x90, v11
	v_and_b32_e32 v11, 64, v19
	v_cmp_neq_f32_e64 s[0:1], s44, 0
	v_lshl_add_u64 v[4:5], s[6:7], 0, v[4:5]
	v_lshlrev_b32_e32 v13, 3, v16
	v_mov_b32_e32 v18, 0xff7fffff
	s_mov_b64 s[38:39], 0
	v_add_u32_e32 v20, 64, v11
	v_xor_b32_e32 v21, 4, v19
	v_xor_b32_e32 v22, 2, v19
	;; [unrolled: 1-line block ×3, first 2 shown]
	v_mov_b32_e32 v11, 0xff7fffff
	v_mov_b32_e32 v24, v16
	s_branch .LBB162_13
.LBB162_11:                             ;   in Loop: Header=BB162_13 Depth=1
	s_or_b64 exec, exec, s[40:41]
.LBB162_12:                             ;   in Loop: Header=BB162_13 Depth=1
	s_or_b64 exec, exec, s[8:9]
	v_add_u32_e32 v24, 2, v24
	v_cmp_le_i32_e64 s[6:7], s20, v24
	v_lshl_add_u64 v[4:5], v[4:5], 0, 8
	v_add_u32_e32 v13, 16, v13
	s_or_b64 s[38:39], s[6:7], s[38:39]
	v_add_u32_e32 v15, 64, v15
	s_andn2_b64 exec, exec, s[38:39]
	s_cbranch_execz .LBB162_20
.LBB162_13:                             ; =>This Inner Loop Header: Depth=1
	v_mul_hi_u32 v25, v13, s33
	s_waitcnt lgkmcnt(0)
	v_mul_lo_u32 v26, v25, s25
	v_sub_u32_e32 v26, v13, v26
	v_add_u32_e32 v27, 1, v25
	v_cmp_le_u32_e64 s[6:7], s25, v26
	s_nop 1
	v_cndmask_b32_e64 v25, v25, v27, s[6:7]
	v_subrev_u32_e32 v27, s25, v26
	v_cndmask_b32_e64 v26, v26, v27, s[6:7]
	v_add_u32_e32 v27, 1, v25
	v_cmp_le_u32_e64 s[6:7], s25, v26
	s_nop 1
	v_cndmask_b32_e64 v25, v25, v27, s[6:7]
	v_xor_b32_e32 v25, s23, v25
	v_subrev_u32_e32 v25, s23, v25
	v_add_u32_e32 v26, s36, v25
	v_sub_u32_e32 v28, 0, v26
	v_ashrrev_i32_e32 v27, 31, v26
	v_max_i32_e32 v26, v26, v28
	v_mul_hi_u32 v28, v26, v12
	v_mul_lo_u32 v28, v28, s46
	v_sub_u32_e32 v26, v26, v28
	v_subrev_u32_e32 v28, s46, v26
	v_cmp_le_u32_e64 s[6:7], s46, v26
	v_cmp_ge_i32_e64 s[8:9], s45, v25
	s_nop 0
	v_cndmask_b32_e64 v26, v26, v28, s[6:7]
	v_subrev_u32_e32 v28, s46, v26
	v_cmp_le_u32_e64 s[6:7], s46, v26
	s_nop 1
	v_cndmask_b32_e64 v26, v26, v28, s[6:7]
	v_xor_b32_e32 v26, v26, v27
	v_sub_u32_e32 v26, v26, v27
	v_cmp_ne_u32_e64 s[6:7], 0, v26
	s_and_b64 s[6:7], s[6:7], s[8:9]
	s_and_saveexec_b64 s[8:9], s[6:7]
	s_xor_b64 s[6:7], exec, s[8:9]
	s_cbranch_execz .LBB162_17
; %bb.14:                               ;   in Loop: Header=BB162_13 Depth=1
	s_and_saveexec_b64 s[8:9], vcc
; %bb.15:                               ;   in Loop: Header=BB162_13 Depth=1
	ds_write_b32 v15, v18
; %bb.16:                               ;   in Loop: Header=BB162_13 Depth=1
	s_or_b64 exec, exec, s[8:9]
.LBB162_17:                             ;   in Loop: Header=BB162_13 Depth=1
	s_andn2_saveexec_b64 s[8:9], s[6:7]
	s_cbranch_execz .LBB162_12
; %bb.18:                               ;   in Loop: Header=BB162_13 Depth=1
	global_load_dword v25, v[4:5], off
	s_waitcnt vmcnt(0)
	v_mad_i64_i32 v[26:27], s[6:7], v25, s47, v[2:3]
	global_load_ubyte v25, v[26:27], off
	global_load_ubyte v30, v[26:27], off offset:8
	global_load_ubyte v31, v[26:27], off offset:128
	;; [unrolled: 1-line block ×3, first 2 shown]
	v_cmp_lt_i32_e64 s[6:7], v21, v20
	ds_read_b128 v[26:29], v9
	s_waitcnt vmcnt(3)
	v_cvt_f32_fp8_e32 v25, v25
	v_cndmask_b32_e64 v33, v19, v21, s[6:7]
	s_load_dword s6, s[12:13], 0x0
	s_waitcnt vmcnt(2)
	v_cvt_f32_fp8_e32 v30, v30
	s_waitcnt vmcnt(1)
	v_cvt_f32_fp8_e32 v31, v31
	;; [unrolled: 2-line block ×3, first 2 shown]
	v_lshlrev_b32_e32 v33, 2, v33
	s_waitcnt lgkmcnt(0)
	v_mul_f32_e32 v30, s6, v30
	v_mul_f32_e32 v25, s6, v25
	;; [unrolled: 1-line block ×4, first 2 shown]
	v_fmac_f32_e32 v27, v26, v25
	v_mul_f32_e32 v32, s6, v32
	v_fmac_f32_e32 v27, v28, v31
	v_fmac_f32_e32 v27, v29, v32
	ds_bpermute_b32 v25, v33, v27
	v_cmp_lt_i32_e64 s[6:7], v22, v20
	s_waitcnt lgkmcnt(0)
	v_add_f32_e32 v25, v27, v25
	v_cndmask_b32_e64 v26, v19, v22, s[6:7]
	v_lshlrev_b32_e32 v26, 2, v26
	ds_bpermute_b32 v26, v26, v25
	v_cmp_lt_i32_e64 s[6:7], v23, v20
	s_waitcnt lgkmcnt(0)
	v_add_f32_e32 v25, v25, v26
	v_cndmask_b32_e64 v27, v19, v23, s[6:7]
	v_lshlrev_b32_e32 v27, 2, v27
	ds_bpermute_b32 v26, v27, v25
	s_and_saveexec_b64 s[40:41], vcc
	s_cbranch_execz .LBB162_11
; %bb.19:                               ;   in Loop: Header=BB162_13 Depth=1
	v_add_u32_e32 v27, v14, v13
	v_cvt_f32_i32_e32 v27, v27
	s_waitcnt lgkmcnt(0)
	v_add_f32_e32 v25, v25, v26
	v_add_u32_e32 v28, v8, v13
	v_cmp_gt_i32_e64 s[6:7], s11, v28
	v_mul_f32_e32 v26, s44, v27
	v_cndmask_b32_e64 v26, 0, v26, s[0:1]
	v_fmac_f32_e32 v26, s37, v25
	v_cndmask_b32_e64 v25, 0, v26, s[6:7]
	ds_write_b32 v15, v25
	v_max_f32_e32 v25, v11, v11
	v_max_f32_e32 v25, v25, v26
	v_cndmask_b32_e64 v11, v11, v25, s[6:7]
	s_branch .LBB162_11
.LBB162_20:
	s_or_b64 exec, exec, s[38:39]
.LBB162_21:
	s_or_b64 exec, exec, s[18:19]
	v_mbcnt_hi_u32_b32 v2, -1, v7
	v_and_b32_e32 v12, 64, v2
	v_add_u32_e32 v3, 64, v12
	v_xor_b32_e32 v4, 32, v2
	v_cmp_lt_i32_e32 vcc, v4, v3
	v_xor_b32_e32 v8, 16, v2
	v_max_f32_e32 v7, v11, v11
	v_cndmask_b32_e32 v4, v2, v4, vcc
	v_lshlrev_b32_e32 v5, 2, v4
	ds_bpermute_b32 v4, v5, v11
	v_cmp_lt_i32_e32 vcc, v8, v3
	v_xor_b32_e32 v9, 8, v2
	v_and_b32_e32 v18, 63, v0
	s_waitcnt lgkmcnt(0)
	v_max_f32_e32 v4, v4, v4
	v_max_f32_e32 v4, v7, v4
	v_cndmask_b32_e32 v7, v2, v8, vcc
	v_lshlrev_b32_e32 v8, 2, v7
	ds_bpermute_b32 v7, v8, v4
	v_cmp_lt_i32_e32 vcc, v9, v3
	s_waitcnt lgkmcnt(0)
	v_max_f32_e32 v7, v7, v7
	v_max_f32_e32 v7, v4, v7
	v_cndmask_b32_e32 v4, v2, v9, vcc
	v_lshlrev_b32_e32 v9, 2, v4
	ds_bpermute_b32 v11, v9, v7
	v_cmp_eq_u32_e32 vcc, 0, v18
	v_lshlrev_b32_e32 v4, 2, v16
	s_and_saveexec_b64 s[0:1], vcc
	s_cbranch_execz .LBB162_23
; %bb.22:
	s_waitcnt lgkmcnt(0)
	v_max_f32_e32 v11, v11, v11
	v_max_f32_e32 v7, v7, v7
	;; [unrolled: 1-line block ×3, first 2 shown]
	ds_write_b32 v4, v7 offset:128
.LBB162_23:
	s_or_b64 exec, exec, s[0:1]
	v_cmp_gt_u32_e64 s[0:1], 2, v18
	s_waitcnt lgkmcnt(0)
	v_mov_b32_e32 v11, 0xff7fffff
	v_lshlrev_b32_e32 v7, 2, v18
	s_barrier
	s_and_saveexec_b64 s[6:7], s[0:1]
; %bb.24:
	ds_read_b32 v11, v7 offset:128
; %bb.25:
	s_or_b64 exec, exec, s[6:7]
	v_xor_b32_e32 v13, 1, v2
	v_cmp_lt_i32_e64 s[6:7], v13, v3
	v_lshlrev_b32_e32 v12, 2, v12
	s_nop 0
	v_cndmask_b32_e64 v13, v2, v13, s[6:7]
	v_lshlrev_b32_e32 v19, 2, v13
	s_waitcnt lgkmcnt(0)
	ds_bpermute_b32 v13, v19, v11
	v_max_f32_e32 v11, v11, v11
	s_lshl_b32 s6, s20, 3
	s_min_i32 s37, s6, s11
	v_cmp_gt_i32_e64 s[6:7], s37, v0
	s_waitcnt lgkmcnt(0)
	v_max_f32_e32 v13, v13, v13
	v_max_f32_e32 v11, v11, v13
	ds_bpermute_b32 v12, v12, v11
	v_mov_b32_e32 v11, 0
	s_and_saveexec_b64 s[12:13], s[6:7]
	s_cbranch_execz .LBB162_29
; %bb.26:
	v_mov_b32_e32 v11, 0x90
	v_lshl_add_u32 v13, v0, 2, v11
	v_mov_b32_e32 v11, 0
	s_mov_b64 s[18:19], 0
	v_mov_b32_e32 v14, v0
.LBB162_27:                             ; =>This Inner Loop Header: Depth=1
	ds_read_b32 v15, v13
	v_add_u32_e32 v14, 0x80, v14
	v_cmp_le_i32_e64 s[8:9], s37, v14
	s_or_b64 s[18:19], s[8:9], s[18:19]
	s_waitcnt lgkmcnt(0)
	v_sub_f32_e32 v15, v15, v12
	v_mul_f32_e32 v15, 0x3fb8aa3b, v15
	v_exp_f32_e32 v15, v15
	ds_write_b32 v13, v15
	v_add_f32_e32 v11, v11, v15
	v_add_u32_e32 v13, 0x200, v13
	s_andn2_b64 exec, exec, s[18:19]
	s_cbranch_execnz .LBB162_27
; %bb.28:
	s_or_b64 exec, exec, s[18:19]
.LBB162_29:
	s_or_b64 exec, exec, s[12:13]
	ds_bpermute_b32 v5, v5, v11
	s_waitcnt lgkmcnt(0)
	v_add_f32_e32 v5, v11, v5
	ds_bpermute_b32 v8, v8, v5
	s_waitcnt lgkmcnt(0)
	v_add_f32_e32 v5, v5, v8
	ds_bpermute_b32 v8, v9, v5
	v_xor_b32_e32 v9, 4, v2
	v_cmp_lt_i32_e64 s[8:9], v9, v3
	s_waitcnt lgkmcnt(0)
	v_add_f32_e32 v5, v5, v8
	v_cndmask_b32_e64 v9, v2, v9, s[8:9]
	v_lshlrev_b32_e32 v9, 2, v9
	ds_bpermute_b32 v8, v9, v5
	v_xor_b32_e32 v9, 2, v2
	v_cmp_lt_i32_e64 s[8:9], v9, v3
	s_waitcnt lgkmcnt(0)
	v_add_f32_e32 v5, v5, v8
	v_cndmask_b32_e64 v3, v2, v9, s[8:9]
	v_lshlrev_b32_e32 v3, 2, v3
	ds_bpermute_b32 v3, v3, v5
	s_waitcnt lgkmcnt(0)
	v_add_f32_e32 v3, v5, v3
	ds_bpermute_b32 v5, v19, v3
	s_waitcnt lgkmcnt(0)
	v_add_f32_e32 v3, v3, v5
	s_and_saveexec_b64 s[8:9], vcc
; %bb.30:
	ds_write_b32 v4, v3 offset:136
; %bb.31:
	s_or_b64 exec, exec, s[8:9]
	s_waitcnt lgkmcnt(0)
	s_barrier
	s_and_saveexec_b64 s[8:9], s[0:1]
; %bb.32:
	ds_read_b32 v3, v7 offset:136
; %bb.33:
	s_or_b64 exec, exec, s[8:9]
	s_waitcnt lgkmcnt(0)
	ds_bpermute_b32 v4, v19, v3
	v_lshlrev_b32_e32 v2, 2, v2
	v_and_b32_e32 v2, 0x100, v2
	s_waitcnt lgkmcnt(0)
	v_add_f32_e32 v3, v3, v4
	ds_bpermute_b32 v2, v2, v3
	s_and_saveexec_b64 s[0:1], s[6:7]
	s_cbranch_execz .LBB162_46
; %bb.34:
	s_waitcnt lgkmcnt(0)
	v_add_f32_e32 v2, 0x358637bd, v2
	v_div_scale_f32 v3, s[6:7], v2, v2, 1.0
	v_rcp_f32_e32 v4, v3
	v_div_scale_f32 v5, vcc, 1.0, v2, 1.0
	s_movk_i32 s6, 0x7f
	v_fma_f32 v7, -v3, v4, 1.0
	v_fmac_f32_e32 v4, v7, v4
	v_mul_f32_e32 v7, v5, v4
	v_fma_f32 v8, -v3, v7, v5
	v_fmac_f32_e32 v7, v8, v4
	v_fma_f32 v3, -v3, v7, v5
	v_div_fmas_f32 v3, v3, v4, v7
	v_xad_u32 v4, v0, -1, s37
	v_div_fixup_f32 v2, v3, v2, 1.0
	v_cmp_lt_u32_e32 vcc, s6, v4
	s_mov_b64 s[8:9], -1
	v_mov_b32_e32 v3, v0
	s_and_saveexec_b64 s[6:7], vcc
	s_cbranch_execz .LBB162_43
; %bb.35:
	v_lshrrev_b32_e32 v4, 7, v4
	v_add_u32_e32 v7, -1, v4
	v_lshrrev_b32_e32 v5, 1, v7
	v_mov_b32_e32 v3, v2
	v_add_u32_e32 v5, 1, v5
	v_cmp_lt_u32_e32 vcc, 13, v7
	v_mov_b32_e32 v9, 0
	s_and_saveexec_b64 s[8:9], vcc
	s_cbranch_execz .LBB162_39
; %bb.36:
	v_mov_b32_e32 v8, 0x90
	v_and_b32_e32 v7, -8, v5
	v_lshl_add_u32 v8, v0, 2, v8
	s_mov_b32 s18, 0
	s_mov_b64 s[12:13], 0
.LBB162_37:                             ; =>This Inner Loop Header: Depth=1
	ds_read2st64_b32 v[12:13], v8 offset1:2
	ds_read2st64_b32 v[14:15], v8 offset0:4 offset1:6
	ds_read2st64_b32 v[20:21], v8 offset0:8 offset1:10
	;; [unrolled: 1-line block ×3, first 2 shown]
	v_add_u32_e32 v7, -8, v7
	s_waitcnt lgkmcnt(3)
	v_pk_mul_f32 v[12:13], v[2:3], v[12:13]
	s_waitcnt lgkmcnt(2)
	v_pk_mul_f32 v[14:15], v[2:3], v[14:15]
	ds_write2st64_b32 v8, v12, v13 offset1:2
	ds_write2st64_b32 v8, v14, v15 offset0:4 offset1:6
	ds_read2st64_b32 v[14:15], v8 offset0:16 offset1:18
	s_waitcnt lgkmcnt(4)
	v_pk_mul_f32 v[12:13], v[2:3], v[20:21]
	ds_write2st64_b32 v8, v12, v13 offset0:8 offset1:10
	s_waitcnt lgkmcnt(4)
	v_pk_mul_f32 v[12:13], v[2:3], v[22:23]
	ds_write2st64_b32 v8, v12, v13 offset0:12 offset1:14
	ds_read2st64_b32 v[12:13], v8 offset0:20 offset1:22
	s_waitcnt lgkmcnt(3)
	v_pk_mul_f32 v[14:15], v[2:3], v[14:15]
	ds_read2st64_b32 v[20:21], v8 offset0:24 offset1:26
	ds_write2st64_b32 v8, v14, v15 offset0:16 offset1:18
	ds_read2st64_b32 v[14:15], v8 offset0:28 offset1:30
	s_waitcnt lgkmcnt(3)
	v_pk_mul_f32 v[12:13], v[2:3], v[12:13]
	ds_write2st64_b32 v8, v12, v13 offset0:20 offset1:22
	s_waitcnt lgkmcnt(3)
	v_pk_mul_f32 v[12:13], v[2:3], v[20:21]
	ds_write2st64_b32 v8, v12, v13 offset0:24 offset1:26
	s_waitcnt lgkmcnt(2)
	v_pk_mul_f32 v[12:13], v[2:3], v[14:15]
	s_add_i32 s18, s18, 16
	v_cmp_eq_u32_e32 vcc, 0, v7
	ds_write2st64_b32 v8, v12, v13 offset0:28 offset1:30
	v_add_u32_e32 v8, 0x2000, v8
	s_or_b64 s[12:13], vcc, s[12:13]
	v_mov_b32_e32 v9, s18
	s_andn2_b64 exec, exec, s[12:13]
	s_cbranch_execnz .LBB162_37
; %bb.38:
	s_or_b64 exec, exec, s[12:13]
.LBB162_39:
	s_or_b64 exec, exec, s[8:9]
	v_and_b32_e32 v5, 7, v5
	v_cmp_ne_u32_e32 vcc, 0, v5
	s_and_saveexec_b64 s[8:9], vcc
	s_cbranch_execz .LBB162_42
; %bb.40:
	v_lshlrev_b32_e32 v7, 9, v9
	s_movk_i32 s12, 0x90
	v_add3_u32 v7, v7, v6, s12
	s_mov_b64 s[12:13], 0
.LBB162_41:                             ; =>This Inner Loop Header: Depth=1
	ds_read2st64_b32 v[8:9], v7 offset1:2
	v_add_u32_e32 v5, -1, v5
	v_cmp_eq_u32_e32 vcc, 0, v5
	s_or_b64 s[12:13], vcc, s[12:13]
	s_waitcnt lgkmcnt(0)
	v_pk_mul_f32 v[8:9], v[2:3], v[8:9]
	ds_write2st64_b32 v7, v8, v9 offset1:2
	v_add_u32_e32 v7, 0x400, v7
	s_andn2_b64 exec, exec, s[12:13]
	s_cbranch_execnz .LBB162_41
.LBB162_42:
	s_or_b64 exec, exec, s[8:9]
	v_add_u32_e32 v4, 1, v4
	v_and_b32_e32 v5, 0x3fffffe, v4
	v_cmp_ne_u32_e32 vcc, v4, v5
	v_lshl_add_u32 v3, v5, 7, v0
	s_orn2_b64 s[8:9], vcc, exec
.LBB162_43:
	s_or_b64 exec, exec, s[6:7]
	s_and_b64 exec, exec, s[8:9]
	s_cbranch_execz .LBB162_46
; %bb.44:
	v_mov_b32_e32 v4, 0x90
	v_lshl_add_u32 v4, v3, 2, v4
	s_mov_b64 s[6:7], 0
.LBB162_45:                             ; =>This Inner Loop Header: Depth=1
	ds_read_b32 v5, v4
	v_add_u32_e32 v3, 0x80, v3
	v_cmp_le_i32_e32 vcc, s37, v3
	s_or_b64 s[6:7], vcc, s[6:7]
	s_waitcnt lgkmcnt(0)
	v_mul_f32_e32 v5, v2, v5
	ds_write_b32 v4, v5
	v_add_u32_e32 v4, 0x200, v4
	s_andn2_b64 exec, exec, s[6:7]
	s_cbranch_execnz .LBB162_45
.LBB162_46:
	s_or_b64 exec, exec, s[0:1]
	v_mov_b32_e32 v7, 0
	s_waitcnt lgkmcnt(0)
	s_barrier
	s_and_saveexec_b64 s[6:7], s[2:3]
	s_cbranch_execz .LBB162_54
; %bb.47:
	s_sub_i32 s12, s42, s21
	s_ashr_i32 s1, s43, 31
	s_add_u32 s0, s34, s43
	s_addc_u32 s1, s35, s1
	s_abs_i32 s13, s22
	v_cvt_f32_u32_e32 v2, s13
	v_and_b32_e32 v20, 4, v6
	v_and_b32_e32 v6, 0xfc, v6
	v_mov_b32_e32 v7, 0
	v_rcp_iflag_f32_e32 v2, v2
	v_lshl_add_u64 v[8:9], s[0:1], 0, v[6:7]
	s_sub_i32 s0, 0, s13
	s_add_i32 s18, s20, -1
	v_mul_f32_e32 v2, 0x4f7ffffe, v2
	v_cvt_u32_f32_e32 v2, v2
	v_and_b32_e32 v6, 60, v10
	s_mov_b32 s19, s11
	s_mov_b64 s[2:3], 0
	v_mul_lo_u32 v3, s0, v2
	v_mul_hi_u32 v3, v2, v3
	v_add_u32_e32 v21, v2, v3
	s_lshl_b64 s[0:1], s[30:31], 2
	v_and_b32_e32 v2, 1, v0
	s_add_u32 s0, s28, s0
	v_lshlrev_b32_e32 v2, 4, v2
	s_addc_u32 s1, s29, s1
	v_lshl_or_b32 v2, v16, 5, v2
	v_lshl_add_u64 v[10:11], s[0:1], 0, v[6:7]
	v_add_u32_e32 v6, 0x90, v2
	s_branch .LBB162_50
.LBB162_48:                             ;   in Loop: Header=BB162_50 Depth=1
	s_or_b64 exec, exec, s[8:9]
	v_pk_mul_f32 v[2:3], v[2:3], v[14:15]
	v_pk_mul_f32 v[4:5], v[4:5], v[12:13]
	v_add_f32_e32 v2, v3, v2
	v_add_f32_e32 v2, v4, v2
	;; [unrolled: 1-line block ×4, first 2 shown]
.LBB162_49:                             ;   in Loop: Header=BB162_50 Depth=1
	s_or_b64 exec, exec, s[0:1]
	v_add_u32_e32 v16, 2, v16
	v_cmp_le_i32_e32 vcc, s20, v16
	v_lshl_add_u64 v[10:11], v[10:11], 0, 8
	v_add_u32_e32 v17, 16, v17
	s_or_b64 s[2:3], vcc, s[2:3]
	v_add_u32_e32 v6, 64, v6
	s_andn2_b64 exec, exec, s[2:3]
	s_cbranch_execz .LBB162_53
.LBB162_50:                             ; =>This Inner Loop Header: Depth=1
	v_mul_hi_u32 v2, v17, s33
	v_mul_lo_u32 v3, v2, s25
	v_sub_u32_e32 v3, v17, v3
	v_add_u32_e32 v4, 1, v2
	v_cmp_le_u32_e32 vcc, s25, v3
	s_nop 1
	v_cndmask_b32_e32 v2, v2, v4, vcc
	v_subrev_u32_e32 v4, s25, v3
	v_cndmask_b32_e32 v3, v3, v4, vcc
	v_add_u32_e32 v4, 1, v2
	v_cmp_le_u32_e32 vcc, s25, v3
	s_nop 1
	v_cndmask_b32_e32 v2, v2, v4, vcc
	v_xor_b32_e32 v2, s23, v2
	v_subrev_u32_e32 v2, s23, v2
	v_add_u32_e32 v3, s36, v2
	v_sub_u32_e32 v5, 0, v3
	v_ashrrev_i32_e32 v4, 31, v3
	v_max_i32_e32 v3, v3, v5
	v_mul_hi_u32 v5, v3, v21
	v_mul_lo_u32 v5, v5, s13
	v_sub_u32_e32 v3, v3, v5
	v_subrev_u32_e32 v5, s13, v3
	v_cmp_le_u32_e32 vcc, s13, v3
	v_cmp_lt_i32_e64 s[0:1], s12, v2
	s_nop 0
	v_cndmask_b32_e32 v3, v3, v5, vcc
	v_subrev_u32_e32 v5, s13, v3
	v_cmp_le_u32_e32 vcc, s13, v3
	s_nop 1
	v_cndmask_b32_e32 v3, v3, v5, vcc
	v_xor_b32_e32 v3, v3, v4
	v_sub_u32_e32 v3, v3, v4
	v_cmp_eq_u32_e32 vcc, 0, v3
	s_or_b64 s[8:9], vcc, s[0:1]
	s_and_saveexec_b64 s[0:1], s[8:9]
	s_cbranch_execz .LBB162_49
; %bb.51:                               ;   in Loop: Header=BB162_50 Depth=1
	global_load_dword v2, v[10:11], off
	v_cmp_eq_u32_e32 vcc, s18, v16
	s_waitcnt vmcnt(0)
	v_mad_i64_i32 v[2:3], s[8:9], v2, s17, v[8:9]
	global_load_dword v2, v[2:3], off
	s_load_dword s8, s[14:15], 0x0
	s_waitcnt vmcnt(0)
	v_and_b32_e32 v3, 0xffff, v2
	v_lshrrev_b32_e32 v2, 16, v2
	v_cvt_pk_f32_fp8_e32 v[12:13], v3
	v_cvt_pk_f32_fp8_e32 v[22:23], v2
	ds_read_b128 v[2:5], v6
	s_waitcnt lgkmcnt(0)
	v_pk_mul_f32 v[14:15], v[12:13], s[8:9] op_sel_hi:[1,0]
	v_pk_mul_f32 v[12:13], s[8:9], v[22:23] op_sel_hi:[0,1]
	s_and_saveexec_b64 s[8:9], vcc
	s_cbranch_execz .LBB162_48
; %bb.52:                               ;   in Loop: Header=BB162_50 Depth=1
	v_add_u32_e32 v22, v20, v17
	v_add_u32_e32 v23, 1, v22
	v_cmp_gt_i32_e32 vcc, s11, v22
	s_nop 1
	v_cndmask_b32_e32 v14, 0, v14, vcc
	v_cmp_gt_i32_e32 vcc, s19, v23
	v_or_b32_e32 v23, 3, v22
	v_or_b32_e32 v22, 2, v22
	v_cndmask_b32_e32 v15, 0, v15, vcc
	v_cmp_gt_i32_e32 vcc, s19, v23
	s_nop 1
	v_cndmask_b32_e32 v13, 0, v13, vcc
	v_cmp_gt_i32_e32 vcc, s11, v22
	s_nop 1
	v_cndmask_b32_e32 v12, 0, v12, vcc
	s_branch .LBB162_48
.LBB162_53:
	s_or_b64 exec, exec, s[2:3]
.LBB162_54:
	s_or_b64 exec, exec, s[6:7]
	ds_bpermute_b32 v3, v19, v7
	v_and_b32_e32 v2, 0x3c1, v0
	v_cmp_eq_u32_e32 vcc, 64, v2
	s_waitcnt lgkmcnt(0)
	s_barrier
	v_add_f32_e32 v0, v7, v3
	s_and_saveexec_b64 s[0:1], vcc
; %bb.55:
	v_mov_b32_e32 v3, 0x90
	v_lshl_add_u32 v3, v18, 1, v3
	ds_write_b32 v3, v0
; %bb.56:
	s_or_b64 exec, exec, s[0:1]
	v_cmp_eq_u32_e32 vcc, 0, v2
	s_waitcnt lgkmcnt(0)
	s_barrier
	s_and_saveexec_b64 s[0:1], vcc
	s_cbranch_execz .LBB162_58
; %bb.57:
	v_mov_b32_e32 v2, 0x90
	v_lshl_add_u32 v2, v1, 2, v2
	ds_read_b32 v2, v2
	s_waitcnt lgkmcnt(0)
	v_add_f32_e32 v0, v0, v2
.LBB162_58:
	s_or_b64 exec, exec, s[0:1]
	s_barrier
	s_and_saveexec_b64 s[0:1], vcc
	s_cbranch_execz .LBB162_60
; %bb.59:
	s_mul_i32 s0, s10, s16
	s_mul_i32 s0, s0, s5
	s_lshl_b32 s0, s0, 5
	s_ashr_i32 s1, s0, 31
	s_lshl_b64 s[0:1], s[0:1], 2
	s_add_u32 s2, s26, s0
	s_mul_i32 s0, s16, s24
	s_addc_u32 s3, s27, s1
	s_ashr_i32 s1, s0, 31
	s_lshl_b64 s[0:1], s[0:1], 2
	s_add_u32 s2, s2, s0
	s_addc_u32 s3, s3, s1
	s_lshl_b32 s0, s4, 5
	s_ashr_i32 s1, s0, 31
	s_lshl_b64 s[0:1], s[0:1], 2
	s_add_u32 s0, s2, s0
	s_addc_u32 s1, s3, s1
	v_lshlrev_b32_e32 v1, 2, v1
	global_store_dword v1, v0, s[0:1]
.LBB162_60:
	s_endpgm
	.section	.rodata,"a",@progbits
	.p2align	6, 0x0
	.amdhsa_kernel _ZN4vllm25paged_attention_v1_kernelIfhLi32ELi8ELi128ELNS_18Fp8KVCacheDataTypeE1ELb1EEEvPT_PKS2_PKT0_S8_ifPKiSA_iPKfiiiSC_SC_iiiii
		.amdhsa_group_segment_fixed_size 144
		.amdhsa_private_segment_fixed_size 0
		.amdhsa_kernarg_size 384
		.amdhsa_user_sgpr_count 2
		.amdhsa_user_sgpr_dispatch_ptr 0
		.amdhsa_user_sgpr_queue_ptr 0
		.amdhsa_user_sgpr_kernarg_segment_ptr 1
		.amdhsa_user_sgpr_dispatch_id 0
		.amdhsa_user_sgpr_kernarg_preload_length 0
		.amdhsa_user_sgpr_kernarg_preload_offset 0
		.amdhsa_user_sgpr_private_segment_size 0
		.amdhsa_uses_dynamic_stack 0
		.amdhsa_enable_private_segment 0
		.amdhsa_system_sgpr_workgroup_id_x 1
		.amdhsa_system_sgpr_workgroup_id_y 1
		.amdhsa_system_sgpr_workgroup_id_z 1
		.amdhsa_system_sgpr_workgroup_info 0
		.amdhsa_system_vgpr_workitem_id 0
		.amdhsa_next_free_vgpr 34
		.amdhsa_next_free_sgpr 48
		.amdhsa_accum_offset 36
		.amdhsa_reserve_vcc 1
		.amdhsa_float_round_mode_32 0
		.amdhsa_float_round_mode_16_64 0
		.amdhsa_float_denorm_mode_32 3
		.amdhsa_float_denorm_mode_16_64 3
		.amdhsa_dx10_clamp 1
		.amdhsa_ieee_mode 1
		.amdhsa_fp16_overflow 0
		.amdhsa_tg_split 0
		.amdhsa_exception_fp_ieee_invalid_op 0
		.amdhsa_exception_fp_denorm_src 0
		.amdhsa_exception_fp_ieee_div_zero 0
		.amdhsa_exception_fp_ieee_overflow 0
		.amdhsa_exception_fp_ieee_underflow 0
		.amdhsa_exception_fp_ieee_inexact 0
		.amdhsa_exception_int_div_zero 0
	.end_amdhsa_kernel
	.section	.text._ZN4vllm25paged_attention_v1_kernelIfhLi32ELi8ELi128ELNS_18Fp8KVCacheDataTypeE1ELb1EEEvPT_PKS2_PKT0_S8_ifPKiSA_iPKfiiiSC_SC_iiiii,"axG",@progbits,_ZN4vllm25paged_attention_v1_kernelIfhLi32ELi8ELi128ELNS_18Fp8KVCacheDataTypeE1ELb1EEEvPT_PKS2_PKT0_S8_ifPKiSA_iPKfiiiSC_SC_iiiii,comdat
.Lfunc_end162:
	.size	_ZN4vllm25paged_attention_v1_kernelIfhLi32ELi8ELi128ELNS_18Fp8KVCacheDataTypeE1ELb1EEEvPT_PKS2_PKT0_S8_ifPKiSA_iPKfiiiSC_SC_iiiii, .Lfunc_end162-_ZN4vllm25paged_attention_v1_kernelIfhLi32ELi8ELi128ELNS_18Fp8KVCacheDataTypeE1ELb1EEEvPT_PKS2_PKT0_S8_ifPKiSA_iPKfiiiSC_SC_iiiii
                                        ; -- End function
	.set _ZN4vllm25paged_attention_v1_kernelIfhLi32ELi8ELi128ELNS_18Fp8KVCacheDataTypeE1ELb1EEEvPT_PKS2_PKT0_S8_ifPKiSA_iPKfiiiSC_SC_iiiii.num_vgpr, 34
	.set _ZN4vllm25paged_attention_v1_kernelIfhLi32ELi8ELi128ELNS_18Fp8KVCacheDataTypeE1ELb1EEEvPT_PKS2_PKT0_S8_ifPKiSA_iPKfiiiSC_SC_iiiii.num_agpr, 0
	.set _ZN4vllm25paged_attention_v1_kernelIfhLi32ELi8ELi128ELNS_18Fp8KVCacheDataTypeE1ELb1EEEvPT_PKS2_PKT0_S8_ifPKiSA_iPKfiiiSC_SC_iiiii.numbered_sgpr, 48
	.set _ZN4vllm25paged_attention_v1_kernelIfhLi32ELi8ELi128ELNS_18Fp8KVCacheDataTypeE1ELb1EEEvPT_PKS2_PKT0_S8_ifPKiSA_iPKfiiiSC_SC_iiiii.num_named_barrier, 0
	.set _ZN4vllm25paged_attention_v1_kernelIfhLi32ELi8ELi128ELNS_18Fp8KVCacheDataTypeE1ELb1EEEvPT_PKS2_PKT0_S8_ifPKiSA_iPKfiiiSC_SC_iiiii.private_seg_size, 0
	.set _ZN4vllm25paged_attention_v1_kernelIfhLi32ELi8ELi128ELNS_18Fp8KVCacheDataTypeE1ELb1EEEvPT_PKS2_PKT0_S8_ifPKiSA_iPKfiiiSC_SC_iiiii.uses_vcc, 1
	.set _ZN4vllm25paged_attention_v1_kernelIfhLi32ELi8ELi128ELNS_18Fp8KVCacheDataTypeE1ELb1EEEvPT_PKS2_PKT0_S8_ifPKiSA_iPKfiiiSC_SC_iiiii.uses_flat_scratch, 0
	.set _ZN4vllm25paged_attention_v1_kernelIfhLi32ELi8ELi128ELNS_18Fp8KVCacheDataTypeE1ELb1EEEvPT_PKS2_PKT0_S8_ifPKiSA_iPKfiiiSC_SC_iiiii.has_dyn_sized_stack, 0
	.set _ZN4vllm25paged_attention_v1_kernelIfhLi32ELi8ELi128ELNS_18Fp8KVCacheDataTypeE1ELb1EEEvPT_PKS2_PKT0_S8_ifPKiSA_iPKfiiiSC_SC_iiiii.has_recursion, 0
	.set _ZN4vllm25paged_attention_v1_kernelIfhLi32ELi8ELi128ELNS_18Fp8KVCacheDataTypeE1ELb1EEEvPT_PKS2_PKT0_S8_ifPKiSA_iPKfiiiSC_SC_iiiii.has_indirect_call, 0
	.section	.AMDGPU.csdata,"",@progbits
; Kernel info:
; codeLenInByte = 3768
; TotalNumSgprs: 54
; NumVgprs: 34
; NumAgprs: 0
; TotalNumVgprs: 34
; ScratchSize: 0
; MemoryBound: 0
; FloatMode: 240
; IeeeMode: 1
; LDSByteSize: 144 bytes/workgroup (compile time only)
; SGPRBlocks: 6
; VGPRBlocks: 4
; NumSGPRsForWavesPerEU: 54
; NumVGPRsForWavesPerEU: 34
; AccumOffset: 36
; Occupancy: 8
; WaveLimiterHint : 1
; COMPUTE_PGM_RSRC2:SCRATCH_EN: 0
; COMPUTE_PGM_RSRC2:USER_SGPR: 2
; COMPUTE_PGM_RSRC2:TRAP_HANDLER: 0
; COMPUTE_PGM_RSRC2:TGID_X_EN: 1
; COMPUTE_PGM_RSRC2:TGID_Y_EN: 1
; COMPUTE_PGM_RSRC2:TGID_Z_EN: 1
; COMPUTE_PGM_RSRC2:TIDIG_COMP_CNT: 0
; COMPUTE_PGM_RSRC3_GFX90A:ACCUM_OFFSET: 8
; COMPUTE_PGM_RSRC3_GFX90A:TG_SPLIT: 0
	.section	.text._ZN4vllm25paged_attention_v1_kernelIfhLi64ELi8ELi128ELNS_18Fp8KVCacheDataTypeE1ELb1EEEvPT_PKS2_PKT0_S8_ifPKiSA_iPKfiiiSC_SC_iiiii,"axG",@progbits,_ZN4vllm25paged_attention_v1_kernelIfhLi64ELi8ELi128ELNS_18Fp8KVCacheDataTypeE1ELb1EEEvPT_PKS2_PKT0_S8_ifPKiSA_iPKfiiiSC_SC_iiiii,comdat
	.protected	_ZN4vllm25paged_attention_v1_kernelIfhLi64ELi8ELi128ELNS_18Fp8KVCacheDataTypeE1ELb1EEEvPT_PKS2_PKT0_S8_ifPKiSA_iPKfiiiSC_SC_iiiii ; -- Begin function _ZN4vllm25paged_attention_v1_kernelIfhLi64ELi8ELi128ELNS_18Fp8KVCacheDataTypeE1ELb1EEEvPT_PKS2_PKT0_S8_ifPKiSA_iPKfiiiSC_SC_iiiii
	.globl	_ZN4vllm25paged_attention_v1_kernelIfhLi64ELi8ELi128ELNS_18Fp8KVCacheDataTypeE1ELb1EEEvPT_PKS2_PKT0_S8_ifPKiSA_iPKfiiiSC_SC_iiiii
	.p2align	8
	.type	_ZN4vllm25paged_attention_v1_kernelIfhLi64ELi8ELi128ELNS_18Fp8KVCacheDataTypeE1ELb1EEEvPT_PKS2_PKT0_S8_ifPKiSA_iPKfiiiSC_SC_iiiii,@function
_ZN4vllm25paged_attention_v1_kernelIfhLi64ELi8ELi128ELNS_18Fp8KVCacheDataTypeE1ELb1EEEvPT_PKS2_PKT0_S8_ifPKiSA_iPKfiiiSC_SC_iiiii: ; @_ZN4vllm25paged_attention_v1_kernelIfhLi64ELi8ELi128ELNS_18Fp8KVCacheDataTypeE1ELb1EEEvPT_PKS2_PKT0_S8_ifPKiSA_iPKfiiiSC_SC_iiiii
; %bb.0:
	s_load_dword s5, s[0:1], 0x80
	s_load_dwordx2 s[6:7], s[0:1], 0x30
	s_load_dwordx2 s[38:39], s[0:1], 0x20
	s_mov_b32 s24, s3
	s_ashr_i32 s25, s3, 31
	s_lshl_b64 s[8:9], s[24:25], 2
	s_waitcnt lgkmcnt(0)
	s_add_u32 s6, s6, s8
	s_addc_u32 s7, s7, s9
	s_abs_i32 s3, s38
	v_cvt_f32_u32_e32 v1, s3
	s_sub_i32 s10, 0, s3
	s_abs_i32 s9, s5
	s_xor_b32 s8, s5, s38
	v_rcp_iflag_f32_e32 v1, v1
	s_ashr_i32 s8, s8, 31
	s_mov_b32 s46, 0
	v_mul_f32_e32 v1, 0x4f7ffffe, v1
	v_cvt_u32_f32_e32 v1, v1
	s_nop 0
	v_readfirstlane_b32 s11, v1
	s_mul_i32 s10, s10, s11
	s_mul_hi_u32 s10, s11, s10
	s_add_i32 s11, s11, s10
	s_mul_hi_u32 s10, s9, s11
	s_mul_i32 s11, s10, s3
	s_sub_i32 s9, s9, s11
	s_add_i32 s11, s10, 1
	s_sub_i32 s12, s9, s3
	s_cmp_ge_u32 s9, s3
	s_cselect_b32 s10, s11, s10
	s_cselect_b32 s9, s12, s9
	s_add_i32 s11, s10, 1
	s_cmp_ge_u32 s9, s3
	s_cselect_b32 s3, s11, s10
	s_xor_b32 s3, s3, s8
	s_sub_i32 s14, s3, s8
	s_abs_i32 s10, s14
	v_cvt_f32_u32_e32 v1, s10
	s_load_dwordx2 s[8:9], s[0:1], 0x40
	s_sub_i32 s3, 0, s10
	s_abs_i32 s11, s2
	v_rcp_iflag_f32_e32 v1, v1
	s_nop 0
	v_mul_f32_e32 v1, 0x4f7ffffe, v1
	v_cvt_u32_f32_e32 v1, v1
	s_nop 0
	v_readfirstlane_b32 s12, v1
	s_mul_i32 s3, s3, s12
	s_mul_hi_u32 s3, s12, s3
	s_add_i32 s12, s12, s3
	s_waitcnt lgkmcnt(0)
	s_cmp_eq_u64 s[8:9], 0
	s_mul_hi_u32 s12, s11, s12
	s_cbranch_scc1 .LBB163_2
; %bb.1:
	s_ashr_i32 s3, s2, 31
	s_lshl_b64 s[16:17], s[2:3], 2
	s_add_u32 s8, s8, s16
	s_addc_u32 s9, s9, s17
	s_load_dword s46, s[8:9], 0x0
.LBB163_2:
	s_load_dword s25, s[6:7], 0x0
	s_load_dwordx4 s[16:19], s[0:1], 0x48
	s_ashr_i32 s13, s2, 31
	s_ashr_i32 s14, s14, 31
	v_and_b32_e32 v2, 7, v0
	s_lshl_b32 s26, s2, 6
	v_cmp_gt_u32_e64 s[8:9], 64, v0
	v_lshlrev_b32_e32 v8, 2, v0
	v_lshrrev_b32_e32 v1, 1, v0
	s_and_saveexec_b64 s[6:7], s[8:9]
	s_cbranch_execz .LBB163_4
; %bb.3:
	s_load_dwordx2 s[20:21], s[0:1], 0x8
	s_waitcnt lgkmcnt(0)
	s_mul_i32 s22, s16, s24
	s_ashr_i32 s23, s22, 31
	s_lshl_b64 s[22:23], s[22:23], 2
	v_and_b32_e32 v4, 0x1fc, v1
	s_add_u32 s3, s20, s22
	s_addc_u32 s15, s21, s23
	s_ashr_i32 s27, s26, 31
	s_lshl_b64 s[20:21], s[26:27], 2
	s_add_u32 s20, s3, s20
	s_addc_u32 s21, s15, s21
	global_load_dword v3, v8, s[20:21]
	v_lshl_add_u32 v4, v2, 5, v4
	s_waitcnt vmcnt(0)
	ds_write_b32 v4, v3
.LBB163_4:
	s_or_b64 exec, exec, s[6:7]
	s_mul_i32 s7, s12, s10
	s_sub_i32 s7, s11, s7
	s_xor_b32 s6, s13, s14
	s_add_i32 s11, s12, 1
	s_sub_i32 s13, s7, s10
	s_load_dwordx4 s[20:23], s[0:1], 0x68
	s_load_dword s3, s[0:1], 0x78
	s_cmp_ge_u32 s7, s10
	s_cselect_b32 s11, s11, s12
	s_cselect_b32 s7, s13, s7
	s_add_i32 s12, s11, 1
	s_cmp_ge_u32 s7, s10
	s_cselect_b32 s7, s12, s11
	s_waitcnt lgkmcnt(0)
	s_abs_i32 s27, s23
	v_cvt_f32_u32_e32 v3, s27
	s_xor_b32 s7, s7, s6
	s_sub_i32 s45, s7, s6
	s_sub_i32 s6, 0, s27
	v_rcp_iflag_f32_e32 v3, v3
	s_add_i32 s12, s25, -1
	s_abs_i32 s10, s12
	v_mul_f32_e32 v3, 0x4f7ffffe, v3
	v_cvt_u32_f32_e32 v3, v3
	s_barrier
	v_readfirstlane_b32 s33, v3
	s_mul_i32 s6, s6, s33
	s_mul_hi_u32 s6, s33, s6
	s_add_i32 s33, s33, s6
	s_cmp_lt_i32 s3, 0
	s_mul_hi_u32 s11, s10, s33
	s_cbranch_scc0 .LBB163_6
; %bb.5:
	s_mul_i32 s6, s20, s38
	s_add_i32 s6, s45, s6
	s_mul_i32 s6, s6, s3
	s_sub_i32 s38, 1, s6
	s_mov_b64 s[6:7], 0
	s_branch .LBB163_7
.LBB163_6:
	s_mov_b64 s[6:7], -1
                                        ; implicit-def: $sgpr38
.LBB163_7:
	s_load_dwordx2 s[30:31], s[0:1], 0x28
	s_ashr_i32 s16, s12, 31
	s_andn2_b64 vcc, exec, s[6:7]
	s_ashr_i32 s23, s23, 31
	s_cbranch_vccnz .LBB163_9
; %bb.8:
	s_mul_i32 s6, s5, s20
	s_add_i32 s2, s6, s2
	s_mul_i32 s2, s2, s3
	s_add_i32 s38, s2, 1
.LBB163_9:
	s_load_dword s2, s[0:1], 0x38
	s_load_dwordx2 s[28:29], s[0:1], 0x0
	s_load_dwordx2 s[36:37], s[0:1], 0x18
	s_load_dword s20, s[0:1], 0x88
	s_load_dwordx4 s[12:15], s[0:1], 0x58
	s_mul_i32 s3, s11, s27
	s_waitcnt lgkmcnt(0)
	s_mul_i32 s34, s2, s24
	s_sub_i32 s3, s10, s3
	s_ashr_i32 s35, s34, 31
	s_xor_b32 s2, s16, s23
	s_add_i32 s6, s11, 1
	s_sub_i32 s7, s3, s27
	s_cmp_ge_u32 s3, s27
	s_cselect_b32 s6, s6, s11
	s_cselect_b32 s3, s7, s3
	s_add_i32 s7, s6, 1
	s_cmp_ge_u32 s3, s27
	s_cselect_b32 s3, s7, s6
	s_xor_b32 s3, s3, s2
	s_sub_i32 s16, s3, s2
	s_add_i32 s2, s25, 7
	s_ashr_i32 s3, s2, 31
	s_lshr_b32 s3, s3, 29
	s_add_i32 s2, s2, s3
	s_ashr_i32 s44, s2, 3
	v_lshrrev_b32_e32 v20, 6, v0
	v_cmp_gt_i32_e64 s[2:3], s44, v20
	v_mov_b32_e32 v11, 0xff7fffff
	s_mul_i32 s45, s45, s18
	v_lshrrev_b32_e32 v10, 4, v0
	v_lshlrev_b32_e32 v21, 3, v20
	v_mbcnt_lo_u32_b32 v6, -1, 0
	s_and_saveexec_b64 s[18:19], s[2:3]
	s_cbranch_execz .LBB163_21
; %bb.10:
	s_load_dwordx2 s[0:1], s[0:1], 0x10
	s_sub_i32 s47, s16, s21
	s_ashr_i32 s7, s45, 31
	v_bfe_u32 v7, v0, 3, 3
	v_mov_b32_e32 v5, 0
	s_waitcnt lgkmcnt(0)
	s_add_u32 s6, s0, s45
	s_addc_u32 s7, s1, s7
	s_abs_i32 s48, s22
	v_cvt_f32_u32_e32 v3, s48
	v_lshlrev_b32_e32 v4, 4, v7
	v_lshl_add_u64 v[14:15], s[6:7], 0, v[4:5]
	s_sub_i32 s6, 0, s48
	v_rcp_iflag_f32_e32 v3, v3
	v_cmp_eq_u32_e32 vcc, 0, v2
	v_lshlrev_b32_e32 v9, 5, v2
	v_mbcnt_hi_u32_b32 v17, -1, v6
	v_mul_f32_e32 v3, 0x4f7ffffe, v3
	v_cvt_u32_f32_e32 v11, v3
	v_mov_b32_e32 v3, v5
	v_lshl_add_u64 v[2:3], v[14:15], 0, v[2:3]
	s_mov_b32 s49, s17
	v_mul_lo_u32 v4, s6, v11
	v_mul_hi_u32 v4, v11, v4
	v_add_u32_e32 v12, v11, v4
	v_subrev_u32_e32 v11, s25, v7
	s_lshl_b64 s[6:7], s[34:35], 2
	v_add_u32_e32 v14, 1, v11
	v_lshlrev_b32_e32 v11, 2, v7
	s_add_u32 s6, s30, s6
	v_lshl_or_b32 v11, v20, 5, v11
	v_and_b32_e32 v4, 60, v10
	s_addc_u32 s7, s31, s7
	v_add_u32_e32 v15, 0x110, v11
	v_and_b32_e32 v11, 64, v17
	v_cmp_neq_f32_e64 s[0:1], s46, 0
	v_lshl_add_u64 v[4:5], s[6:7], 0, v[4:5]
	v_lshlrev_b32_e32 v13, 3, v20
	v_mov_b32_e32 v16, 0xff7fffff
	s_mov_b64 s[40:41], 0
	v_add_u32_e32 v18, 64, v11
	v_xor_b32_e32 v19, 4, v17
	v_xor_b32_e32 v22, 2, v17
	v_xor_b32_e32 v23, 1, v17
	v_mov_b32_e32 v11, 0xff7fffff
	v_mov_b32_e32 v24, v20
	s_branch .LBB163_13
.LBB163_11:                             ;   in Loop: Header=BB163_13 Depth=1
	s_or_b64 exec, exec, s[42:43]
.LBB163_12:                             ;   in Loop: Header=BB163_13 Depth=1
	s_or_b64 exec, exec, s[10:11]
	v_add_u32_e32 v24, 2, v24
	v_cmp_le_i32_e64 s[6:7], s44, v24
	v_lshl_add_u64 v[4:5], v[4:5], 0, 8
	v_add_u32_e32 v13, 16, v13
	s_or_b64 s[40:41], s[6:7], s[40:41]
	v_add_u32_e32 v15, 64, v15
	s_andn2_b64 exec, exec, s[40:41]
	s_cbranch_execz .LBB163_20
.LBB163_13:                             ; =>This Inner Loop Header: Depth=1
	v_mul_hi_u32 v25, v13, s33
	s_waitcnt lgkmcnt(0)
	v_mul_lo_u32 v26, v25, s27
	v_sub_u32_e32 v26, v13, v26
	v_add_u32_e32 v27, 1, v25
	v_cmp_le_u32_e64 s[6:7], s27, v26
	s_nop 1
	v_cndmask_b32_e64 v25, v25, v27, s[6:7]
	v_subrev_u32_e32 v27, s27, v26
	v_cndmask_b32_e64 v26, v26, v27, s[6:7]
	v_add_u32_e32 v27, 1, v25
	v_cmp_le_u32_e64 s[6:7], s27, v26
	s_nop 1
	v_cndmask_b32_e64 v25, v25, v27, s[6:7]
	v_xor_b32_e32 v25, s23, v25
	v_subrev_u32_e32 v25, s23, v25
	v_add_u32_e32 v26, s38, v25
	v_sub_u32_e32 v28, 0, v26
	v_ashrrev_i32_e32 v27, 31, v26
	v_max_i32_e32 v26, v26, v28
	v_mul_hi_u32 v28, v26, v12
	v_mul_lo_u32 v28, v28, s48
	v_sub_u32_e32 v26, v26, v28
	v_subrev_u32_e32 v28, s48, v26
	v_cmp_le_u32_e64 s[6:7], s48, v26
	v_cmp_ge_i32_e64 s[10:11], s47, v25
	s_nop 0
	v_cndmask_b32_e64 v26, v26, v28, s[6:7]
	v_subrev_u32_e32 v28, s48, v26
	v_cmp_le_u32_e64 s[6:7], s48, v26
	s_nop 1
	v_cndmask_b32_e64 v26, v26, v28, s[6:7]
	v_xor_b32_e32 v26, v26, v27
	v_sub_u32_e32 v26, v26, v27
	v_cmp_ne_u32_e64 s[6:7], 0, v26
	s_and_b64 s[6:7], s[6:7], s[10:11]
	s_and_saveexec_b64 s[10:11], s[6:7]
	s_xor_b64 s[6:7], exec, s[10:11]
	s_cbranch_execz .LBB163_17
; %bb.14:                               ;   in Loop: Header=BB163_13 Depth=1
	s_and_saveexec_b64 s[10:11], vcc
; %bb.15:                               ;   in Loop: Header=BB163_13 Depth=1
	ds_write_b32 v15, v16
; %bb.16:                               ;   in Loop: Header=BB163_13 Depth=1
	s_or_b64 exec, exec, s[10:11]
.LBB163_17:                             ;   in Loop: Header=BB163_13 Depth=1
	s_andn2_saveexec_b64 s[10:11], s[6:7]
	s_cbranch_execz .LBB163_12
; %bb.18:                               ;   in Loop: Header=BB163_13 Depth=1
	global_load_dword v25, v[4:5], off
	s_waitcnt vmcnt(0)
	v_mad_i64_i32 v[26:27], s[6:7], v25, s49, v[2:3]
	global_load_ubyte v25, v[26:27], off
	global_load_ubyte v34, v[26:27], off offset:8
	global_load_ubyte v35, v[26:27], off offset:128
	global_load_ubyte v36, v[26:27], off offset:136
	global_load_ubyte v37, v[26:27], off offset:256
	global_load_ubyte v38, v[26:27], off offset:264
	global_load_ubyte v39, v[26:27], off offset:384
	global_load_ubyte v40, v[26:27], off offset:392
	v_cmp_lt_i32_e64 s[6:7], v19, v18
	ds_read_b128 v[26:29], v9
	ds_read_b128 v[30:33], v9 offset:16
	v_cndmask_b32_e64 v41, v17, v19, s[6:7]
	s_load_dword s6, s[12:13], 0x0
	v_lshlrev_b32_e32 v41, 2, v41
	s_waitcnt vmcnt(7)
	v_cvt_f32_fp8_e32 v25, v25
	s_waitcnt vmcnt(6)
	v_cvt_f32_fp8_e32 v34, v34
	;; [unrolled: 2-line block ×5, first 2 shown]
	s_waitcnt lgkmcnt(0)
	v_mul_f32_e32 v34, s6, v34
	s_waitcnt vmcnt(2)
	v_cvt_f32_fp8_e32 v38, v38
	v_mul_f32_e32 v25, s6, v25
	v_mul_f32_e32 v27, v27, v34
	s_waitcnt vmcnt(1)
	v_cvt_f32_fp8_e32 v39, v39
	v_mul_f32_e32 v35, s6, v35
	v_fmac_f32_e32 v27, v26, v25
	s_waitcnt vmcnt(0)
	v_cvt_f32_fp8_e32 v40, v40
	v_mul_f32_e32 v36, s6, v36
	v_fmac_f32_e32 v27, v28, v35
	v_mul_f32_e32 v37, s6, v37
	v_fmac_f32_e32 v27, v29, v36
	;; [unrolled: 2-line block ×5, first 2 shown]
	v_fmac_f32_e32 v27, v33, v40
	ds_bpermute_b32 v25, v41, v27
	v_cmp_lt_i32_e64 s[6:7], v22, v18
	s_waitcnt lgkmcnt(0)
	v_add_f32_e32 v25, v27, v25
	v_cndmask_b32_e64 v26, v17, v22, s[6:7]
	v_lshlrev_b32_e32 v26, 2, v26
	ds_bpermute_b32 v26, v26, v25
	v_cmp_lt_i32_e64 s[6:7], v23, v18
	s_waitcnt lgkmcnt(0)
	v_add_f32_e32 v25, v25, v26
	v_cndmask_b32_e64 v27, v17, v23, s[6:7]
	v_lshlrev_b32_e32 v27, 2, v27
	ds_bpermute_b32 v26, v27, v25
	s_and_saveexec_b64 s[42:43], vcc
	s_cbranch_execz .LBB163_11
; %bb.19:                               ;   in Loop: Header=BB163_13 Depth=1
	v_add_u32_e32 v27, v14, v13
	v_cvt_f32_i32_e32 v27, v27
	s_waitcnt lgkmcnt(0)
	v_add_f32_e32 v25, v25, v26
	v_add_u32_e32 v28, v7, v13
	v_cmp_gt_i32_e64 s[6:7], s25, v28
	v_mul_f32_e32 v26, s46, v27
	v_cndmask_b32_e64 v26, 0, v26, s[0:1]
	v_fmac_f32_e32 v26, s39, v25
	v_cndmask_b32_e64 v25, 0, v26, s[6:7]
	ds_write_b32 v15, v25
	v_max_f32_e32 v25, v11, v11
	v_max_f32_e32 v25, v25, v26
	v_cndmask_b32_e64 v11, v11, v25, s[6:7]
	s_branch .LBB163_11
.LBB163_20:
	s_or_b64 exec, exec, s[40:41]
.LBB163_21:
	s_or_b64 exec, exec, s[18:19]
	v_mbcnt_hi_u32_b32 v2, -1, v6
	v_and_b32_e32 v12, 64, v2
	v_add_u32_e32 v3, 64, v12
	v_xor_b32_e32 v4, 32, v2
	v_cmp_lt_i32_e32 vcc, v4, v3
	v_xor_b32_e32 v7, 16, v2
	v_max_f32_e32 v6, v11, v11
	v_cndmask_b32_e32 v4, v2, v4, vcc
	v_lshlrev_b32_e32 v5, 2, v4
	ds_bpermute_b32 v4, v5, v11
	v_cmp_lt_i32_e32 vcc, v7, v3
	v_xor_b32_e32 v9, 8, v2
	v_and_b32_e32 v22, 63, v0
	s_waitcnt lgkmcnt(0)
	v_max_f32_e32 v4, v4, v4
	v_max_f32_e32 v4, v6, v4
	v_cndmask_b32_e32 v6, v2, v7, vcc
	v_lshlrev_b32_e32 v7, 2, v6
	ds_bpermute_b32 v6, v7, v4
	v_cmp_lt_i32_e32 vcc, v9, v3
	s_waitcnt lgkmcnt(0)
	v_max_f32_e32 v6, v6, v6
	v_max_f32_e32 v6, v4, v6
	v_cndmask_b32_e32 v4, v2, v9, vcc
	v_lshlrev_b32_e32 v9, 2, v4
	ds_bpermute_b32 v11, v9, v6
	v_cmp_eq_u32_e32 vcc, 0, v22
	v_lshlrev_b32_e32 v4, 2, v20
	s_and_saveexec_b64 s[0:1], vcc
	s_cbranch_execz .LBB163_23
; %bb.22:
	s_waitcnt lgkmcnt(0)
	v_max_f32_e32 v11, v11, v11
	v_max_f32_e32 v6, v6, v6
	;; [unrolled: 1-line block ×3, first 2 shown]
	ds_write_b32 v4, v6 offset:256
.LBB163_23:
	s_or_b64 exec, exec, s[0:1]
	v_cmp_gt_u32_e64 s[0:1], 2, v22
	s_waitcnt lgkmcnt(0)
	v_mov_b32_e32 v11, 0xff7fffff
	v_lshlrev_b32_e32 v6, 2, v22
	s_barrier
	s_and_saveexec_b64 s[6:7], s[0:1]
; %bb.24:
	ds_read_b32 v11, v6 offset:256
; %bb.25:
	s_or_b64 exec, exec, s[6:7]
	v_xor_b32_e32 v13, 1, v2
	v_cmp_lt_i32_e64 s[6:7], v13, v3
	v_lshlrev_b32_e32 v12, 2, v12
	s_nop 0
	v_cndmask_b32_e64 v13, v2, v13, s[6:7]
	v_lshlrev_b32_e32 v23, 2, v13
	s_waitcnt lgkmcnt(0)
	ds_bpermute_b32 v13, v23, v11
	v_max_f32_e32 v11, v11, v11
	s_lshl_b32 s6, s44, 3
	s_min_i32 s39, s6, s25
	v_cmp_gt_i32_e64 s[6:7], s39, v0
	s_waitcnt lgkmcnt(0)
	v_max_f32_e32 v13, v13, v13
	v_max_f32_e32 v11, v11, v13
	ds_bpermute_b32 v12, v12, v11
	v_mov_b32_e32 v11, 0
	s_and_saveexec_b64 s[12:13], s[6:7]
	s_cbranch_execz .LBB163_29
; %bb.26:
	v_mov_b32_e32 v11, 0x110
	v_lshl_add_u32 v13, v0, 2, v11
	v_mov_b32_e32 v11, 0
	s_mov_b64 s[18:19], 0
	v_mov_b32_e32 v14, v0
.LBB163_27:                             ; =>This Inner Loop Header: Depth=1
	ds_read_b32 v15, v13
	v_add_u32_e32 v14, 0x80, v14
	v_cmp_le_i32_e64 s[10:11], s39, v14
	s_or_b64 s[18:19], s[10:11], s[18:19]
	s_waitcnt lgkmcnt(0)
	v_sub_f32_e32 v15, v15, v12
	v_mul_f32_e32 v15, 0x3fb8aa3b, v15
	v_exp_f32_e32 v15, v15
	ds_write_b32 v13, v15
	v_add_f32_e32 v11, v11, v15
	v_add_u32_e32 v13, 0x200, v13
	s_andn2_b64 exec, exec, s[18:19]
	s_cbranch_execnz .LBB163_27
; %bb.28:
	s_or_b64 exec, exec, s[18:19]
.LBB163_29:
	s_or_b64 exec, exec, s[12:13]
	ds_bpermute_b32 v5, v5, v11
	s_waitcnt lgkmcnt(0)
	v_add_f32_e32 v5, v11, v5
	ds_bpermute_b32 v7, v7, v5
	s_waitcnt lgkmcnt(0)
	v_add_f32_e32 v5, v5, v7
	ds_bpermute_b32 v7, v9, v5
	v_xor_b32_e32 v9, 4, v2
	v_cmp_lt_i32_e64 s[10:11], v9, v3
	s_waitcnt lgkmcnt(0)
	v_add_f32_e32 v5, v5, v7
	v_cndmask_b32_e64 v9, v2, v9, s[10:11]
	v_lshlrev_b32_e32 v9, 2, v9
	ds_bpermute_b32 v7, v9, v5
	v_xor_b32_e32 v9, 2, v2
	v_cmp_lt_i32_e64 s[10:11], v9, v3
	s_waitcnt lgkmcnt(0)
	v_add_f32_e32 v5, v5, v7
	v_cndmask_b32_e64 v3, v2, v9, s[10:11]
	v_lshlrev_b32_e32 v3, 2, v3
	ds_bpermute_b32 v3, v3, v5
	s_waitcnt lgkmcnt(0)
	v_add_f32_e32 v3, v5, v3
	ds_bpermute_b32 v5, v23, v3
	s_waitcnt lgkmcnt(0)
	v_add_f32_e32 v3, v3, v5
	s_and_saveexec_b64 s[10:11], vcc
; %bb.30:
	ds_write_b32 v4, v3 offset:264
; %bb.31:
	s_or_b64 exec, exec, s[10:11]
	s_waitcnt lgkmcnt(0)
	s_barrier
	s_and_saveexec_b64 s[10:11], s[0:1]
; %bb.32:
	ds_read_b32 v3, v6 offset:264
; %bb.33:
	s_or_b64 exec, exec, s[10:11]
	s_waitcnt lgkmcnt(0)
	ds_bpermute_b32 v4, v23, v3
	v_lshlrev_b32_e32 v2, 2, v2
	v_and_b32_e32 v2, 0x100, v2
	s_waitcnt lgkmcnt(0)
	v_add_f32_e32 v3, v3, v4
	ds_bpermute_b32 v2, v2, v3
	s_and_saveexec_b64 s[0:1], s[6:7]
	s_cbranch_execz .LBB163_46
; %bb.34:
	s_waitcnt lgkmcnt(0)
	v_add_f32_e32 v2, 0x358637bd, v2
	v_div_scale_f32 v3, s[6:7], v2, v2, 1.0
	v_rcp_f32_e32 v4, v3
	v_div_scale_f32 v5, vcc, 1.0, v2, 1.0
	s_movk_i32 s6, 0x7f
	v_fma_f32 v6, -v3, v4, 1.0
	v_fmac_f32_e32 v4, v6, v4
	v_mul_f32_e32 v6, v5, v4
	v_fma_f32 v7, -v3, v6, v5
	v_fmac_f32_e32 v6, v7, v4
	v_fma_f32 v3, -v3, v6, v5
	v_div_fmas_f32 v3, v3, v4, v6
	v_xad_u32 v4, v0, -1, s39
	v_div_fixup_f32 v2, v3, v2, 1.0
	v_cmp_lt_u32_e32 vcc, s6, v4
	s_mov_b64 s[10:11], -1
	v_mov_b32_e32 v3, v0
	s_and_saveexec_b64 s[6:7], vcc
	s_cbranch_execz .LBB163_43
; %bb.35:
	v_lshrrev_b32_e32 v4, 7, v4
	v_add_u32_e32 v6, -1, v4
	v_lshrrev_b32_e32 v5, 1, v6
	v_mov_b32_e32 v3, v2
	v_add_u32_e32 v5, 1, v5
	v_cmp_lt_u32_e32 vcc, 13, v6
	v_mov_b32_e32 v9, 0
	s_and_saveexec_b64 s[10:11], vcc
	s_cbranch_execz .LBB163_39
; %bb.36:
	v_mov_b32_e32 v7, 0x110
	v_and_b32_e32 v6, -8, v5
	v_lshl_add_u32 v7, v0, 2, v7
	s_mov_b32 s18, 0
	s_mov_b64 s[12:13], 0
.LBB163_37:                             ; =>This Inner Loop Header: Depth=1
	ds_read2st64_b32 v[12:13], v7 offset1:2
	ds_read2st64_b32 v[14:15], v7 offset0:4 offset1:6
	ds_read2st64_b32 v[16:17], v7 offset0:8 offset1:10
	;; [unrolled: 1-line block ×3, first 2 shown]
	v_add_u32_e32 v6, -8, v6
	s_waitcnt lgkmcnt(3)
	v_pk_mul_f32 v[12:13], v[2:3], v[12:13]
	s_waitcnt lgkmcnt(2)
	v_pk_mul_f32 v[14:15], v[2:3], v[14:15]
	ds_write2st64_b32 v7, v12, v13 offset1:2
	ds_write2st64_b32 v7, v14, v15 offset0:4 offset1:6
	ds_read2st64_b32 v[14:15], v7 offset0:16 offset1:18
	s_waitcnt lgkmcnt(4)
	v_pk_mul_f32 v[12:13], v[2:3], v[16:17]
	ds_write2st64_b32 v7, v12, v13 offset0:8 offset1:10
	s_waitcnt lgkmcnt(4)
	v_pk_mul_f32 v[12:13], v[2:3], v[18:19]
	ds_write2st64_b32 v7, v12, v13 offset0:12 offset1:14
	ds_read2st64_b32 v[12:13], v7 offset0:20 offset1:22
	s_waitcnt lgkmcnt(3)
	v_pk_mul_f32 v[14:15], v[2:3], v[14:15]
	ds_read2st64_b32 v[16:17], v7 offset0:24 offset1:26
	ds_write2st64_b32 v7, v14, v15 offset0:16 offset1:18
	ds_read2st64_b32 v[14:15], v7 offset0:28 offset1:30
	s_waitcnt lgkmcnt(3)
	v_pk_mul_f32 v[12:13], v[2:3], v[12:13]
	ds_write2st64_b32 v7, v12, v13 offset0:20 offset1:22
	s_waitcnt lgkmcnt(3)
	v_pk_mul_f32 v[12:13], v[2:3], v[16:17]
	ds_write2st64_b32 v7, v12, v13 offset0:24 offset1:26
	s_waitcnt lgkmcnt(2)
	v_pk_mul_f32 v[12:13], v[2:3], v[14:15]
	s_add_i32 s18, s18, 16
	v_cmp_eq_u32_e32 vcc, 0, v6
	ds_write2st64_b32 v7, v12, v13 offset0:28 offset1:30
	v_add_u32_e32 v7, 0x2000, v7
	s_or_b64 s[12:13], vcc, s[12:13]
	v_mov_b32_e32 v9, s18
	s_andn2_b64 exec, exec, s[12:13]
	s_cbranch_execnz .LBB163_37
; %bb.38:
	s_or_b64 exec, exec, s[12:13]
.LBB163_39:
	s_or_b64 exec, exec, s[10:11]
	v_and_b32_e32 v5, 7, v5
	v_cmp_ne_u32_e32 vcc, 0, v5
	s_and_saveexec_b64 s[10:11], vcc
	s_cbranch_execz .LBB163_42
; %bb.40:
	v_lshlrev_b32_e32 v6, 9, v9
	s_movk_i32 s12, 0x110
	v_add3_u32 v6, v6, v8, s12
	s_mov_b64 s[12:13], 0
.LBB163_41:                             ; =>This Inner Loop Header: Depth=1
	ds_read2st64_b32 v[12:13], v6 offset1:2
	v_add_u32_e32 v5, -1, v5
	v_cmp_eq_u32_e32 vcc, 0, v5
	s_or_b64 s[12:13], vcc, s[12:13]
	s_waitcnt lgkmcnt(0)
	v_pk_mul_f32 v[12:13], v[2:3], v[12:13]
	ds_write2st64_b32 v6, v12, v13 offset1:2
	v_add_u32_e32 v6, 0x400, v6
	s_andn2_b64 exec, exec, s[12:13]
	s_cbranch_execnz .LBB163_41
.LBB163_42:
	s_or_b64 exec, exec, s[10:11]
	v_add_u32_e32 v4, 1, v4
	v_and_b32_e32 v5, 0x3fffffe, v4
	v_cmp_ne_u32_e32 vcc, v4, v5
	v_lshl_add_u32 v3, v5, 7, v0
	s_orn2_b64 s[10:11], vcc, exec
.LBB163_43:
	s_or_b64 exec, exec, s[6:7]
	s_and_b64 exec, exec, s[10:11]
	s_cbranch_execz .LBB163_46
; %bb.44:
	v_mov_b32_e32 v4, 0x110
	v_lshl_add_u32 v4, v3, 2, v4
	s_mov_b64 s[6:7], 0
.LBB163_45:                             ; =>This Inner Loop Header: Depth=1
	ds_read_b32 v5, v4
	v_add_u32_e32 v3, 0x80, v3
	v_cmp_le_i32_e32 vcc, s39, v3
	s_or_b64 s[6:7], vcc, s[6:7]
	s_waitcnt lgkmcnt(0)
	v_mul_f32_e32 v5, v2, v5
	ds_write_b32 v4, v5
	v_add_u32_e32 v4, 0x200, v4
	s_andn2_b64 exec, exec, s[6:7]
	s_cbranch_execnz .LBB163_45
.LBB163_46:
	s_or_b64 exec, exec, s[0:1]
	v_mov_b32_e32 v7, 0
	v_and_b32_e32 v24, 1, v0
	v_mov_b32_e32 v6, 0
	s_waitcnt lgkmcnt(0)
	s_barrier
	s_and_saveexec_b64 s[6:7], s[2:3]
	s_cbranch_execz .LBB163_56
; %bb.47:
	s_sub_i32 s18, s16, s21
	s_ashr_i32 s1, s45, 31
	s_add_u32 s0, s36, s45
	s_addc_u32 s1, s37, s1
	s_abs_i32 s19, s22
	v_cvt_f32_u32_e32 v2, s19
	v_and_b32_e32 v6, 0xfc, v8
	v_mov_b32_e32 v7, 0
	v_and_b32_e32 v25, 4, v8
	v_rcp_iflag_f32_e32 v2, v2
	v_lshl_add_u64 v[8:9], s[0:1], 0, v[6:7]
	s_sub_i32 s0, 0, s19
	s_add_i32 s22, s44, -1
	v_mul_f32_e32 v2, 0x4f7ffffe, v2
	v_cvt_u32_f32_e32 v2, v2
	v_and_b32_e32 v6, 60, v10
	s_mov_b32 s21, s17
	s_mov_b32 s36, s25
	v_mul_lo_u32 v3, s0, v2
	v_mul_hi_u32 v3, v2, v3
	s_lshl_b64 s[0:1], s[34:35], 2
	v_add_u32_e32 v26, v2, v3
	s_add_u32 s0, s30, s0
	v_lshlrev_b32_e32 v2, 4, v24
	s_addc_u32 s1, s31, s1
	v_lshl_or_b32 v2, v20, 5, v2
	v_lshl_add_u64 v[10:11], s[0:1], 0, v[6:7]
	v_add_u32_e32 v27, 0x110, v2
	s_mov_b64 s[2:3], 0
	v_mov_b32_e32 v6, v7
	s_branch .LBB163_50
.LBB163_48:                             ;   in Loop: Header=BB163_50 Depth=1
	s_or_b64 exec, exec, s[0:1]
	v_mul_f32_e32 v14, v2, v14
	v_fmac_f32_e32 v14, v3, v15
	v_fmac_f32_e32 v14, v4, v12
	v_pk_mul_f32 v[2:3], v[2:3], v[18:19]
	v_fmac_f32_e32 v14, v5, v13
	v_pk_mul_f32 v[4:5], v[4:5], v[16:17]
	v_add_f32_e32 v2, v3, v2
	v_add_f32_e32 v2, v4, v2
	;; [unrolled: 1-line block ×5, first 2 shown]
.LBB163_49:                             ;   in Loop: Header=BB163_50 Depth=1
	s_or_b64 exec, exec, s[10:11]
	v_add_u32_e32 v20, 2, v20
	v_cmp_le_i32_e32 vcc, s44, v20
	v_lshl_add_u64 v[10:11], v[10:11], 0, 8
	v_add_u32_e32 v21, 16, v21
	s_or_b64 s[2:3], vcc, s[2:3]
	v_add_u32_e32 v27, 64, v27
	s_andn2_b64 exec, exec, s[2:3]
	s_cbranch_execz .LBB163_55
.LBB163_50:                             ; =>This Inner Loop Header: Depth=1
	v_mul_hi_u32 v2, v21, s33
	v_mul_lo_u32 v3, v2, s27
	v_sub_u32_e32 v3, v21, v3
	v_add_u32_e32 v4, 1, v2
	v_cmp_le_u32_e32 vcc, s27, v3
	s_nop 1
	v_cndmask_b32_e32 v2, v2, v4, vcc
	v_subrev_u32_e32 v4, s27, v3
	v_cndmask_b32_e32 v3, v3, v4, vcc
	v_add_u32_e32 v4, 1, v2
	v_cmp_le_u32_e32 vcc, s27, v3
	s_nop 1
	v_cndmask_b32_e32 v2, v2, v4, vcc
	v_xor_b32_e32 v2, s23, v2
	v_subrev_u32_e32 v2, s23, v2
	v_add_u32_e32 v3, s38, v2
	v_sub_u32_e32 v5, 0, v3
	v_ashrrev_i32_e32 v4, 31, v3
	v_max_i32_e32 v3, v3, v5
	v_mul_hi_u32 v5, v3, v26
	v_mul_lo_u32 v5, v5, s19
	v_sub_u32_e32 v3, v3, v5
	v_subrev_u32_e32 v5, s19, v3
	v_cmp_le_u32_e32 vcc, s19, v3
	v_cmp_lt_i32_e64 s[0:1], s18, v2
	s_nop 0
	v_cndmask_b32_e32 v3, v3, v5, vcc
	v_subrev_u32_e32 v5, s19, v3
	v_cmp_le_u32_e32 vcc, s19, v3
	s_nop 1
	v_cndmask_b32_e32 v3, v3, v5, vcc
	v_xor_b32_e32 v3, v3, v4
	v_sub_u32_e32 v3, v3, v4
	v_cmp_eq_u32_e32 vcc, 0, v3
	s_or_b64 s[0:1], vcc, s[0:1]
	s_and_saveexec_b64 s[10:11], s[0:1]
	s_cbranch_execz .LBB163_49
; %bb.51:                               ;   in Loop: Header=BB163_50 Depth=1
	global_load_dword v2, v[10:11], off
	s_load_dword s12, s[14:15], 0x0
	v_add_u32_e32 v28, v25, v21
	v_cmp_eq_u32_e32 vcc, s22, v20
	v_add_u32_e32 v29, 1, v28
	s_waitcnt vmcnt(0)
	v_mad_i64_i32 v[16:17], s[0:1], v2, s21, v[8:9]
	global_load_dword v2, v[16:17], off
	s_waitcnt vmcnt(0)
	v_and_b32_e32 v3, 0xffff, v2
	v_lshrrev_b32_e32 v2, 16, v2
	v_cvt_pk_f32_fp8_e32 v[12:13], v3
	v_cvt_pk_f32_fp8_e32 v[18:19], v2
	ds_read_b128 v[2:5], v27
	s_waitcnt lgkmcnt(0)
	v_pk_mul_f32 v[14:15], v[12:13], s[12:13] op_sel_hi:[1,0]
	v_pk_mul_f32 v[12:13], s[12:13], v[18:19] op_sel_hi:[0,1]
	s_and_saveexec_b64 s[16:17], vcc
	s_cbranch_execz .LBB163_53
; %bb.52:                               ;   in Loop: Header=BB163_50 Depth=1
	v_cmp_gt_i32_e64 s[0:1], s25, v28
	v_add_u32_e32 v18, 2, v28
	s_nop 0
	v_cndmask_b32_e64 v14, 0, v14, s[0:1]
	v_cmp_gt_i32_e64 s[0:1], s25, v29
	s_nop 1
	v_cndmask_b32_e64 v15, 0, v15, s[0:1]
	v_cmp_gt_i32_e64 s[0:1], s25, v18
	v_add_u32_e32 v18, 3, v28
	s_nop 0
	v_cndmask_b32_e64 v12, 0, v12, s[0:1]
	v_cmp_gt_i32_e64 s[0:1], s25, v18
	s_nop 1
	v_cndmask_b32_e64 v13, 0, v13, s[0:1]
.LBB163_53:                             ;   in Loop: Header=BB163_50 Depth=1
	s_or_b64 exec, exec, s[16:17]
	global_load_dword v16, v[16:17], off offset:256
	s_mov_b32 s13, s12
	s_waitcnt vmcnt(0)
	v_and_b32_e32 v17, 0xffff, v16
	v_lshrrev_b32_e32 v18, 16, v16
	v_cvt_pk_f32_fp8_e32 v[16:17], v17
	v_cvt_pk_f32_fp8_e32 v[30:31], v18
	v_pk_mul_f32 v[18:19], s[12:13], v[16:17]
	v_pk_mul_f32 v[16:17], s[12:13], v[30:31]
	s_and_saveexec_b64 s[0:1], vcc
	s_cbranch_execz .LBB163_48
; %bb.54:                               ;   in Loop: Header=BB163_50 Depth=1
	v_cmp_gt_i32_e32 vcc, s36, v29
	v_or_b32_e32 v29, 3, v28
	s_nop 0
	v_cndmask_b32_e32 v19, 0, v19, vcc
	v_cmp_gt_i32_e32 vcc, s25, v28
	v_or_b32_e32 v28, 2, v28
	s_nop 0
	v_cndmask_b32_e32 v18, 0, v18, vcc
	v_cmp_gt_i32_e32 vcc, s36, v29
	s_nop 1
	v_cndmask_b32_e32 v17, 0, v17, vcc
	v_cmp_gt_i32_e32 vcc, s25, v28
	s_nop 1
	v_cndmask_b32_e32 v16, 0, v16, vcc
	s_branch .LBB163_48
.LBB163_55:
	s_or_b64 exec, exec, s[2:3]
.LBB163_56:
	s_or_b64 exec, exec, s[6:7]
	ds_bpermute_b32 v2, v23, v6
	ds_bpermute_b32 v3, v23, v7
	v_and_b32_e32 v0, 0x3c1, v0
	v_cmp_eq_u32_e32 vcc, 64, v0
	s_waitcnt lgkmcnt(0)
	s_barrier
	v_pk_add_f32 v[2:3], v[6:7], v[2:3]
	s_and_saveexec_b64 s[0:1], vcc
; %bb.57:
	v_mov_b32_e32 v4, 0x110
	v_lshl_add_u32 v4, v22, 1, v4
	ds_write2_b32 v4, v2, v3 offset1:32
; %bb.58:
	s_or_b64 exec, exec, s[0:1]
	s_waitcnt lgkmcnt(0)
	s_barrier
	s_and_saveexec_b64 s[0:1], s[8:9]
	s_cbranch_execz .LBB163_64
; %bb.59:
	v_mov_b32_e32 v4, 0x110
	v_cmp_eq_u32_e32 vcc, 0, v24
	v_lshl_add_u32 v4, v1, 2, v4
	s_and_saveexec_b64 s[2:3], vcc
	s_cbranch_execz .LBB163_61
; %bb.60:
	ds_read_b32 v5, v4
	s_waitcnt lgkmcnt(0)
	v_add_f32_e32 v2, v2, v5
.LBB163_61:
	s_or_b64 exec, exec, s[2:3]
	s_and_saveexec_b64 s[2:3], vcc
	s_cbranch_execz .LBB163_63
; %bb.62:
	ds_read_b32 v4, v4 offset:128
	s_waitcnt lgkmcnt(0)
	v_add_f32_e32 v3, v3, v4
.LBB163_63:
	s_or_b64 exec, exec, s[2:3]
.LBB163_64:
	s_or_b64 exec, exec, s[0:1]
	v_cmp_eq_u32_e32 vcc, 0, v0
	s_barrier
	s_and_saveexec_b64 s[0:1], vcc
	s_cbranch_execz .LBB163_66
; %bb.65:
	s_mul_i32 s0, s24, s20
	s_mul_i32 s0, s0, s5
	s_lshl_b32 s0, s0, 6
	s_ashr_i32 s1, s0, 31
	s_lshl_b64 s[0:1], s[0:1], 2
	s_add_u32 s2, s28, s0
	s_mul_i32 s0, s20, s26
	s_addc_u32 s3, s29, s1
	s_ashr_i32 s1, s0, 31
	s_lshl_b64 s[0:1], s[0:1], 2
	s_add_u32 s2, s2, s0
	s_addc_u32 s3, s3, s1
	s_lshl_b32 s0, s4, 6
	s_ashr_i32 s1, s0, 31
	s_lshl_b64 s[0:1], s[0:1], 2
	s_add_u32 s0, s2, s0
	s_addc_u32 s1, s3, s1
	v_lshlrev_b32_e32 v0, 2, v1
	global_store_dword v0, v2, s[0:1]
	global_store_dword v0, v3, s[0:1] offset:128
.LBB163_66:
	s_endpgm
	.section	.rodata,"a",@progbits
	.p2align	6, 0x0
	.amdhsa_kernel _ZN4vllm25paged_attention_v1_kernelIfhLi64ELi8ELi128ELNS_18Fp8KVCacheDataTypeE1ELb1EEEvPT_PKS2_PKT0_S8_ifPKiSA_iPKfiiiSC_SC_iiiii
		.amdhsa_group_segment_fixed_size 272
		.amdhsa_private_segment_fixed_size 0
		.amdhsa_kernarg_size 384
		.amdhsa_user_sgpr_count 2
		.amdhsa_user_sgpr_dispatch_ptr 0
		.amdhsa_user_sgpr_queue_ptr 0
		.amdhsa_user_sgpr_kernarg_segment_ptr 1
		.amdhsa_user_sgpr_dispatch_id 0
		.amdhsa_user_sgpr_kernarg_preload_length 0
		.amdhsa_user_sgpr_kernarg_preload_offset 0
		.amdhsa_user_sgpr_private_segment_size 0
		.amdhsa_uses_dynamic_stack 0
		.amdhsa_enable_private_segment 0
		.amdhsa_system_sgpr_workgroup_id_x 1
		.amdhsa_system_sgpr_workgroup_id_y 1
		.amdhsa_system_sgpr_workgroup_id_z 1
		.amdhsa_system_sgpr_workgroup_info 0
		.amdhsa_system_vgpr_workitem_id 0
		.amdhsa_next_free_vgpr 42
		.amdhsa_next_free_sgpr 50
		.amdhsa_accum_offset 44
		.amdhsa_reserve_vcc 1
		.amdhsa_float_round_mode_32 0
		.amdhsa_float_round_mode_16_64 0
		.amdhsa_float_denorm_mode_32 3
		.amdhsa_float_denorm_mode_16_64 3
		.amdhsa_dx10_clamp 1
		.amdhsa_ieee_mode 1
		.amdhsa_fp16_overflow 0
		.amdhsa_tg_split 0
		.amdhsa_exception_fp_ieee_invalid_op 0
		.amdhsa_exception_fp_denorm_src 0
		.amdhsa_exception_fp_ieee_div_zero 0
		.amdhsa_exception_fp_ieee_overflow 0
		.amdhsa_exception_fp_ieee_underflow 0
		.amdhsa_exception_fp_ieee_inexact 0
		.amdhsa_exception_int_div_zero 0
	.end_amdhsa_kernel
	.section	.text._ZN4vllm25paged_attention_v1_kernelIfhLi64ELi8ELi128ELNS_18Fp8KVCacheDataTypeE1ELb1EEEvPT_PKS2_PKT0_S8_ifPKiSA_iPKfiiiSC_SC_iiiii,"axG",@progbits,_ZN4vllm25paged_attention_v1_kernelIfhLi64ELi8ELi128ELNS_18Fp8KVCacheDataTypeE1ELb1EEEvPT_PKS2_PKT0_S8_ifPKiSA_iPKfiiiSC_SC_iiiii,comdat
.Lfunc_end163:
	.size	_ZN4vllm25paged_attention_v1_kernelIfhLi64ELi8ELi128ELNS_18Fp8KVCacheDataTypeE1ELb1EEEvPT_PKS2_PKT0_S8_ifPKiSA_iPKfiiiSC_SC_iiiii, .Lfunc_end163-_ZN4vllm25paged_attention_v1_kernelIfhLi64ELi8ELi128ELNS_18Fp8KVCacheDataTypeE1ELb1EEEvPT_PKS2_PKT0_S8_ifPKiSA_iPKfiiiSC_SC_iiiii
                                        ; -- End function
	.set _ZN4vllm25paged_attention_v1_kernelIfhLi64ELi8ELi128ELNS_18Fp8KVCacheDataTypeE1ELb1EEEvPT_PKS2_PKT0_S8_ifPKiSA_iPKfiiiSC_SC_iiiii.num_vgpr, 42
	.set _ZN4vllm25paged_attention_v1_kernelIfhLi64ELi8ELi128ELNS_18Fp8KVCacheDataTypeE1ELb1EEEvPT_PKS2_PKT0_S8_ifPKiSA_iPKfiiiSC_SC_iiiii.num_agpr, 0
	.set _ZN4vllm25paged_attention_v1_kernelIfhLi64ELi8ELi128ELNS_18Fp8KVCacheDataTypeE1ELb1EEEvPT_PKS2_PKT0_S8_ifPKiSA_iPKfiiiSC_SC_iiiii.numbered_sgpr, 50
	.set _ZN4vllm25paged_attention_v1_kernelIfhLi64ELi8ELi128ELNS_18Fp8KVCacheDataTypeE1ELb1EEEvPT_PKS2_PKT0_S8_ifPKiSA_iPKfiiiSC_SC_iiiii.num_named_barrier, 0
	.set _ZN4vllm25paged_attention_v1_kernelIfhLi64ELi8ELi128ELNS_18Fp8KVCacheDataTypeE1ELb1EEEvPT_PKS2_PKT0_S8_ifPKiSA_iPKfiiiSC_SC_iiiii.private_seg_size, 0
	.set _ZN4vllm25paged_attention_v1_kernelIfhLi64ELi8ELi128ELNS_18Fp8KVCacheDataTypeE1ELb1EEEvPT_PKS2_PKT0_S8_ifPKiSA_iPKfiiiSC_SC_iiiii.uses_vcc, 1
	.set _ZN4vllm25paged_attention_v1_kernelIfhLi64ELi8ELi128ELNS_18Fp8KVCacheDataTypeE1ELb1EEEvPT_PKS2_PKT0_S8_ifPKiSA_iPKfiiiSC_SC_iiiii.uses_flat_scratch, 0
	.set _ZN4vllm25paged_attention_v1_kernelIfhLi64ELi8ELi128ELNS_18Fp8KVCacheDataTypeE1ELb1EEEvPT_PKS2_PKT0_S8_ifPKiSA_iPKfiiiSC_SC_iiiii.has_dyn_sized_stack, 0
	.set _ZN4vllm25paged_attention_v1_kernelIfhLi64ELi8ELi128ELNS_18Fp8KVCacheDataTypeE1ELb1EEEvPT_PKS2_PKT0_S8_ifPKiSA_iPKfiiiSC_SC_iiiii.has_recursion, 0
	.set _ZN4vllm25paged_attention_v1_kernelIfhLi64ELi8ELi128ELNS_18Fp8KVCacheDataTypeE1ELb1EEEvPT_PKS2_PKT0_S8_ifPKiSA_iPKfiiiSC_SC_iiiii.has_indirect_call, 0
	.section	.AMDGPU.csdata,"",@progbits
; Kernel info:
; codeLenInByte = 4128
; TotalNumSgprs: 56
; NumVgprs: 42
; NumAgprs: 0
; TotalNumVgprs: 42
; ScratchSize: 0
; MemoryBound: 0
; FloatMode: 240
; IeeeMode: 1
; LDSByteSize: 272 bytes/workgroup (compile time only)
; SGPRBlocks: 6
; VGPRBlocks: 5
; NumSGPRsForWavesPerEU: 56
; NumVGPRsForWavesPerEU: 42
; AccumOffset: 44
; Occupancy: 8
; WaveLimiterHint : 1
; COMPUTE_PGM_RSRC2:SCRATCH_EN: 0
; COMPUTE_PGM_RSRC2:USER_SGPR: 2
; COMPUTE_PGM_RSRC2:TRAP_HANDLER: 0
; COMPUTE_PGM_RSRC2:TGID_X_EN: 1
; COMPUTE_PGM_RSRC2:TGID_Y_EN: 1
; COMPUTE_PGM_RSRC2:TGID_Z_EN: 1
; COMPUTE_PGM_RSRC2:TIDIG_COMP_CNT: 0
; COMPUTE_PGM_RSRC3_GFX90A:ACCUM_OFFSET: 10
; COMPUTE_PGM_RSRC3_GFX90A:TG_SPLIT: 0
	.section	.text._ZN4vllm25paged_attention_v1_kernelIfhLi80ELi8ELi128ELNS_18Fp8KVCacheDataTypeE1ELb1EEEvPT_PKS2_PKT0_S8_ifPKiSA_iPKfiiiSC_SC_iiiii,"axG",@progbits,_ZN4vllm25paged_attention_v1_kernelIfhLi80ELi8ELi128ELNS_18Fp8KVCacheDataTypeE1ELb1EEEvPT_PKS2_PKT0_S8_ifPKiSA_iPKfiiiSC_SC_iiiii,comdat
	.protected	_ZN4vllm25paged_attention_v1_kernelIfhLi80ELi8ELi128ELNS_18Fp8KVCacheDataTypeE1ELb1EEEvPT_PKS2_PKT0_S8_ifPKiSA_iPKfiiiSC_SC_iiiii ; -- Begin function _ZN4vllm25paged_attention_v1_kernelIfhLi80ELi8ELi128ELNS_18Fp8KVCacheDataTypeE1ELb1EEEvPT_PKS2_PKT0_S8_ifPKiSA_iPKfiiiSC_SC_iiiii
	.globl	_ZN4vllm25paged_attention_v1_kernelIfhLi80ELi8ELi128ELNS_18Fp8KVCacheDataTypeE1ELb1EEEvPT_PKS2_PKT0_S8_ifPKiSA_iPKfiiiSC_SC_iiiii
	.p2align	8
	.type	_ZN4vllm25paged_attention_v1_kernelIfhLi80ELi8ELi128ELNS_18Fp8KVCacheDataTypeE1ELb1EEEvPT_PKS2_PKT0_S8_ifPKiSA_iPKfiiiSC_SC_iiiii,@function
_ZN4vllm25paged_attention_v1_kernelIfhLi80ELi8ELi128ELNS_18Fp8KVCacheDataTypeE1ELb1EEEvPT_PKS2_PKT0_S8_ifPKiSA_iPKfiiiSC_SC_iiiii: ; @_ZN4vllm25paged_attention_v1_kernelIfhLi80ELi8ELi128ELNS_18Fp8KVCacheDataTypeE1ELb1EEEvPT_PKS2_PKT0_S8_ifPKiSA_iPKfiiiSC_SC_iiiii
; %bb.0:
	s_load_dword s5, s[0:1], 0x80
	s_load_dwordx2 s[6:7], s[0:1], 0x30
	s_load_dwordx2 s[36:37], s[0:1], 0x20
	s_mov_b32 s10, s3
	s_ashr_i32 s11, s3, 31
	s_lshl_b64 s[8:9], s[10:11], 2
	s_waitcnt lgkmcnt(0)
	s_add_u32 s6, s6, s8
	s_addc_u32 s7, s7, s9
	s_abs_i32 s3, s36
	v_cvt_f32_u32_e32 v1, s3
	s_sub_i32 s11, 0, s3
	s_abs_i32 s9, s5
	s_xor_b32 s8, s5, s36
	v_rcp_iflag_f32_e32 v1, v1
	s_ashr_i32 s8, s8, 31
	s_mov_b32 s44, 0
	v_mul_f32_e32 v1, 0x4f7ffffe, v1
	v_cvt_u32_f32_e32 v1, v1
	s_nop 0
	v_readfirstlane_b32 s12, v1
	s_mul_i32 s11, s11, s12
	s_mul_hi_u32 s11, s12, s11
	s_add_i32 s12, s12, s11
	s_mul_hi_u32 s11, s9, s12
	s_mul_i32 s12, s11, s3
	s_sub_i32 s9, s9, s12
	s_add_i32 s12, s11, 1
	s_sub_i32 s13, s9, s3
	s_cmp_ge_u32 s9, s3
	s_cselect_b32 s11, s12, s11
	s_cselect_b32 s9, s13, s9
	s_add_i32 s12, s11, 1
	s_cmp_ge_u32 s9, s3
	s_cselect_b32 s3, s12, s11
	s_xor_b32 s3, s3, s8
	s_sub_i32 s14, s3, s8
	s_abs_i32 s11, s14
	v_cvt_f32_u32_e32 v1, s11
	s_load_dwordx2 s[8:9], s[0:1], 0x40
	s_sub_i32 s3, 0, s11
	s_abs_i32 s12, s2
	v_rcp_iflag_f32_e32 v1, v1
	s_nop 0
	v_mul_f32_e32 v1, 0x4f7ffffe, v1
	v_cvt_u32_f32_e32 v1, v1
	s_nop 0
	v_readfirstlane_b32 s13, v1
	s_mul_i32 s3, s3, s13
	s_mul_hi_u32 s3, s13, s3
	s_add_i32 s13, s13, s3
	s_waitcnt lgkmcnt(0)
	s_cmp_eq_u64 s[8:9], 0
	s_mul_hi_u32 s13, s12, s13
	s_cbranch_scc1 .LBB164_2
; %bb.1:
	s_ashr_i32 s3, s2, 31
	s_lshl_b64 s[16:17], s[2:3], 2
	s_add_u32 s8, s8, s16
	s_addc_u32 s9, s9, s17
	s_load_dword s44, s[8:9], 0x0
.LBB164_2:
	s_load_dword s33, s[6:7], 0x0
	s_load_dwordx4 s[16:19], s[0:1], 0x48
	s_movk_i32 s6, 0x50
	s_ashr_i32 s3, s2, 31
	s_ashr_i32 s9, s14, 31
	v_and_b32_e32 v2, 7, v0
	s_mul_i32 s24, s2, 0x50
	v_cmp_gt_u32_e32 vcc, s6, v0
	v_lshlrev_b32_e32 v8, 2, v0
	v_lshrrev_b32_e32 v1, 1, v0
	s_and_saveexec_b64 s[6:7], vcc
	s_cbranch_execz .LBB164_4
; %bb.3:
	s_load_dwordx2 s[14:15], s[0:1], 0x8
	s_waitcnt lgkmcnt(0)
	s_mul_i32 s20, s16, s10
	s_ashr_i32 s21, s20, 31
	s_lshl_b64 s[20:21], s[20:21], 2
	v_and_b32_e32 v4, 0x1fc, v1
	s_add_u32 s8, s14, s20
	s_addc_u32 s16, s15, s21
	s_ashr_i32 s25, s24, 31
	s_lshl_b64 s[14:15], s[24:25], 2
	s_add_u32 s14, s8, s14
	s_addc_u32 s15, s16, s15
	global_load_dword v3, v8, s[14:15]
	v_mad_u32_u24 v4, v2, 40, v4
	s_waitcnt vmcnt(0)
	ds_write_b32 v4, v3
.LBB164_4:
	s_or_b64 exec, exec, s[6:7]
	s_mul_i32 s6, s13, s11
	s_sub_i32 s6, s12, s6
	s_xor_b32 s3, s3, s9
	s_add_i32 s7, s13, 1
	s_sub_i32 s9, s6, s11
	s_load_dwordx4 s[20:23], s[0:1], 0x68
	s_load_dword s8, s[0:1], 0x78
	s_cmp_ge_u32 s6, s11
	s_cselect_b32 s7, s7, s13
	s_cselect_b32 s6, s9, s6
	s_add_i32 s9, s7, 1
	s_cmp_ge_u32 s6, s11
	s_cselect_b32 s6, s9, s7
	s_waitcnt lgkmcnt(0)
	s_abs_i32 s25, s23
	v_cvt_f32_u32_e32 v3, s25
	s_xor_b32 s6, s6, s3
	s_sub_i32 s3, s6, s3
	s_sub_i32 s6, 0, s25
	v_rcp_iflag_f32_e32 v3, v3
	s_add_i32 s11, s33, -1
	s_abs_i32 s9, s11
	v_mul_f32_e32 v3, 0x4f7ffffe, v3
	v_cvt_u32_f32_e32 v3, v3
	s_barrier
	v_readfirstlane_b32 s42, v3
	s_mul_i32 s6, s6, s42
	s_mul_hi_u32 s6, s42, s6
	s_add_i32 s42, s42, s6
	s_cmp_lt_i32 s8, 0
	s_mul_hi_u32 s16, s9, s42
	s_cbranch_scc0 .LBB164_6
; %bb.5:
	s_mul_i32 s6, s20, s36
	s_add_i32 s6, s3, s6
	s_mul_i32 s6, s6, s8
	s_sub_i32 s36, 1, s6
	s_mov_b64 s[6:7], 0
	s_branch .LBB164_7
.LBB164_6:
	s_mov_b64 s[6:7], -1
                                        ; implicit-def: $sgpr36
.LBB164_7:
	s_load_dwordx2 s[28:29], s[0:1], 0x28
	s_ashr_i32 s19, s11, 31
	s_andn2_b64 vcc, exec, s[6:7]
	s_ashr_i32 s23, s23, 31
	s_cbranch_vccnz .LBB164_9
; %bb.8:
	s_mul_i32 s6, s5, s20
	s_add_i32 s2, s6, s2
	s_mul_i32 s2, s2, s8
	s_add_i32 s36, s2, 1
.LBB164_9:
	s_load_dword s2, s[0:1], 0x38
	s_load_dwordx2 s[26:27], s[0:1], 0x0
	s_load_dwordx2 s[34:35], s[0:1], 0x18
	s_load_dword s11, s[0:1], 0x88
	s_load_dwordx4 s[12:15], s[0:1], 0x58
	s_mul_i32 s6, s16, s25
	s_waitcnt lgkmcnt(0)
	s_mul_i32 s30, s2, s10
	s_sub_i32 s6, s9, s6
	s_ashr_i32 s31, s30, 31
	s_xor_b32 s2, s19, s23
	s_add_i32 s7, s16, 1
	s_sub_i32 s8, s6, s25
	s_cmp_ge_u32 s6, s25
	s_cselect_b32 s7, s7, s16
	s_cselect_b32 s6, s8, s6
	s_add_i32 s8, s7, 1
	s_cmp_ge_u32 s6, s25
	s_cselect_b32 s6, s8, s7
	s_xor_b32 s6, s6, s2
	s_sub_i32 s16, s6, s2
	s_add_i32 s2, s33, 7
	s_ashr_i32 s6, s2, 31
	s_lshr_b32 s6, s6, 29
	s_add_i32 s2, s2, s6
	s_ashr_i32 s43, s2, 3
	v_lshrrev_b32_e32 v26, 6, v0
	v_cmp_le_i32_e64 s[6:7], s43, v26
	v_cmp_gt_i32_e32 vcc, s43, v26
	v_mov_b32_e32 v10, 0xff7fffff
	s_mul_i32 s20, s3, s18
	v_lshrrev_b32_e32 v12, 4, v0
	v_lshlrev_b32_e32 v27, 3, v26
	v_mbcnt_lo_u32_b32 v6, -1, 0
	s_and_saveexec_b64 s[18:19], vcc
	s_cbranch_execz .LBB164_21
; %bb.10:
	s_load_dwordx2 s[0:1], s[0:1], 0x10
	s_sub_i32 s45, s16, s21
	s_ashr_i32 s2, s20, 31
	v_bfe_u32 v7, v0, 3, 3
	v_mov_b32_e32 v5, 0
	s_waitcnt lgkmcnt(0)
	s_add_u32 s0, s0, s20
	s_addc_u32 s1, s1, s2
	s_abs_i32 s46, s22
	v_cvt_f32_u32_e32 v3, s46
	v_lshlrev_b32_e32 v4, 4, v7
	v_lshl_add_u64 v[14:15], s[0:1], 0, v[4:5]
	s_sub_i32 s0, 0, s46
	v_rcp_iflag_f32_e32 v3, v3
	v_cmp_eq_u32_e32 vcc, 0, v2
	v_mul_u32_u24_e32 v9, 40, v2
	v_mbcnt_hi_u32_b32 v17, -1, v6
	v_mul_f32_e32 v3, 0x4f7ffffe, v3
	v_cvt_u32_f32_e32 v10, v3
	v_mov_b32_e32 v3, v5
	v_lshl_add_u64 v[2:3], v[14:15], 0, v[2:3]
	s_mov_b32 s47, s17
	v_mul_lo_u32 v4, s0, v10
	v_mul_hi_u32 v4, v10, v4
	v_add_u32_e32 v11, v10, v4
	v_subrev_u32_e32 v10, s33, v7
	s_lshl_b64 s[0:1], s[30:31], 2
	v_add_u32_e32 v14, 1, v10
	v_lshlrev_b32_e32 v10, 2, v7
	s_add_u32 s0, s28, s0
	v_lshl_or_b32 v10, v26, 5, v10
	v_and_b32_e32 v4, 60, v12
	s_addc_u32 s1, s29, s1
	v_add_u32_e32 v15, 0x150, v10
	v_and_b32_e32 v10, 64, v17
	v_cmp_neq_f32_e64 s[2:3], s44, 0
	v_lshl_add_u64 v[4:5], s[0:1], 0, v[4:5]
	v_lshlrev_b32_e32 v13, 3, v26
	v_mov_b32_e32 v16, 0xff7fffff
	s_mov_b64 s[38:39], 0
	v_add_u32_e32 v18, 64, v10
	v_xor_b32_e32 v19, 4, v17
	v_xor_b32_e32 v20, 2, v17
	;; [unrolled: 1-line block ×3, first 2 shown]
	v_mov_b32_e32 v10, 0xff7fffff
	v_mov_b32_e32 v22, v26
	s_branch .LBB164_13
.LBB164_11:                             ;   in Loop: Header=BB164_13 Depth=1
	s_or_b64 exec, exec, s[40:41]
.LBB164_12:                             ;   in Loop: Header=BB164_13 Depth=1
	s_or_b64 exec, exec, s[8:9]
	v_add_u32_e32 v22, 2, v22
	v_cmp_le_i32_e64 s[0:1], s43, v22
	v_lshl_add_u64 v[4:5], v[4:5], 0, 8
	v_add_u32_e32 v13, 16, v13
	s_or_b64 s[38:39], s[0:1], s[38:39]
	v_add_u32_e32 v15, 64, v15
	s_andn2_b64 exec, exec, s[38:39]
	s_cbranch_execz .LBB164_20
.LBB164_13:                             ; =>This Inner Loop Header: Depth=1
	v_mul_hi_u32 v23, v13, s42
	s_waitcnt lgkmcnt(0)
	v_mul_lo_u32 v24, v23, s25
	v_sub_u32_e32 v24, v13, v24
	v_add_u32_e32 v25, 1, v23
	v_cmp_le_u32_e64 s[0:1], s25, v24
	s_nop 1
	v_cndmask_b32_e64 v23, v23, v25, s[0:1]
	v_subrev_u32_e32 v25, s25, v24
	v_cndmask_b32_e64 v24, v24, v25, s[0:1]
	v_add_u32_e32 v25, 1, v23
	v_cmp_le_u32_e64 s[0:1], s25, v24
	s_nop 1
	v_cndmask_b32_e64 v23, v23, v25, s[0:1]
	v_xor_b32_e32 v23, s23, v23
	v_subrev_u32_e32 v23, s23, v23
	v_add_u32_e32 v24, s36, v23
	v_sub_u32_e32 v28, 0, v24
	v_ashrrev_i32_e32 v25, 31, v24
	v_max_i32_e32 v24, v24, v28
	v_mul_hi_u32 v28, v24, v11
	v_mul_lo_u32 v28, v28, s46
	v_sub_u32_e32 v24, v24, v28
	v_subrev_u32_e32 v28, s46, v24
	v_cmp_le_u32_e64 s[0:1], s46, v24
	v_cmp_ge_i32_e64 s[8:9], s45, v23
	s_nop 0
	v_cndmask_b32_e64 v24, v24, v28, s[0:1]
	v_subrev_u32_e32 v28, s46, v24
	v_cmp_le_u32_e64 s[0:1], s46, v24
	s_nop 1
	v_cndmask_b32_e64 v24, v24, v28, s[0:1]
	v_xor_b32_e32 v24, v24, v25
	v_sub_u32_e32 v24, v24, v25
	v_cmp_ne_u32_e64 s[0:1], 0, v24
	s_and_b64 s[0:1], s[0:1], s[8:9]
	s_and_saveexec_b64 s[8:9], s[0:1]
	s_xor_b64 s[0:1], exec, s[8:9]
	s_cbranch_execz .LBB164_17
; %bb.14:                               ;   in Loop: Header=BB164_13 Depth=1
	s_and_saveexec_b64 s[8:9], vcc
; %bb.15:                               ;   in Loop: Header=BB164_13 Depth=1
	ds_write_b32 v15, v16
; %bb.16:                               ;   in Loop: Header=BB164_13 Depth=1
	s_or_b64 exec, exec, s[8:9]
.LBB164_17:                             ;   in Loop: Header=BB164_13 Depth=1
	s_andn2_saveexec_b64 s[8:9], s[0:1]
	s_cbranch_execz .LBB164_12
; %bb.18:                               ;   in Loop: Header=BB164_13 Depth=1
	global_load_dword v23, v[4:5], off
	s_waitcnt vmcnt(0)
	v_mad_i64_i32 v[24:25], s[0:1], v23, s47, v[2:3]
	global_load_ubyte v23, v[24:25], off
	global_load_ubyte v36, v[24:25], off offset:8
	global_load_ubyte v37, v[24:25], off offset:128
	;; [unrolled: 1-line block ×9, first 2 shown]
	v_cmp_lt_i32_e64 s[0:1], v19, v18
	ds_read2_b64 v[28:31], v9 offset1:1
	ds_read2_b64 v[32:35], v9 offset0:2 offset1:3
	ds_read_b64 v[24:25], v9 offset:32
	v_cndmask_b32_e64 v45, v17, v19, s[0:1]
	s_load_dword s0, s[12:13], 0x0
	v_lshlrev_b32_e32 v45, 2, v45
	s_waitcnt vmcnt(9)
	v_cvt_f32_fp8_e32 v23, v23
	s_waitcnt vmcnt(8)
	v_cvt_f32_fp8_e32 v36, v36
	;; [unrolled: 2-line block ×5, first 2 shown]
	s_waitcnt lgkmcnt(0)
	v_mul_f32_e32 v36, s0, v36
	s_waitcnt vmcnt(4)
	v_cvt_f32_fp8_e32 v40, v40
	v_mul_f32_e32 v23, s0, v23
	v_mul_f32_e32 v29, v29, v36
	s_waitcnt vmcnt(3)
	v_cvt_f32_fp8_e32 v41, v41
	v_mul_f32_e32 v37, s0, v37
	v_fmac_f32_e32 v29, v28, v23
	s_waitcnt vmcnt(2)
	v_cvt_f32_fp8_e32 v42, v42
	v_mul_f32_e32 v38, s0, v38
	v_fmac_f32_e32 v29, v30, v37
	;; [unrolled: 4-line block ×4, first 2 shown]
	v_mul_f32_e32 v41, s0, v41
	v_fmac_f32_e32 v29, v33, v40
	v_mul_f32_e32 v42, s0, v42
	v_fmac_f32_e32 v29, v34, v41
	;; [unrolled: 2-line block ×4, first 2 shown]
	v_fmac_f32_e32 v29, v25, v44
	ds_bpermute_b32 v23, v45, v29
	v_cmp_lt_i32_e64 s[0:1], v20, v18
	s_waitcnt lgkmcnt(0)
	v_add_f32_e32 v23, v29, v23
	v_cndmask_b32_e64 v24, v17, v20, s[0:1]
	v_lshlrev_b32_e32 v24, 2, v24
	ds_bpermute_b32 v24, v24, v23
	v_cmp_lt_i32_e64 s[0:1], v21, v18
	s_waitcnt lgkmcnt(0)
	v_add_f32_e32 v23, v23, v24
	v_cndmask_b32_e64 v25, v17, v21, s[0:1]
	v_lshlrev_b32_e32 v25, 2, v25
	ds_bpermute_b32 v24, v25, v23
	s_and_saveexec_b64 s[40:41], vcc
	s_cbranch_execz .LBB164_11
; %bb.19:                               ;   in Loop: Header=BB164_13 Depth=1
	v_add_u32_e32 v25, v14, v13
	v_cvt_f32_i32_e32 v25, v25
	s_waitcnt lgkmcnt(0)
	v_add_f32_e32 v23, v23, v24
	v_add_u32_e32 v28, v7, v13
	v_cmp_gt_i32_e64 s[0:1], s33, v28
	v_mul_f32_e32 v24, s44, v25
	v_cndmask_b32_e64 v24, 0, v24, s[2:3]
	v_fmac_f32_e32 v24, s37, v23
	v_cndmask_b32_e64 v23, 0, v24, s[0:1]
	ds_write_b32 v15, v23
	v_max_f32_e32 v23, v10, v10
	v_max_f32_e32 v23, v23, v24
	v_cndmask_b32_e64 v10, v10, v23, s[0:1]
	s_branch .LBB164_11
.LBB164_20:
	s_or_b64 exec, exec, s[38:39]
.LBB164_21:
	s_or_b64 exec, exec, s[18:19]
	v_mbcnt_hi_u32_b32 v2, -1, v6
	v_and_b32_e32 v11, 64, v2
	v_add_u32_e32 v3, 64, v11
	v_xor_b32_e32 v4, 32, v2
	v_cmp_lt_i32_e32 vcc, v4, v3
	v_xor_b32_e32 v7, 16, v2
	v_max_f32_e32 v5, v10, v10
	v_cndmask_b32_e32 v4, v2, v4, vcc
	v_lshlrev_b32_e32 v6, 2, v4
	ds_bpermute_b32 v4, v6, v10
	v_cmp_lt_i32_e32 vcc, v7, v3
	v_xor_b32_e32 v10, 8, v2
	s_waitcnt lgkmcnt(0)
	v_max_f32_e32 v4, v4, v4
	v_max_f32_e32 v4, v5, v4
	v_cndmask_b32_e32 v5, v2, v7, vcc
	v_lshlrev_b32_e32 v9, 2, v5
	ds_bpermute_b32 v5, v9, v4
	v_cmp_lt_i32_e32 vcc, v10, v3
	s_waitcnt lgkmcnt(0)
	v_max_f32_e32 v5, v5, v5
	v_max_f32_e32 v7, v4, v5
	v_cndmask_b32_e32 v4, v2, v10, vcc
	v_lshlrev_b32_e32 v10, 2, v4
	ds_bpermute_b32 v13, v10, v7
	v_and_b32_e32 v4, 63, v0
	v_cmp_eq_u32_e32 vcc, 0, v4
	v_lshlrev_b32_e32 v5, 2, v26
	s_and_saveexec_b64 s[0:1], vcc
	s_cbranch_execz .LBB164_23
; %bb.22:
	s_waitcnt lgkmcnt(0)
	v_max_f32_e32 v13, v13, v13
	v_max_f32_e32 v7, v7, v7
	;; [unrolled: 1-line block ×3, first 2 shown]
	ds_write_b32 v5, v7 offset:320
.LBB164_23:
	s_or_b64 exec, exec, s[0:1]
	v_cmp_gt_u32_e64 s[0:1], 2, v4
	s_waitcnt lgkmcnt(0)
	v_mov_b32_e32 v13, 0xff7fffff
	v_lshlrev_b32_e32 v7, 2, v4
	s_barrier
	s_and_saveexec_b64 s[2:3], s[0:1]
; %bb.24:
	ds_read_b32 v13, v7 offset:320
; %bb.25:
	s_or_b64 exec, exec, s[2:3]
	v_xor_b32_e32 v14, 1, v2
	v_cmp_lt_i32_e64 s[2:3], v14, v3
	v_lshlrev_b32_e32 v11, 2, v11
	s_nop 0
	v_cndmask_b32_e64 v14, v2, v14, s[2:3]
	v_lshlrev_b32_e32 v28, 2, v14
	s_waitcnt lgkmcnt(0)
	ds_bpermute_b32 v14, v28, v13
	v_max_f32_e32 v13, v13, v13
	s_lshl_b32 s2, s43, 3
	s_min_i32 s37, s2, s33
	v_cmp_gt_i32_e64 s[2:3], s37, v0
	s_waitcnt lgkmcnt(0)
	v_max_f32_e32 v14, v14, v14
	v_max_f32_e32 v13, v13, v14
	ds_bpermute_b32 v13, v11, v13
	v_mov_b32_e32 v11, 0
	s_and_saveexec_b64 s[12:13], s[2:3]
	s_cbranch_execz .LBB164_29
; %bb.26:
	v_mov_b32_e32 v11, 0x150
	v_lshl_add_u32 v14, v0, 2, v11
	v_mov_b32_e32 v11, 0
	s_mov_b64 s[18:19], 0
	v_mov_b32_e32 v15, v0
.LBB164_27:                             ; =>This Inner Loop Header: Depth=1
	ds_read_b32 v16, v14
	v_add_u32_e32 v15, 0x80, v15
	v_cmp_le_i32_e64 s[8:9], s37, v15
	s_or_b64 s[18:19], s[8:9], s[18:19]
	s_waitcnt lgkmcnt(0)
	v_sub_f32_e32 v16, v16, v13
	v_mul_f32_e32 v16, 0x3fb8aa3b, v16
	v_exp_f32_e32 v16, v16
	ds_write_b32 v14, v16
	v_add_f32_e32 v11, v11, v16
	v_add_u32_e32 v14, 0x200, v14
	s_andn2_b64 exec, exec, s[18:19]
	s_cbranch_execnz .LBB164_27
; %bb.28:
	s_or_b64 exec, exec, s[18:19]
.LBB164_29:
	s_or_b64 exec, exec, s[12:13]
	ds_bpermute_b32 v6, v6, v11
	s_waitcnt lgkmcnt(0)
	v_add_f32_e32 v6, v11, v6
	ds_bpermute_b32 v9, v9, v6
	s_waitcnt lgkmcnt(0)
	v_add_f32_e32 v6, v6, v9
	ds_bpermute_b32 v9, v10, v6
	v_xor_b32_e32 v10, 4, v2
	v_cmp_lt_i32_e64 s[8:9], v10, v3
	s_waitcnt lgkmcnt(0)
	v_add_f32_e32 v6, v6, v9
	v_cndmask_b32_e64 v10, v2, v10, s[8:9]
	v_lshlrev_b32_e32 v10, 2, v10
	ds_bpermute_b32 v9, v10, v6
	v_xor_b32_e32 v10, 2, v2
	v_cmp_lt_i32_e64 s[8:9], v10, v3
	s_waitcnt lgkmcnt(0)
	v_add_f32_e32 v6, v6, v9
	v_cndmask_b32_e64 v3, v2, v10, s[8:9]
	v_lshlrev_b32_e32 v3, 2, v3
	ds_bpermute_b32 v3, v3, v6
	s_waitcnt lgkmcnt(0)
	v_add_f32_e32 v3, v6, v3
	ds_bpermute_b32 v6, v28, v3
	s_waitcnt lgkmcnt(0)
	v_add_f32_e32 v3, v3, v6
	s_and_saveexec_b64 s[8:9], vcc
; %bb.30:
	ds_write_b32 v5, v3 offset:328
; %bb.31:
	s_or_b64 exec, exec, s[8:9]
	s_waitcnt lgkmcnt(0)
	s_barrier
	s_and_saveexec_b64 s[8:9], s[0:1]
; %bb.32:
	ds_read_b32 v3, v7 offset:328
; %bb.33:
	s_or_b64 exec, exec, s[8:9]
	s_waitcnt lgkmcnt(0)
	ds_bpermute_b32 v5, v28, v3
	v_lshlrev_b32_e32 v2, 2, v2
	v_and_b32_e32 v2, 0x100, v2
	s_waitcnt lgkmcnt(0)
	v_add_f32_e32 v3, v3, v5
	ds_bpermute_b32 v2, v2, v3
	s_and_saveexec_b64 s[0:1], s[2:3]
	s_cbranch_execz .LBB164_46
; %bb.34:
	s_waitcnt lgkmcnt(0)
	v_add_f32_e32 v2, 0x358637bd, v2
	v_div_scale_f32 v3, s[2:3], v2, v2, 1.0
	v_rcp_f32_e32 v5, v3
	v_div_scale_f32 v6, vcc, 1.0, v2, 1.0
	s_movk_i32 s2, 0x7f
	v_fma_f32 v7, -v3, v5, 1.0
	v_fmac_f32_e32 v5, v7, v5
	v_mul_f32_e32 v7, v6, v5
	v_fma_f32 v9, -v3, v7, v6
	v_fmac_f32_e32 v7, v9, v5
	v_fma_f32 v3, -v3, v7, v6
	v_div_fmas_f32 v3, v3, v5, v7
	v_xad_u32 v5, v0, -1, s37
	v_div_fixup_f32 v2, v3, v2, 1.0
	v_cmp_lt_u32_e32 vcc, s2, v5
	s_mov_b64 s[8:9], -1
	v_mov_b32_e32 v3, v0
	s_and_saveexec_b64 s[2:3], vcc
	s_cbranch_execz .LBB164_43
; %bb.35:
	v_lshrrev_b32_e32 v5, 7, v5
	v_add_u32_e32 v7, -1, v5
	v_lshrrev_b32_e32 v6, 1, v7
	v_mov_b32_e32 v3, v2
	v_add_u32_e32 v6, 1, v6
	v_cmp_lt_u32_e32 vcc, 13, v7
	v_mov_b32_e32 v10, 0
	s_and_saveexec_b64 s[8:9], vcc
	s_cbranch_execz .LBB164_39
; %bb.36:
	v_mov_b32_e32 v9, 0x150
	v_and_b32_e32 v7, -8, v6
	v_lshl_add_u32 v9, v0, 2, v9
	s_mov_b32 s18, 0
	s_mov_b64 s[12:13], 0
.LBB164_37:                             ; =>This Inner Loop Header: Depth=1
	ds_read2st64_b32 v[10:11], v9 offset1:2
	ds_read2st64_b32 v[14:15], v9 offset0:4 offset1:6
	ds_read2st64_b32 v[16:17], v9 offset0:8 offset1:10
	ds_read2st64_b32 v[18:19], v9 offset0:12 offset1:14
	v_add_u32_e32 v7, -8, v7
	s_waitcnt lgkmcnt(3)
	v_pk_mul_f32 v[10:11], v[2:3], v[10:11]
	s_waitcnt lgkmcnt(2)
	v_pk_mul_f32 v[14:15], v[2:3], v[14:15]
	ds_write2st64_b32 v9, v10, v11 offset1:2
	ds_write2st64_b32 v9, v14, v15 offset0:4 offset1:6
	ds_read2st64_b32 v[14:15], v9 offset0:16 offset1:18
	s_waitcnt lgkmcnt(4)
	v_pk_mul_f32 v[10:11], v[2:3], v[16:17]
	ds_write2st64_b32 v9, v10, v11 offset0:8 offset1:10
	s_waitcnt lgkmcnt(4)
	v_pk_mul_f32 v[10:11], v[2:3], v[18:19]
	ds_write2st64_b32 v9, v10, v11 offset0:12 offset1:14
	ds_read2st64_b32 v[10:11], v9 offset0:20 offset1:22
	s_waitcnt lgkmcnt(3)
	v_pk_mul_f32 v[14:15], v[2:3], v[14:15]
	ds_read2st64_b32 v[16:17], v9 offset0:24 offset1:26
	ds_write2st64_b32 v9, v14, v15 offset0:16 offset1:18
	ds_read2st64_b32 v[14:15], v9 offset0:28 offset1:30
	s_waitcnt lgkmcnt(3)
	v_pk_mul_f32 v[10:11], v[2:3], v[10:11]
	ds_write2st64_b32 v9, v10, v11 offset0:20 offset1:22
	s_waitcnt lgkmcnt(3)
	v_pk_mul_f32 v[10:11], v[2:3], v[16:17]
	ds_write2st64_b32 v9, v10, v11 offset0:24 offset1:26
	s_waitcnt lgkmcnt(2)
	v_pk_mul_f32 v[10:11], v[2:3], v[14:15]
	s_add_i32 s18, s18, 16
	v_cmp_eq_u32_e32 vcc, 0, v7
	ds_write2st64_b32 v9, v10, v11 offset0:28 offset1:30
	v_add_u32_e32 v9, 0x2000, v9
	s_or_b64 s[12:13], vcc, s[12:13]
	v_mov_b32_e32 v10, s18
	s_andn2_b64 exec, exec, s[12:13]
	s_cbranch_execnz .LBB164_37
; %bb.38:
	s_or_b64 exec, exec, s[12:13]
.LBB164_39:
	s_or_b64 exec, exec, s[8:9]
	v_and_b32_e32 v6, 7, v6
	v_cmp_ne_u32_e32 vcc, 0, v6
	s_and_saveexec_b64 s[8:9], vcc
	s_cbranch_execz .LBB164_42
; %bb.40:
	v_lshlrev_b32_e32 v7, 9, v10
	s_movk_i32 s12, 0x150
	v_add3_u32 v7, v7, v8, s12
	s_mov_b64 s[12:13], 0
.LBB164_41:                             ; =>This Inner Loop Header: Depth=1
	ds_read2st64_b32 v[10:11], v7 offset1:2
	v_add_u32_e32 v6, -1, v6
	v_cmp_eq_u32_e32 vcc, 0, v6
	s_or_b64 s[12:13], vcc, s[12:13]
	s_waitcnt lgkmcnt(0)
	v_pk_mul_f32 v[10:11], v[2:3], v[10:11]
	ds_write2st64_b32 v7, v10, v11 offset1:2
	v_add_u32_e32 v7, 0x400, v7
	s_andn2_b64 exec, exec, s[12:13]
	s_cbranch_execnz .LBB164_41
.LBB164_42:
	s_or_b64 exec, exec, s[8:9]
	v_add_u32_e32 v5, 1, v5
	v_and_b32_e32 v6, 0x3fffffe, v5
	v_cmp_ne_u32_e32 vcc, v5, v6
	v_lshl_add_u32 v3, v6, 7, v0
	s_orn2_b64 s[8:9], vcc, exec
.LBB164_43:
	s_or_b64 exec, exec, s[2:3]
	s_and_b64 exec, exec, s[8:9]
	s_cbranch_execz .LBB164_46
; %bb.44:
	v_mov_b32_e32 v5, 0x150
	v_lshl_add_u32 v5, v3, 2, v5
	s_mov_b64 s[2:3], 0
.LBB164_45:                             ; =>This Inner Loop Header: Depth=1
	ds_read_b32 v6, v5
	v_add_u32_e32 v3, 0x80, v3
	v_cmp_le_i32_e32 vcc, s37, v3
	s_or_b64 s[2:3], vcc, s[2:3]
	s_waitcnt lgkmcnt(0)
	v_mul_f32_e32 v6, v2, v6
	ds_write_b32 v5, v6
	v_add_u32_e32 v5, 0x200, v5
	s_andn2_b64 exec, exec, s[2:3]
	s_cbranch_execnz .LBB164_45
.LBB164_46:
	s_or_b64 exec, exec, s[0:1]
	v_lshrrev_b32_e32 v29, 1, v4
	s_waitcnt lgkmcnt(0)
	s_barrier
	s_and_saveexec_b64 s[0:1], s[6:7]
	s_xor_b64 s[0:1], exec, s[0:1]
; %bb.47:
	v_lshrrev_b32_e32 v29, 1, v4
                                        ; implicit-def: $vgpr27
                                        ; implicit-def: $vgpr26
                                        ; implicit-def: $vgpr8
                                        ; implicit-def: $vgpr12
; %bb.48:
	s_or_saveexec_b64 s[6:7], s[0:1]
	v_mov_b32_e32 v7, 0
	v_and_b32_e32 v30, 1, v0
	v_mov_b32_e32 v6, 0
	v_mov_b32_e32 v32, 0
	s_xor_b64 exec, exec, s[6:7]
	s_cbranch_execz .LBB164_62
; %bb.49:
	s_sub_i32 s37, s16, s21
	s_ashr_i32 s0, s20, 31
	s_add_u32 s8, s34, s20
	s_addc_u32 s9, s35, s0
	s_abs_i32 s22, s22
	v_cvt_f32_u32_e32 v2, s22
	v_or_b32_e32 v3, 64, v29
	s_movk_i32 s0, 0x50
	v_and_b32_e32 v31, 4, v8
	v_rcp_iflag_f32_e32 v2, v2
	v_cmp_gt_u32_e32 vcc, s0, v3
	s_sub_i32 s0, 0, s22
	s_add_i32 s34, s43, -1
	v_mul_f32_e32 v2, 0x4f7ffffe, v2
	v_cvt_u32_f32_e32 v2, v2
	v_lshl_or_b32 v10, v3, 3, v31
	v_mov_b32_e32 v9, 0
	s_mov_b32 s38, s17
	v_mul_lo_u32 v3, s0, v2
	s_lshl_b64 s[0:1], s[30:31], 2
	v_mul_hi_u32 v3, v2, v3
	s_add_u32 s0, s28, s0
	v_add_u32_e32 v33, v2, v3
	v_and_b32_e32 v2, 60, v12
	v_mov_b32_e32 v3, v9
	s_addc_u32 s1, s29, s1
	v_lshl_add_u64 v[12:13], s[0:1], 0, v[2:3]
	v_lshlrev_b32_e32 v2, 4, v30
	v_lshl_or_b32 v2, v26, 5, v2
	v_lshl_or_b32 v8, v29, 3, v31
	v_mov_b32_e32 v11, v9
	s_mov_b32 s35, s33
	v_add_u32_e32 v34, 0x150, v2
	s_mov_b64 s[12:13], 0
	v_mov_b32_e32 v32, v9
	v_mov_b32_e32 v6, v9
	;; [unrolled: 1-line block ×3, first 2 shown]
	s_branch .LBB164_53
.LBB164_50:                             ;   in Loop: Header=BB164_53 Depth=1
	s_or_b64 exec, exec, s[18:19]
	v_pk_mul_f32 v[24:25], v[2:3], v[24:25]
	v_pk_mul_f32 v[18:19], v[4:5], v[18:19]
	v_add_f32_e32 v24, v25, v24
	v_add_f32_e32 v18, v18, v24
	;; [unrolled: 1-line block ×4, first 2 shown]
.LBB164_51:                             ;   in Loop: Header=BB164_53 Depth=1
	s_or_b64 exec, exec, s[2:3]
	v_mul_f32_e32 v18, v2, v22
	v_mul_f32_e32 v2, v2, v16
	v_fmac_f32_e32 v18, v3, v23
	v_fmac_f32_e32 v2, v3, v17
	;; [unrolled: 1-line block ×6, first 2 shown]
	v_add_f32_e32 v7, v7, v18
	v_add_f32_e32 v6, v6, v2
.LBB164_52:                             ;   in Loop: Header=BB164_53 Depth=1
	s_or_b64 exec, exec, s[16:17]
	v_add_u32_e32 v26, 2, v26
	v_cmp_le_i32_e64 s[0:1], s43, v26
	v_lshl_add_u64 v[12:13], v[12:13], 0, 8
	v_add_u32_e32 v27, 16, v27
	s_or_b64 s[12:13], s[0:1], s[12:13]
	v_add_u32_e32 v34, 64, v34
	s_andn2_b64 exec, exec, s[12:13]
	s_cbranch_execz .LBB164_61
.LBB164_53:                             ; =>This Inner Loop Header: Depth=1
	v_mul_hi_u32 v2, v27, s42
	v_mul_lo_u32 v3, v2, s25
	v_sub_u32_e32 v3, v27, v3
	v_add_u32_e32 v4, 1, v2
	v_cmp_le_u32_e64 s[0:1], s25, v3
	s_nop 1
	v_cndmask_b32_e64 v2, v2, v4, s[0:1]
	v_subrev_u32_e32 v4, s25, v3
	v_cndmask_b32_e64 v3, v3, v4, s[0:1]
	v_add_u32_e32 v4, 1, v2
	v_cmp_le_u32_e64 s[0:1], s25, v3
	s_nop 1
	v_cndmask_b32_e64 v2, v2, v4, s[0:1]
	v_xor_b32_e32 v2, s23, v2
	v_subrev_u32_e32 v2, s23, v2
	v_add_u32_e32 v3, s36, v2
	v_sub_u32_e32 v5, 0, v3
	v_ashrrev_i32_e32 v4, 31, v3
	v_max_i32_e32 v3, v3, v5
	v_mul_hi_u32 v5, v3, v33
	v_mul_lo_u32 v5, v5, s22
	v_sub_u32_e32 v3, v3, v5
	v_subrev_u32_e32 v5, s22, v3
	v_cmp_le_u32_e64 s[0:1], s22, v3
	v_cmp_lt_i32_e64 s[2:3], s37, v2
	s_nop 0
	v_cndmask_b32_e64 v3, v3, v5, s[0:1]
	v_subrev_u32_e32 v5, s22, v3
	v_cmp_le_u32_e64 s[0:1], s22, v3
	s_nop 1
	v_cndmask_b32_e64 v3, v3, v5, s[0:1]
	v_xor_b32_e32 v3, v3, v4
	v_sub_u32_e32 v3, v3, v4
	v_cmp_eq_u32_e64 s[0:1], 0, v3
	s_or_b64 s[0:1], s[0:1], s[2:3]
	s_and_saveexec_b64 s[16:17], s[0:1]
	s_cbranch_execz .LBB164_52
; %bb.54:                               ;   in Loop: Header=BB164_53 Depth=1
	global_load_dword v4, v[12:13], off
	v_mov_b64_e32 v[2:3], s[8:9]
	s_load_dword s18, s[14:15], 0x0
	v_add_u32_e32 v35, v31, v27
	v_add_u32_e32 v24, 2, v35
	;; [unrolled: 1-line block ×3, first 2 shown]
	s_waitcnt vmcnt(0)
	v_mad_i64_i32 v[18:19], s[0:1], v4, s38, v[2:3]
	v_lshl_add_u64 v[20:21], v[18:19], 0, v[8:9]
	global_load_dword v14, v[20:21], off
	ds_read_b128 v[2:5], v34
	v_cmp_eq_u32_e64 s[0:1], s34, v26
	s_waitcnt vmcnt(0)
	v_and_b32_e32 v15, 0xffff, v14
	v_lshrrev_b32_e32 v16, 16, v14
	v_cvt_pk_f32_fp8_e32 v[14:15], v15
	v_cvt_pk_f32_fp8_e32 v[22:23], v16
	s_waitcnt lgkmcnt(0)
	v_pk_mul_f32 v[16:17], v[14:15], s[18:19] op_sel_hi:[1,0]
	v_pk_mul_f32 v[14:15], s[18:19], v[22:23] op_sel_hi:[0,1]
	s_and_saveexec_b64 s[20:21], s[0:1]
; %bb.55:                               ;   in Loop: Header=BB164_53 Depth=1
	v_cmp_gt_i32_e64 s[2:3], s33, v35
	v_add_u32_e32 v22, 1, v35
	s_nop 0
	v_cndmask_b32_e64 v16, 0, v16, s[2:3]
	v_cmp_gt_i32_e64 s[2:3], s33, v22
	s_nop 1
	v_cndmask_b32_e64 v17, 0, v17, s[2:3]
	v_cmp_gt_i32_e64 s[2:3], s33, v24
	;; [unrolled: 3-line block ×3, first 2 shown]
	s_nop 1
	v_cndmask_b32_e64 v15, 0, v15, s[2:3]
; %bb.56:                               ;   in Loop: Header=BB164_53 Depth=1
	s_or_b64 exec, exec, s[20:21]
	global_load_dword v20, v[20:21], off offset:256
	s_mov_b32 s19, s18
	s_waitcnt vmcnt(0)
	v_and_b32_e32 v21, 0xffff, v20
	v_lshrrev_b32_e32 v22, 16, v20
	v_cvt_pk_f32_fp8_e32 v[20:21], v21
	v_cvt_pk_f32_fp8_e32 v[36:37], v22
	v_pk_mul_f32 v[22:23], s[18:19], v[20:21]
	v_pk_mul_f32 v[20:21], s[18:19], v[36:37]
	s_and_saveexec_b64 s[20:21], s[0:1]
; %bb.57:                               ;   in Loop: Header=BB164_53 Depth=1
	v_cmp_gt_i32_e64 s[2:3], s33, v35
	v_add_u32_e32 v36, 1, v35
	s_nop 0
	v_cndmask_b32_e64 v22, 0, v22, s[2:3]
	v_cmp_gt_i32_e64 s[2:3], s33, v36
	s_nop 1
	v_cndmask_b32_e64 v23, 0, v23, s[2:3]
	v_cmp_gt_i32_e64 s[2:3], s33, v24
	;; [unrolled: 3-line block ×3, first 2 shown]
	s_nop 1
	v_cndmask_b32_e64 v21, 0, v21, s[2:3]
; %bb.58:                               ;   in Loop: Header=BB164_53 Depth=1
	s_or_b64 exec, exec, s[20:21]
	s_and_saveexec_b64 s[2:3], vcc
	s_cbranch_execz .LBB164_51
; %bb.59:                               ;   in Loop: Header=BB164_53 Depth=1
	v_lshl_add_u64 v[18:19], v[18:19], 0, v[10:11]
	global_load_dword v18, v[18:19], off
	s_waitcnt vmcnt(0)
	v_and_b32_e32 v19, 0xffff, v18
	v_lshrrev_b32_e32 v24, 16, v18
	v_cvt_pk_f32_fp8_e32 v[18:19], v19
	v_cvt_pk_f32_fp8_e32 v[36:37], v24
	v_pk_mul_f32 v[24:25], s[18:19], v[18:19]
	v_pk_mul_f32 v[18:19], s[18:19], v[36:37]
	s_and_saveexec_b64 s[18:19], s[0:1]
	s_cbranch_execz .LBB164_50
; %bb.60:                               ;   in Loop: Header=BB164_53 Depth=1
	v_add_u32_e32 v36, 1, v35
	v_cmp_gt_i32_e64 s[0:1], s35, v36
	v_or_b32_e32 v36, 3, v35
	s_nop 0
	v_cndmask_b32_e64 v25, 0, v25, s[0:1]
	v_cmp_gt_i32_e64 s[0:1], s33, v35
	v_or_b32_e32 v35, 2, v35
	s_nop 0
	v_cndmask_b32_e64 v24, 0, v24, s[0:1]
	v_cmp_gt_i32_e64 s[0:1], s35, v36
	s_nop 1
	v_cndmask_b32_e64 v19, 0, v19, s[0:1]
	v_cmp_gt_i32_e64 s[0:1], s33, v35
	s_nop 1
	v_cndmask_b32_e64 v18, 0, v18, s[0:1]
	s_branch .LBB164_50
.LBB164_61:
	s_or_b64 exec, exec, s[12:13]
.LBB164_62:
	s_or_b64 exec, exec, s[6:7]
	ds_bpermute_b32 v2, v28, v6
	ds_bpermute_b32 v3, v28, v7
	;; [unrolled: 1-line block ×3, first 2 shown]
	v_and_b32_e32 v5, 0x3c0, v0
	v_cmp_eq_u32_e64 s[0:1], 64, v5
	v_cmp_eq_u32_e32 vcc, 0, v30
	s_waitcnt lgkmcnt(1)
	v_pk_add_f32 v[2:3], v[6:7], v[2:3]
	s_waitcnt lgkmcnt(0)
	v_add_f32_e32 v4, v32, v4
	s_barrier
	s_and_saveexec_b64 s[2:3], s[0:1]
	s_cbranch_execz .LBB164_67
; %bb.63:
	s_and_saveexec_b64 s[0:1], vcc
; %bb.64:
	v_mov_b32_e32 v5, 0x150
	v_lshl_add_u32 v5, v29, 2, v5
	ds_write2_b32 v5, v2, v3 offset1:32
; %bb.65:
	s_or_b64 exec, exec, s[0:1]
	v_or_b32_e32 v5, 64, v29
	s_movk_i32 s0, 0x50
	v_cmp_gt_u32_e64 s[0:1], s0, v5
	s_and_b64 s[0:1], vcc, s[0:1]
	s_and_b64 exec, exec, s[0:1]
; %bb.66:
	v_mov_b32_e32 v5, 0x150
	v_lshl_add_u32 v5, v29, 2, v5
	ds_write_b32 v5, v4 offset:256
.LBB164_67:
	s_or_b64 exec, exec, s[2:3]
	v_cmp_gt_u32_e64 s[0:1], 64, v0
	s_waitcnt lgkmcnt(0)
	s_barrier
	s_and_saveexec_b64 s[6:7], s[0:1]
	s_cbranch_execz .LBB164_75
; %bb.68:
	s_and_saveexec_b64 s[2:3], vcc
	s_cbranch_execz .LBB164_70
; %bb.69:
	v_mov_b32_e32 v0, 0x150
	v_lshl_add_u32 v0, v1, 2, v0
	ds_read_b32 v0, v0
	s_waitcnt lgkmcnt(0)
	v_add_f32_e32 v2, v2, v0
.LBB164_70:
	s_or_b64 exec, exec, s[2:3]
	v_or_b32_e32 v0, 32, v1
	s_movk_i32 s8, 0x50
	v_cmp_gt_u32_e64 s[2:3], s8, v0
	s_and_b64 s[12:13], vcc, s[2:3]
	s_and_saveexec_b64 s[2:3], s[12:13]
	s_cbranch_execz .LBB164_72
; %bb.71:
	v_mov_b32_e32 v0, 0x150
	v_lshl_add_u32 v0, v1, 2, v0
	ds_read_b32 v0, v0 offset:128
	s_waitcnt lgkmcnt(0)
	v_add_f32_e32 v3, v3, v0
.LBB164_72:
	s_or_b64 exec, exec, s[2:3]
	v_or_b32_e32 v0, 64, v1
	v_cmp_gt_u32_e64 s[2:3], s8, v0
	s_and_b64 s[8:9], vcc, s[2:3]
	s_and_saveexec_b64 s[2:3], s[8:9]
	s_cbranch_execz .LBB164_74
; %bb.73:
	v_mov_b32_e32 v0, 0x150
	v_lshl_add_u32 v0, v1, 2, v0
	ds_read_b32 v0, v0 offset:256
	s_waitcnt lgkmcnt(0)
	v_add_f32_e32 v4, v4, v0
.LBB164_74:
	s_or_b64 exec, exec, s[2:3]
.LBB164_75:
	s_or_b64 exec, exec, s[6:7]
	s_barrier
	s_and_saveexec_b64 s[2:3], s[0:1]
	s_cbranch_execz .LBB164_82
; %bb.76:
	s_mul_i32 s0, s10, s11
	s_mul_i32 s0, s0, s5
	s_mulk_i32 s0, 0x50
	s_ashr_i32 s1, s0, 31
	s_lshl_b64 s[0:1], s[0:1], 2
	s_add_u32 s2, s26, s0
	s_mul_i32 s0, s11, s24
	s_addc_u32 s3, s27, s1
	s_ashr_i32 s1, s0, 31
	s_lshl_b64 s[0:1], s[0:1], 2
	s_add_u32 s2, s2, s0
	s_mul_i32 s0, s4, 0x50
	s_addc_u32 s3, s3, s1
	s_ashr_i32 s1, s0, 31
	s_lshl_b64 s[0:1], s[0:1], 2
	s_add_u32 s2, s2, s0
	s_movk_i32 s5, 0x50
	s_addc_u32 s3, s3, s1
	v_lshlrev_b32_e32 v0, 2, v1
	s_and_saveexec_b64 s[0:1], vcc
	s_cbranch_execz .LBB164_78
; %bb.77:
	global_store_dword v0, v2, s[2:3]
.LBB164_78:
	s_or_b64 exec, exec, s[0:1]
	v_or_b32_e32 v2, 32, v1
	v_cmp_gt_u32_e64 s[0:1], s5, v2
	s_and_b64 s[4:5], vcc, s[0:1]
	s_and_saveexec_b64 s[0:1], s[4:5]
	s_cbranch_execz .LBB164_80
; %bb.79:
	global_store_dword v0, v3, s[2:3] offset:128
.LBB164_80:
	s_or_b64 exec, exec, s[0:1]
	v_or_b32_e32 v1, 64, v1
	s_movk_i32 s0, 0x50
	v_cmp_gt_u32_e64 s[0:1], s0, v1
	s_and_b64 s[0:1], vcc, s[0:1]
	s_and_b64 exec, exec, s[0:1]
	s_cbranch_execz .LBB164_82
; %bb.81:
	global_store_dword v0, v4, s[2:3] offset:256
.LBB164_82:
	s_endpgm
	.section	.rodata,"a",@progbits
	.p2align	6, 0x0
	.amdhsa_kernel _ZN4vllm25paged_attention_v1_kernelIfhLi80ELi8ELi128ELNS_18Fp8KVCacheDataTypeE1ELb1EEEvPT_PKS2_PKT0_S8_ifPKiSA_iPKfiiiSC_SC_iiiii
		.amdhsa_group_segment_fixed_size 336
		.amdhsa_private_segment_fixed_size 0
		.amdhsa_kernarg_size 384
		.amdhsa_user_sgpr_count 2
		.amdhsa_user_sgpr_dispatch_ptr 0
		.amdhsa_user_sgpr_queue_ptr 0
		.amdhsa_user_sgpr_kernarg_segment_ptr 1
		.amdhsa_user_sgpr_dispatch_id 0
		.amdhsa_user_sgpr_kernarg_preload_length 0
		.amdhsa_user_sgpr_kernarg_preload_offset 0
		.amdhsa_user_sgpr_private_segment_size 0
		.amdhsa_uses_dynamic_stack 0
		.amdhsa_enable_private_segment 0
		.amdhsa_system_sgpr_workgroup_id_x 1
		.amdhsa_system_sgpr_workgroup_id_y 1
		.amdhsa_system_sgpr_workgroup_id_z 1
		.amdhsa_system_sgpr_workgroup_info 0
		.amdhsa_system_vgpr_workitem_id 0
		.amdhsa_next_free_vgpr 46
		.amdhsa_next_free_sgpr 48
		.amdhsa_accum_offset 48
		.amdhsa_reserve_vcc 1
		.amdhsa_float_round_mode_32 0
		.amdhsa_float_round_mode_16_64 0
		.amdhsa_float_denorm_mode_32 3
		.amdhsa_float_denorm_mode_16_64 3
		.amdhsa_dx10_clamp 1
		.amdhsa_ieee_mode 1
		.amdhsa_fp16_overflow 0
		.amdhsa_tg_split 0
		.amdhsa_exception_fp_ieee_invalid_op 0
		.amdhsa_exception_fp_denorm_src 0
		.amdhsa_exception_fp_ieee_div_zero 0
		.amdhsa_exception_fp_ieee_overflow 0
		.amdhsa_exception_fp_ieee_underflow 0
		.amdhsa_exception_fp_ieee_inexact 0
		.amdhsa_exception_int_div_zero 0
	.end_amdhsa_kernel
	.section	.text._ZN4vllm25paged_attention_v1_kernelIfhLi80ELi8ELi128ELNS_18Fp8KVCacheDataTypeE1ELb1EEEvPT_PKS2_PKT0_S8_ifPKiSA_iPKfiiiSC_SC_iiiii,"axG",@progbits,_ZN4vllm25paged_attention_v1_kernelIfhLi80ELi8ELi128ELNS_18Fp8KVCacheDataTypeE1ELb1EEEvPT_PKS2_PKT0_S8_ifPKiSA_iPKfiiiSC_SC_iiiii,comdat
.Lfunc_end164:
	.size	_ZN4vllm25paged_attention_v1_kernelIfhLi80ELi8ELi128ELNS_18Fp8KVCacheDataTypeE1ELb1EEEvPT_PKS2_PKT0_S8_ifPKiSA_iPKfiiiSC_SC_iiiii, .Lfunc_end164-_ZN4vllm25paged_attention_v1_kernelIfhLi80ELi8ELi128ELNS_18Fp8KVCacheDataTypeE1ELb1EEEvPT_PKS2_PKT0_S8_ifPKiSA_iPKfiiiSC_SC_iiiii
                                        ; -- End function
	.set _ZN4vllm25paged_attention_v1_kernelIfhLi80ELi8ELi128ELNS_18Fp8KVCacheDataTypeE1ELb1EEEvPT_PKS2_PKT0_S8_ifPKiSA_iPKfiiiSC_SC_iiiii.num_vgpr, 46
	.set _ZN4vllm25paged_attention_v1_kernelIfhLi80ELi8ELi128ELNS_18Fp8KVCacheDataTypeE1ELb1EEEvPT_PKS2_PKT0_S8_ifPKiSA_iPKfiiiSC_SC_iiiii.num_agpr, 0
	.set _ZN4vllm25paged_attention_v1_kernelIfhLi80ELi8ELi128ELNS_18Fp8KVCacheDataTypeE1ELb1EEEvPT_PKS2_PKT0_S8_ifPKiSA_iPKfiiiSC_SC_iiiii.numbered_sgpr, 48
	.set _ZN4vllm25paged_attention_v1_kernelIfhLi80ELi8ELi128ELNS_18Fp8KVCacheDataTypeE1ELb1EEEvPT_PKS2_PKT0_S8_ifPKiSA_iPKfiiiSC_SC_iiiii.num_named_barrier, 0
	.set _ZN4vllm25paged_attention_v1_kernelIfhLi80ELi8ELi128ELNS_18Fp8KVCacheDataTypeE1ELb1EEEvPT_PKS2_PKT0_S8_ifPKiSA_iPKfiiiSC_SC_iiiii.private_seg_size, 0
	.set _ZN4vllm25paged_attention_v1_kernelIfhLi80ELi8ELi128ELNS_18Fp8KVCacheDataTypeE1ELb1EEEvPT_PKS2_PKT0_S8_ifPKiSA_iPKfiiiSC_SC_iiiii.uses_vcc, 1
	.set _ZN4vllm25paged_attention_v1_kernelIfhLi80ELi8ELi128ELNS_18Fp8KVCacheDataTypeE1ELb1EEEvPT_PKS2_PKT0_S8_ifPKiSA_iPKfiiiSC_SC_iiiii.uses_flat_scratch, 0
	.set _ZN4vllm25paged_attention_v1_kernelIfhLi80ELi8ELi128ELNS_18Fp8KVCacheDataTypeE1ELb1EEEvPT_PKS2_PKT0_S8_ifPKiSA_iPKfiiiSC_SC_iiiii.has_dyn_sized_stack, 0
	.set _ZN4vllm25paged_attention_v1_kernelIfhLi80ELi8ELi128ELNS_18Fp8KVCacheDataTypeE1ELb1EEEvPT_PKS2_PKT0_S8_ifPKiSA_iPKfiiiSC_SC_iiiii.has_recursion, 0
	.set _ZN4vllm25paged_attention_v1_kernelIfhLi80ELi8ELi128ELNS_18Fp8KVCacheDataTypeE1ELb1EEEvPT_PKS2_PKT0_S8_ifPKiSA_iPKfiiiSC_SC_iiiii.has_indirect_call, 0
	.section	.AMDGPU.csdata,"",@progbits
; Kernel info:
; codeLenInByte = 4780
; TotalNumSgprs: 54
; NumVgprs: 46
; NumAgprs: 0
; TotalNumVgprs: 46
; ScratchSize: 0
; MemoryBound: 0
; FloatMode: 240
; IeeeMode: 1
; LDSByteSize: 336 bytes/workgroup (compile time only)
; SGPRBlocks: 6
; VGPRBlocks: 5
; NumSGPRsForWavesPerEU: 54
; NumVGPRsForWavesPerEU: 46
; AccumOffset: 48
; Occupancy: 8
; WaveLimiterHint : 1
; COMPUTE_PGM_RSRC2:SCRATCH_EN: 0
; COMPUTE_PGM_RSRC2:USER_SGPR: 2
; COMPUTE_PGM_RSRC2:TRAP_HANDLER: 0
; COMPUTE_PGM_RSRC2:TGID_X_EN: 1
; COMPUTE_PGM_RSRC2:TGID_Y_EN: 1
; COMPUTE_PGM_RSRC2:TGID_Z_EN: 1
; COMPUTE_PGM_RSRC2:TIDIG_COMP_CNT: 0
; COMPUTE_PGM_RSRC3_GFX90A:ACCUM_OFFSET: 11
; COMPUTE_PGM_RSRC3_GFX90A:TG_SPLIT: 0
	.section	.text._ZN4vllm25paged_attention_v1_kernelIfhLi96ELi8ELi128ELNS_18Fp8KVCacheDataTypeE1ELb1EEEvPT_PKS2_PKT0_S8_ifPKiSA_iPKfiiiSC_SC_iiiii,"axG",@progbits,_ZN4vllm25paged_attention_v1_kernelIfhLi96ELi8ELi128ELNS_18Fp8KVCacheDataTypeE1ELb1EEEvPT_PKS2_PKT0_S8_ifPKiSA_iPKfiiiSC_SC_iiiii,comdat
	.protected	_ZN4vllm25paged_attention_v1_kernelIfhLi96ELi8ELi128ELNS_18Fp8KVCacheDataTypeE1ELb1EEEvPT_PKS2_PKT0_S8_ifPKiSA_iPKfiiiSC_SC_iiiii ; -- Begin function _ZN4vllm25paged_attention_v1_kernelIfhLi96ELi8ELi128ELNS_18Fp8KVCacheDataTypeE1ELb1EEEvPT_PKS2_PKT0_S8_ifPKiSA_iPKfiiiSC_SC_iiiii
	.globl	_ZN4vllm25paged_attention_v1_kernelIfhLi96ELi8ELi128ELNS_18Fp8KVCacheDataTypeE1ELb1EEEvPT_PKS2_PKT0_S8_ifPKiSA_iPKfiiiSC_SC_iiiii
	.p2align	8
	.type	_ZN4vllm25paged_attention_v1_kernelIfhLi96ELi8ELi128ELNS_18Fp8KVCacheDataTypeE1ELb1EEEvPT_PKS2_PKT0_S8_ifPKiSA_iPKfiiiSC_SC_iiiii,@function
_ZN4vllm25paged_attention_v1_kernelIfhLi96ELi8ELi128ELNS_18Fp8KVCacheDataTypeE1ELb1EEEvPT_PKS2_PKT0_S8_ifPKiSA_iPKfiiiSC_SC_iiiii: ; @_ZN4vllm25paged_attention_v1_kernelIfhLi96ELi8ELi128ELNS_18Fp8KVCacheDataTypeE1ELb1EEEvPT_PKS2_PKT0_S8_ifPKiSA_iPKfiiiSC_SC_iiiii
; %bb.0:
	s_load_dword s5, s[0:1], 0x80
	s_load_dwordx2 s[6:7], s[0:1], 0x30
	s_load_dwordx2 s[36:37], s[0:1], 0x20
	s_mov_b32 s10, s3
	s_ashr_i32 s11, s3, 31
	s_lshl_b64 s[8:9], s[10:11], 2
	s_waitcnt lgkmcnt(0)
	s_add_u32 s6, s6, s8
	s_addc_u32 s7, s7, s9
	s_abs_i32 s3, s36
	v_cvt_f32_u32_e32 v1, s3
	s_sub_i32 s11, 0, s3
	s_abs_i32 s9, s5
	s_xor_b32 s8, s5, s36
	v_rcp_iflag_f32_e32 v1, v1
	s_ashr_i32 s8, s8, 31
	s_mov_b32 s44, 0
	v_mul_f32_e32 v1, 0x4f7ffffe, v1
	v_cvt_u32_f32_e32 v1, v1
	s_nop 0
	v_readfirstlane_b32 s12, v1
	s_mul_i32 s11, s11, s12
	s_mul_hi_u32 s11, s12, s11
	s_add_i32 s12, s12, s11
	s_mul_hi_u32 s11, s9, s12
	s_mul_i32 s12, s11, s3
	s_sub_i32 s9, s9, s12
	s_add_i32 s12, s11, 1
	s_sub_i32 s13, s9, s3
	s_cmp_ge_u32 s9, s3
	s_cselect_b32 s11, s12, s11
	s_cselect_b32 s9, s13, s9
	s_add_i32 s12, s11, 1
	s_cmp_ge_u32 s9, s3
	s_cselect_b32 s3, s12, s11
	s_xor_b32 s3, s3, s8
	s_sub_i32 s14, s3, s8
	s_abs_i32 s11, s14
	v_cvt_f32_u32_e32 v1, s11
	s_load_dwordx2 s[8:9], s[0:1], 0x40
	s_sub_i32 s3, 0, s11
	s_abs_i32 s12, s2
	v_rcp_iflag_f32_e32 v1, v1
	s_nop 0
	v_mul_f32_e32 v1, 0x4f7ffffe, v1
	v_cvt_u32_f32_e32 v1, v1
	s_nop 0
	v_readfirstlane_b32 s13, v1
	s_mul_i32 s3, s3, s13
	s_mul_hi_u32 s3, s13, s3
	s_add_i32 s13, s13, s3
	s_waitcnt lgkmcnt(0)
	s_cmp_eq_u64 s[8:9], 0
	s_mul_hi_u32 s13, s12, s13
	s_cbranch_scc1 .LBB165_2
; %bb.1:
	s_ashr_i32 s3, s2, 31
	s_lshl_b64 s[16:17], s[2:3], 2
	s_add_u32 s8, s8, s16
	s_addc_u32 s9, s9, s17
	s_load_dword s44, s[8:9], 0x0
.LBB165_2:
	s_load_dword s33, s[6:7], 0x0
	s_load_dwordx4 s[16:19], s[0:1], 0x48
	s_movk_i32 s3, 0x60
	s_ashr_i32 s8, s2, 31
	s_ashr_i32 s9, s14, 31
	v_and_b32_e32 v2, 7, v0
	s_mul_i32 s24, s2, 0x60
	v_cmp_gt_u32_e32 vcc, s3, v0
	v_lshlrev_b32_e32 v6, 2, v0
	v_lshrrev_b32_e32 v1, 1, v0
	s_and_saveexec_b64 s[6:7], vcc
	s_cbranch_execz .LBB165_4
; %bb.3:
	s_load_dwordx2 s[14:15], s[0:1], 0x8
	s_waitcnt lgkmcnt(0)
	s_mul_i32 s20, s16, s10
	s_ashr_i32 s21, s20, 31
	s_lshl_b64 s[20:21], s[20:21], 2
	v_and_b32_e32 v4, 0x1fc, v1
	s_add_u32 s3, s14, s20
	s_addc_u32 s16, s15, s21
	s_ashr_i32 s25, s24, 31
	s_lshl_b64 s[14:15], s[24:25], 2
	s_add_u32 s14, s3, s14
	s_addc_u32 s15, s16, s15
	global_load_dword v3, v6, s[14:15]
	v_mad_u32_u24 v4, v2, 48, v4
	s_waitcnt vmcnt(0)
	ds_write_b32 v4, v3
.LBB165_4:
	s_or_b64 exec, exec, s[6:7]
	s_mul_i32 s7, s13, s11
	s_sub_i32 s7, s12, s7
	s_xor_b32 s6, s8, s9
	s_add_i32 s8, s13, 1
	s_sub_i32 s9, s7, s11
	s_load_dwordx4 s[20:23], s[0:1], 0x68
	s_load_dword s3, s[0:1], 0x78
	s_cmp_ge_u32 s7, s11
	s_cselect_b32 s8, s8, s13
	s_cselect_b32 s7, s9, s7
	s_add_i32 s9, s8, 1
	s_cmp_ge_u32 s7, s11
	s_cselect_b32 s7, s9, s8
	s_waitcnt lgkmcnt(0)
	s_abs_i32 s25, s23
	v_cvt_f32_u32_e32 v3, s25
	s_xor_b32 s7, s7, s6
	s_sub_i32 s43, s7, s6
	s_sub_i32 s6, 0, s25
	v_rcp_iflag_f32_e32 v3, v3
	s_add_i32 s11, s33, -1
	s_abs_i32 s8, s11
	v_mul_f32_e32 v3, 0x4f7ffffe, v3
	v_cvt_u32_f32_e32 v3, v3
	s_barrier
	v_readfirstlane_b32 s42, v3
	s_mul_i32 s6, s6, s42
	s_mul_hi_u32 s6, s42, s6
	s_add_i32 s42, s42, s6
	s_cmp_lt_i32 s3, 0
	s_mul_hi_u32 s9, s8, s42
	s_cbranch_scc0 .LBB165_6
; %bb.5:
	s_mul_i32 s6, s20, s36
	s_add_i32 s6, s43, s6
	s_mul_i32 s6, s6, s3
	s_sub_i32 s36, 1, s6
	s_mov_b64 s[6:7], 0
	s_branch .LBB165_7
.LBB165_6:
	s_mov_b64 s[6:7], -1
                                        ; implicit-def: $sgpr36
.LBB165_7:
	s_load_dwordx2 s[28:29], s[0:1], 0x28
	s_ashr_i32 s16, s11, 31
	s_andn2_b64 vcc, exec, s[6:7]
	s_ashr_i32 s23, s23, 31
	s_cbranch_vccnz .LBB165_9
; %bb.8:
	s_mul_i32 s6, s5, s20
	s_add_i32 s2, s6, s2
	s_mul_i32 s2, s2, s3
	s_add_i32 s36, s2, 1
.LBB165_9:
	s_load_dword s2, s[0:1], 0x38
	s_load_dwordx2 s[26:27], s[0:1], 0x0
	s_load_dwordx2 s[34:35], s[0:1], 0x18
	s_load_dword s11, s[0:1], 0x88
	s_load_dwordx4 s[12:15], s[0:1], 0x58
	s_mul_i32 s3, s9, s25
	s_waitcnt lgkmcnt(0)
	s_mul_i32 s30, s2, s10
	s_sub_i32 s3, s8, s3
	s_ashr_i32 s31, s30, 31
	s_xor_b32 s2, s16, s23
	s_add_i32 s6, s9, 1
	s_sub_i32 s7, s3, s25
	s_cmp_ge_u32 s3, s25
	s_cselect_b32 s6, s6, s9
	s_cselect_b32 s3, s7, s3
	s_add_i32 s7, s6, 1
	s_cmp_ge_u32 s3, s25
	s_cselect_b32 s3, s7, s6
	s_xor_b32 s3, s3, s2
	s_sub_i32 s16, s3, s2
	s_add_i32 s2, s33, 7
	s_ashr_i32 s3, s2, 31
	s_lshr_b32 s3, s3, 29
	s_add_i32 s2, s2, s3
	s_ashr_i32 s20, s2, 3
	v_lshrrev_b32_e32 v26, 6, v0
	v_cmp_gt_i32_e64 s[6:7], s20, v26
	v_mov_b32_e32 v10, 0xff7fffff
	s_mul_i32 s43, s43, s18
	v_lshrrev_b32_e32 v12, 4, v0
	v_lshlrev_b32_e32 v27, 3, v26
	v_mbcnt_lo_u32_b32 v7, -1, 0
	s_and_saveexec_b64 s[18:19], s[6:7]
	s_cbranch_execz .LBB165_21
; %bb.10:
	s_load_dwordx2 s[0:1], s[0:1], 0x10
	s_sub_i32 s45, s16, s21
	s_ashr_i32 s2, s43, 31
	v_bfe_u32 v8, v0, 3, 3
	v_mov_b32_e32 v5, 0
	s_waitcnt lgkmcnt(0)
	s_add_u32 s0, s0, s43
	s_addc_u32 s1, s1, s2
	s_abs_i32 s46, s22
	v_cvt_f32_u32_e32 v3, s46
	v_lshlrev_b32_e32 v4, 4, v8
	v_lshl_add_u64 v[14:15], s[0:1], 0, v[4:5]
	s_sub_i32 s0, 0, s46
	v_rcp_iflag_f32_e32 v3, v3
	v_cmp_eq_u32_e32 vcc, 0, v2
	v_mul_u32_u24_e32 v9, 48, v2
	v_mbcnt_hi_u32_b32 v17, -1, v7
	v_mul_f32_e32 v3, 0x4f7ffffe, v3
	v_cvt_u32_f32_e32 v10, v3
	v_mov_b32_e32 v3, v5
	v_lshl_add_u64 v[2:3], v[14:15], 0, v[2:3]
	s_mov_b32 s47, s17
	v_mul_lo_u32 v4, s0, v10
	v_mul_hi_u32 v4, v10, v4
	v_add_u32_e32 v11, v10, v4
	v_subrev_u32_e32 v10, s33, v8
	s_lshl_b64 s[0:1], s[30:31], 2
	v_add_u32_e32 v14, 1, v10
	v_lshlrev_b32_e32 v10, 2, v8
	s_add_u32 s0, s28, s0
	v_lshl_or_b32 v10, v26, 5, v10
	v_and_b32_e32 v4, 60, v12
	s_addc_u32 s1, s29, s1
	v_add_u32_e32 v15, 0x190, v10
	v_and_b32_e32 v10, 64, v17
	v_cmp_neq_f32_e64 s[2:3], s44, 0
	v_lshl_add_u64 v[4:5], s[0:1], 0, v[4:5]
	v_lshlrev_b32_e32 v13, 3, v26
	v_mov_b32_e32 v16, 0xff7fffff
	s_mov_b64 s[38:39], 0
	v_add_u32_e32 v18, 64, v10
	v_xor_b32_e32 v19, 4, v17
	v_xor_b32_e32 v20, 2, v17
	;; [unrolled: 1-line block ×3, first 2 shown]
	v_mov_b32_e32 v10, 0xff7fffff
	v_mov_b32_e32 v22, v26
	s_branch .LBB165_13
.LBB165_11:                             ;   in Loop: Header=BB165_13 Depth=1
	s_or_b64 exec, exec, s[40:41]
.LBB165_12:                             ;   in Loop: Header=BB165_13 Depth=1
	s_or_b64 exec, exec, s[8:9]
	v_add_u32_e32 v22, 2, v22
	v_cmp_le_i32_e64 s[0:1], s20, v22
	v_lshl_add_u64 v[4:5], v[4:5], 0, 8
	v_add_u32_e32 v13, 16, v13
	s_or_b64 s[38:39], s[0:1], s[38:39]
	v_add_u32_e32 v15, 64, v15
	s_andn2_b64 exec, exec, s[38:39]
	s_cbranch_execz .LBB165_20
.LBB165_13:                             ; =>This Inner Loop Header: Depth=1
	v_mul_hi_u32 v23, v13, s42
	s_waitcnt lgkmcnt(0)
	v_mul_lo_u32 v24, v23, s25
	v_sub_u32_e32 v24, v13, v24
	v_add_u32_e32 v25, 1, v23
	v_cmp_le_u32_e64 s[0:1], s25, v24
	s_nop 1
	v_cndmask_b32_e64 v23, v23, v25, s[0:1]
	v_subrev_u32_e32 v25, s25, v24
	v_cndmask_b32_e64 v24, v24, v25, s[0:1]
	v_add_u32_e32 v25, 1, v23
	v_cmp_le_u32_e64 s[0:1], s25, v24
	s_nop 1
	v_cndmask_b32_e64 v23, v23, v25, s[0:1]
	v_xor_b32_e32 v23, s23, v23
	v_subrev_u32_e32 v23, s23, v23
	v_add_u32_e32 v24, s36, v23
	v_sub_u32_e32 v28, 0, v24
	v_ashrrev_i32_e32 v25, 31, v24
	v_max_i32_e32 v24, v24, v28
	v_mul_hi_u32 v28, v24, v11
	v_mul_lo_u32 v28, v28, s46
	v_sub_u32_e32 v24, v24, v28
	v_subrev_u32_e32 v28, s46, v24
	v_cmp_le_u32_e64 s[0:1], s46, v24
	v_cmp_ge_i32_e64 s[8:9], s45, v23
	s_nop 0
	v_cndmask_b32_e64 v24, v24, v28, s[0:1]
	v_subrev_u32_e32 v28, s46, v24
	v_cmp_le_u32_e64 s[0:1], s46, v24
	s_nop 1
	v_cndmask_b32_e64 v24, v24, v28, s[0:1]
	v_xor_b32_e32 v24, v24, v25
	v_sub_u32_e32 v24, v24, v25
	v_cmp_ne_u32_e64 s[0:1], 0, v24
	s_and_b64 s[0:1], s[0:1], s[8:9]
	s_and_saveexec_b64 s[8:9], s[0:1]
	s_xor_b64 s[0:1], exec, s[8:9]
	s_cbranch_execz .LBB165_17
; %bb.14:                               ;   in Loop: Header=BB165_13 Depth=1
	s_and_saveexec_b64 s[8:9], vcc
; %bb.15:                               ;   in Loop: Header=BB165_13 Depth=1
	ds_write_b32 v15, v16
; %bb.16:                               ;   in Loop: Header=BB165_13 Depth=1
	s_or_b64 exec, exec, s[8:9]
.LBB165_17:                             ;   in Loop: Header=BB165_13 Depth=1
	s_andn2_saveexec_b64 s[8:9], s[0:1]
	s_cbranch_execz .LBB165_12
; %bb.18:                               ;   in Loop: Header=BB165_13 Depth=1
	global_load_dword v23, v[4:5], off
	s_waitcnt vmcnt(0)
	v_mad_i64_i32 v[24:25], s[0:1], v23, s47, v[2:3]
	global_load_ubyte v23, v[24:25], off
	global_load_ubyte v40, v[24:25], off offset:8
	global_load_ubyte v41, v[24:25], off offset:128
	global_load_ubyte v42, v[24:25], off offset:136
	global_load_ubyte v43, v[24:25], off offset:256
	global_load_ubyte v44, v[24:25], off offset:264
	global_load_ubyte v45, v[24:25], off offset:384
	global_load_ubyte v46, v[24:25], off offset:392
	global_load_ubyte v47, v[24:25], off offset:512
	global_load_ubyte v48, v[24:25], off offset:520
	global_load_ubyte v49, v[24:25], off offset:640
	global_load_ubyte v50, v[24:25], off offset:648
	v_cmp_lt_i32_e64 s[0:1], v19, v18
	ds_read_b128 v[28:31], v9
	ds_read_b128 v[32:35], v9 offset:16
	ds_read_b128 v[36:39], v9 offset:32
	v_cndmask_b32_e64 v24, v17, v19, s[0:1]
	s_load_dword s0, s[12:13], 0x0
	v_lshlrev_b32_e32 v24, 2, v24
	s_waitcnt vmcnt(11)
	v_cvt_f32_fp8_e32 v23, v23
	s_waitcnt vmcnt(10)
	v_cvt_f32_fp8_e32 v25, v40
	;; [unrolled: 2-line block ×5, first 2 shown]
	s_waitcnt lgkmcnt(0)
	v_mul_f32_e32 v25, s0, v25
	s_waitcnt vmcnt(6)
	v_cvt_f32_fp8_e32 v43, v44
	v_mul_f32_e32 v23, s0, v23
	v_mul_f32_e32 v25, v29, v25
	s_waitcnt vmcnt(5)
	v_cvt_f32_fp8_e32 v44, v45
	v_mul_f32_e32 v40, s0, v40
	v_fmac_f32_e32 v25, v28, v23
	s_waitcnt vmcnt(4)
	v_cvt_f32_fp8_e32 v45, v46
	v_mul_f32_e32 v41, s0, v41
	v_fmac_f32_e32 v25, v30, v40
	;; [unrolled: 4-line block ×6, first 2 shown]
	v_mul_f32_e32 v46, s0, v46
	v_fmac_f32_e32 v25, v35, v45
	v_mul_f32_e32 v47, s0, v47
	v_fmac_f32_e32 v25, v36, v46
	;; [unrolled: 2-line block ×4, first 2 shown]
	v_fmac_f32_e32 v25, v39, v49
	ds_bpermute_b32 v23, v24, v25
	v_cmp_lt_i32_e64 s[0:1], v20, v18
	s_waitcnt lgkmcnt(0)
	v_add_f32_e32 v23, v25, v23
	v_cndmask_b32_e64 v24, v17, v20, s[0:1]
	v_lshlrev_b32_e32 v24, 2, v24
	ds_bpermute_b32 v24, v24, v23
	v_cmp_lt_i32_e64 s[0:1], v21, v18
	s_waitcnt lgkmcnt(0)
	v_add_f32_e32 v23, v23, v24
	v_cndmask_b32_e64 v25, v17, v21, s[0:1]
	v_lshlrev_b32_e32 v25, 2, v25
	ds_bpermute_b32 v24, v25, v23
	s_and_saveexec_b64 s[40:41], vcc
	s_cbranch_execz .LBB165_11
; %bb.19:                               ;   in Loop: Header=BB165_13 Depth=1
	v_add_u32_e32 v25, v14, v13
	v_cvt_f32_i32_e32 v25, v25
	s_waitcnt lgkmcnt(0)
	v_add_f32_e32 v23, v23, v24
	v_add_u32_e32 v28, v8, v13
	v_cmp_gt_i32_e64 s[0:1], s33, v28
	v_mul_f32_e32 v24, s44, v25
	v_cndmask_b32_e64 v24, 0, v24, s[2:3]
	v_fmac_f32_e32 v24, s37, v23
	v_cndmask_b32_e64 v23, 0, v24, s[0:1]
	ds_write_b32 v15, v23
	v_max_f32_e32 v23, v10, v10
	v_max_f32_e32 v23, v23, v24
	v_cndmask_b32_e64 v10, v10, v23, s[0:1]
	s_branch .LBB165_11
.LBB165_20:
	s_or_b64 exec, exec, s[38:39]
.LBB165_21:
	s_or_b64 exec, exec, s[18:19]
	v_mbcnt_hi_u32_b32 v2, -1, v7
	v_and_b32_e32 v11, 64, v2
	v_add_u32_e32 v3, 64, v11
	v_xor_b32_e32 v4, 32, v2
	v_cmp_lt_i32_e32 vcc, v4, v3
	v_xor_b32_e32 v8, 16, v2
	v_max_f32_e32 v7, v10, v10
	v_cndmask_b32_e32 v4, v2, v4, vcc
	v_lshlrev_b32_e32 v5, 2, v4
	ds_bpermute_b32 v4, v5, v10
	v_cmp_lt_i32_e32 vcc, v8, v3
	v_xor_b32_e32 v9, 8, v2
	v_and_b32_e32 v28, 63, v0
	s_waitcnt lgkmcnt(0)
	v_max_f32_e32 v4, v4, v4
	v_max_f32_e32 v4, v7, v4
	v_cndmask_b32_e32 v7, v2, v8, vcc
	v_lshlrev_b32_e32 v8, 2, v7
	ds_bpermute_b32 v7, v8, v4
	v_cmp_lt_i32_e32 vcc, v9, v3
	s_waitcnt lgkmcnt(0)
	v_max_f32_e32 v7, v7, v7
	v_max_f32_e32 v7, v4, v7
	v_cndmask_b32_e32 v4, v2, v9, vcc
	v_lshlrev_b32_e32 v9, 2, v4
	ds_bpermute_b32 v10, v9, v7
	v_cmp_eq_u32_e32 vcc, 0, v28
	v_lshlrev_b32_e32 v4, 2, v26
	s_and_saveexec_b64 s[0:1], vcc
	s_cbranch_execz .LBB165_23
; %bb.22:
	s_waitcnt lgkmcnt(0)
	v_max_f32_e32 v10, v10, v10
	v_max_f32_e32 v7, v7, v7
	;; [unrolled: 1-line block ×3, first 2 shown]
	ds_write_b32 v4, v7 offset:384
.LBB165_23:
	s_or_b64 exec, exec, s[0:1]
	v_cmp_gt_u32_e64 s[0:1], 2, v28
	s_waitcnt lgkmcnt(0)
	v_mov_b32_e32 v10, 0xff7fffff
	v_lshlrev_b32_e32 v7, 2, v28
	s_barrier
	s_and_saveexec_b64 s[2:3], s[0:1]
; %bb.24:
	ds_read_b32 v10, v7 offset:384
; %bb.25:
	s_or_b64 exec, exec, s[2:3]
	v_xor_b32_e32 v13, 1, v2
	v_cmp_lt_i32_e64 s[2:3], v13, v3
	v_lshlrev_b32_e32 v11, 2, v11
	s_nop 0
	v_cndmask_b32_e64 v13, v2, v13, s[2:3]
	v_lshlrev_b32_e32 v29, 2, v13
	s_waitcnt lgkmcnt(0)
	ds_bpermute_b32 v13, v29, v10
	v_max_f32_e32 v10, v10, v10
	s_lshl_b32 s2, s20, 3
	s_min_i32 s37, s2, s33
	v_cmp_gt_i32_e64 s[2:3], s37, v0
	s_waitcnt lgkmcnt(0)
	v_max_f32_e32 v13, v13, v13
	v_max_f32_e32 v10, v10, v13
	ds_bpermute_b32 v11, v11, v10
	v_mov_b32_e32 v10, 0
	s_and_saveexec_b64 s[12:13], s[2:3]
	s_cbranch_execz .LBB165_29
; %bb.26:
	v_mov_b32_e32 v10, 0x190
	v_lshl_add_u32 v13, v0, 2, v10
	v_mov_b32_e32 v10, 0
	s_mov_b64 s[18:19], 0
	v_mov_b32_e32 v14, v0
.LBB165_27:                             ; =>This Inner Loop Header: Depth=1
	ds_read_b32 v15, v13
	v_add_u32_e32 v14, 0x80, v14
	v_cmp_le_i32_e64 s[8:9], s37, v14
	s_or_b64 s[18:19], s[8:9], s[18:19]
	s_waitcnt lgkmcnt(0)
	v_sub_f32_e32 v15, v15, v11
	v_mul_f32_e32 v15, 0x3fb8aa3b, v15
	v_exp_f32_e32 v15, v15
	ds_write_b32 v13, v15
	v_add_f32_e32 v10, v10, v15
	v_add_u32_e32 v13, 0x200, v13
	s_andn2_b64 exec, exec, s[18:19]
	s_cbranch_execnz .LBB165_27
; %bb.28:
	s_or_b64 exec, exec, s[18:19]
.LBB165_29:
	s_or_b64 exec, exec, s[12:13]
	ds_bpermute_b32 v5, v5, v10
	s_waitcnt lgkmcnt(0)
	v_add_f32_e32 v5, v10, v5
	ds_bpermute_b32 v8, v8, v5
	s_waitcnt lgkmcnt(0)
	v_add_f32_e32 v5, v5, v8
	ds_bpermute_b32 v8, v9, v5
	v_xor_b32_e32 v9, 4, v2
	v_cmp_lt_i32_e64 s[8:9], v9, v3
	s_waitcnt lgkmcnt(0)
	v_add_f32_e32 v5, v5, v8
	v_cndmask_b32_e64 v9, v2, v9, s[8:9]
	v_lshlrev_b32_e32 v9, 2, v9
	ds_bpermute_b32 v8, v9, v5
	v_xor_b32_e32 v9, 2, v2
	v_cmp_lt_i32_e64 s[8:9], v9, v3
	s_waitcnt lgkmcnt(0)
	v_add_f32_e32 v5, v5, v8
	v_cndmask_b32_e64 v3, v2, v9, s[8:9]
	v_lshlrev_b32_e32 v3, 2, v3
	ds_bpermute_b32 v3, v3, v5
	s_waitcnt lgkmcnt(0)
	v_add_f32_e32 v3, v5, v3
	ds_bpermute_b32 v5, v29, v3
	s_waitcnt lgkmcnt(0)
	v_add_f32_e32 v3, v3, v5
	s_and_saveexec_b64 s[8:9], vcc
; %bb.30:
	ds_write_b32 v4, v3 offset:392
; %bb.31:
	s_or_b64 exec, exec, s[8:9]
	s_waitcnt lgkmcnt(0)
	s_barrier
	s_and_saveexec_b64 s[8:9], s[0:1]
; %bb.32:
	ds_read_b32 v3, v7 offset:392
; %bb.33:
	s_or_b64 exec, exec, s[8:9]
	s_waitcnt lgkmcnt(0)
	ds_bpermute_b32 v4, v29, v3
	v_lshlrev_b32_e32 v2, 2, v2
	v_and_b32_e32 v2, 0x100, v2
	s_waitcnt lgkmcnt(0)
	v_add_f32_e32 v3, v3, v4
	ds_bpermute_b32 v2, v2, v3
	s_and_saveexec_b64 s[0:1], s[2:3]
	s_cbranch_execz .LBB165_46
; %bb.34:
	s_waitcnt lgkmcnt(0)
	v_add_f32_e32 v2, 0x358637bd, v2
	v_div_scale_f32 v3, s[2:3], v2, v2, 1.0
	v_rcp_f32_e32 v4, v3
	v_div_scale_f32 v5, vcc, 1.0, v2, 1.0
	s_movk_i32 s2, 0x7f
	v_fma_f32 v7, -v3, v4, 1.0
	v_fmac_f32_e32 v4, v7, v4
	v_mul_f32_e32 v7, v5, v4
	v_fma_f32 v8, -v3, v7, v5
	v_fmac_f32_e32 v7, v8, v4
	v_fma_f32 v3, -v3, v7, v5
	v_div_fmas_f32 v3, v3, v4, v7
	v_xad_u32 v4, v0, -1, s37
	v_div_fixup_f32 v2, v3, v2, 1.0
	v_cmp_lt_u32_e32 vcc, s2, v4
	s_mov_b64 s[8:9], -1
	v_mov_b32_e32 v3, v0
	s_and_saveexec_b64 s[2:3], vcc
	s_cbranch_execz .LBB165_43
; %bb.35:
	v_lshrrev_b32_e32 v4, 7, v4
	v_add_u32_e32 v7, -1, v4
	v_lshrrev_b32_e32 v5, 1, v7
	v_mov_b32_e32 v3, v2
	v_add_u32_e32 v5, 1, v5
	v_cmp_lt_u32_e32 vcc, 13, v7
	v_mov_b32_e32 v9, 0
	s_and_saveexec_b64 s[8:9], vcc
	s_cbranch_execz .LBB165_39
; %bb.36:
	v_mov_b32_e32 v8, 0x190
	v_and_b32_e32 v7, -8, v5
	v_lshl_add_u32 v8, v0, 2, v8
	s_mov_b32 s18, 0
	s_mov_b64 s[12:13], 0
.LBB165_37:                             ; =>This Inner Loop Header: Depth=1
	ds_read2st64_b32 v[10:11], v8 offset1:2
	ds_read2st64_b32 v[14:15], v8 offset0:4 offset1:6
	ds_read2st64_b32 v[16:17], v8 offset0:8 offset1:10
	;; [unrolled: 1-line block ×3, first 2 shown]
	v_add_u32_e32 v7, -8, v7
	s_waitcnt lgkmcnt(3)
	v_pk_mul_f32 v[10:11], v[2:3], v[10:11]
	s_waitcnt lgkmcnt(2)
	v_pk_mul_f32 v[14:15], v[2:3], v[14:15]
	ds_write2st64_b32 v8, v10, v11 offset1:2
	ds_write2st64_b32 v8, v14, v15 offset0:4 offset1:6
	ds_read2st64_b32 v[14:15], v8 offset0:16 offset1:18
	s_waitcnt lgkmcnt(4)
	v_pk_mul_f32 v[10:11], v[2:3], v[16:17]
	ds_write2st64_b32 v8, v10, v11 offset0:8 offset1:10
	s_waitcnt lgkmcnt(4)
	v_pk_mul_f32 v[10:11], v[2:3], v[18:19]
	ds_write2st64_b32 v8, v10, v11 offset0:12 offset1:14
	ds_read2st64_b32 v[10:11], v8 offset0:20 offset1:22
	s_waitcnt lgkmcnt(3)
	v_pk_mul_f32 v[14:15], v[2:3], v[14:15]
	ds_read2st64_b32 v[16:17], v8 offset0:24 offset1:26
	ds_write2st64_b32 v8, v14, v15 offset0:16 offset1:18
	ds_read2st64_b32 v[14:15], v8 offset0:28 offset1:30
	s_waitcnt lgkmcnt(3)
	v_pk_mul_f32 v[10:11], v[2:3], v[10:11]
	ds_write2st64_b32 v8, v10, v11 offset0:20 offset1:22
	s_waitcnt lgkmcnt(3)
	v_pk_mul_f32 v[10:11], v[2:3], v[16:17]
	ds_write2st64_b32 v8, v10, v11 offset0:24 offset1:26
	s_waitcnt lgkmcnt(2)
	v_pk_mul_f32 v[10:11], v[2:3], v[14:15]
	s_add_i32 s18, s18, 16
	v_cmp_eq_u32_e32 vcc, 0, v7
	ds_write2st64_b32 v8, v10, v11 offset0:28 offset1:30
	v_add_u32_e32 v8, 0x2000, v8
	s_or_b64 s[12:13], vcc, s[12:13]
	v_mov_b32_e32 v9, s18
	s_andn2_b64 exec, exec, s[12:13]
	s_cbranch_execnz .LBB165_37
; %bb.38:
	s_or_b64 exec, exec, s[12:13]
.LBB165_39:
	s_or_b64 exec, exec, s[8:9]
	v_and_b32_e32 v5, 7, v5
	v_cmp_ne_u32_e32 vcc, 0, v5
	s_and_saveexec_b64 s[8:9], vcc
	s_cbranch_execz .LBB165_42
; %bb.40:
	v_lshlrev_b32_e32 v7, 9, v9
	s_movk_i32 s12, 0x190
	v_add3_u32 v7, v7, v6, s12
	s_mov_b64 s[12:13], 0
.LBB165_41:                             ; =>This Inner Loop Header: Depth=1
	ds_read2st64_b32 v[8:9], v7 offset1:2
	v_add_u32_e32 v5, -1, v5
	v_cmp_eq_u32_e32 vcc, 0, v5
	s_or_b64 s[12:13], vcc, s[12:13]
	s_waitcnt lgkmcnt(0)
	v_pk_mul_f32 v[8:9], v[2:3], v[8:9]
	ds_write2st64_b32 v7, v8, v9 offset1:2
	v_add_u32_e32 v7, 0x400, v7
	s_andn2_b64 exec, exec, s[12:13]
	s_cbranch_execnz .LBB165_41
.LBB165_42:
	s_or_b64 exec, exec, s[8:9]
	v_add_u32_e32 v4, 1, v4
	v_and_b32_e32 v5, 0x3fffffe, v4
	v_cmp_ne_u32_e32 vcc, v4, v5
	v_lshl_add_u32 v3, v5, 7, v0
	s_orn2_b64 s[8:9], vcc, exec
.LBB165_43:
	s_or_b64 exec, exec, s[2:3]
	s_and_b64 exec, exec, s[8:9]
	s_cbranch_execz .LBB165_46
; %bb.44:
	v_mov_b32_e32 v4, 0x190
	v_lshl_add_u32 v4, v3, 2, v4
	s_mov_b64 s[2:3], 0
.LBB165_45:                             ; =>This Inner Loop Header: Depth=1
	ds_read_b32 v5, v4
	v_add_u32_e32 v3, 0x80, v3
	v_cmp_le_i32_e32 vcc, s37, v3
	s_or_b64 s[2:3], vcc, s[2:3]
	s_waitcnt lgkmcnt(0)
	v_mul_f32_e32 v5, v2, v5
	ds_write_b32 v4, v5
	v_add_u32_e32 v4, 0x200, v4
	s_andn2_b64 exec, exec, s[2:3]
	s_cbranch_execnz .LBB165_45
.LBB165_46:
	s_or_b64 exec, exec, s[0:1]
	v_mov_b32_e32 v9, 0
	v_and_b32_e32 v30, 1, v0
	v_mov_b32_e32 v8, 0
	v_mov_b32_e32 v7, 0
	s_waitcnt lgkmcnt(0)
	s_barrier
	s_and_saveexec_b64 s[2:3], s[6:7]
	s_cbranch_execz .LBB165_58
; %bb.47:
	s_sub_i32 s18, s16, s21
	s_ashr_i32 s1, s43, 31
	s_add_u32 s0, s34, s43
	s_addc_u32 s1, s35, s1
	s_abs_i32 s19, s22
	v_cvt_f32_u32_e32 v2, s19
	v_and_b32_e32 v31, 4, v6
	v_and_b32_e32 v6, 0xfc, v6
	v_mov_b32_e32 v7, 0
	v_rcp_iflag_f32_e32 v2, v2
	v_lshl_add_u64 v[10:11], s[0:1], 0, v[6:7]
	s_sub_i32 s0, 0, s19
	s_add_i32 s22, s20, -1
	v_mul_f32_e32 v2, 0x4f7ffffe, v2
	v_cvt_u32_f32_e32 v2, v2
	v_and_b32_e32 v6, 60, v12
	s_mov_b32 s21, s17
	s_mov_b32 s34, s33
	v_mul_lo_u32 v3, s0, v2
	v_mul_hi_u32 v3, v2, v3
	s_lshl_b64 s[0:1], s[30:31], 2
	v_add_u32_e32 v32, v2, v3
	s_add_u32 s0, s28, s0
	v_lshlrev_b32_e32 v2, 4, v30
	s_addc_u32 s1, s29, s1
	v_lshl_or_b32 v2, v26, 5, v2
	v_lshl_add_u64 v[12:13], s[0:1], 0, v[6:7]
	v_add_u32_e32 v6, 0x190, v2
	s_mov_b64 s[6:7], 0
	v_mov_b32_e32 v8, v7
	v_mov_b32_e32 v9, v7
	s_branch .LBB165_50
.LBB165_48:                             ;   in Loop: Header=BB165_50 Depth=1
	s_or_b64 exec, exec, s[0:1]
	v_mul_f32_e32 v22, v2, v22
	v_mul_f32_e32 v16, v2, v16
	v_fmac_f32_e32 v22, v3, v23
	v_fmac_f32_e32 v16, v3, v17
	;; [unrolled: 1-line block ×4, first 2 shown]
	v_pk_mul_f32 v[2:3], v[2:3], v[24:25]
	v_fmac_f32_e32 v22, v5, v21
	v_fmac_f32_e32 v16, v5, v15
	v_pk_mul_f32 v[4:5], v[4:5], v[18:19]
	v_add_f32_e32 v2, v3, v2
	v_add_f32_e32 v2, v4, v2
	;; [unrolled: 1-line block ×6, first 2 shown]
.LBB165_49:                             ;   in Loop: Header=BB165_50 Depth=1
	s_or_b64 exec, exec, s[8:9]
	v_add_u32_e32 v26, 2, v26
	v_cmp_le_i32_e32 vcc, s20, v26
	v_lshl_add_u64 v[12:13], v[12:13], 0, 8
	v_add_u32_e32 v27, 16, v27
	s_or_b64 s[6:7], vcc, s[6:7]
	v_add_u32_e32 v6, 64, v6
	s_andn2_b64 exec, exec, s[6:7]
	s_cbranch_execz .LBB165_57
.LBB165_50:                             ; =>This Inner Loop Header: Depth=1
	v_mul_hi_u32 v2, v27, s42
	v_mul_lo_u32 v3, v2, s25
	v_sub_u32_e32 v3, v27, v3
	v_add_u32_e32 v4, 1, v2
	v_cmp_le_u32_e32 vcc, s25, v3
	s_nop 1
	v_cndmask_b32_e32 v2, v2, v4, vcc
	v_subrev_u32_e32 v4, s25, v3
	v_cndmask_b32_e32 v3, v3, v4, vcc
	v_add_u32_e32 v4, 1, v2
	v_cmp_le_u32_e32 vcc, s25, v3
	s_nop 1
	v_cndmask_b32_e32 v2, v2, v4, vcc
	v_xor_b32_e32 v2, s23, v2
	v_subrev_u32_e32 v2, s23, v2
	v_add_u32_e32 v3, s36, v2
	v_sub_u32_e32 v5, 0, v3
	v_ashrrev_i32_e32 v4, 31, v3
	v_max_i32_e32 v3, v3, v5
	v_mul_hi_u32 v5, v3, v32
	v_mul_lo_u32 v5, v5, s19
	v_sub_u32_e32 v3, v3, v5
	v_subrev_u32_e32 v5, s19, v3
	v_cmp_le_u32_e32 vcc, s19, v3
	v_cmp_lt_i32_e64 s[0:1], s18, v2
	s_nop 0
	v_cndmask_b32_e32 v3, v3, v5, vcc
	v_subrev_u32_e32 v5, s19, v3
	v_cmp_le_u32_e32 vcc, s19, v3
	s_nop 1
	v_cndmask_b32_e32 v3, v3, v5, vcc
	v_xor_b32_e32 v3, v3, v4
	v_sub_u32_e32 v3, v3, v4
	v_cmp_eq_u32_e32 vcc, 0, v3
	s_or_b64 s[0:1], vcc, s[0:1]
	s_and_saveexec_b64 s[8:9], s[0:1]
	s_cbranch_execz .LBB165_49
; %bb.51:                               ;   in Loop: Header=BB165_50 Depth=1
	global_load_dword v2, v[12:13], off
	s_load_dword s12, s[14:15], 0x0
	v_add_u32_e32 v33, v31, v27
	v_cmp_eq_u32_e32 vcc, s22, v26
	v_add_u32_e32 v34, 1, v33
	v_add_u32_e32 v24, 2, v33
	;; [unrolled: 1-line block ×3, first 2 shown]
	s_waitcnt vmcnt(0)
	v_mad_i64_i32 v[18:19], s[0:1], v2, s21, v[10:11]
	global_load_dword v14, v[18:19], off
	ds_read_b128 v[2:5], v6
	s_waitcnt vmcnt(0)
	v_and_b32_e32 v15, 0xffff, v14
	v_lshrrev_b32_e32 v16, 16, v14
	v_cvt_pk_f32_fp8_e32 v[14:15], v15
	v_cvt_pk_f32_fp8_e32 v[20:21], v16
	s_waitcnt lgkmcnt(0)
	v_pk_mul_f32 v[16:17], v[14:15], s[12:13] op_sel_hi:[1,0]
	v_pk_mul_f32 v[14:15], s[12:13], v[20:21] op_sel_hi:[0,1]
	s_and_saveexec_b64 s[16:17], vcc
; %bb.52:                               ;   in Loop: Header=BB165_50 Depth=1
	v_cmp_gt_i32_e64 s[0:1], s33, v33
	s_nop 1
	v_cndmask_b32_e64 v16, 0, v16, s[0:1]
	v_cmp_gt_i32_e64 s[0:1], s33, v34
	s_nop 1
	v_cndmask_b32_e64 v17, 0, v17, s[0:1]
	;; [unrolled: 3-line block ×4, first 2 shown]
; %bb.53:                               ;   in Loop: Header=BB165_50 Depth=1
	s_or_b64 exec, exec, s[16:17]
	global_load_dword v20, v[18:19], off offset:256
	s_mov_b32 s13, s12
	s_waitcnt vmcnt(0)
	v_and_b32_e32 v21, 0xffff, v20
	v_lshrrev_b32_e32 v22, 16, v20
	v_cvt_pk_f32_fp8_e32 v[20:21], v21
	v_cvt_pk_f32_fp8_e32 v[36:37], v22
	v_pk_mul_f32 v[22:23], s[12:13], v[20:21]
	v_pk_mul_f32 v[20:21], s[12:13], v[36:37]
	s_and_saveexec_b64 s[16:17], vcc
; %bb.54:                               ;   in Loop: Header=BB165_50 Depth=1
	v_cmp_gt_i32_e64 s[0:1], s33, v33
	s_nop 1
	v_cndmask_b32_e64 v22, 0, v22, s[0:1]
	v_cmp_gt_i32_e64 s[0:1], s33, v34
	s_nop 1
	v_cndmask_b32_e64 v23, 0, v23, s[0:1]
	;; [unrolled: 3-line block ×4, first 2 shown]
; %bb.55:                               ;   in Loop: Header=BB165_50 Depth=1
	s_or_b64 exec, exec, s[16:17]
	global_load_dword v18, v[18:19], off offset:512
	s_waitcnt vmcnt(0)
	v_and_b32_e32 v19, 0xffff, v18
	v_lshrrev_b32_e32 v24, 16, v18
	v_cvt_pk_f32_fp8_e32 v[18:19], v19
	v_cvt_pk_f32_fp8_e32 v[36:37], v24
	v_pk_mul_f32 v[24:25], s[12:13], v[18:19]
	v_pk_mul_f32 v[18:19], s[12:13], v[36:37]
	s_and_saveexec_b64 s[0:1], vcc
	s_cbranch_execz .LBB165_48
; %bb.56:                               ;   in Loop: Header=BB165_50 Depth=1
	v_cmp_gt_i32_e32 vcc, s34, v34
	v_or_b32_e32 v34, 3, v33
	s_nop 0
	v_cndmask_b32_e32 v25, 0, v25, vcc
	v_cmp_gt_i32_e32 vcc, s33, v33
	v_or_b32_e32 v33, 2, v33
	s_nop 0
	v_cndmask_b32_e32 v24, 0, v24, vcc
	v_cmp_gt_i32_e32 vcc, s34, v34
	s_nop 1
	v_cndmask_b32_e32 v19, 0, v19, vcc
	v_cmp_gt_i32_e32 vcc, s33, v33
	s_nop 1
	v_cndmask_b32_e32 v18, 0, v18, vcc
	s_branch .LBB165_48
.LBB165_57:
	s_or_b64 exec, exec, s[6:7]
.LBB165_58:
	s_or_b64 exec, exec, s[2:3]
	ds_bpermute_b32 v2, v29, v8
	ds_bpermute_b32 v3, v29, v9
	;; [unrolled: 1-line block ×3, first 2 shown]
	v_and_b32_e32 v5, 0x3c1, v0
	v_cmp_ne_u32_e32 vcc, 64, v5
	s_waitcnt lgkmcnt(0)
	v_pk_add_f32 v[2:3], v[8:9], v[2:3]
	s_barrier
	s_and_saveexec_b64 s[0:1], vcc
	s_xor_b64 s[0:1], exec, s[0:1]
; %bb.59:
                                        ; implicit-def: $vgpr28
; %bb.60:
	s_or_saveexec_b64 s[0:1], s[0:1]
	v_add_f32_e32 v4, v7, v4
	s_xor_b64 exec, exec, s[0:1]
	s_cbranch_execz .LBB165_62
; %bb.61:
	v_mov_b32_e32 v6, 0x190
	v_lshl_add_u32 v6, v28, 1, v6
	ds_write2_b32 v6, v2, v3 offset1:32
	ds_write_b32 v6, v4 offset:256
.LBB165_62:
	s_or_b64 exec, exec, s[0:1]
	v_cmp_gt_u32_e32 vcc, 64, v0
	s_waitcnt lgkmcnt(0)
	s_barrier
	s_and_saveexec_b64 s[0:1], vcc
	s_cbranch_execz .LBB165_68
; %bb.63:
	v_mov_b32_e32 v0, 0x190
	v_cmp_eq_u32_e32 vcc, 0, v30
	v_lshl_add_u32 v0, v1, 2, v0
	s_and_saveexec_b64 s[2:3], vcc
	s_cbranch_execnz .LBB165_71
; %bb.64:
	s_or_b64 exec, exec, s[2:3]
	s_and_saveexec_b64 s[2:3], vcc
	s_cbranch_execnz .LBB165_72
.LBB165_65:
	s_or_b64 exec, exec, s[2:3]
	s_and_saveexec_b64 s[2:3], vcc
	s_cbranch_execz .LBB165_67
.LBB165_66:
	ds_read_b32 v0, v0 offset:256
	s_waitcnt lgkmcnt(0)
	v_add_f32_e32 v4, v4, v0
.LBB165_67:
	s_or_b64 exec, exec, s[2:3]
.LBB165_68:
	s_or_b64 exec, exec, s[0:1]
	v_cmp_eq_u32_e32 vcc, 0, v5
	s_barrier
	s_and_saveexec_b64 s[0:1], vcc
	s_cbranch_execz .LBB165_70
; %bb.69:
	s_mul_i32 s0, s10, s11
	s_mul_i32 s0, s0, s5
	s_mulk_i32 s0, 0x60
	s_ashr_i32 s1, s0, 31
	s_lshl_b64 s[0:1], s[0:1], 2
	s_add_u32 s2, s26, s0
	s_mul_i32 s0, s11, s24
	s_addc_u32 s3, s27, s1
	s_ashr_i32 s1, s0, 31
	s_lshl_b64 s[0:1], s[0:1], 2
	s_add_u32 s2, s2, s0
	s_mul_i32 s0, s4, 0x60
	s_addc_u32 s3, s3, s1
	s_ashr_i32 s1, s0, 31
	s_lshl_b64 s[0:1], s[0:1], 2
	s_add_u32 s0, s2, s0
	s_addc_u32 s1, s3, s1
	v_lshlrev_b32_e32 v0, 2, v1
	global_store_dword v0, v2, s[0:1]
	global_store_dword v0, v3, s[0:1] offset:128
	global_store_dword v0, v4, s[0:1] offset:256
.LBB165_70:
	s_endpgm
.LBB165_71:
	ds_read_b32 v6, v0
	s_waitcnt lgkmcnt(0)
	v_add_f32_e32 v2, v2, v6
	s_or_b64 exec, exec, s[2:3]
	s_and_saveexec_b64 s[2:3], vcc
	s_cbranch_execz .LBB165_65
.LBB165_72:
	ds_read_b32 v6, v0 offset:128
	s_waitcnt lgkmcnt(0)
	v_add_f32_e32 v3, v3, v6
	s_or_b64 exec, exec, s[2:3]
	s_and_saveexec_b64 s[2:3], vcc
	s_cbranch_execnz .LBB165_66
	s_branch .LBB165_67
	.section	.rodata,"a",@progbits
	.p2align	6, 0x0
	.amdhsa_kernel _ZN4vllm25paged_attention_v1_kernelIfhLi96ELi8ELi128ELNS_18Fp8KVCacheDataTypeE1ELb1EEEvPT_PKS2_PKT0_S8_ifPKiSA_iPKfiiiSC_SC_iiiii
		.amdhsa_group_segment_fixed_size 400
		.amdhsa_private_segment_fixed_size 0
		.amdhsa_kernarg_size 384
		.amdhsa_user_sgpr_count 2
		.amdhsa_user_sgpr_dispatch_ptr 0
		.amdhsa_user_sgpr_queue_ptr 0
		.amdhsa_user_sgpr_kernarg_segment_ptr 1
		.amdhsa_user_sgpr_dispatch_id 0
		.amdhsa_user_sgpr_kernarg_preload_length 0
		.amdhsa_user_sgpr_kernarg_preload_offset 0
		.amdhsa_user_sgpr_private_segment_size 0
		.amdhsa_uses_dynamic_stack 0
		.amdhsa_enable_private_segment 0
		.amdhsa_system_sgpr_workgroup_id_x 1
		.amdhsa_system_sgpr_workgroup_id_y 1
		.amdhsa_system_sgpr_workgroup_id_z 1
		.amdhsa_system_sgpr_workgroup_info 0
		.amdhsa_system_vgpr_workitem_id 0
		.amdhsa_next_free_vgpr 51
		.amdhsa_next_free_sgpr 48
		.amdhsa_accum_offset 52
		.amdhsa_reserve_vcc 1
		.amdhsa_float_round_mode_32 0
		.amdhsa_float_round_mode_16_64 0
		.amdhsa_float_denorm_mode_32 3
		.amdhsa_float_denorm_mode_16_64 3
		.amdhsa_dx10_clamp 1
		.amdhsa_ieee_mode 1
		.amdhsa_fp16_overflow 0
		.amdhsa_tg_split 0
		.amdhsa_exception_fp_ieee_invalid_op 0
		.amdhsa_exception_fp_denorm_src 0
		.amdhsa_exception_fp_ieee_div_zero 0
		.amdhsa_exception_fp_ieee_overflow 0
		.amdhsa_exception_fp_ieee_underflow 0
		.amdhsa_exception_fp_ieee_inexact 0
		.amdhsa_exception_int_div_zero 0
	.end_amdhsa_kernel
	.section	.text._ZN4vllm25paged_attention_v1_kernelIfhLi96ELi8ELi128ELNS_18Fp8KVCacheDataTypeE1ELb1EEEvPT_PKS2_PKT0_S8_ifPKiSA_iPKfiiiSC_SC_iiiii,"axG",@progbits,_ZN4vllm25paged_attention_v1_kernelIfhLi96ELi8ELi128ELNS_18Fp8KVCacheDataTypeE1ELb1EEEvPT_PKS2_PKT0_S8_ifPKiSA_iPKfiiiSC_SC_iiiii,comdat
.Lfunc_end165:
	.size	_ZN4vllm25paged_attention_v1_kernelIfhLi96ELi8ELi128ELNS_18Fp8KVCacheDataTypeE1ELb1EEEvPT_PKS2_PKT0_S8_ifPKiSA_iPKfiiiSC_SC_iiiii, .Lfunc_end165-_ZN4vllm25paged_attention_v1_kernelIfhLi96ELi8ELi128ELNS_18Fp8KVCacheDataTypeE1ELb1EEEvPT_PKS2_PKT0_S8_ifPKiSA_iPKfiiiSC_SC_iiiii
                                        ; -- End function
	.set _ZN4vllm25paged_attention_v1_kernelIfhLi96ELi8ELi128ELNS_18Fp8KVCacheDataTypeE1ELb1EEEvPT_PKS2_PKT0_S8_ifPKiSA_iPKfiiiSC_SC_iiiii.num_vgpr, 51
	.set _ZN4vllm25paged_attention_v1_kernelIfhLi96ELi8ELi128ELNS_18Fp8KVCacheDataTypeE1ELb1EEEvPT_PKS2_PKT0_S8_ifPKiSA_iPKfiiiSC_SC_iiiii.num_agpr, 0
	.set _ZN4vllm25paged_attention_v1_kernelIfhLi96ELi8ELi128ELNS_18Fp8KVCacheDataTypeE1ELb1EEEvPT_PKS2_PKT0_S8_ifPKiSA_iPKfiiiSC_SC_iiiii.numbered_sgpr, 48
	.set _ZN4vllm25paged_attention_v1_kernelIfhLi96ELi8ELi128ELNS_18Fp8KVCacheDataTypeE1ELb1EEEvPT_PKS2_PKT0_S8_ifPKiSA_iPKfiiiSC_SC_iiiii.num_named_barrier, 0
	.set _ZN4vllm25paged_attention_v1_kernelIfhLi96ELi8ELi128ELNS_18Fp8KVCacheDataTypeE1ELb1EEEvPT_PKS2_PKT0_S8_ifPKiSA_iPKfiiiSC_SC_iiiii.private_seg_size, 0
	.set _ZN4vllm25paged_attention_v1_kernelIfhLi96ELi8ELi128ELNS_18Fp8KVCacheDataTypeE1ELb1EEEvPT_PKS2_PKT0_S8_ifPKiSA_iPKfiiiSC_SC_iiiii.uses_vcc, 1
	.set _ZN4vllm25paged_attention_v1_kernelIfhLi96ELi8ELi128ELNS_18Fp8KVCacheDataTypeE1ELb1EEEvPT_PKS2_PKT0_S8_ifPKiSA_iPKfiiiSC_SC_iiiii.uses_flat_scratch, 0
	.set _ZN4vllm25paged_attention_v1_kernelIfhLi96ELi8ELi128ELNS_18Fp8KVCacheDataTypeE1ELb1EEEvPT_PKS2_PKT0_S8_ifPKiSA_iPKfiiiSC_SC_iiiii.has_dyn_sized_stack, 0
	.set _ZN4vllm25paged_attention_v1_kernelIfhLi96ELi8ELi128ELNS_18Fp8KVCacheDataTypeE1ELb1EEEvPT_PKS2_PKT0_S8_ifPKiSA_iPKfiiiSC_SC_iiiii.has_recursion, 0
	.set _ZN4vllm25paged_attention_v1_kernelIfhLi96ELi8ELi128ELNS_18Fp8KVCacheDataTypeE1ELb1EEEvPT_PKS2_PKT0_S8_ifPKiSA_iPKfiiiSC_SC_iiiii.has_indirect_call, 0
	.section	.AMDGPU.csdata,"",@progbits
; Kernel info:
; codeLenInByte = 4504
; TotalNumSgprs: 54
; NumVgprs: 51
; NumAgprs: 0
; TotalNumVgprs: 51
; ScratchSize: 0
; MemoryBound: 0
; FloatMode: 240
; IeeeMode: 1
; LDSByteSize: 400 bytes/workgroup (compile time only)
; SGPRBlocks: 6
; VGPRBlocks: 6
; NumSGPRsForWavesPerEU: 54
; NumVGPRsForWavesPerEU: 51
; AccumOffset: 52
; Occupancy: 8
; WaveLimiterHint : 1
; COMPUTE_PGM_RSRC2:SCRATCH_EN: 0
; COMPUTE_PGM_RSRC2:USER_SGPR: 2
; COMPUTE_PGM_RSRC2:TRAP_HANDLER: 0
; COMPUTE_PGM_RSRC2:TGID_X_EN: 1
; COMPUTE_PGM_RSRC2:TGID_Y_EN: 1
; COMPUTE_PGM_RSRC2:TGID_Z_EN: 1
; COMPUTE_PGM_RSRC2:TIDIG_COMP_CNT: 0
; COMPUTE_PGM_RSRC3_GFX90A:ACCUM_OFFSET: 12
; COMPUTE_PGM_RSRC3_GFX90A:TG_SPLIT: 0
	.section	.text._ZN4vllm25paged_attention_v1_kernelIfhLi112ELi8ELi128ELNS_18Fp8KVCacheDataTypeE1ELb1EEEvPT_PKS2_PKT0_S8_ifPKiSA_iPKfiiiSC_SC_iiiii,"axG",@progbits,_ZN4vllm25paged_attention_v1_kernelIfhLi112ELi8ELi128ELNS_18Fp8KVCacheDataTypeE1ELb1EEEvPT_PKS2_PKT0_S8_ifPKiSA_iPKfiiiSC_SC_iiiii,comdat
	.protected	_ZN4vllm25paged_attention_v1_kernelIfhLi112ELi8ELi128ELNS_18Fp8KVCacheDataTypeE1ELb1EEEvPT_PKS2_PKT0_S8_ifPKiSA_iPKfiiiSC_SC_iiiii ; -- Begin function _ZN4vllm25paged_attention_v1_kernelIfhLi112ELi8ELi128ELNS_18Fp8KVCacheDataTypeE1ELb1EEEvPT_PKS2_PKT0_S8_ifPKiSA_iPKfiiiSC_SC_iiiii
	.globl	_ZN4vllm25paged_attention_v1_kernelIfhLi112ELi8ELi128ELNS_18Fp8KVCacheDataTypeE1ELb1EEEvPT_PKS2_PKT0_S8_ifPKiSA_iPKfiiiSC_SC_iiiii
	.p2align	8
	.type	_ZN4vllm25paged_attention_v1_kernelIfhLi112ELi8ELi128ELNS_18Fp8KVCacheDataTypeE1ELb1EEEvPT_PKS2_PKT0_S8_ifPKiSA_iPKfiiiSC_SC_iiiii,@function
_ZN4vllm25paged_attention_v1_kernelIfhLi112ELi8ELi128ELNS_18Fp8KVCacheDataTypeE1ELb1EEEvPT_PKS2_PKT0_S8_ifPKiSA_iPKfiiiSC_SC_iiiii: ; @_ZN4vllm25paged_attention_v1_kernelIfhLi112ELi8ELi128ELNS_18Fp8KVCacheDataTypeE1ELb1EEEvPT_PKS2_PKT0_S8_ifPKiSA_iPKfiiiSC_SC_iiiii
; %bb.0:
	s_load_dword s5, s[0:1], 0x80
	s_load_dwordx2 s[6:7], s[0:1], 0x30
	s_load_dwordx2 s[36:37], s[0:1], 0x20
	s_mov_b32 s10, s3
	s_ashr_i32 s11, s3, 31
	s_lshl_b64 s[8:9], s[10:11], 2
	s_waitcnt lgkmcnt(0)
	s_add_u32 s6, s6, s8
	s_addc_u32 s7, s7, s9
	s_abs_i32 s3, s36
	v_cvt_f32_u32_e32 v1, s3
	s_sub_i32 s11, 0, s3
	s_abs_i32 s9, s5
	s_xor_b32 s8, s5, s36
	v_rcp_iflag_f32_e32 v1, v1
	s_ashr_i32 s8, s8, 31
	s_mov_b32 s44, 0
	v_mul_f32_e32 v1, 0x4f7ffffe, v1
	v_cvt_u32_f32_e32 v1, v1
	s_nop 0
	v_readfirstlane_b32 s12, v1
	s_mul_i32 s11, s11, s12
	s_mul_hi_u32 s11, s12, s11
	s_add_i32 s12, s12, s11
	s_mul_hi_u32 s11, s9, s12
	s_mul_i32 s12, s11, s3
	s_sub_i32 s9, s9, s12
	s_add_i32 s12, s11, 1
	s_sub_i32 s13, s9, s3
	s_cmp_ge_u32 s9, s3
	s_cselect_b32 s11, s12, s11
	s_cselect_b32 s9, s13, s9
	s_add_i32 s12, s11, 1
	s_cmp_ge_u32 s9, s3
	s_cselect_b32 s3, s12, s11
	s_xor_b32 s3, s3, s8
	s_sub_i32 s14, s3, s8
	s_abs_i32 s11, s14
	v_cvt_f32_u32_e32 v1, s11
	s_load_dwordx2 s[8:9], s[0:1], 0x40
	s_sub_i32 s3, 0, s11
	s_abs_i32 s12, s2
	v_rcp_iflag_f32_e32 v1, v1
	s_nop 0
	v_mul_f32_e32 v1, 0x4f7ffffe, v1
	v_cvt_u32_f32_e32 v1, v1
	s_nop 0
	v_readfirstlane_b32 s13, v1
	s_mul_i32 s3, s3, s13
	s_mul_hi_u32 s3, s13, s3
	s_add_i32 s13, s13, s3
	s_waitcnt lgkmcnt(0)
	s_cmp_eq_u64 s[8:9], 0
	s_mul_hi_u32 s13, s12, s13
	s_cbranch_scc1 .LBB166_2
; %bb.1:
	s_ashr_i32 s3, s2, 31
	s_lshl_b64 s[16:17], s[2:3], 2
	s_add_u32 s8, s8, s16
	s_addc_u32 s9, s9, s17
	s_load_dword s44, s[8:9], 0x0
.LBB166_2:
	s_load_dword s33, s[6:7], 0x0
	s_load_dwordx4 s[16:19], s[0:1], 0x48
	s_movk_i32 s6, 0x70
	s_ashr_i32 s3, s2, 31
	s_ashr_i32 s9, s14, 31
	v_and_b32_e32 v2, 7, v0
	s_mul_i32 s24, s2, 0x70
	v_cmp_gt_u32_e32 vcc, s6, v0
	v_lshlrev_b32_e32 v10, 2, v0
	v_lshrrev_b32_e32 v1, 1, v0
	s_and_saveexec_b64 s[6:7], vcc
	s_cbranch_execz .LBB166_4
; %bb.3:
	s_load_dwordx2 s[14:15], s[0:1], 0x8
	s_waitcnt lgkmcnt(0)
	s_mul_i32 s20, s16, s10
	s_ashr_i32 s21, s20, 31
	s_lshl_b64 s[20:21], s[20:21], 2
	v_and_b32_e32 v4, 0x1fc, v1
	s_add_u32 s8, s14, s20
	s_addc_u32 s16, s15, s21
	s_ashr_i32 s25, s24, 31
	s_lshl_b64 s[14:15], s[24:25], 2
	s_add_u32 s14, s8, s14
	s_addc_u32 s15, s16, s15
	global_load_dword v3, v10, s[14:15]
	v_mad_u32_u24 v4, v2, 56, v4
	s_waitcnt vmcnt(0)
	ds_write_b32 v4, v3
.LBB166_4:
	s_or_b64 exec, exec, s[6:7]
	s_mul_i32 s6, s13, s11
	s_sub_i32 s6, s12, s6
	s_xor_b32 s3, s3, s9
	s_add_i32 s7, s13, 1
	s_sub_i32 s9, s6, s11
	s_load_dwordx4 s[20:23], s[0:1], 0x68
	s_load_dword s8, s[0:1], 0x78
	s_cmp_ge_u32 s6, s11
	s_cselect_b32 s7, s7, s13
	s_cselect_b32 s6, s9, s6
	s_add_i32 s9, s7, 1
	s_cmp_ge_u32 s6, s11
	s_cselect_b32 s6, s9, s7
	s_waitcnt lgkmcnt(0)
	s_abs_i32 s25, s23
	v_cvt_f32_u32_e32 v3, s25
	s_xor_b32 s6, s6, s3
	s_sub_i32 s3, s6, s3
	s_sub_i32 s6, 0, s25
	v_rcp_iflag_f32_e32 v3, v3
	s_add_i32 s11, s33, -1
	s_abs_i32 s9, s11
	v_mul_f32_e32 v3, 0x4f7ffffe, v3
	v_cvt_u32_f32_e32 v3, v3
	s_barrier
	v_readfirstlane_b32 s42, v3
	s_mul_i32 s6, s6, s42
	s_mul_hi_u32 s6, s42, s6
	s_add_i32 s42, s42, s6
	s_cmp_lt_i32 s8, 0
	s_mul_hi_u32 s16, s9, s42
	s_cbranch_scc0 .LBB166_6
; %bb.5:
	s_mul_i32 s6, s20, s36
	s_add_i32 s6, s3, s6
	s_mul_i32 s6, s6, s8
	s_sub_i32 s36, 1, s6
	s_mov_b64 s[6:7], 0
	s_branch .LBB166_7
.LBB166_6:
	s_mov_b64 s[6:7], -1
                                        ; implicit-def: $sgpr36
.LBB166_7:
	s_load_dwordx2 s[28:29], s[0:1], 0x28
	s_ashr_i32 s19, s11, 31
	s_andn2_b64 vcc, exec, s[6:7]
	s_ashr_i32 s23, s23, 31
	s_cbranch_vccnz .LBB166_9
; %bb.8:
	s_mul_i32 s6, s5, s20
	s_add_i32 s2, s6, s2
	s_mul_i32 s2, s2, s8
	s_add_i32 s36, s2, 1
.LBB166_9:
	s_load_dword s2, s[0:1], 0x38
	s_load_dwordx2 s[26:27], s[0:1], 0x0
	s_load_dwordx2 s[34:35], s[0:1], 0x18
	s_load_dword s11, s[0:1], 0x88
	s_load_dwordx4 s[12:15], s[0:1], 0x58
	s_mul_i32 s6, s16, s25
	s_waitcnt lgkmcnt(0)
	s_mul_i32 s30, s2, s10
	s_sub_i32 s6, s9, s6
	s_ashr_i32 s31, s30, 31
	s_xor_b32 s2, s19, s23
	s_add_i32 s7, s16, 1
	s_sub_i32 s8, s6, s25
	s_cmp_ge_u32 s6, s25
	s_cselect_b32 s7, s7, s16
	s_cselect_b32 s6, s8, s6
	s_add_i32 s8, s7, 1
	s_cmp_ge_u32 s6, s25
	s_cselect_b32 s6, s8, s7
	s_xor_b32 s6, s6, s2
	s_sub_i32 s16, s6, s2
	s_add_i32 s2, s33, 7
	s_ashr_i32 s6, s2, 31
	s_lshr_b32 s6, s6, 29
	s_add_i32 s2, s2, s6
	s_ashr_i32 s43, s2, 3
	v_lshrrev_b32_e32 v32, 6, v0
	v_cmp_le_i32_e64 s[6:7], s43, v32
	v_cmp_gt_i32_e32 vcc, s43, v32
	v_mov_b32_e32 v9, 0xff7fffff
	s_mul_i32 s20, s3, s18
	v_lshrrev_b32_e32 v14, 4, v0
	v_lshlrev_b32_e32 v33, 3, v32
	v_mbcnt_lo_u32_b32 v6, -1, 0
	s_and_saveexec_b64 s[18:19], vcc
	s_cbranch_execz .LBB166_21
; %bb.10:
	s_load_dwordx2 s[0:1], s[0:1], 0x10
	s_sub_i32 s45, s16, s21
	s_ashr_i32 s2, s20, 31
	v_bfe_u32 v7, v0, 3, 3
	v_mov_b32_e32 v5, 0
	s_waitcnt lgkmcnt(0)
	s_add_u32 s0, s0, s20
	s_addc_u32 s1, s1, s2
	s_abs_i32 s46, s22
	v_cvt_f32_u32_e32 v3, s46
	v_lshlrev_b32_e32 v4, 4, v7
	v_lshl_add_u64 v[12:13], s[0:1], 0, v[4:5]
	s_sub_i32 s0, 0, s46
	v_rcp_iflag_f32_e32 v3, v3
	v_cmp_eq_u32_e32 vcc, 0, v2
	v_mul_u32_u24_e32 v8, 56, v2
	v_mbcnt_hi_u32_b32 v17, -1, v6
	v_mul_f32_e32 v3, 0x4f7ffffe, v3
	v_cvt_u32_f32_e32 v9, v3
	v_mov_b32_e32 v3, v5
	v_lshl_add_u64 v[2:3], v[12:13], 0, v[2:3]
	s_mov_b32 s47, s17
	v_mul_lo_u32 v4, s0, v9
	v_mul_hi_u32 v4, v9, v4
	v_add_u32_e32 v11, v9, v4
	v_subrev_u32_e32 v9, s33, v7
	s_lshl_b64 s[0:1], s[30:31], 2
	v_add_u32_e32 v13, 1, v9
	v_lshlrev_b32_e32 v9, 2, v7
	s_add_u32 s0, s28, s0
	v_lshl_or_b32 v9, v32, 5, v9
	v_and_b32_e32 v4, 60, v14
	s_addc_u32 s1, s29, s1
	v_add_u32_e32 v15, 0x1d0, v9
	v_and_b32_e32 v9, 64, v17
	v_cmp_neq_f32_e64 s[2:3], s44, 0
	v_lshl_add_u64 v[4:5], s[0:1], 0, v[4:5]
	v_lshlrev_b32_e32 v12, 3, v32
	v_mov_b32_e32 v16, 0xff7fffff
	s_mov_b64 s[38:39], 0
	v_add_u32_e32 v18, 64, v9
	v_xor_b32_e32 v19, 4, v17
	v_xor_b32_e32 v20, 2, v17
	;; [unrolled: 1-line block ×3, first 2 shown]
	v_mov_b32_e32 v9, 0xff7fffff
	v_mov_b32_e32 v22, v32
	s_branch .LBB166_13
.LBB166_11:                             ;   in Loop: Header=BB166_13 Depth=1
	s_or_b64 exec, exec, s[40:41]
.LBB166_12:                             ;   in Loop: Header=BB166_13 Depth=1
	s_or_b64 exec, exec, s[8:9]
	v_add_u32_e32 v22, 2, v22
	v_cmp_le_i32_e64 s[0:1], s43, v22
	v_lshl_add_u64 v[4:5], v[4:5], 0, 8
	v_add_u32_e32 v12, 16, v12
	s_or_b64 s[38:39], s[0:1], s[38:39]
	v_add_u32_e32 v15, 64, v15
	s_andn2_b64 exec, exec, s[38:39]
	s_cbranch_execz .LBB166_20
.LBB166_13:                             ; =>This Inner Loop Header: Depth=1
	v_mul_hi_u32 v23, v12, s42
	s_waitcnt lgkmcnt(0)
	v_mul_lo_u32 v24, v23, s25
	v_sub_u32_e32 v24, v12, v24
	v_add_u32_e32 v25, 1, v23
	v_cmp_le_u32_e64 s[0:1], s25, v24
	s_nop 1
	v_cndmask_b32_e64 v23, v23, v25, s[0:1]
	v_subrev_u32_e32 v25, s25, v24
	v_cndmask_b32_e64 v24, v24, v25, s[0:1]
	v_add_u32_e32 v25, 1, v23
	v_cmp_le_u32_e64 s[0:1], s25, v24
	s_nop 1
	v_cndmask_b32_e64 v23, v23, v25, s[0:1]
	v_xor_b32_e32 v23, s23, v23
	v_subrev_u32_e32 v23, s23, v23
	v_add_u32_e32 v24, s36, v23
	v_sub_u32_e32 v26, 0, v24
	v_ashrrev_i32_e32 v25, 31, v24
	v_max_i32_e32 v24, v24, v26
	v_mul_hi_u32 v26, v24, v11
	v_mul_lo_u32 v26, v26, s46
	v_sub_u32_e32 v24, v24, v26
	v_subrev_u32_e32 v26, s46, v24
	v_cmp_le_u32_e64 s[0:1], s46, v24
	v_cmp_ge_i32_e64 s[8:9], s45, v23
	s_nop 0
	v_cndmask_b32_e64 v24, v24, v26, s[0:1]
	v_subrev_u32_e32 v26, s46, v24
	v_cmp_le_u32_e64 s[0:1], s46, v24
	s_nop 1
	v_cndmask_b32_e64 v24, v24, v26, s[0:1]
	v_xor_b32_e32 v24, v24, v25
	v_sub_u32_e32 v24, v24, v25
	v_cmp_ne_u32_e64 s[0:1], 0, v24
	s_and_b64 s[0:1], s[0:1], s[8:9]
	s_and_saveexec_b64 s[8:9], s[0:1]
	s_xor_b64 s[0:1], exec, s[8:9]
	s_cbranch_execz .LBB166_17
; %bb.14:                               ;   in Loop: Header=BB166_13 Depth=1
	s_and_saveexec_b64 s[8:9], vcc
; %bb.15:                               ;   in Loop: Header=BB166_13 Depth=1
	ds_write_b32 v15, v16
; %bb.16:                               ;   in Loop: Header=BB166_13 Depth=1
	s_or_b64 exec, exec, s[8:9]
.LBB166_17:                             ;   in Loop: Header=BB166_13 Depth=1
	s_andn2_saveexec_b64 s[8:9], s[0:1]
	s_cbranch_execz .LBB166_12
; %bb.18:                               ;   in Loop: Header=BB166_13 Depth=1
	global_load_dword v23, v[4:5], off
	s_waitcnt vmcnt(0)
	v_mad_i64_i32 v[24:25], s[0:1], v23, s47, v[2:3]
	global_load_ubyte v23, v[24:25], off
	global_load_ubyte v40, v[24:25], off offset:8
	global_load_ubyte v41, v[24:25], off offset:128
	;; [unrolled: 1-line block ×13, first 2 shown]
	v_cmp_lt_i32_e64 s[0:1], v19, v18
	ds_read2_b64 v[24:27], v8 offset1:1
	ds_read2_b64 v[28:31], v8 offset0:2 offset1:3
	ds_read2_b64 v[34:37], v8 offset0:4 offset1:5
	ds_read_b64 v[38:39], v8 offset:48
	v_cndmask_b32_e64 v53, v17, v19, s[0:1]
	s_load_dword s0, s[12:13], 0x0
	v_lshlrev_b32_e32 v53, 2, v53
	s_waitcnt vmcnt(13)
	v_cvt_f32_fp8_e32 v23, v23
	s_waitcnt vmcnt(12)
	v_cvt_f32_fp8_e32 v40, v40
	;; [unrolled: 2-line block ×5, first 2 shown]
	s_waitcnt lgkmcnt(0)
	v_mul_f32_e32 v40, s0, v40
	s_waitcnt vmcnt(8)
	v_cvt_f32_fp8_e32 v44, v44
	v_mul_f32_e32 v23, s0, v23
	v_mul_f32_e32 v25, v25, v40
	s_waitcnt vmcnt(7)
	v_cvt_f32_fp8_e32 v45, v45
	v_mul_f32_e32 v41, s0, v41
	v_fmac_f32_e32 v25, v24, v23
	s_waitcnt vmcnt(6)
	v_cvt_f32_fp8_e32 v46, v46
	v_mul_f32_e32 v42, s0, v42
	v_fmac_f32_e32 v25, v26, v41
	;; [unrolled: 4-line block ×8, first 2 shown]
	v_mul_f32_e32 v49, s0, v49
	v_fmac_f32_e32 v25, v35, v48
	v_mul_f32_e32 v50, s0, v50
	v_fmac_f32_e32 v25, v36, v49
	;; [unrolled: 2-line block ×4, first 2 shown]
	v_fmac_f32_e32 v25, v39, v52
	ds_bpermute_b32 v23, v53, v25
	v_cmp_lt_i32_e64 s[0:1], v20, v18
	s_waitcnt lgkmcnt(0)
	v_add_f32_e32 v23, v25, v23
	v_cndmask_b32_e64 v24, v17, v20, s[0:1]
	v_lshlrev_b32_e32 v24, 2, v24
	ds_bpermute_b32 v24, v24, v23
	v_cmp_lt_i32_e64 s[0:1], v21, v18
	s_waitcnt lgkmcnt(0)
	v_add_f32_e32 v23, v23, v24
	v_cndmask_b32_e64 v25, v17, v21, s[0:1]
	v_lshlrev_b32_e32 v25, 2, v25
	ds_bpermute_b32 v24, v25, v23
	s_and_saveexec_b64 s[40:41], vcc
	s_cbranch_execz .LBB166_11
; %bb.19:                               ;   in Loop: Header=BB166_13 Depth=1
	v_add_u32_e32 v25, v13, v12
	v_cvt_f32_i32_e32 v25, v25
	s_waitcnt lgkmcnt(0)
	v_add_f32_e32 v23, v23, v24
	v_add_u32_e32 v26, v7, v12
	v_cmp_gt_i32_e64 s[0:1], s33, v26
	v_mul_f32_e32 v24, s44, v25
	v_cndmask_b32_e64 v24, 0, v24, s[2:3]
	v_fmac_f32_e32 v24, s37, v23
	v_cndmask_b32_e64 v23, 0, v24, s[0:1]
	ds_write_b32 v15, v23
	v_max_f32_e32 v23, v9, v9
	v_max_f32_e32 v23, v23, v24
	v_cndmask_b32_e64 v9, v9, v23, s[0:1]
	s_branch .LBB166_11
.LBB166_20:
	s_or_b64 exec, exec, s[38:39]
.LBB166_21:
	s_or_b64 exec, exec, s[18:19]
	v_mbcnt_hi_u32_b32 v2, -1, v6
	v_and_b32_e32 v11, 64, v2
	v_add_u32_e32 v3, 64, v11
	v_xor_b32_e32 v4, 32, v2
	v_cmp_lt_i32_e32 vcc, v4, v3
	v_xor_b32_e32 v7, 16, v2
	v_max_f32_e32 v5, v9, v9
	v_cndmask_b32_e32 v4, v2, v4, vcc
	v_lshlrev_b32_e32 v6, 2, v4
	ds_bpermute_b32 v4, v6, v9
	v_cmp_lt_i32_e32 vcc, v7, v3
	v_xor_b32_e32 v9, 8, v2
	s_waitcnt lgkmcnt(0)
	v_max_f32_e32 v4, v4, v4
	v_max_f32_e32 v4, v5, v4
	v_cndmask_b32_e32 v5, v2, v7, vcc
	v_lshlrev_b32_e32 v8, 2, v5
	ds_bpermute_b32 v5, v8, v4
	v_cmp_lt_i32_e32 vcc, v9, v3
	s_waitcnt lgkmcnt(0)
	v_max_f32_e32 v5, v5, v5
	v_max_f32_e32 v7, v4, v5
	v_cndmask_b32_e32 v4, v2, v9, vcc
	v_lshlrev_b32_e32 v9, 2, v4
	ds_bpermute_b32 v12, v9, v7
	v_and_b32_e32 v4, 63, v0
	v_cmp_eq_u32_e32 vcc, 0, v4
	v_lshlrev_b32_e32 v5, 2, v32
	s_and_saveexec_b64 s[0:1], vcc
	s_cbranch_execz .LBB166_23
; %bb.22:
	s_waitcnt lgkmcnt(0)
	v_max_f32_e32 v12, v12, v12
	v_max_f32_e32 v7, v7, v7
	;; [unrolled: 1-line block ×3, first 2 shown]
	ds_write_b32 v5, v7 offset:448
.LBB166_23:
	s_or_b64 exec, exec, s[0:1]
	v_cmp_gt_u32_e64 s[0:1], 2, v4
	s_waitcnt lgkmcnt(0)
	v_mov_b32_e32 v12, 0xff7fffff
	v_lshlrev_b32_e32 v7, 2, v4
	s_barrier
	s_and_saveexec_b64 s[2:3], s[0:1]
; %bb.24:
	ds_read_b32 v12, v7 offset:448
; %bb.25:
	s_or_b64 exec, exec, s[2:3]
	v_xor_b32_e32 v13, 1, v2
	v_cmp_lt_i32_e64 s[2:3], v13, v3
	v_lshlrev_b32_e32 v11, 2, v11
	s_nop 0
	v_cndmask_b32_e64 v13, v2, v13, s[2:3]
	v_lshlrev_b32_e32 v34, 2, v13
	s_waitcnt lgkmcnt(0)
	ds_bpermute_b32 v13, v34, v12
	v_max_f32_e32 v12, v12, v12
	s_lshl_b32 s2, s43, 3
	s_min_i32 s37, s2, s33
	v_cmp_gt_i32_e64 s[2:3], s37, v0
	s_waitcnt lgkmcnt(0)
	v_max_f32_e32 v13, v13, v13
	v_max_f32_e32 v12, v12, v13
	ds_bpermute_b32 v12, v11, v12
	v_mov_b32_e32 v11, 0
	s_and_saveexec_b64 s[12:13], s[2:3]
	s_cbranch_execz .LBB166_29
; %bb.26:
	v_mov_b32_e32 v11, 0x1d0
	v_lshl_add_u32 v13, v0, 2, v11
	v_mov_b32_e32 v11, 0
	s_mov_b64 s[18:19], 0
	v_mov_b32_e32 v15, v0
.LBB166_27:                             ; =>This Inner Loop Header: Depth=1
	ds_read_b32 v16, v13
	v_add_u32_e32 v15, 0x80, v15
	v_cmp_le_i32_e64 s[8:9], s37, v15
	s_or_b64 s[18:19], s[8:9], s[18:19]
	s_waitcnt lgkmcnt(0)
	v_sub_f32_e32 v16, v16, v12
	v_mul_f32_e32 v16, 0x3fb8aa3b, v16
	v_exp_f32_e32 v16, v16
	ds_write_b32 v13, v16
	v_add_f32_e32 v11, v11, v16
	v_add_u32_e32 v13, 0x200, v13
	s_andn2_b64 exec, exec, s[18:19]
	s_cbranch_execnz .LBB166_27
; %bb.28:
	s_or_b64 exec, exec, s[18:19]
.LBB166_29:
	s_or_b64 exec, exec, s[12:13]
	ds_bpermute_b32 v6, v6, v11
	s_waitcnt lgkmcnt(0)
	v_add_f32_e32 v6, v11, v6
	ds_bpermute_b32 v8, v8, v6
	s_waitcnt lgkmcnt(0)
	v_add_f32_e32 v6, v6, v8
	ds_bpermute_b32 v8, v9, v6
	v_xor_b32_e32 v9, 4, v2
	v_cmp_lt_i32_e64 s[8:9], v9, v3
	s_waitcnt lgkmcnt(0)
	v_add_f32_e32 v6, v6, v8
	v_cndmask_b32_e64 v9, v2, v9, s[8:9]
	v_lshlrev_b32_e32 v9, 2, v9
	ds_bpermute_b32 v8, v9, v6
	v_xor_b32_e32 v9, 2, v2
	v_cmp_lt_i32_e64 s[8:9], v9, v3
	s_waitcnt lgkmcnt(0)
	v_add_f32_e32 v6, v6, v8
	v_cndmask_b32_e64 v3, v2, v9, s[8:9]
	v_lshlrev_b32_e32 v3, 2, v3
	ds_bpermute_b32 v3, v3, v6
	s_waitcnt lgkmcnt(0)
	v_add_f32_e32 v3, v6, v3
	ds_bpermute_b32 v6, v34, v3
	s_waitcnt lgkmcnt(0)
	v_add_f32_e32 v3, v3, v6
	s_and_saveexec_b64 s[8:9], vcc
; %bb.30:
	ds_write_b32 v5, v3 offset:456
; %bb.31:
	s_or_b64 exec, exec, s[8:9]
	s_waitcnt lgkmcnt(0)
	s_barrier
	s_and_saveexec_b64 s[8:9], s[0:1]
; %bb.32:
	ds_read_b32 v3, v7 offset:456
; %bb.33:
	s_or_b64 exec, exec, s[8:9]
	s_waitcnt lgkmcnt(0)
	ds_bpermute_b32 v5, v34, v3
	v_lshlrev_b32_e32 v2, 2, v2
	v_and_b32_e32 v2, 0x100, v2
	s_waitcnt lgkmcnt(0)
	v_add_f32_e32 v3, v3, v5
	ds_bpermute_b32 v2, v2, v3
	s_and_saveexec_b64 s[0:1], s[2:3]
	s_cbranch_execz .LBB166_46
; %bb.34:
	s_waitcnt lgkmcnt(0)
	v_add_f32_e32 v2, 0x358637bd, v2
	v_div_scale_f32 v3, s[2:3], v2, v2, 1.0
	v_rcp_f32_e32 v5, v3
	v_div_scale_f32 v6, vcc, 1.0, v2, 1.0
	s_movk_i32 s2, 0x7f
	v_fma_f32 v7, -v3, v5, 1.0
	v_fmac_f32_e32 v5, v7, v5
	v_mul_f32_e32 v7, v6, v5
	v_fma_f32 v8, -v3, v7, v6
	v_fmac_f32_e32 v7, v8, v5
	v_fma_f32 v3, -v3, v7, v6
	v_div_fmas_f32 v3, v3, v5, v7
	v_xad_u32 v5, v0, -1, s37
	v_div_fixup_f32 v2, v3, v2, 1.0
	v_cmp_lt_u32_e32 vcc, s2, v5
	s_mov_b64 s[8:9], -1
	v_mov_b32_e32 v3, v0
	s_and_saveexec_b64 s[2:3], vcc
	s_cbranch_execz .LBB166_43
; %bb.35:
	v_lshrrev_b32_e32 v5, 7, v5
	v_add_u32_e32 v7, -1, v5
	v_lshrrev_b32_e32 v6, 1, v7
	v_mov_b32_e32 v3, v2
	v_add_u32_e32 v6, 1, v6
	v_cmp_lt_u32_e32 vcc, 13, v7
	v_mov_b32_e32 v9, 0
	s_and_saveexec_b64 s[8:9], vcc
	s_cbranch_execz .LBB166_39
; %bb.36:
	v_mov_b32_e32 v8, 0x1d0
	v_and_b32_e32 v7, -8, v6
	v_lshl_add_u32 v8, v0, 2, v8
	s_mov_b32 s18, 0
	s_mov_b64 s[12:13], 0
.LBB166_37:                             ; =>This Inner Loop Header: Depth=1
	ds_read2st64_b32 v[12:13], v8 offset1:2
	ds_read2st64_b32 v[16:17], v8 offset0:4 offset1:6
	ds_read2st64_b32 v[18:19], v8 offset0:8 offset1:10
	;; [unrolled: 1-line block ×3, first 2 shown]
	v_add_u32_e32 v7, -8, v7
	s_waitcnt lgkmcnt(3)
	v_pk_mul_f32 v[12:13], v[2:3], v[12:13]
	s_waitcnt lgkmcnt(2)
	v_pk_mul_f32 v[16:17], v[2:3], v[16:17]
	ds_write2st64_b32 v8, v12, v13 offset1:2
	ds_write2st64_b32 v8, v16, v17 offset0:4 offset1:6
	ds_read2st64_b32 v[16:17], v8 offset0:16 offset1:18
	s_waitcnt lgkmcnt(4)
	v_pk_mul_f32 v[12:13], v[2:3], v[18:19]
	ds_write2st64_b32 v8, v12, v13 offset0:8 offset1:10
	s_waitcnt lgkmcnt(4)
	v_pk_mul_f32 v[12:13], v[2:3], v[20:21]
	ds_write2st64_b32 v8, v12, v13 offset0:12 offset1:14
	ds_read2st64_b32 v[12:13], v8 offset0:20 offset1:22
	s_waitcnt lgkmcnt(3)
	v_pk_mul_f32 v[16:17], v[2:3], v[16:17]
	ds_read2st64_b32 v[18:19], v8 offset0:24 offset1:26
	ds_write2st64_b32 v8, v16, v17 offset0:16 offset1:18
	ds_read2st64_b32 v[16:17], v8 offset0:28 offset1:30
	s_waitcnt lgkmcnt(3)
	v_pk_mul_f32 v[12:13], v[2:3], v[12:13]
	ds_write2st64_b32 v8, v12, v13 offset0:20 offset1:22
	s_waitcnt lgkmcnt(3)
	v_pk_mul_f32 v[12:13], v[2:3], v[18:19]
	ds_write2st64_b32 v8, v12, v13 offset0:24 offset1:26
	s_waitcnt lgkmcnt(2)
	v_pk_mul_f32 v[12:13], v[2:3], v[16:17]
	s_add_i32 s18, s18, 16
	v_cmp_eq_u32_e32 vcc, 0, v7
	ds_write2st64_b32 v8, v12, v13 offset0:28 offset1:30
	v_add_u32_e32 v8, 0x2000, v8
	s_or_b64 s[12:13], vcc, s[12:13]
	v_mov_b32_e32 v9, s18
	s_andn2_b64 exec, exec, s[12:13]
	s_cbranch_execnz .LBB166_37
; %bb.38:
	s_or_b64 exec, exec, s[12:13]
.LBB166_39:
	s_or_b64 exec, exec, s[8:9]
	v_and_b32_e32 v6, 7, v6
	v_cmp_ne_u32_e32 vcc, 0, v6
	s_and_saveexec_b64 s[8:9], vcc
	s_cbranch_execz .LBB166_42
; %bb.40:
	v_lshlrev_b32_e32 v7, 9, v9
	s_movk_i32 s12, 0x1d0
	v_add3_u32 v7, v7, v10, s12
	s_mov_b64 s[12:13], 0
.LBB166_41:                             ; =>This Inner Loop Header: Depth=1
	ds_read2st64_b32 v[8:9], v7 offset1:2
	v_add_u32_e32 v6, -1, v6
	v_cmp_eq_u32_e32 vcc, 0, v6
	s_or_b64 s[12:13], vcc, s[12:13]
	s_waitcnt lgkmcnt(0)
	v_pk_mul_f32 v[8:9], v[2:3], v[8:9]
	ds_write2st64_b32 v7, v8, v9 offset1:2
	v_add_u32_e32 v7, 0x400, v7
	s_andn2_b64 exec, exec, s[12:13]
	s_cbranch_execnz .LBB166_41
.LBB166_42:
	s_or_b64 exec, exec, s[8:9]
	v_add_u32_e32 v5, 1, v5
	v_and_b32_e32 v6, 0x3fffffe, v5
	v_cmp_ne_u32_e32 vcc, v5, v6
	v_lshl_add_u32 v3, v6, 7, v0
	s_orn2_b64 s[8:9], vcc, exec
.LBB166_43:
	s_or_b64 exec, exec, s[2:3]
	s_and_b64 exec, exec, s[8:9]
	s_cbranch_execz .LBB166_46
; %bb.44:
	v_mov_b32_e32 v5, 0x1d0
	v_lshl_add_u32 v5, v3, 2, v5
	s_mov_b64 s[2:3], 0
.LBB166_45:                             ; =>This Inner Loop Header: Depth=1
	ds_read_b32 v6, v5
	v_add_u32_e32 v3, 0x80, v3
	v_cmp_le_i32_e32 vcc, s37, v3
	s_or_b64 s[2:3], vcc, s[2:3]
	s_waitcnt lgkmcnt(0)
	v_mul_f32_e32 v6, v2, v6
	ds_write_b32 v5, v6
	v_add_u32_e32 v5, 0x200, v5
	s_andn2_b64 exec, exec, s[2:3]
	s_cbranch_execnz .LBB166_45
.LBB166_46:
	s_or_b64 exec, exec, s[0:1]
	v_lshrrev_b32_e32 v35, 1, v4
	s_waitcnt lgkmcnt(0)
	s_barrier
	s_and_saveexec_b64 s[0:1], s[6:7]
	s_xor_b64 s[0:1], exec, s[0:1]
; %bb.47:
	v_lshrrev_b32_e32 v35, 1, v4
                                        ; implicit-def: $vgpr33
                                        ; implicit-def: $vgpr32
                                        ; implicit-def: $vgpr10
                                        ; implicit-def: $vgpr14
; %bb.48:
	s_or_saveexec_b64 s[6:7], s[0:1]
	v_mov_b32_e32 v7, 0
	v_and_b32_e32 v36, 1, v0
	v_mov_b32_e32 v6, 0
	v_mov_b32_e32 v9, 0
	;; [unrolled: 1-line block ×3, first 2 shown]
	s_xor_b64 exec, exec, s[6:7]
	s_cbranch_execz .LBB166_64
; %bb.49:
	s_sub_i32 s37, s16, s21
	s_ashr_i32 s0, s20, 31
	s_add_u32 s8, s34, s20
	s_addc_u32 s9, s35, s0
	s_abs_i32 s22, s22
	v_cvt_f32_u32_e32 v2, s22
	v_or_b32_e32 v3, 0x60, v35
	s_movk_i32 s0, 0x70
	v_and_b32_e32 v37, 4, v10
	v_rcp_iflag_f32_e32 v2, v2
	v_cmp_gt_u32_e32 vcc, s0, v3
	s_sub_i32 s0, 0, s22
	s_add_i32 s34, s43, -1
	v_mul_f32_e32 v2, 0x4f7ffffe, v2
	v_cvt_u32_f32_e32 v2, v2
	v_lshl_or_b32 v12, v3, 3, v37
	v_mov_b32_e32 v11, 0
	s_mov_b32 s38, s17
	v_mul_lo_u32 v3, s0, v2
	s_lshl_b64 s[0:1], s[30:31], 2
	v_mul_hi_u32 v3, v2, v3
	s_add_u32 s0, s28, s0
	v_add_u32_e32 v38, v2, v3
	v_and_b32_e32 v2, 60, v14
	v_mov_b32_e32 v3, v11
	s_addc_u32 s1, s29, s1
	v_lshl_add_u64 v[14:15], s[0:1], 0, v[2:3]
	v_lshlrev_b32_e32 v2, 4, v36
	v_lshl_or_b32 v2, v32, 5, v2
	v_lshl_or_b32 v10, v35, 3, v37
	v_mov_b32_e32 v13, v11
	s_mov_b32 s35, s33
	v_add_u32_e32 v39, 0x1d0, v2
	s_mov_b64 s[12:13], 0
	v_mov_b32_e32 v8, v11
	v_mov_b32_e32 v9, v11
	;; [unrolled: 1-line block ×4, first 2 shown]
	s_branch .LBB166_53
.LBB166_50:                             ;   in Loop: Header=BB166_53 Depth=1
	s_or_b64 exec, exec, s[18:19]
	v_pk_mul_f32 v[30:31], v[2:3], v[30:31]
	v_pk_mul_f32 v[24:25], v[4:5], v[24:25]
	v_add_f32_e32 v30, v31, v30
	v_add_f32_e32 v24, v24, v30
	;; [unrolled: 1-line block ×4, first 2 shown]
.LBB166_51:                             ;   in Loop: Header=BB166_53 Depth=1
	s_or_b64 exec, exec, s[2:3]
	v_mul_f32_e32 v24, v2, v28
	v_mul_f32_e32 v22, v2, v22
	;; [unrolled: 1-line block ×3, first 2 shown]
	v_fmac_f32_e32 v24, v3, v29
	v_fmac_f32_e32 v22, v3, v23
	;; [unrolled: 1-line block ×9, first 2 shown]
	v_add_f32_e32 v6, v6, v24
	v_add_f32_e32 v9, v9, v22
	;; [unrolled: 1-line block ×3, first 2 shown]
.LBB166_52:                             ;   in Loop: Header=BB166_53 Depth=1
	s_or_b64 exec, exec, s[16:17]
	v_add_u32_e32 v32, 2, v32
	v_cmp_le_i32_e64 s[0:1], s43, v32
	v_lshl_add_u64 v[14:15], v[14:15], 0, 8
	v_add_u32_e32 v33, 16, v33
	s_or_b64 s[12:13], s[0:1], s[12:13]
	v_add_u32_e32 v39, 64, v39
	s_andn2_b64 exec, exec, s[12:13]
	s_cbranch_execz .LBB166_63
.LBB166_53:                             ; =>This Inner Loop Header: Depth=1
	v_mul_hi_u32 v2, v33, s42
	v_mul_lo_u32 v3, v2, s25
	v_sub_u32_e32 v3, v33, v3
	v_add_u32_e32 v4, 1, v2
	v_cmp_le_u32_e64 s[0:1], s25, v3
	s_nop 1
	v_cndmask_b32_e64 v2, v2, v4, s[0:1]
	v_subrev_u32_e32 v4, s25, v3
	v_cndmask_b32_e64 v3, v3, v4, s[0:1]
	v_add_u32_e32 v4, 1, v2
	v_cmp_le_u32_e64 s[0:1], s25, v3
	s_nop 1
	v_cndmask_b32_e64 v2, v2, v4, s[0:1]
	v_xor_b32_e32 v2, s23, v2
	v_subrev_u32_e32 v2, s23, v2
	v_add_u32_e32 v3, s36, v2
	v_sub_u32_e32 v5, 0, v3
	v_ashrrev_i32_e32 v4, 31, v3
	v_max_i32_e32 v3, v3, v5
	v_mul_hi_u32 v5, v3, v38
	v_mul_lo_u32 v5, v5, s22
	v_sub_u32_e32 v3, v3, v5
	v_subrev_u32_e32 v5, s22, v3
	v_cmp_le_u32_e64 s[0:1], s22, v3
	v_cmp_lt_i32_e64 s[2:3], s37, v2
	s_nop 0
	v_cndmask_b32_e64 v3, v3, v5, s[0:1]
	v_subrev_u32_e32 v5, s22, v3
	v_cmp_le_u32_e64 s[0:1], s22, v3
	s_nop 1
	v_cndmask_b32_e64 v3, v3, v5, s[0:1]
	v_xor_b32_e32 v3, v3, v4
	v_sub_u32_e32 v3, v3, v4
	v_cmp_eq_u32_e64 s[0:1], 0, v3
	s_or_b64 s[0:1], s[0:1], s[2:3]
	s_and_saveexec_b64 s[16:17], s[0:1]
	s_cbranch_execz .LBB166_52
; %bb.54:                               ;   in Loop: Header=BB166_53 Depth=1
	global_load_dword v4, v[14:15], off
	v_mov_b64_e32 v[2:3], s[8:9]
	s_load_dword s18, s[14:15], 0x0
	v_add_u32_e32 v40, v37, v33
	v_add_u32_e32 v30, 2, v40
	;; [unrolled: 1-line block ×3, first 2 shown]
	s_waitcnt vmcnt(0)
	v_mad_i64_i32 v[24:25], s[0:1], v4, s38, v[2:3]
	v_lshl_add_u64 v[26:27], v[24:25], 0, v[10:11]
	global_load_dword v16, v[26:27], off
	ds_read_b128 v[2:5], v39
	v_cmp_eq_u32_e64 s[0:1], s34, v32
	s_waitcnt vmcnt(0)
	v_and_b32_e32 v17, 0xffff, v16
	v_lshrrev_b32_e32 v18, 16, v16
	v_cvt_pk_f32_fp8_e32 v[16:17], v17
	v_cvt_pk_f32_fp8_e32 v[20:21], v18
	s_waitcnt lgkmcnt(0)
	v_pk_mul_f32 v[18:19], v[16:17], s[18:19] op_sel_hi:[1,0]
	v_pk_mul_f32 v[16:17], s[18:19], v[20:21] op_sel_hi:[0,1]
	s_and_saveexec_b64 s[20:21], s[0:1]
; %bb.55:                               ;   in Loop: Header=BB166_53 Depth=1
	v_cmp_gt_i32_e64 s[2:3], s33, v40
	v_add_u32_e32 v20, 1, v40
	s_nop 0
	v_cndmask_b32_e64 v18, 0, v18, s[2:3]
	v_cmp_gt_i32_e64 s[2:3], s33, v20
	s_nop 1
	v_cndmask_b32_e64 v19, 0, v19, s[2:3]
	v_cmp_gt_i32_e64 s[2:3], s33, v30
	;; [unrolled: 3-line block ×3, first 2 shown]
	s_nop 1
	v_cndmask_b32_e64 v17, 0, v17, s[2:3]
; %bb.56:                               ;   in Loop: Header=BB166_53 Depth=1
	s_or_b64 exec, exec, s[20:21]
	global_load_dword v20, v[26:27], off offset:256
	s_mov_b32 s19, s18
	s_waitcnt vmcnt(0)
	v_and_b32_e32 v21, 0xffff, v20
	v_lshrrev_b32_e32 v22, 16, v20
	v_cvt_pk_f32_fp8_e32 v[20:21], v21
	v_cvt_pk_f32_fp8_e32 v[28:29], v22
	v_pk_mul_f32 v[22:23], s[18:19], v[20:21]
	v_pk_mul_f32 v[20:21], s[18:19], v[28:29]
	s_and_saveexec_b64 s[20:21], s[0:1]
; %bb.57:                               ;   in Loop: Header=BB166_53 Depth=1
	v_cmp_gt_i32_e64 s[2:3], s33, v40
	v_add_u32_e32 v28, 1, v40
	s_nop 0
	v_cndmask_b32_e64 v22, 0, v22, s[2:3]
	v_cmp_gt_i32_e64 s[2:3], s33, v28
	s_nop 1
	v_cndmask_b32_e64 v23, 0, v23, s[2:3]
	v_cmp_gt_i32_e64 s[2:3], s33, v30
	;; [unrolled: 3-line block ×3, first 2 shown]
	s_nop 1
	v_cndmask_b32_e64 v21, 0, v21, s[2:3]
; %bb.58:                               ;   in Loop: Header=BB166_53 Depth=1
	s_or_b64 exec, exec, s[20:21]
	global_load_dword v26, v[26:27], off offset:512
	s_waitcnt vmcnt(0)
	v_and_b32_e32 v27, 0xffff, v26
	v_lshrrev_b32_e32 v28, 16, v26
	v_cvt_pk_f32_fp8_e32 v[26:27], v27
	v_cvt_pk_f32_fp8_e32 v[42:43], v28
	v_pk_mul_f32 v[28:29], s[18:19], v[26:27]
	v_pk_mul_f32 v[26:27], s[18:19], v[42:43]
	s_and_saveexec_b64 s[20:21], s[0:1]
; %bb.59:                               ;   in Loop: Header=BB166_53 Depth=1
	v_cmp_gt_i32_e64 s[2:3], s33, v40
	v_add_u32_e32 v41, 1, v40
	s_nop 0
	v_cndmask_b32_e64 v28, 0, v28, s[2:3]
	v_cmp_gt_i32_e64 s[2:3], s33, v41
	s_nop 1
	v_cndmask_b32_e64 v29, 0, v29, s[2:3]
	v_cmp_gt_i32_e64 s[2:3], s33, v30
	;; [unrolled: 3-line block ×3, first 2 shown]
	s_nop 1
	v_cndmask_b32_e64 v27, 0, v27, s[2:3]
; %bb.60:                               ;   in Loop: Header=BB166_53 Depth=1
	s_or_b64 exec, exec, s[20:21]
	s_and_saveexec_b64 s[2:3], vcc
	s_cbranch_execz .LBB166_51
; %bb.61:                               ;   in Loop: Header=BB166_53 Depth=1
	v_lshl_add_u64 v[24:25], v[24:25], 0, v[12:13]
	global_load_dword v24, v[24:25], off
	s_waitcnt vmcnt(0)
	v_and_b32_e32 v25, 0xffff, v24
	v_lshrrev_b32_e32 v30, 16, v24
	v_cvt_pk_f32_fp8_e32 v[24:25], v25
	v_cvt_pk_f32_fp8_e32 v[42:43], v30
	v_pk_mul_f32 v[30:31], s[18:19], v[24:25]
	v_pk_mul_f32 v[24:25], s[18:19], v[42:43]
	s_and_saveexec_b64 s[18:19], s[0:1]
	s_cbranch_execz .LBB166_50
; %bb.62:                               ;   in Loop: Header=BB166_53 Depth=1
	v_add_u32_e32 v41, 1, v40
	v_cmp_gt_i32_e64 s[0:1], s35, v41
	v_or_b32_e32 v41, 3, v40
	s_nop 0
	v_cndmask_b32_e64 v31, 0, v31, s[0:1]
	v_cmp_gt_i32_e64 s[0:1], s33, v40
	v_or_b32_e32 v40, 2, v40
	s_nop 0
	v_cndmask_b32_e64 v30, 0, v30, s[0:1]
	v_cmp_gt_i32_e64 s[0:1], s35, v41
	s_nop 1
	v_cndmask_b32_e64 v25, 0, v25, s[0:1]
	v_cmp_gt_i32_e64 s[0:1], s33, v40
	s_nop 1
	v_cndmask_b32_e64 v24, 0, v24, s[0:1]
	s_branch .LBB166_50
.LBB166_63:
	s_or_b64 exec, exec, s[12:13]
.LBB166_64:
	s_or_b64 exec, exec, s[6:7]
	ds_bpermute_b32 v2, v34, v8
	ds_bpermute_b32 v3, v34, v9
	;; [unrolled: 1-line block ×4, first 2 shown]
	v_cmp_eq_u32_e32 vcc, 0, v36
	s_waitcnt lgkmcnt(0)
	v_pk_add_f32 v[4:5], v[8:9], v[2:3]
	s_barrier
	v_pk_add_f32 v[2:3], v[6:7], v[10:11]
	v_and_b32_e32 v6, 0x3c0, v0
	v_cmp_eq_u32_e64 s[0:1], 64, v6
	s_and_saveexec_b64 s[2:3], s[0:1]
	s_cbranch_execz .LBB166_69
; %bb.65:
	s_and_saveexec_b64 s[0:1], vcc
	s_cbranch_execz .LBB166_67
; %bb.66:
	v_mov_b32_e32 v6, 0x1d0
	v_lshl_add_u32 v6, v35, 2, v6
	ds_write2_b32 v6, v4, v5 offset1:32
	ds_write_b32 v6, v2 offset:256
.LBB166_67:
	s_or_b64 exec, exec, s[0:1]
	v_or_b32_e32 v6, 0x60, v35
	s_movk_i32 s0, 0x70
	v_cmp_gt_u32_e64 s[0:1], s0, v6
	s_and_b64 s[0:1], vcc, s[0:1]
	s_and_b64 exec, exec, s[0:1]
; %bb.68:
	v_mov_b32_e32 v6, 0x1d0
	v_lshl_add_u32 v6, v35, 2, v6
	ds_write_b32 v6, v3 offset:384
.LBB166_69:
	s_or_b64 exec, exec, s[2:3]
	v_cmp_gt_u32_e64 s[0:1], 64, v0
	s_waitcnt lgkmcnt(0)
	s_barrier
	s_and_saveexec_b64 s[6:7], s[0:1]
	s_cbranch_execz .LBB166_79
; %bb.70:
	s_and_saveexec_b64 s[2:3], vcc
	s_cbranch_execz .LBB166_72
; %bb.71:
	v_mov_b32_e32 v0, 0x1d0
	v_lshl_add_u32 v0, v1, 2, v0
	ds_read_b32 v0, v0
	s_waitcnt lgkmcnt(0)
	v_add_f32_e32 v4, v4, v0
.LBB166_72:
	s_or_b64 exec, exec, s[2:3]
	v_or_b32_e32 v0, 32, v1
	s_movk_i32 s8, 0x70
	v_cmp_gt_u32_e64 s[2:3], s8, v0
	s_and_b64 s[12:13], vcc, s[2:3]
	s_and_saveexec_b64 s[2:3], s[12:13]
	s_cbranch_execz .LBB166_74
; %bb.73:
	v_mov_b32_e32 v0, 0x1d0
	v_lshl_add_u32 v0, v1, 2, v0
	ds_read_b32 v0, v0 offset:128
	s_waitcnt lgkmcnt(0)
	v_add_f32_e32 v5, v5, v0
.LBB166_74:
	s_or_b64 exec, exec, s[2:3]
	v_or_b32_e32 v0, 64, v1
	v_cmp_gt_u32_e64 s[2:3], s8, v0
	s_and_b64 s[8:9], vcc, s[2:3]
	s_and_saveexec_b64 s[2:3], s[8:9]
	s_cbranch_execz .LBB166_76
; %bb.75:
	v_mov_b32_e32 v0, 0x1d0
	v_lshl_add_u32 v0, v1, 2, v0
	ds_read_b32 v0, v0 offset:256
	s_waitcnt lgkmcnt(0)
	v_add_f32_e32 v2, v2, v0
.LBB166_76:
	s_or_b64 exec, exec, s[2:3]
	v_or_b32_e32 v0, 0x60, v1
	s_movk_i32 s2, 0x70
	v_cmp_gt_u32_e64 s[2:3], s2, v0
	s_and_b64 s[8:9], vcc, s[2:3]
	s_and_saveexec_b64 s[2:3], s[8:9]
	s_cbranch_execz .LBB166_78
; %bb.77:
	v_mov_b32_e32 v0, 0x1d0
	v_lshl_add_u32 v0, v1, 2, v0
	ds_read_b32 v0, v0 offset:384
	s_waitcnt lgkmcnt(0)
	v_add_f32_e32 v3, v3, v0
.LBB166_78:
	s_or_b64 exec, exec, s[2:3]
.LBB166_79:
	s_or_b64 exec, exec, s[6:7]
	s_barrier
	s_and_saveexec_b64 s[2:3], s[0:1]
	s_cbranch_execz .LBB166_88
; %bb.80:
	s_mul_i32 s0, s10, s11
	s_mul_i32 s0, s0, s5
	s_mulk_i32 s0, 0x70
	s_ashr_i32 s1, s0, 31
	s_lshl_b64 s[0:1], s[0:1], 2
	s_add_u32 s2, s26, s0
	s_mul_i32 s0, s11, s24
	s_addc_u32 s3, s27, s1
	s_ashr_i32 s1, s0, 31
	s_lshl_b64 s[0:1], s[0:1], 2
	s_add_u32 s2, s2, s0
	s_mul_i32 s0, s4, 0x70
	s_addc_u32 s3, s3, s1
	s_ashr_i32 s1, s0, 31
	s_lshl_b64 s[0:1], s[0:1], 2
	s_add_u32 s2, s2, s0
	s_movk_i32 s5, 0x70
	s_addc_u32 s3, s3, s1
	v_lshlrev_b32_e32 v0, 2, v1
	s_and_saveexec_b64 s[0:1], vcc
	s_cbranch_execz .LBB166_82
; %bb.81:
	global_store_dword v0, v4, s[2:3]
.LBB166_82:
	s_or_b64 exec, exec, s[0:1]
	v_or_b32_e32 v4, 32, v1
	v_cmp_gt_u32_e64 s[0:1], s5, v4
	s_and_b64 s[4:5], vcc, s[0:1]
	s_and_saveexec_b64 s[0:1], s[4:5]
	s_cbranch_execz .LBB166_84
; %bb.83:
	global_store_dword v0, v5, s[2:3] offset:128
.LBB166_84:
	s_or_b64 exec, exec, s[0:1]
	v_or_b32_e32 v4, 64, v1
	s_movk_i32 s4, 0x70
	v_cmp_gt_u32_e64 s[0:1], s4, v4
	s_and_b64 s[6:7], vcc, s[0:1]
	s_and_saveexec_b64 s[0:1], s[6:7]
	s_cbranch_execz .LBB166_86
; %bb.85:
	global_store_dword v0, v2, s[2:3] offset:256
.LBB166_86:
	s_or_b64 exec, exec, s[0:1]
	v_or_b32_e32 v1, 0x60, v1
	v_cmp_gt_u32_e64 s[0:1], s4, v1
	s_and_b64 s[0:1], vcc, s[0:1]
	s_and_b64 exec, exec, s[0:1]
	s_cbranch_execz .LBB166_88
; %bb.87:
	global_store_dword v0, v3, s[2:3] offset:384
.LBB166_88:
	s_endpgm
	.section	.rodata,"a",@progbits
	.p2align	6, 0x0
	.amdhsa_kernel _ZN4vllm25paged_attention_v1_kernelIfhLi112ELi8ELi128ELNS_18Fp8KVCacheDataTypeE1ELb1EEEvPT_PKS2_PKT0_S8_ifPKiSA_iPKfiiiSC_SC_iiiii
		.amdhsa_group_segment_fixed_size 464
		.amdhsa_private_segment_fixed_size 0
		.amdhsa_kernarg_size 384
		.amdhsa_user_sgpr_count 2
		.amdhsa_user_sgpr_dispatch_ptr 0
		.amdhsa_user_sgpr_queue_ptr 0
		.amdhsa_user_sgpr_kernarg_segment_ptr 1
		.amdhsa_user_sgpr_dispatch_id 0
		.amdhsa_user_sgpr_kernarg_preload_length 0
		.amdhsa_user_sgpr_kernarg_preload_offset 0
		.amdhsa_user_sgpr_private_segment_size 0
		.amdhsa_uses_dynamic_stack 0
		.amdhsa_enable_private_segment 0
		.amdhsa_system_sgpr_workgroup_id_x 1
		.amdhsa_system_sgpr_workgroup_id_y 1
		.amdhsa_system_sgpr_workgroup_id_z 1
		.amdhsa_system_sgpr_workgroup_info 0
		.amdhsa_system_vgpr_workitem_id 0
		.amdhsa_next_free_vgpr 54
		.amdhsa_next_free_sgpr 48
		.amdhsa_accum_offset 56
		.amdhsa_reserve_vcc 1
		.amdhsa_float_round_mode_32 0
		.amdhsa_float_round_mode_16_64 0
		.amdhsa_float_denorm_mode_32 3
		.amdhsa_float_denorm_mode_16_64 3
		.amdhsa_dx10_clamp 1
		.amdhsa_ieee_mode 1
		.amdhsa_fp16_overflow 0
		.amdhsa_tg_split 0
		.amdhsa_exception_fp_ieee_invalid_op 0
		.amdhsa_exception_fp_denorm_src 0
		.amdhsa_exception_fp_ieee_div_zero 0
		.amdhsa_exception_fp_ieee_overflow 0
		.amdhsa_exception_fp_ieee_underflow 0
		.amdhsa_exception_fp_ieee_inexact 0
		.amdhsa_exception_int_div_zero 0
	.end_amdhsa_kernel
	.section	.text._ZN4vllm25paged_attention_v1_kernelIfhLi112ELi8ELi128ELNS_18Fp8KVCacheDataTypeE1ELb1EEEvPT_PKS2_PKT0_S8_ifPKiSA_iPKfiiiSC_SC_iiiii,"axG",@progbits,_ZN4vllm25paged_attention_v1_kernelIfhLi112ELi8ELi128ELNS_18Fp8KVCacheDataTypeE1ELb1EEEvPT_PKS2_PKT0_S8_ifPKiSA_iPKfiiiSC_SC_iiiii,comdat
.Lfunc_end166:
	.size	_ZN4vllm25paged_attention_v1_kernelIfhLi112ELi8ELi128ELNS_18Fp8KVCacheDataTypeE1ELb1EEEvPT_PKS2_PKT0_S8_ifPKiSA_iPKfiiiSC_SC_iiiii, .Lfunc_end166-_ZN4vllm25paged_attention_v1_kernelIfhLi112ELi8ELi128ELNS_18Fp8KVCacheDataTypeE1ELb1EEEvPT_PKS2_PKT0_S8_ifPKiSA_iPKfiiiSC_SC_iiiii
                                        ; -- End function
	.set _ZN4vllm25paged_attention_v1_kernelIfhLi112ELi8ELi128ELNS_18Fp8KVCacheDataTypeE1ELb1EEEvPT_PKS2_PKT0_S8_ifPKiSA_iPKfiiiSC_SC_iiiii.num_vgpr, 54
	.set _ZN4vllm25paged_attention_v1_kernelIfhLi112ELi8ELi128ELNS_18Fp8KVCacheDataTypeE1ELb1EEEvPT_PKS2_PKT0_S8_ifPKiSA_iPKfiiiSC_SC_iiiii.num_agpr, 0
	.set _ZN4vllm25paged_attention_v1_kernelIfhLi112ELi8ELi128ELNS_18Fp8KVCacheDataTypeE1ELb1EEEvPT_PKS2_PKT0_S8_ifPKiSA_iPKfiiiSC_SC_iiiii.numbered_sgpr, 48
	.set _ZN4vllm25paged_attention_v1_kernelIfhLi112ELi8ELi128ELNS_18Fp8KVCacheDataTypeE1ELb1EEEvPT_PKS2_PKT0_S8_ifPKiSA_iPKfiiiSC_SC_iiiii.num_named_barrier, 0
	.set _ZN4vllm25paged_attention_v1_kernelIfhLi112ELi8ELi128ELNS_18Fp8KVCacheDataTypeE1ELb1EEEvPT_PKS2_PKT0_S8_ifPKiSA_iPKfiiiSC_SC_iiiii.private_seg_size, 0
	.set _ZN4vllm25paged_attention_v1_kernelIfhLi112ELi8ELi128ELNS_18Fp8KVCacheDataTypeE1ELb1EEEvPT_PKS2_PKT0_S8_ifPKiSA_iPKfiiiSC_SC_iiiii.uses_vcc, 1
	.set _ZN4vllm25paged_attention_v1_kernelIfhLi112ELi8ELi128ELNS_18Fp8KVCacheDataTypeE1ELb1EEEvPT_PKS2_PKT0_S8_ifPKiSA_iPKfiiiSC_SC_iiiii.uses_flat_scratch, 0
	.set _ZN4vllm25paged_attention_v1_kernelIfhLi112ELi8ELi128ELNS_18Fp8KVCacheDataTypeE1ELb1EEEvPT_PKS2_PKT0_S8_ifPKiSA_iPKfiiiSC_SC_iiiii.has_dyn_sized_stack, 0
	.set _ZN4vllm25paged_attention_v1_kernelIfhLi112ELi8ELi128ELNS_18Fp8KVCacheDataTypeE1ELb1EEEvPT_PKS2_PKT0_S8_ifPKiSA_iPKfiiiSC_SC_iiiii.has_recursion, 0
	.set _ZN4vllm25paged_attention_v1_kernelIfhLi112ELi8ELi128ELNS_18Fp8KVCacheDataTypeE1ELb1EEEvPT_PKS2_PKT0_S8_ifPKiSA_iPKfiiiSC_SC_iiiii.has_indirect_call, 0
	.section	.AMDGPU.csdata,"",@progbits
; Kernel info:
; codeLenInByte = 5188
; TotalNumSgprs: 54
; NumVgprs: 54
; NumAgprs: 0
; TotalNumVgprs: 54
; ScratchSize: 0
; MemoryBound: 0
; FloatMode: 240
; IeeeMode: 1
; LDSByteSize: 464 bytes/workgroup (compile time only)
; SGPRBlocks: 6
; VGPRBlocks: 6
; NumSGPRsForWavesPerEU: 54
; NumVGPRsForWavesPerEU: 54
; AccumOffset: 56
; Occupancy: 8
; WaveLimiterHint : 1
; COMPUTE_PGM_RSRC2:SCRATCH_EN: 0
; COMPUTE_PGM_RSRC2:USER_SGPR: 2
; COMPUTE_PGM_RSRC2:TRAP_HANDLER: 0
; COMPUTE_PGM_RSRC2:TGID_X_EN: 1
; COMPUTE_PGM_RSRC2:TGID_Y_EN: 1
; COMPUTE_PGM_RSRC2:TGID_Z_EN: 1
; COMPUTE_PGM_RSRC2:TIDIG_COMP_CNT: 0
; COMPUTE_PGM_RSRC3_GFX90A:ACCUM_OFFSET: 13
; COMPUTE_PGM_RSRC3_GFX90A:TG_SPLIT: 0
	.section	.text._ZN4vllm25paged_attention_v1_kernelIfhLi120ELi8ELi128ELNS_18Fp8KVCacheDataTypeE1ELb1EEEvPT_PKS2_PKT0_S8_ifPKiSA_iPKfiiiSC_SC_iiiii,"axG",@progbits,_ZN4vllm25paged_attention_v1_kernelIfhLi120ELi8ELi128ELNS_18Fp8KVCacheDataTypeE1ELb1EEEvPT_PKS2_PKT0_S8_ifPKiSA_iPKfiiiSC_SC_iiiii,comdat
	.protected	_ZN4vllm25paged_attention_v1_kernelIfhLi120ELi8ELi128ELNS_18Fp8KVCacheDataTypeE1ELb1EEEvPT_PKS2_PKT0_S8_ifPKiSA_iPKfiiiSC_SC_iiiii ; -- Begin function _ZN4vllm25paged_attention_v1_kernelIfhLi120ELi8ELi128ELNS_18Fp8KVCacheDataTypeE1ELb1EEEvPT_PKS2_PKT0_S8_ifPKiSA_iPKfiiiSC_SC_iiiii
	.globl	_ZN4vllm25paged_attention_v1_kernelIfhLi120ELi8ELi128ELNS_18Fp8KVCacheDataTypeE1ELb1EEEvPT_PKS2_PKT0_S8_ifPKiSA_iPKfiiiSC_SC_iiiii
	.p2align	8
	.type	_ZN4vllm25paged_attention_v1_kernelIfhLi120ELi8ELi128ELNS_18Fp8KVCacheDataTypeE1ELb1EEEvPT_PKS2_PKT0_S8_ifPKiSA_iPKfiiiSC_SC_iiiii,@function
_ZN4vllm25paged_attention_v1_kernelIfhLi120ELi8ELi128ELNS_18Fp8KVCacheDataTypeE1ELb1EEEvPT_PKS2_PKT0_S8_ifPKiSA_iPKfiiiSC_SC_iiiii: ; @_ZN4vllm25paged_attention_v1_kernelIfhLi120ELi8ELi128ELNS_18Fp8KVCacheDataTypeE1ELb1EEEvPT_PKS2_PKT0_S8_ifPKiSA_iPKfiiiSC_SC_iiiii
; %bb.0:
	s_load_dword s5, s[0:1], 0x80
	s_load_dwordx2 s[6:7], s[0:1], 0x30
	s_load_dwordx2 s[36:37], s[0:1], 0x20
	s_mov_b32 s10, s3
	s_ashr_i32 s11, s3, 31
	s_lshl_b64 s[8:9], s[10:11], 2
	s_waitcnt lgkmcnt(0)
	s_add_u32 s6, s6, s8
	s_addc_u32 s7, s7, s9
	s_abs_i32 s3, s36
	v_cvt_f32_u32_e32 v1, s3
	s_sub_i32 s11, 0, s3
	s_abs_i32 s9, s5
	s_xor_b32 s8, s5, s36
	v_rcp_iflag_f32_e32 v1, v1
	s_ashr_i32 s8, s8, 31
	s_mov_b32 s44, 0
	v_mul_f32_e32 v1, 0x4f7ffffe, v1
	v_cvt_u32_f32_e32 v1, v1
	s_nop 0
	v_readfirstlane_b32 s12, v1
	s_mul_i32 s11, s11, s12
	s_mul_hi_u32 s11, s12, s11
	s_add_i32 s12, s12, s11
	s_mul_hi_u32 s11, s9, s12
	s_mul_i32 s12, s11, s3
	s_sub_i32 s9, s9, s12
	s_add_i32 s12, s11, 1
	s_sub_i32 s13, s9, s3
	s_cmp_ge_u32 s9, s3
	s_cselect_b32 s11, s12, s11
	s_cselect_b32 s9, s13, s9
	s_add_i32 s12, s11, 1
	s_cmp_ge_u32 s9, s3
	s_cselect_b32 s3, s12, s11
	s_xor_b32 s3, s3, s8
	s_sub_i32 s14, s3, s8
	s_abs_i32 s11, s14
	v_cvt_f32_u32_e32 v1, s11
	s_load_dwordx2 s[8:9], s[0:1], 0x40
	s_sub_i32 s3, 0, s11
	s_abs_i32 s12, s2
	v_rcp_iflag_f32_e32 v1, v1
	s_nop 0
	v_mul_f32_e32 v1, 0x4f7ffffe, v1
	v_cvt_u32_f32_e32 v1, v1
	s_nop 0
	v_readfirstlane_b32 s13, v1
	s_mul_i32 s3, s3, s13
	s_mul_hi_u32 s3, s13, s3
	s_add_i32 s13, s13, s3
	s_waitcnt lgkmcnt(0)
	s_cmp_eq_u64 s[8:9], 0
	s_mul_hi_u32 s13, s12, s13
	s_cbranch_scc1 .LBB167_2
; %bb.1:
	s_ashr_i32 s3, s2, 31
	s_lshl_b64 s[16:17], s[2:3], 2
	s_add_u32 s8, s8, s16
	s_addc_u32 s9, s9, s17
	s_load_dword s44, s[8:9], 0x0
.LBB167_2:
	s_load_dword s33, s[6:7], 0x0
	s_load_dwordx4 s[16:19], s[0:1], 0x48
	s_movk_i32 s6, 0x78
	s_ashr_i32 s3, s2, 31
	s_ashr_i32 s9, s14, 31
	v_and_b32_e32 v2, 7, v0
	s_mul_i32 s24, s2, 0x78
	v_cmp_gt_u32_e32 vcc, s6, v0
	v_lshlrev_b32_e32 v10, 2, v0
	v_lshrrev_b32_e32 v1, 1, v0
	s_and_saveexec_b64 s[6:7], vcc
	s_cbranch_execz .LBB167_4
; %bb.3:
	s_load_dwordx2 s[14:15], s[0:1], 0x8
	s_waitcnt lgkmcnt(0)
	s_mul_i32 s20, s16, s10
	s_ashr_i32 s21, s20, 31
	s_lshl_b64 s[20:21], s[20:21], 2
	v_and_b32_e32 v4, 0x1fc, v1
	s_add_u32 s8, s14, s20
	s_addc_u32 s16, s15, s21
	s_ashr_i32 s25, s24, 31
	s_lshl_b64 s[14:15], s[24:25], 2
	s_add_u32 s14, s8, s14
	s_addc_u32 s15, s16, s15
	global_load_dword v3, v10, s[14:15]
	v_mad_u32_u24 v4, v2, 60, v4
	s_waitcnt vmcnt(0)
	ds_write_b32 v4, v3
.LBB167_4:
	s_or_b64 exec, exec, s[6:7]
	s_mul_i32 s6, s13, s11
	s_sub_i32 s6, s12, s6
	s_xor_b32 s3, s3, s9
	s_add_i32 s7, s13, 1
	s_sub_i32 s9, s6, s11
	s_load_dwordx4 s[20:23], s[0:1], 0x68
	s_load_dword s8, s[0:1], 0x78
	s_cmp_ge_u32 s6, s11
	s_cselect_b32 s7, s7, s13
	s_cselect_b32 s6, s9, s6
	s_add_i32 s9, s7, 1
	s_cmp_ge_u32 s6, s11
	s_cselect_b32 s6, s9, s7
	s_waitcnt lgkmcnt(0)
	s_abs_i32 s25, s23
	v_cvt_f32_u32_e32 v3, s25
	s_xor_b32 s6, s6, s3
	s_sub_i32 s3, s6, s3
	s_sub_i32 s6, 0, s25
	v_rcp_iflag_f32_e32 v3, v3
	s_add_i32 s11, s33, -1
	s_abs_i32 s9, s11
	v_mul_f32_e32 v3, 0x4f7ffffe, v3
	v_cvt_u32_f32_e32 v3, v3
	s_barrier
	v_readfirstlane_b32 s42, v3
	s_mul_i32 s6, s6, s42
	s_mul_hi_u32 s6, s42, s6
	s_add_i32 s42, s42, s6
	s_cmp_lt_i32 s8, 0
	s_mul_hi_u32 s16, s9, s42
	s_cbranch_scc0 .LBB167_6
; %bb.5:
	s_mul_i32 s6, s20, s36
	s_add_i32 s6, s3, s6
	s_mul_i32 s6, s6, s8
	s_sub_i32 s36, 1, s6
	s_mov_b64 s[6:7], 0
	s_branch .LBB167_7
.LBB167_6:
	s_mov_b64 s[6:7], -1
                                        ; implicit-def: $sgpr36
.LBB167_7:
	s_load_dwordx2 s[28:29], s[0:1], 0x28
	s_ashr_i32 s19, s11, 31
	s_andn2_b64 vcc, exec, s[6:7]
	s_ashr_i32 s23, s23, 31
	s_cbranch_vccnz .LBB167_9
; %bb.8:
	s_mul_i32 s6, s5, s20
	s_add_i32 s2, s6, s2
	s_mul_i32 s2, s2, s8
	s_add_i32 s36, s2, 1
.LBB167_9:
	s_load_dword s2, s[0:1], 0x38
	s_load_dwordx2 s[26:27], s[0:1], 0x0
	s_load_dwordx2 s[34:35], s[0:1], 0x18
	s_load_dword s11, s[0:1], 0x88
	s_load_dwordx4 s[12:15], s[0:1], 0x58
	s_mul_i32 s6, s16, s25
	s_waitcnt lgkmcnt(0)
	s_mul_i32 s30, s2, s10
	s_sub_i32 s6, s9, s6
	s_ashr_i32 s31, s30, 31
	s_xor_b32 s2, s19, s23
	s_add_i32 s7, s16, 1
	s_sub_i32 s8, s6, s25
	s_cmp_ge_u32 s6, s25
	s_cselect_b32 s7, s7, s16
	s_cselect_b32 s6, s8, s6
	s_add_i32 s8, s7, 1
	s_cmp_ge_u32 s6, s25
	s_cselect_b32 s6, s8, s7
	s_xor_b32 s6, s6, s2
	s_sub_i32 s16, s6, s2
	s_add_i32 s2, s33, 7
	s_ashr_i32 s6, s2, 31
	s_lshr_b32 s6, s6, 29
	s_add_i32 s2, s2, s6
	s_ashr_i32 s43, s2, 3
	v_lshrrev_b32_e32 v32, 6, v0
	v_cmp_le_i32_e64 s[6:7], s43, v32
	v_cmp_gt_i32_e32 vcc, s43, v32
	v_mov_b32_e32 v9, 0xff7fffff
	s_mul_i32 s20, s3, s18
	v_lshrrev_b32_e32 v14, 4, v0
	v_lshlrev_b32_e32 v33, 3, v32
	v_mbcnt_lo_u32_b32 v6, -1, 0
	s_and_saveexec_b64 s[18:19], vcc
	s_cbranch_execz .LBB167_21
; %bb.10:
	s_load_dwordx2 s[0:1], s[0:1], 0x10
	s_sub_i32 s45, s16, s21
	s_ashr_i32 s2, s20, 31
	v_bfe_u32 v7, v0, 3, 3
	v_mov_b32_e32 v5, 0
	s_waitcnt lgkmcnt(0)
	s_add_u32 s0, s0, s20
	s_addc_u32 s1, s1, s2
	s_abs_i32 s46, s22
	v_cvt_f32_u32_e32 v3, s46
	v_lshlrev_b32_e32 v4, 4, v7
	v_lshl_add_u64 v[12:13], s[0:1], 0, v[4:5]
	s_sub_i32 s0, 0, s46
	v_rcp_iflag_f32_e32 v3, v3
	v_cmp_eq_u32_e32 vcc, 0, v2
	v_mul_u32_u24_e32 v8, 60, v2
	v_mbcnt_hi_u32_b32 v17, -1, v6
	v_mul_f32_e32 v3, 0x4f7ffffe, v3
	v_cvt_u32_f32_e32 v9, v3
	v_mov_b32_e32 v3, v5
	v_lshl_add_u64 v[2:3], v[12:13], 0, v[2:3]
	s_mov_b32 s47, s17
	v_mul_lo_u32 v4, s0, v9
	v_mul_hi_u32 v4, v9, v4
	v_add_u32_e32 v11, v9, v4
	v_subrev_u32_e32 v9, s33, v7
	s_lshl_b64 s[0:1], s[30:31], 2
	v_add_u32_e32 v13, 1, v9
	v_lshlrev_b32_e32 v9, 2, v7
	s_add_u32 s0, s28, s0
	v_lshl_or_b32 v9, v32, 5, v9
	v_and_b32_e32 v4, 60, v14
	s_addc_u32 s1, s29, s1
	v_add_u32_e32 v15, 0x1f0, v9
	v_and_b32_e32 v9, 64, v17
	v_cmp_neq_f32_e64 s[2:3], s44, 0
	v_lshl_add_u64 v[4:5], s[0:1], 0, v[4:5]
	v_lshlrev_b32_e32 v12, 3, v32
	v_mov_b32_e32 v16, 0xff7fffff
	s_mov_b64 s[38:39], 0
	v_add_u32_e32 v18, 64, v9
	v_xor_b32_e32 v19, 4, v17
	v_xor_b32_e32 v20, 2, v17
	v_xor_b32_e32 v21, 1, v17
	v_mov_b32_e32 v9, 0xff7fffff
	v_mov_b32_e32 v22, v32
	s_branch .LBB167_13
.LBB167_11:                             ;   in Loop: Header=BB167_13 Depth=1
	s_or_b64 exec, exec, s[40:41]
.LBB167_12:                             ;   in Loop: Header=BB167_13 Depth=1
	s_or_b64 exec, exec, s[8:9]
	v_add_u32_e32 v22, 2, v22
	v_cmp_le_i32_e64 s[0:1], s43, v22
	v_lshl_add_u64 v[4:5], v[4:5], 0, 8
	v_add_u32_e32 v12, 16, v12
	s_or_b64 s[38:39], s[0:1], s[38:39]
	v_add_u32_e32 v15, 64, v15
	s_andn2_b64 exec, exec, s[38:39]
	s_cbranch_execz .LBB167_20
.LBB167_13:                             ; =>This Inner Loop Header: Depth=1
	v_mul_hi_u32 v23, v12, s42
	s_waitcnt lgkmcnt(0)
	v_mul_lo_u32 v24, v23, s25
	v_sub_u32_e32 v24, v12, v24
	v_add_u32_e32 v25, 1, v23
	v_cmp_le_u32_e64 s[0:1], s25, v24
	s_nop 1
	v_cndmask_b32_e64 v23, v23, v25, s[0:1]
	v_subrev_u32_e32 v25, s25, v24
	v_cndmask_b32_e64 v24, v24, v25, s[0:1]
	v_add_u32_e32 v25, 1, v23
	v_cmp_le_u32_e64 s[0:1], s25, v24
	s_nop 1
	v_cndmask_b32_e64 v23, v23, v25, s[0:1]
	v_xor_b32_e32 v23, s23, v23
	v_subrev_u32_e32 v23, s23, v23
	v_add_u32_e32 v24, s36, v23
	v_sub_u32_e32 v26, 0, v24
	v_ashrrev_i32_e32 v25, 31, v24
	v_max_i32_e32 v24, v24, v26
	v_mul_hi_u32 v26, v24, v11
	v_mul_lo_u32 v26, v26, s46
	v_sub_u32_e32 v24, v24, v26
	v_subrev_u32_e32 v26, s46, v24
	v_cmp_le_u32_e64 s[0:1], s46, v24
	v_cmp_ge_i32_e64 s[8:9], s45, v23
	s_nop 0
	v_cndmask_b32_e64 v24, v24, v26, s[0:1]
	v_subrev_u32_e32 v26, s46, v24
	v_cmp_le_u32_e64 s[0:1], s46, v24
	s_nop 1
	v_cndmask_b32_e64 v24, v24, v26, s[0:1]
	v_xor_b32_e32 v24, v24, v25
	v_sub_u32_e32 v24, v24, v25
	v_cmp_ne_u32_e64 s[0:1], 0, v24
	s_and_b64 s[0:1], s[0:1], s[8:9]
	s_and_saveexec_b64 s[8:9], s[0:1]
	s_xor_b64 s[0:1], exec, s[8:9]
	s_cbranch_execz .LBB167_17
; %bb.14:                               ;   in Loop: Header=BB167_13 Depth=1
	s_and_saveexec_b64 s[8:9], vcc
; %bb.15:                               ;   in Loop: Header=BB167_13 Depth=1
	ds_write_b32 v15, v16
; %bb.16:                               ;   in Loop: Header=BB167_13 Depth=1
	s_or_b64 exec, exec, s[8:9]
.LBB167_17:                             ;   in Loop: Header=BB167_13 Depth=1
	s_andn2_saveexec_b64 s[8:9], s[0:1]
	s_cbranch_execz .LBB167_12
; %bb.18:                               ;   in Loop: Header=BB167_13 Depth=1
	global_load_dword v23, v[4:5], off
	s_waitcnt vmcnt(0)
	v_mad_i64_i32 v[24:25], s[0:1], v23, s47, v[2:3]
	global_load_ubyte v23, v[24:25], off
	global_load_ubyte v40, v[24:25], off offset:8
	global_load_ubyte v41, v[24:25], off offset:128
	;; [unrolled: 1-line block ×14, first 2 shown]
	v_cmp_lt_i32_e64 s[0:1], v19, v18
	ds_read2_b32 v[24:25], v8 offset1:1
	ds_read2_b32 v[26:27], v8 offset0:2 offset1:3
	ds_read2_b32 v[28:29], v8 offset0:4 offset1:5
	;; [unrolled: 1-line block ×6, first 2 shown]
	ds_read_b32 v54, v8 offset:56
	v_cndmask_b32_e64 v55, v17, v19, s[0:1]
	s_load_dword s0, s[12:13], 0x0
	v_lshlrev_b32_e32 v55, 2, v55
	s_waitcnt vmcnt(14)
	v_cvt_f32_fp8_e32 v23, v23
	s_waitcnt vmcnt(13)
	v_cvt_f32_fp8_e32 v40, v40
	;; [unrolled: 2-line block ×5, first 2 shown]
	s_waitcnt lgkmcnt(0)
	v_mul_f32_e32 v40, s0, v40
	s_waitcnt vmcnt(9)
	v_cvt_f32_fp8_e32 v44, v44
	v_mul_f32_e32 v23, s0, v23
	v_mul_f32_e32 v25, v25, v40
	s_waitcnt vmcnt(8)
	v_cvt_f32_fp8_e32 v45, v45
	v_mul_f32_e32 v41, s0, v41
	v_fmac_f32_e32 v25, v24, v23
	s_waitcnt vmcnt(7)
	v_cvt_f32_fp8_e32 v46, v46
	v_mul_f32_e32 v42, s0, v42
	v_fmac_f32_e32 v25, v26, v41
	;; [unrolled: 4-line block ×9, first 2 shown]
	v_mul_f32_e32 v50, s0, v50
	v_fmac_f32_e32 v25, v36, v49
	v_mul_f32_e32 v51, s0, v51
	v_fmac_f32_e32 v25, v37, v50
	;; [unrolled: 2-line block ×4, first 2 shown]
	v_fmac_f32_e32 v25, v54, v53
	ds_bpermute_b32 v23, v55, v25
	v_cmp_lt_i32_e64 s[0:1], v20, v18
	s_waitcnt lgkmcnt(0)
	v_add_f32_e32 v23, v25, v23
	v_cndmask_b32_e64 v24, v17, v20, s[0:1]
	v_lshlrev_b32_e32 v24, 2, v24
	ds_bpermute_b32 v24, v24, v23
	v_cmp_lt_i32_e64 s[0:1], v21, v18
	s_waitcnt lgkmcnt(0)
	v_add_f32_e32 v23, v23, v24
	v_cndmask_b32_e64 v25, v17, v21, s[0:1]
	v_lshlrev_b32_e32 v25, 2, v25
	ds_bpermute_b32 v24, v25, v23
	s_and_saveexec_b64 s[40:41], vcc
	s_cbranch_execz .LBB167_11
; %bb.19:                               ;   in Loop: Header=BB167_13 Depth=1
	v_add_u32_e32 v25, v13, v12
	v_cvt_f32_i32_e32 v25, v25
	s_waitcnt lgkmcnt(0)
	v_add_f32_e32 v23, v23, v24
	v_add_u32_e32 v26, v7, v12
	v_cmp_gt_i32_e64 s[0:1], s33, v26
	v_mul_f32_e32 v24, s44, v25
	v_cndmask_b32_e64 v24, 0, v24, s[2:3]
	v_fmac_f32_e32 v24, s37, v23
	v_cndmask_b32_e64 v23, 0, v24, s[0:1]
	ds_write_b32 v15, v23
	v_max_f32_e32 v23, v9, v9
	v_max_f32_e32 v23, v23, v24
	v_cndmask_b32_e64 v9, v9, v23, s[0:1]
	s_branch .LBB167_11
.LBB167_20:
	s_or_b64 exec, exec, s[38:39]
.LBB167_21:
	s_or_b64 exec, exec, s[18:19]
	v_mbcnt_hi_u32_b32 v2, -1, v6
	v_and_b32_e32 v11, 64, v2
	v_add_u32_e32 v3, 64, v11
	v_xor_b32_e32 v4, 32, v2
	v_cmp_lt_i32_e32 vcc, v4, v3
	v_xor_b32_e32 v7, 16, v2
	v_max_f32_e32 v5, v9, v9
	v_cndmask_b32_e32 v4, v2, v4, vcc
	v_lshlrev_b32_e32 v6, 2, v4
	ds_bpermute_b32 v4, v6, v9
	v_cmp_lt_i32_e32 vcc, v7, v3
	v_xor_b32_e32 v9, 8, v2
	s_waitcnt lgkmcnt(0)
	v_max_f32_e32 v4, v4, v4
	v_max_f32_e32 v4, v5, v4
	v_cndmask_b32_e32 v5, v2, v7, vcc
	v_lshlrev_b32_e32 v8, 2, v5
	ds_bpermute_b32 v5, v8, v4
	v_cmp_lt_i32_e32 vcc, v9, v3
	s_waitcnt lgkmcnt(0)
	v_max_f32_e32 v5, v5, v5
	v_max_f32_e32 v7, v4, v5
	v_cndmask_b32_e32 v4, v2, v9, vcc
	v_lshlrev_b32_e32 v9, 2, v4
	ds_bpermute_b32 v12, v9, v7
	v_and_b32_e32 v4, 63, v0
	v_cmp_eq_u32_e32 vcc, 0, v4
	v_lshlrev_b32_e32 v5, 2, v32
	s_and_saveexec_b64 s[0:1], vcc
	s_cbranch_execz .LBB167_23
; %bb.22:
	s_waitcnt lgkmcnt(0)
	v_max_f32_e32 v12, v12, v12
	v_max_f32_e32 v7, v7, v7
	;; [unrolled: 1-line block ×3, first 2 shown]
	ds_write_b32 v5, v7 offset:480
.LBB167_23:
	s_or_b64 exec, exec, s[0:1]
	v_cmp_gt_u32_e64 s[0:1], 2, v4
	s_waitcnt lgkmcnt(0)
	v_mov_b32_e32 v12, 0xff7fffff
	v_lshlrev_b32_e32 v7, 2, v4
	s_barrier
	s_and_saveexec_b64 s[2:3], s[0:1]
; %bb.24:
	ds_read_b32 v12, v7 offset:480
; %bb.25:
	s_or_b64 exec, exec, s[2:3]
	v_xor_b32_e32 v13, 1, v2
	v_cmp_lt_i32_e64 s[2:3], v13, v3
	v_lshlrev_b32_e32 v11, 2, v11
	s_nop 0
	v_cndmask_b32_e64 v13, v2, v13, s[2:3]
	v_lshlrev_b32_e32 v34, 2, v13
	s_waitcnt lgkmcnt(0)
	ds_bpermute_b32 v13, v34, v12
	v_max_f32_e32 v12, v12, v12
	s_lshl_b32 s2, s43, 3
	s_min_i32 s37, s2, s33
	v_cmp_gt_i32_e64 s[2:3], s37, v0
	s_waitcnt lgkmcnt(0)
	v_max_f32_e32 v13, v13, v13
	v_max_f32_e32 v12, v12, v13
	ds_bpermute_b32 v12, v11, v12
	v_mov_b32_e32 v11, 0
	s_and_saveexec_b64 s[12:13], s[2:3]
	s_cbranch_execz .LBB167_29
; %bb.26:
	v_mov_b32_e32 v11, 0x1f0
	v_lshl_add_u32 v13, v0, 2, v11
	v_mov_b32_e32 v11, 0
	s_mov_b64 s[18:19], 0
	v_mov_b32_e32 v15, v0
.LBB167_27:                             ; =>This Inner Loop Header: Depth=1
	ds_read_b32 v16, v13
	v_add_u32_e32 v15, 0x80, v15
	v_cmp_le_i32_e64 s[8:9], s37, v15
	s_or_b64 s[18:19], s[8:9], s[18:19]
	s_waitcnt lgkmcnt(0)
	v_sub_f32_e32 v16, v16, v12
	v_mul_f32_e32 v16, 0x3fb8aa3b, v16
	v_exp_f32_e32 v16, v16
	ds_write_b32 v13, v16
	v_add_f32_e32 v11, v11, v16
	v_add_u32_e32 v13, 0x200, v13
	s_andn2_b64 exec, exec, s[18:19]
	s_cbranch_execnz .LBB167_27
; %bb.28:
	s_or_b64 exec, exec, s[18:19]
.LBB167_29:
	s_or_b64 exec, exec, s[12:13]
	ds_bpermute_b32 v6, v6, v11
	s_waitcnt lgkmcnt(0)
	v_add_f32_e32 v6, v11, v6
	ds_bpermute_b32 v8, v8, v6
	s_waitcnt lgkmcnt(0)
	v_add_f32_e32 v6, v6, v8
	ds_bpermute_b32 v8, v9, v6
	v_xor_b32_e32 v9, 4, v2
	v_cmp_lt_i32_e64 s[8:9], v9, v3
	s_waitcnt lgkmcnt(0)
	v_add_f32_e32 v6, v6, v8
	v_cndmask_b32_e64 v9, v2, v9, s[8:9]
	v_lshlrev_b32_e32 v9, 2, v9
	ds_bpermute_b32 v8, v9, v6
	v_xor_b32_e32 v9, 2, v2
	v_cmp_lt_i32_e64 s[8:9], v9, v3
	s_waitcnt lgkmcnt(0)
	v_add_f32_e32 v6, v6, v8
	v_cndmask_b32_e64 v3, v2, v9, s[8:9]
	v_lshlrev_b32_e32 v3, 2, v3
	ds_bpermute_b32 v3, v3, v6
	s_waitcnt lgkmcnt(0)
	v_add_f32_e32 v3, v6, v3
	ds_bpermute_b32 v6, v34, v3
	s_waitcnt lgkmcnt(0)
	v_add_f32_e32 v3, v3, v6
	s_and_saveexec_b64 s[8:9], vcc
; %bb.30:
	ds_write_b32 v5, v3 offset:488
; %bb.31:
	s_or_b64 exec, exec, s[8:9]
	s_waitcnt lgkmcnt(0)
	s_barrier
	s_and_saveexec_b64 s[8:9], s[0:1]
; %bb.32:
	ds_read_b32 v3, v7 offset:488
; %bb.33:
	s_or_b64 exec, exec, s[8:9]
	s_waitcnt lgkmcnt(0)
	ds_bpermute_b32 v5, v34, v3
	v_lshlrev_b32_e32 v2, 2, v2
	v_and_b32_e32 v2, 0x100, v2
	s_waitcnt lgkmcnt(0)
	v_add_f32_e32 v3, v3, v5
	ds_bpermute_b32 v2, v2, v3
	s_and_saveexec_b64 s[0:1], s[2:3]
	s_cbranch_execz .LBB167_46
; %bb.34:
	s_waitcnt lgkmcnt(0)
	v_add_f32_e32 v2, 0x358637bd, v2
	v_div_scale_f32 v3, s[2:3], v2, v2, 1.0
	v_rcp_f32_e32 v5, v3
	v_div_scale_f32 v6, vcc, 1.0, v2, 1.0
	s_movk_i32 s2, 0x7f
	v_fma_f32 v7, -v3, v5, 1.0
	v_fmac_f32_e32 v5, v7, v5
	v_mul_f32_e32 v7, v6, v5
	v_fma_f32 v8, -v3, v7, v6
	v_fmac_f32_e32 v7, v8, v5
	v_fma_f32 v3, -v3, v7, v6
	v_div_fmas_f32 v3, v3, v5, v7
	v_xad_u32 v5, v0, -1, s37
	v_div_fixup_f32 v2, v3, v2, 1.0
	v_cmp_lt_u32_e32 vcc, s2, v5
	s_mov_b64 s[8:9], -1
	v_mov_b32_e32 v3, v0
	s_and_saveexec_b64 s[2:3], vcc
	s_cbranch_execz .LBB167_43
; %bb.35:
	v_lshrrev_b32_e32 v5, 7, v5
	v_add_u32_e32 v7, -1, v5
	v_lshrrev_b32_e32 v6, 1, v7
	v_mov_b32_e32 v3, v2
	v_add_u32_e32 v6, 1, v6
	v_cmp_lt_u32_e32 vcc, 13, v7
	v_mov_b32_e32 v9, 0
	s_and_saveexec_b64 s[8:9], vcc
	s_cbranch_execz .LBB167_39
; %bb.36:
	v_mov_b32_e32 v8, 0x1f0
	v_and_b32_e32 v7, -8, v6
	v_lshl_add_u32 v8, v0, 2, v8
	s_mov_b32 s18, 0
	s_mov_b64 s[12:13], 0
.LBB167_37:                             ; =>This Inner Loop Header: Depth=1
	ds_read2st64_b32 v[12:13], v8 offset1:2
	ds_read2st64_b32 v[16:17], v8 offset0:4 offset1:6
	ds_read2st64_b32 v[18:19], v8 offset0:8 offset1:10
	ds_read2st64_b32 v[20:21], v8 offset0:12 offset1:14
	v_add_u32_e32 v7, -8, v7
	s_waitcnt lgkmcnt(3)
	v_pk_mul_f32 v[12:13], v[2:3], v[12:13]
	s_waitcnt lgkmcnt(2)
	v_pk_mul_f32 v[16:17], v[2:3], v[16:17]
	ds_write2st64_b32 v8, v12, v13 offset1:2
	ds_write2st64_b32 v8, v16, v17 offset0:4 offset1:6
	ds_read2st64_b32 v[16:17], v8 offset0:16 offset1:18
	s_waitcnt lgkmcnt(4)
	v_pk_mul_f32 v[12:13], v[2:3], v[18:19]
	ds_write2st64_b32 v8, v12, v13 offset0:8 offset1:10
	s_waitcnt lgkmcnt(4)
	v_pk_mul_f32 v[12:13], v[2:3], v[20:21]
	ds_write2st64_b32 v8, v12, v13 offset0:12 offset1:14
	ds_read2st64_b32 v[12:13], v8 offset0:20 offset1:22
	s_waitcnt lgkmcnt(3)
	v_pk_mul_f32 v[16:17], v[2:3], v[16:17]
	ds_read2st64_b32 v[18:19], v8 offset0:24 offset1:26
	ds_write2st64_b32 v8, v16, v17 offset0:16 offset1:18
	ds_read2st64_b32 v[16:17], v8 offset0:28 offset1:30
	s_waitcnt lgkmcnt(3)
	v_pk_mul_f32 v[12:13], v[2:3], v[12:13]
	ds_write2st64_b32 v8, v12, v13 offset0:20 offset1:22
	s_waitcnt lgkmcnt(3)
	v_pk_mul_f32 v[12:13], v[2:3], v[18:19]
	ds_write2st64_b32 v8, v12, v13 offset0:24 offset1:26
	s_waitcnt lgkmcnt(2)
	v_pk_mul_f32 v[12:13], v[2:3], v[16:17]
	s_add_i32 s18, s18, 16
	v_cmp_eq_u32_e32 vcc, 0, v7
	ds_write2st64_b32 v8, v12, v13 offset0:28 offset1:30
	v_add_u32_e32 v8, 0x2000, v8
	s_or_b64 s[12:13], vcc, s[12:13]
	v_mov_b32_e32 v9, s18
	s_andn2_b64 exec, exec, s[12:13]
	s_cbranch_execnz .LBB167_37
; %bb.38:
	s_or_b64 exec, exec, s[12:13]
.LBB167_39:
	s_or_b64 exec, exec, s[8:9]
	v_and_b32_e32 v6, 7, v6
	v_cmp_ne_u32_e32 vcc, 0, v6
	s_and_saveexec_b64 s[8:9], vcc
	s_cbranch_execz .LBB167_42
; %bb.40:
	v_lshlrev_b32_e32 v7, 9, v9
	s_movk_i32 s12, 0x1f0
	v_add3_u32 v7, v7, v10, s12
	s_mov_b64 s[12:13], 0
.LBB167_41:                             ; =>This Inner Loop Header: Depth=1
	ds_read2st64_b32 v[8:9], v7 offset1:2
	v_add_u32_e32 v6, -1, v6
	v_cmp_eq_u32_e32 vcc, 0, v6
	s_or_b64 s[12:13], vcc, s[12:13]
	s_waitcnt lgkmcnt(0)
	v_pk_mul_f32 v[8:9], v[2:3], v[8:9]
	ds_write2st64_b32 v7, v8, v9 offset1:2
	v_add_u32_e32 v7, 0x400, v7
	s_andn2_b64 exec, exec, s[12:13]
	s_cbranch_execnz .LBB167_41
.LBB167_42:
	s_or_b64 exec, exec, s[8:9]
	v_add_u32_e32 v5, 1, v5
	v_and_b32_e32 v6, 0x3fffffe, v5
	v_cmp_ne_u32_e32 vcc, v5, v6
	v_lshl_add_u32 v3, v6, 7, v0
	s_orn2_b64 s[8:9], vcc, exec
.LBB167_43:
	s_or_b64 exec, exec, s[2:3]
	s_and_b64 exec, exec, s[8:9]
	s_cbranch_execz .LBB167_46
; %bb.44:
	v_mov_b32_e32 v5, 0x1f0
	v_lshl_add_u32 v5, v3, 2, v5
	s_mov_b64 s[2:3], 0
.LBB167_45:                             ; =>This Inner Loop Header: Depth=1
	ds_read_b32 v6, v5
	v_add_u32_e32 v3, 0x80, v3
	v_cmp_le_i32_e32 vcc, s37, v3
	s_or_b64 s[2:3], vcc, s[2:3]
	s_waitcnt lgkmcnt(0)
	v_mul_f32_e32 v6, v2, v6
	ds_write_b32 v5, v6
	v_add_u32_e32 v5, 0x200, v5
	s_andn2_b64 exec, exec, s[2:3]
	s_cbranch_execnz .LBB167_45
.LBB167_46:
	s_or_b64 exec, exec, s[0:1]
	v_lshrrev_b32_e32 v35, 1, v4
	s_waitcnt lgkmcnt(0)
	s_barrier
	s_and_saveexec_b64 s[0:1], s[6:7]
	s_xor_b64 s[0:1], exec, s[0:1]
; %bb.47:
	v_lshrrev_b32_e32 v35, 1, v4
                                        ; implicit-def: $vgpr33
                                        ; implicit-def: $vgpr32
                                        ; implicit-def: $vgpr10
                                        ; implicit-def: $vgpr14
; %bb.48:
	s_or_saveexec_b64 s[6:7], s[0:1]
	v_mov_b32_e32 v7, 0
	v_and_b32_e32 v36, 1, v0
	v_mov_b32_e32 v6, 0
	v_mov_b32_e32 v9, 0
	;; [unrolled: 1-line block ×3, first 2 shown]
	s_xor_b64 exec, exec, s[6:7]
	s_cbranch_execz .LBB167_64
; %bb.49:
	s_sub_i32 s37, s16, s21
	s_ashr_i32 s0, s20, 31
	s_add_u32 s8, s34, s20
	s_addc_u32 s9, s35, s0
	s_abs_i32 s22, s22
	v_cvt_f32_u32_e32 v2, s22
	v_or_b32_e32 v3, 0x60, v35
	s_movk_i32 s0, 0x78
	v_and_b32_e32 v37, 4, v10
	v_rcp_iflag_f32_e32 v2, v2
	v_cmp_gt_u32_e32 vcc, s0, v3
	s_sub_i32 s0, 0, s22
	s_add_i32 s34, s43, -1
	v_mul_f32_e32 v2, 0x4f7ffffe, v2
	v_cvt_u32_f32_e32 v2, v2
	v_lshl_or_b32 v12, v3, 3, v37
	v_mov_b32_e32 v11, 0
	s_mov_b32 s38, s17
	v_mul_lo_u32 v3, s0, v2
	s_lshl_b64 s[0:1], s[30:31], 2
	v_mul_hi_u32 v3, v2, v3
	s_add_u32 s0, s28, s0
	v_add_u32_e32 v38, v2, v3
	v_and_b32_e32 v2, 60, v14
	v_mov_b32_e32 v3, v11
	s_addc_u32 s1, s29, s1
	v_lshl_add_u64 v[14:15], s[0:1], 0, v[2:3]
	v_lshlrev_b32_e32 v2, 4, v36
	v_lshl_or_b32 v2, v32, 5, v2
	v_lshl_or_b32 v10, v35, 3, v37
	v_mov_b32_e32 v13, v11
	s_mov_b32 s35, s33
	v_add_u32_e32 v39, 0x1f0, v2
	s_mov_b64 s[12:13], 0
	v_mov_b32_e32 v8, v11
	v_mov_b32_e32 v9, v11
	v_mov_b32_e32 v6, v11
	v_mov_b32_e32 v7, v11
	s_branch .LBB167_53
.LBB167_50:                             ;   in Loop: Header=BB167_53 Depth=1
	s_or_b64 exec, exec, s[18:19]
	v_pk_mul_f32 v[30:31], v[2:3], v[30:31]
	v_pk_mul_f32 v[24:25], v[4:5], v[24:25]
	v_add_f32_e32 v30, v31, v30
	v_add_f32_e32 v24, v24, v30
	v_add_f32_e32 v24, v25, v24
	v_add_f32_e32 v7, v7, v24
.LBB167_51:                             ;   in Loop: Header=BB167_53 Depth=1
	s_or_b64 exec, exec, s[2:3]
	v_mul_f32_e32 v24, v2, v28
	v_mul_f32_e32 v22, v2, v22
	;; [unrolled: 1-line block ×3, first 2 shown]
	v_fmac_f32_e32 v24, v3, v29
	v_fmac_f32_e32 v22, v3, v23
	v_fmac_f32_e32 v2, v3, v19
	v_fmac_f32_e32 v24, v4, v26
	v_fmac_f32_e32 v22, v4, v20
	v_fmac_f32_e32 v2, v4, v16
	v_fmac_f32_e32 v24, v5, v27
	v_fmac_f32_e32 v22, v5, v21
	v_fmac_f32_e32 v2, v5, v17
	v_add_f32_e32 v6, v6, v24
	v_add_f32_e32 v9, v9, v22
	;; [unrolled: 1-line block ×3, first 2 shown]
.LBB167_52:                             ;   in Loop: Header=BB167_53 Depth=1
	s_or_b64 exec, exec, s[16:17]
	v_add_u32_e32 v32, 2, v32
	v_cmp_le_i32_e64 s[0:1], s43, v32
	v_lshl_add_u64 v[14:15], v[14:15], 0, 8
	v_add_u32_e32 v33, 16, v33
	s_or_b64 s[12:13], s[0:1], s[12:13]
	v_add_u32_e32 v39, 64, v39
	s_andn2_b64 exec, exec, s[12:13]
	s_cbranch_execz .LBB167_63
.LBB167_53:                             ; =>This Inner Loop Header: Depth=1
	v_mul_hi_u32 v2, v33, s42
	v_mul_lo_u32 v3, v2, s25
	v_sub_u32_e32 v3, v33, v3
	v_add_u32_e32 v4, 1, v2
	v_cmp_le_u32_e64 s[0:1], s25, v3
	s_nop 1
	v_cndmask_b32_e64 v2, v2, v4, s[0:1]
	v_subrev_u32_e32 v4, s25, v3
	v_cndmask_b32_e64 v3, v3, v4, s[0:1]
	v_add_u32_e32 v4, 1, v2
	v_cmp_le_u32_e64 s[0:1], s25, v3
	s_nop 1
	v_cndmask_b32_e64 v2, v2, v4, s[0:1]
	v_xor_b32_e32 v2, s23, v2
	v_subrev_u32_e32 v2, s23, v2
	v_add_u32_e32 v3, s36, v2
	v_sub_u32_e32 v5, 0, v3
	v_ashrrev_i32_e32 v4, 31, v3
	v_max_i32_e32 v3, v3, v5
	v_mul_hi_u32 v5, v3, v38
	v_mul_lo_u32 v5, v5, s22
	v_sub_u32_e32 v3, v3, v5
	v_subrev_u32_e32 v5, s22, v3
	v_cmp_le_u32_e64 s[0:1], s22, v3
	v_cmp_lt_i32_e64 s[2:3], s37, v2
	s_nop 0
	v_cndmask_b32_e64 v3, v3, v5, s[0:1]
	v_subrev_u32_e32 v5, s22, v3
	v_cmp_le_u32_e64 s[0:1], s22, v3
	s_nop 1
	v_cndmask_b32_e64 v3, v3, v5, s[0:1]
	v_xor_b32_e32 v3, v3, v4
	v_sub_u32_e32 v3, v3, v4
	v_cmp_eq_u32_e64 s[0:1], 0, v3
	s_or_b64 s[0:1], s[0:1], s[2:3]
	s_and_saveexec_b64 s[16:17], s[0:1]
	s_cbranch_execz .LBB167_52
; %bb.54:                               ;   in Loop: Header=BB167_53 Depth=1
	global_load_dword v4, v[14:15], off
	v_mov_b64_e32 v[2:3], s[8:9]
	s_load_dword s18, s[14:15], 0x0
	v_add_u32_e32 v40, v37, v33
	v_add_u32_e32 v30, 2, v40
	;; [unrolled: 1-line block ×3, first 2 shown]
	s_waitcnt vmcnt(0)
	v_mad_i64_i32 v[24:25], s[0:1], v4, s38, v[2:3]
	v_lshl_add_u64 v[26:27], v[24:25], 0, v[10:11]
	global_load_dword v16, v[26:27], off
	ds_read_b128 v[2:5], v39
	v_cmp_eq_u32_e64 s[0:1], s34, v32
	s_waitcnt vmcnt(0)
	v_and_b32_e32 v17, 0xffff, v16
	v_lshrrev_b32_e32 v18, 16, v16
	v_cvt_pk_f32_fp8_e32 v[16:17], v17
	v_cvt_pk_f32_fp8_e32 v[20:21], v18
	s_waitcnt lgkmcnt(0)
	v_pk_mul_f32 v[18:19], v[16:17], s[18:19] op_sel_hi:[1,0]
	v_pk_mul_f32 v[16:17], s[18:19], v[20:21] op_sel_hi:[0,1]
	s_and_saveexec_b64 s[20:21], s[0:1]
; %bb.55:                               ;   in Loop: Header=BB167_53 Depth=1
	v_cmp_gt_i32_e64 s[2:3], s33, v40
	v_add_u32_e32 v20, 1, v40
	s_nop 0
	v_cndmask_b32_e64 v18, 0, v18, s[2:3]
	v_cmp_gt_i32_e64 s[2:3], s33, v20
	s_nop 1
	v_cndmask_b32_e64 v19, 0, v19, s[2:3]
	v_cmp_gt_i32_e64 s[2:3], s33, v30
	;; [unrolled: 3-line block ×3, first 2 shown]
	s_nop 1
	v_cndmask_b32_e64 v17, 0, v17, s[2:3]
; %bb.56:                               ;   in Loop: Header=BB167_53 Depth=1
	s_or_b64 exec, exec, s[20:21]
	global_load_dword v20, v[26:27], off offset:256
	s_mov_b32 s19, s18
	s_waitcnt vmcnt(0)
	v_and_b32_e32 v21, 0xffff, v20
	v_lshrrev_b32_e32 v22, 16, v20
	v_cvt_pk_f32_fp8_e32 v[20:21], v21
	v_cvt_pk_f32_fp8_e32 v[28:29], v22
	v_pk_mul_f32 v[22:23], s[18:19], v[20:21]
	v_pk_mul_f32 v[20:21], s[18:19], v[28:29]
	s_and_saveexec_b64 s[20:21], s[0:1]
; %bb.57:                               ;   in Loop: Header=BB167_53 Depth=1
	v_cmp_gt_i32_e64 s[2:3], s33, v40
	v_add_u32_e32 v28, 1, v40
	s_nop 0
	v_cndmask_b32_e64 v22, 0, v22, s[2:3]
	v_cmp_gt_i32_e64 s[2:3], s33, v28
	s_nop 1
	v_cndmask_b32_e64 v23, 0, v23, s[2:3]
	v_cmp_gt_i32_e64 s[2:3], s33, v30
	;; [unrolled: 3-line block ×3, first 2 shown]
	s_nop 1
	v_cndmask_b32_e64 v21, 0, v21, s[2:3]
; %bb.58:                               ;   in Loop: Header=BB167_53 Depth=1
	s_or_b64 exec, exec, s[20:21]
	global_load_dword v26, v[26:27], off offset:512
	s_waitcnt vmcnt(0)
	v_and_b32_e32 v27, 0xffff, v26
	v_lshrrev_b32_e32 v28, 16, v26
	v_cvt_pk_f32_fp8_e32 v[26:27], v27
	v_cvt_pk_f32_fp8_e32 v[42:43], v28
	v_pk_mul_f32 v[28:29], s[18:19], v[26:27]
	v_pk_mul_f32 v[26:27], s[18:19], v[42:43]
	s_and_saveexec_b64 s[20:21], s[0:1]
; %bb.59:                               ;   in Loop: Header=BB167_53 Depth=1
	v_cmp_gt_i32_e64 s[2:3], s33, v40
	v_add_u32_e32 v41, 1, v40
	s_nop 0
	v_cndmask_b32_e64 v28, 0, v28, s[2:3]
	v_cmp_gt_i32_e64 s[2:3], s33, v41
	s_nop 1
	v_cndmask_b32_e64 v29, 0, v29, s[2:3]
	v_cmp_gt_i32_e64 s[2:3], s33, v30
	;; [unrolled: 3-line block ×3, first 2 shown]
	s_nop 1
	v_cndmask_b32_e64 v27, 0, v27, s[2:3]
; %bb.60:                               ;   in Loop: Header=BB167_53 Depth=1
	s_or_b64 exec, exec, s[20:21]
	s_and_saveexec_b64 s[2:3], vcc
	s_cbranch_execz .LBB167_51
; %bb.61:                               ;   in Loop: Header=BB167_53 Depth=1
	v_lshl_add_u64 v[24:25], v[24:25], 0, v[12:13]
	global_load_dword v24, v[24:25], off
	s_waitcnt vmcnt(0)
	v_and_b32_e32 v25, 0xffff, v24
	v_lshrrev_b32_e32 v30, 16, v24
	v_cvt_pk_f32_fp8_e32 v[24:25], v25
	v_cvt_pk_f32_fp8_e32 v[42:43], v30
	v_pk_mul_f32 v[30:31], s[18:19], v[24:25]
	v_pk_mul_f32 v[24:25], s[18:19], v[42:43]
	s_and_saveexec_b64 s[18:19], s[0:1]
	s_cbranch_execz .LBB167_50
; %bb.62:                               ;   in Loop: Header=BB167_53 Depth=1
	v_add_u32_e32 v41, 1, v40
	v_cmp_gt_i32_e64 s[0:1], s35, v41
	v_or_b32_e32 v41, 3, v40
	s_nop 0
	v_cndmask_b32_e64 v31, 0, v31, s[0:1]
	v_cmp_gt_i32_e64 s[0:1], s33, v40
	v_or_b32_e32 v40, 2, v40
	s_nop 0
	v_cndmask_b32_e64 v30, 0, v30, s[0:1]
	v_cmp_gt_i32_e64 s[0:1], s35, v41
	s_nop 1
	v_cndmask_b32_e64 v25, 0, v25, s[0:1]
	v_cmp_gt_i32_e64 s[0:1], s33, v40
	s_nop 1
	v_cndmask_b32_e64 v24, 0, v24, s[0:1]
	s_branch .LBB167_50
.LBB167_63:
	s_or_b64 exec, exec, s[12:13]
.LBB167_64:
	s_or_b64 exec, exec, s[6:7]
	ds_bpermute_b32 v2, v34, v8
	ds_bpermute_b32 v3, v34, v9
	;; [unrolled: 1-line block ×4, first 2 shown]
	v_cmp_eq_u32_e32 vcc, 0, v36
	s_waitcnt lgkmcnt(0)
	v_pk_add_f32 v[4:5], v[8:9], v[2:3]
	s_barrier
	v_pk_add_f32 v[2:3], v[6:7], v[10:11]
	v_and_b32_e32 v6, 0x3c0, v0
	v_cmp_eq_u32_e64 s[0:1], 64, v6
	s_and_saveexec_b64 s[2:3], s[0:1]
	s_cbranch_execz .LBB167_69
; %bb.65:
	s_and_saveexec_b64 s[0:1], vcc
	s_cbranch_execz .LBB167_67
; %bb.66:
	v_mov_b32_e32 v6, 0x1f0
	v_lshl_add_u32 v6, v35, 2, v6
	ds_write2_b32 v6, v4, v5 offset1:32
	ds_write_b32 v6, v2 offset:256
.LBB167_67:
	s_or_b64 exec, exec, s[0:1]
	v_or_b32_e32 v6, 0x60, v35
	s_movk_i32 s0, 0x78
	v_cmp_gt_u32_e64 s[0:1], s0, v6
	s_and_b64 s[0:1], vcc, s[0:1]
	s_and_b64 exec, exec, s[0:1]
; %bb.68:
	v_mov_b32_e32 v6, 0x1f0
	v_lshl_add_u32 v6, v35, 2, v6
	ds_write_b32 v6, v3 offset:384
.LBB167_69:
	s_or_b64 exec, exec, s[2:3]
	v_cmp_gt_u32_e64 s[0:1], 64, v0
	s_waitcnt lgkmcnt(0)
	s_barrier
	s_and_saveexec_b64 s[6:7], s[0:1]
	s_cbranch_execz .LBB167_79
; %bb.70:
	s_and_saveexec_b64 s[2:3], vcc
	s_cbranch_execz .LBB167_72
; %bb.71:
	v_mov_b32_e32 v0, 0x1f0
	v_lshl_add_u32 v0, v1, 2, v0
	ds_read_b32 v0, v0
	s_waitcnt lgkmcnt(0)
	v_add_f32_e32 v4, v4, v0
.LBB167_72:
	s_or_b64 exec, exec, s[2:3]
	v_or_b32_e32 v0, 32, v1
	s_movk_i32 s8, 0x78
	v_cmp_gt_u32_e64 s[2:3], s8, v0
	s_and_b64 s[12:13], vcc, s[2:3]
	s_and_saveexec_b64 s[2:3], s[12:13]
	s_cbranch_execz .LBB167_74
; %bb.73:
	v_mov_b32_e32 v0, 0x1f0
	v_lshl_add_u32 v0, v1, 2, v0
	ds_read_b32 v0, v0 offset:128
	s_waitcnt lgkmcnt(0)
	v_add_f32_e32 v5, v5, v0
.LBB167_74:
	s_or_b64 exec, exec, s[2:3]
	v_or_b32_e32 v0, 64, v1
	v_cmp_gt_u32_e64 s[2:3], s8, v0
	s_and_b64 s[8:9], vcc, s[2:3]
	s_and_saveexec_b64 s[2:3], s[8:9]
	s_cbranch_execz .LBB167_76
; %bb.75:
	v_mov_b32_e32 v0, 0x1f0
	v_lshl_add_u32 v0, v1, 2, v0
	ds_read_b32 v0, v0 offset:256
	s_waitcnt lgkmcnt(0)
	v_add_f32_e32 v2, v2, v0
.LBB167_76:
	s_or_b64 exec, exec, s[2:3]
	v_or_b32_e32 v0, 0x60, v1
	s_movk_i32 s2, 0x78
	v_cmp_gt_u32_e64 s[2:3], s2, v0
	s_and_b64 s[8:9], vcc, s[2:3]
	s_and_saveexec_b64 s[2:3], s[8:9]
	s_cbranch_execz .LBB167_78
; %bb.77:
	v_mov_b32_e32 v0, 0x1f0
	v_lshl_add_u32 v0, v1, 2, v0
	ds_read_b32 v0, v0 offset:384
	s_waitcnt lgkmcnt(0)
	v_add_f32_e32 v3, v3, v0
.LBB167_78:
	s_or_b64 exec, exec, s[2:3]
.LBB167_79:
	s_or_b64 exec, exec, s[6:7]
	s_barrier
	s_and_saveexec_b64 s[2:3], s[0:1]
	s_cbranch_execz .LBB167_88
; %bb.80:
	s_mul_i32 s0, s10, s11
	s_mul_i32 s0, s0, s5
	s_mulk_i32 s0, 0x78
	s_ashr_i32 s1, s0, 31
	s_lshl_b64 s[0:1], s[0:1], 2
	s_add_u32 s2, s26, s0
	s_mul_i32 s0, s11, s24
	s_addc_u32 s3, s27, s1
	s_ashr_i32 s1, s0, 31
	s_lshl_b64 s[0:1], s[0:1], 2
	s_add_u32 s2, s2, s0
	s_mul_i32 s0, s4, 0x78
	s_addc_u32 s3, s3, s1
	s_ashr_i32 s1, s0, 31
	s_lshl_b64 s[0:1], s[0:1], 2
	s_add_u32 s2, s2, s0
	s_movk_i32 s5, 0x78
	s_addc_u32 s3, s3, s1
	v_lshlrev_b32_e32 v0, 2, v1
	s_and_saveexec_b64 s[0:1], vcc
	s_cbranch_execz .LBB167_82
; %bb.81:
	global_store_dword v0, v4, s[2:3]
.LBB167_82:
	s_or_b64 exec, exec, s[0:1]
	v_or_b32_e32 v4, 32, v1
	v_cmp_gt_u32_e64 s[0:1], s5, v4
	s_and_b64 s[4:5], vcc, s[0:1]
	s_and_saveexec_b64 s[0:1], s[4:5]
	s_cbranch_execz .LBB167_84
; %bb.83:
	global_store_dword v0, v5, s[2:3] offset:128
.LBB167_84:
	s_or_b64 exec, exec, s[0:1]
	v_or_b32_e32 v4, 64, v1
	s_movk_i32 s4, 0x78
	v_cmp_gt_u32_e64 s[0:1], s4, v4
	s_and_b64 s[6:7], vcc, s[0:1]
	s_and_saveexec_b64 s[0:1], s[6:7]
	s_cbranch_execz .LBB167_86
; %bb.85:
	global_store_dword v0, v2, s[2:3] offset:256
.LBB167_86:
	s_or_b64 exec, exec, s[0:1]
	v_or_b32_e32 v1, 0x60, v1
	v_cmp_gt_u32_e64 s[0:1], s4, v1
	s_and_b64 s[0:1], vcc, s[0:1]
	s_and_b64 exec, exec, s[0:1]
	s_cbranch_execz .LBB167_88
; %bb.87:
	global_store_dword v0, v3, s[2:3] offset:384
.LBB167_88:
	s_endpgm
	.section	.rodata,"a",@progbits
	.p2align	6, 0x0
	.amdhsa_kernel _ZN4vllm25paged_attention_v1_kernelIfhLi120ELi8ELi128ELNS_18Fp8KVCacheDataTypeE1ELb1EEEvPT_PKS2_PKT0_S8_ifPKiSA_iPKfiiiSC_SC_iiiii
		.amdhsa_group_segment_fixed_size 496
		.amdhsa_private_segment_fixed_size 0
		.amdhsa_kernarg_size 384
		.amdhsa_user_sgpr_count 2
		.amdhsa_user_sgpr_dispatch_ptr 0
		.amdhsa_user_sgpr_queue_ptr 0
		.amdhsa_user_sgpr_kernarg_segment_ptr 1
		.amdhsa_user_sgpr_dispatch_id 0
		.amdhsa_user_sgpr_kernarg_preload_length 0
		.amdhsa_user_sgpr_kernarg_preload_offset 0
		.amdhsa_user_sgpr_private_segment_size 0
		.amdhsa_uses_dynamic_stack 0
		.amdhsa_enable_private_segment 0
		.amdhsa_system_sgpr_workgroup_id_x 1
		.amdhsa_system_sgpr_workgroup_id_y 1
		.amdhsa_system_sgpr_workgroup_id_z 1
		.amdhsa_system_sgpr_workgroup_info 0
		.amdhsa_system_vgpr_workitem_id 0
		.amdhsa_next_free_vgpr 56
		.amdhsa_next_free_sgpr 48
		.amdhsa_accum_offset 56
		.amdhsa_reserve_vcc 1
		.amdhsa_float_round_mode_32 0
		.amdhsa_float_round_mode_16_64 0
		.amdhsa_float_denorm_mode_32 3
		.amdhsa_float_denorm_mode_16_64 3
		.amdhsa_dx10_clamp 1
		.amdhsa_ieee_mode 1
		.amdhsa_fp16_overflow 0
		.amdhsa_tg_split 0
		.amdhsa_exception_fp_ieee_invalid_op 0
		.amdhsa_exception_fp_denorm_src 0
		.amdhsa_exception_fp_ieee_div_zero 0
		.amdhsa_exception_fp_ieee_overflow 0
		.amdhsa_exception_fp_ieee_underflow 0
		.amdhsa_exception_fp_ieee_inexact 0
		.amdhsa_exception_int_div_zero 0
	.end_amdhsa_kernel
	.section	.text._ZN4vllm25paged_attention_v1_kernelIfhLi120ELi8ELi128ELNS_18Fp8KVCacheDataTypeE1ELb1EEEvPT_PKS2_PKT0_S8_ifPKiSA_iPKfiiiSC_SC_iiiii,"axG",@progbits,_ZN4vllm25paged_attention_v1_kernelIfhLi120ELi8ELi128ELNS_18Fp8KVCacheDataTypeE1ELb1EEEvPT_PKS2_PKT0_S8_ifPKiSA_iPKfiiiSC_SC_iiiii,comdat
.Lfunc_end167:
	.size	_ZN4vllm25paged_attention_v1_kernelIfhLi120ELi8ELi128ELNS_18Fp8KVCacheDataTypeE1ELb1EEEvPT_PKS2_PKT0_S8_ifPKiSA_iPKfiiiSC_SC_iiiii, .Lfunc_end167-_ZN4vllm25paged_attention_v1_kernelIfhLi120ELi8ELi128ELNS_18Fp8KVCacheDataTypeE1ELb1EEEvPT_PKS2_PKT0_S8_ifPKiSA_iPKfiiiSC_SC_iiiii
                                        ; -- End function
	.set _ZN4vllm25paged_attention_v1_kernelIfhLi120ELi8ELi128ELNS_18Fp8KVCacheDataTypeE1ELb1EEEvPT_PKS2_PKT0_S8_ifPKiSA_iPKfiiiSC_SC_iiiii.num_vgpr, 56
	.set _ZN4vllm25paged_attention_v1_kernelIfhLi120ELi8ELi128ELNS_18Fp8KVCacheDataTypeE1ELb1EEEvPT_PKS2_PKT0_S8_ifPKiSA_iPKfiiiSC_SC_iiiii.num_agpr, 0
	.set _ZN4vllm25paged_attention_v1_kernelIfhLi120ELi8ELi128ELNS_18Fp8KVCacheDataTypeE1ELb1EEEvPT_PKS2_PKT0_S8_ifPKiSA_iPKfiiiSC_SC_iiiii.numbered_sgpr, 48
	.set _ZN4vllm25paged_attention_v1_kernelIfhLi120ELi8ELi128ELNS_18Fp8KVCacheDataTypeE1ELb1EEEvPT_PKS2_PKT0_S8_ifPKiSA_iPKfiiiSC_SC_iiiii.num_named_barrier, 0
	.set _ZN4vllm25paged_attention_v1_kernelIfhLi120ELi8ELi128ELNS_18Fp8KVCacheDataTypeE1ELb1EEEvPT_PKS2_PKT0_S8_ifPKiSA_iPKfiiiSC_SC_iiiii.private_seg_size, 0
	.set _ZN4vllm25paged_attention_v1_kernelIfhLi120ELi8ELi128ELNS_18Fp8KVCacheDataTypeE1ELb1EEEvPT_PKS2_PKT0_S8_ifPKiSA_iPKfiiiSC_SC_iiiii.uses_vcc, 1
	.set _ZN4vllm25paged_attention_v1_kernelIfhLi120ELi8ELi128ELNS_18Fp8KVCacheDataTypeE1ELb1EEEvPT_PKS2_PKT0_S8_ifPKiSA_iPKfiiiSC_SC_iiiii.uses_flat_scratch, 0
	.set _ZN4vllm25paged_attention_v1_kernelIfhLi120ELi8ELi128ELNS_18Fp8KVCacheDataTypeE1ELb1EEEvPT_PKS2_PKT0_S8_ifPKiSA_iPKfiiiSC_SC_iiiii.has_dyn_sized_stack, 0
	.set _ZN4vllm25paged_attention_v1_kernelIfhLi120ELi8ELi128ELNS_18Fp8KVCacheDataTypeE1ELb1EEEvPT_PKS2_PKT0_S8_ifPKiSA_iPKfiiiSC_SC_iiiii.has_recursion, 0
	.set _ZN4vllm25paged_attention_v1_kernelIfhLi120ELi8ELi128ELNS_18Fp8KVCacheDataTypeE1ELb1EEEvPT_PKS2_PKT0_S8_ifPKiSA_iPKfiiiSC_SC_iiiii.has_indirect_call, 0
	.section	.AMDGPU.csdata,"",@progbits
; Kernel info:
; codeLenInByte = 5244
; TotalNumSgprs: 54
; NumVgprs: 56
; NumAgprs: 0
; TotalNumVgprs: 56
; ScratchSize: 0
; MemoryBound: 0
; FloatMode: 240
; IeeeMode: 1
; LDSByteSize: 496 bytes/workgroup (compile time only)
; SGPRBlocks: 6
; VGPRBlocks: 6
; NumSGPRsForWavesPerEU: 54
; NumVGPRsForWavesPerEU: 56
; AccumOffset: 56
; Occupancy: 8
; WaveLimiterHint : 1
; COMPUTE_PGM_RSRC2:SCRATCH_EN: 0
; COMPUTE_PGM_RSRC2:USER_SGPR: 2
; COMPUTE_PGM_RSRC2:TRAP_HANDLER: 0
; COMPUTE_PGM_RSRC2:TGID_X_EN: 1
; COMPUTE_PGM_RSRC2:TGID_Y_EN: 1
; COMPUTE_PGM_RSRC2:TGID_Z_EN: 1
; COMPUTE_PGM_RSRC2:TIDIG_COMP_CNT: 0
; COMPUTE_PGM_RSRC3_GFX90A:ACCUM_OFFSET: 13
; COMPUTE_PGM_RSRC3_GFX90A:TG_SPLIT: 0
	.section	.text._ZN4vllm25paged_attention_v1_kernelIfhLi128ELi8ELi128ELNS_18Fp8KVCacheDataTypeE1ELb1EEEvPT_PKS2_PKT0_S8_ifPKiSA_iPKfiiiSC_SC_iiiii,"axG",@progbits,_ZN4vllm25paged_attention_v1_kernelIfhLi128ELi8ELi128ELNS_18Fp8KVCacheDataTypeE1ELb1EEEvPT_PKS2_PKT0_S8_ifPKiSA_iPKfiiiSC_SC_iiiii,comdat
	.protected	_ZN4vllm25paged_attention_v1_kernelIfhLi128ELi8ELi128ELNS_18Fp8KVCacheDataTypeE1ELb1EEEvPT_PKS2_PKT0_S8_ifPKiSA_iPKfiiiSC_SC_iiiii ; -- Begin function _ZN4vllm25paged_attention_v1_kernelIfhLi128ELi8ELi128ELNS_18Fp8KVCacheDataTypeE1ELb1EEEvPT_PKS2_PKT0_S8_ifPKiSA_iPKfiiiSC_SC_iiiii
	.globl	_ZN4vllm25paged_attention_v1_kernelIfhLi128ELi8ELi128ELNS_18Fp8KVCacheDataTypeE1ELb1EEEvPT_PKS2_PKT0_S8_ifPKiSA_iPKfiiiSC_SC_iiiii
	.p2align	8
	.type	_ZN4vllm25paged_attention_v1_kernelIfhLi128ELi8ELi128ELNS_18Fp8KVCacheDataTypeE1ELb1EEEvPT_PKS2_PKT0_S8_ifPKiSA_iPKfiiiSC_SC_iiiii,@function
_ZN4vllm25paged_attention_v1_kernelIfhLi128ELi8ELi128ELNS_18Fp8KVCacheDataTypeE1ELb1EEEvPT_PKS2_PKT0_S8_ifPKiSA_iPKfiiiSC_SC_iiiii: ; @_ZN4vllm25paged_attention_v1_kernelIfhLi128ELi8ELi128ELNS_18Fp8KVCacheDataTypeE1ELb1EEEvPT_PKS2_PKT0_S8_ifPKiSA_iPKfiiiSC_SC_iiiii
; %bb.0:
	s_load_dword s5, s[0:1], 0x80
	s_load_dwordx2 s[6:7], s[0:1], 0x30
	s_load_dwordx2 s[36:37], s[0:1], 0x20
	s_mov_b32 s10, s3
	s_ashr_i32 s11, s3, 31
	s_lshl_b64 s[8:9], s[10:11], 2
	s_waitcnt lgkmcnt(0)
	s_add_u32 s6, s6, s8
	s_addc_u32 s7, s7, s9
	s_abs_i32 s3, s36
	v_cvt_f32_u32_e32 v1, s3
	s_sub_i32 s11, 0, s3
	s_abs_i32 s9, s5
	s_xor_b32 s8, s5, s36
	v_rcp_iflag_f32_e32 v1, v1
	s_ashr_i32 s8, s8, 31
	s_mov_b32 s44, 0
	v_mul_f32_e32 v1, 0x4f7ffffe, v1
	v_cvt_u32_f32_e32 v1, v1
	s_nop 0
	v_readfirstlane_b32 s12, v1
	s_mul_i32 s11, s11, s12
	s_mul_hi_u32 s11, s12, s11
	s_add_i32 s12, s12, s11
	s_mul_hi_u32 s11, s9, s12
	s_mul_i32 s12, s11, s3
	s_sub_i32 s9, s9, s12
	s_add_i32 s12, s11, 1
	s_sub_i32 s13, s9, s3
	s_cmp_ge_u32 s9, s3
	s_cselect_b32 s11, s12, s11
	s_cselect_b32 s9, s13, s9
	s_add_i32 s12, s11, 1
	s_cmp_ge_u32 s9, s3
	s_cselect_b32 s3, s12, s11
	s_xor_b32 s3, s3, s8
	s_sub_i32 s14, s3, s8
	s_abs_i32 s11, s14
	v_cvt_f32_u32_e32 v1, s11
	s_load_dwordx2 s[8:9], s[0:1], 0x40
	s_sub_i32 s3, 0, s11
	s_abs_i32 s12, s2
	v_rcp_iflag_f32_e32 v1, v1
	s_nop 0
	v_mul_f32_e32 v1, 0x4f7ffffe, v1
	v_cvt_u32_f32_e32 v1, v1
	s_nop 0
	v_readfirstlane_b32 s13, v1
	s_mul_i32 s3, s3, s13
	s_mul_hi_u32 s3, s13, s3
	s_add_i32 s13, s13, s3
	s_waitcnt lgkmcnt(0)
	s_cmp_eq_u64 s[8:9], 0
	s_mul_hi_u32 s13, s12, s13
	s_cbranch_scc1 .LBB168_2
; %bb.1:
	s_ashr_i32 s3, s2, 31
	s_lshl_b64 s[16:17], s[2:3], 2
	s_add_u32 s8, s8, s16
	s_addc_u32 s9, s9, s17
	s_load_dword s44, s[8:9], 0x0
.LBB168_2:
	s_load_dword s33, s[6:7], 0x0
	s_load_dwordx4 s[16:19], s[0:1], 0x48
	s_movk_i32 s3, 0x80
	s_ashr_i32 s8, s2, 31
	s_ashr_i32 s9, s14, 31
	v_and_b32_e32 v2, 7, v0
	s_lshl_b32 s24, s2, 7
	v_cmp_gt_u32_e32 vcc, s3, v0
	v_lshlrev_b32_e32 v10, 2, v0
	v_lshrrev_b32_e32 v1, 1, v0
	s_and_saveexec_b64 s[6:7], vcc
	s_cbranch_execz .LBB168_4
; %bb.3:
	s_load_dwordx2 s[14:15], s[0:1], 0x8
	s_waitcnt lgkmcnt(0)
	s_mul_i32 s20, s16, s10
	s_ashr_i32 s21, s20, 31
	s_lshl_b64 s[20:21], s[20:21], 2
	v_and_b32_e32 v4, 0x1fc, v1
	s_add_u32 s3, s14, s20
	s_addc_u32 s16, s15, s21
	s_ashr_i32 s25, s24, 31
	s_lshl_b64 s[14:15], s[24:25], 2
	s_add_u32 s14, s3, s14
	s_addc_u32 s15, s16, s15
	global_load_dword v3, v10, s[14:15]
	v_lshl_add_u32 v4, v2, 6, v4
	s_waitcnt vmcnt(0)
	ds_write_b32 v4, v3
.LBB168_4:
	s_or_b64 exec, exec, s[6:7]
	s_mul_i32 s7, s13, s11
	s_sub_i32 s7, s12, s7
	s_xor_b32 s6, s8, s9
	s_add_i32 s8, s13, 1
	s_sub_i32 s9, s7, s11
	s_load_dwordx4 s[20:23], s[0:1], 0x68
	s_load_dword s3, s[0:1], 0x78
	s_cmp_ge_u32 s7, s11
	s_cselect_b32 s8, s8, s13
	s_cselect_b32 s7, s9, s7
	s_add_i32 s9, s8, 1
	s_cmp_ge_u32 s7, s11
	s_cselect_b32 s7, s9, s8
	s_waitcnt lgkmcnt(0)
	s_abs_i32 s25, s23
	v_cvt_f32_u32_e32 v3, s25
	s_xor_b32 s7, s7, s6
	s_sub_i32 s43, s7, s6
	s_sub_i32 s6, 0, s25
	v_rcp_iflag_f32_e32 v3, v3
	s_add_i32 s11, s33, -1
	s_abs_i32 s8, s11
	v_mul_f32_e32 v3, 0x4f7ffffe, v3
	v_cvt_u32_f32_e32 v3, v3
	s_barrier
	v_readfirstlane_b32 s42, v3
	s_mul_i32 s6, s6, s42
	s_mul_hi_u32 s6, s42, s6
	s_add_i32 s42, s42, s6
	s_cmp_lt_i32 s3, 0
	s_mul_hi_u32 s9, s8, s42
	s_cbranch_scc0 .LBB168_6
; %bb.5:
	s_mul_i32 s6, s20, s36
	s_add_i32 s6, s43, s6
	s_mul_i32 s6, s6, s3
	s_sub_i32 s36, 1, s6
	s_mov_b64 s[6:7], 0
	s_branch .LBB168_7
.LBB168_6:
	s_mov_b64 s[6:7], -1
                                        ; implicit-def: $sgpr36
.LBB168_7:
	s_load_dwordx2 s[28:29], s[0:1], 0x28
	s_ashr_i32 s16, s11, 31
	s_andn2_b64 vcc, exec, s[6:7]
	s_ashr_i32 s23, s23, 31
	s_cbranch_vccnz .LBB168_9
; %bb.8:
	s_mul_i32 s6, s5, s20
	s_add_i32 s2, s6, s2
	s_mul_i32 s2, s2, s3
	s_add_i32 s36, s2, 1
.LBB168_9:
	s_load_dword s2, s[0:1], 0x38
	s_load_dwordx2 s[26:27], s[0:1], 0x0
	s_load_dwordx2 s[34:35], s[0:1], 0x18
	s_load_dword s11, s[0:1], 0x88
	s_load_dwordx4 s[12:15], s[0:1], 0x58
	s_mul_i32 s3, s9, s25
	s_waitcnt lgkmcnt(0)
	s_mul_i32 s30, s2, s10
	s_sub_i32 s3, s8, s3
	s_ashr_i32 s31, s30, 31
	s_xor_b32 s2, s16, s23
	s_add_i32 s6, s9, 1
	s_sub_i32 s7, s3, s25
	s_cmp_ge_u32 s3, s25
	s_cselect_b32 s6, s6, s9
	s_cselect_b32 s3, s7, s3
	s_add_i32 s7, s6, 1
	s_cmp_ge_u32 s3, s25
	s_cselect_b32 s3, s7, s6
	s_xor_b32 s3, s3, s2
	s_sub_i32 s16, s3, s2
	s_add_i32 s2, s33, 7
	s_ashr_i32 s3, s2, 31
	s_lshr_b32 s3, s3, 29
	s_add_i32 s2, s2, s3
	s_ashr_i32 s20, s2, 3
	v_lshrrev_b32_e32 v30, 6, v0
	v_cmp_gt_i32_e64 s[6:7], s20, v30
	v_mov_b32_e32 v9, 0xff7fffff
	s_mul_i32 s43, s43, s18
	v_lshrrev_b32_e32 v12, 4, v0
	v_lshlrev_b32_e32 v31, 3, v30
	v_mbcnt_lo_u32_b32 v6, -1, 0
	s_and_saveexec_b64 s[18:19], s[6:7]
	s_cbranch_execz .LBB168_21
; %bb.10:
	s_load_dwordx2 s[0:1], s[0:1], 0x10
	s_sub_i32 s45, s16, s21
	s_ashr_i32 s2, s43, 31
	v_bfe_u32 v7, v0, 3, 3
	v_mov_b32_e32 v5, 0
	s_waitcnt lgkmcnt(0)
	s_add_u32 s0, s0, s43
	s_addc_u32 s1, s1, s2
	s_abs_i32 s46, s22
	v_cvt_f32_u32_e32 v3, s46
	v_lshlrev_b32_e32 v4, 4, v7
	v_lshl_add_u64 v[14:15], s[0:1], 0, v[4:5]
	s_sub_i32 s0, 0, s46
	v_rcp_iflag_f32_e32 v3, v3
	v_cmp_eq_u32_e32 vcc, 0, v2
	v_lshlrev_b32_e32 v8, 6, v2
	v_mbcnt_hi_u32_b32 v17, -1, v6
	v_mul_f32_e32 v3, 0x4f7ffffe, v3
	v_cvt_u32_f32_e32 v9, v3
	v_mov_b32_e32 v3, v5
	v_lshl_add_u64 v[2:3], v[14:15], 0, v[2:3]
	s_mov_b32 s47, s17
	v_mul_lo_u32 v4, s0, v9
	v_mul_hi_u32 v4, v9, v4
	v_add_u32_e32 v11, v9, v4
	v_subrev_u32_e32 v9, s33, v7
	s_lshl_b64 s[0:1], s[30:31], 2
	v_add_u32_e32 v14, 1, v9
	v_lshlrev_b32_e32 v9, 2, v7
	s_add_u32 s0, s28, s0
	v_lshl_or_b32 v9, v30, 5, v9
	v_and_b32_e32 v4, 60, v12
	s_addc_u32 s1, s29, s1
	v_add_u32_e32 v15, 0x210, v9
	v_and_b32_e32 v9, 64, v17
	v_cmp_neq_f32_e64 s[2:3], s44, 0
	v_lshl_add_u64 v[4:5], s[0:1], 0, v[4:5]
	v_lshlrev_b32_e32 v13, 3, v30
	v_mov_b32_e32 v16, 0xff7fffff
	s_mov_b64 s[38:39], 0
	v_add_u32_e32 v18, 64, v9
	v_xor_b32_e32 v19, 4, v17
	v_xor_b32_e32 v20, 2, v17
	;; [unrolled: 1-line block ×3, first 2 shown]
	v_mov_b32_e32 v9, 0xff7fffff
	v_mov_b32_e32 v22, v30
	s_branch .LBB168_13
.LBB168_11:                             ;   in Loop: Header=BB168_13 Depth=1
	s_or_b64 exec, exec, s[40:41]
.LBB168_12:                             ;   in Loop: Header=BB168_13 Depth=1
	s_or_b64 exec, exec, s[8:9]
	v_add_u32_e32 v22, 2, v22
	v_cmp_le_i32_e64 s[0:1], s20, v22
	v_lshl_add_u64 v[4:5], v[4:5], 0, 8
	v_add_u32_e32 v13, 16, v13
	s_or_b64 s[38:39], s[0:1], s[38:39]
	v_add_u32_e32 v15, 64, v15
	s_andn2_b64 exec, exec, s[38:39]
	s_cbranch_execz .LBB168_20
.LBB168_13:                             ; =>This Inner Loop Header: Depth=1
	v_mul_hi_u32 v23, v13, s42
	s_waitcnt lgkmcnt(0)
	v_mul_lo_u32 v24, v23, s25
	v_sub_u32_e32 v24, v13, v24
	v_add_u32_e32 v25, 1, v23
	v_cmp_le_u32_e64 s[0:1], s25, v24
	s_nop 1
	v_cndmask_b32_e64 v23, v23, v25, s[0:1]
	v_subrev_u32_e32 v25, s25, v24
	v_cndmask_b32_e64 v24, v24, v25, s[0:1]
	v_add_u32_e32 v25, 1, v23
	v_cmp_le_u32_e64 s[0:1], s25, v24
	s_nop 1
	v_cndmask_b32_e64 v23, v23, v25, s[0:1]
	v_xor_b32_e32 v23, s23, v23
	v_subrev_u32_e32 v23, s23, v23
	v_add_u32_e32 v24, s36, v23
	v_sub_u32_e32 v26, 0, v24
	v_ashrrev_i32_e32 v25, 31, v24
	v_max_i32_e32 v24, v24, v26
	v_mul_hi_u32 v26, v24, v11
	v_mul_lo_u32 v26, v26, s46
	v_sub_u32_e32 v24, v24, v26
	v_subrev_u32_e32 v26, s46, v24
	v_cmp_le_u32_e64 s[0:1], s46, v24
	v_cmp_ge_i32_e64 s[8:9], s45, v23
	s_nop 0
	v_cndmask_b32_e64 v24, v24, v26, s[0:1]
	v_subrev_u32_e32 v26, s46, v24
	v_cmp_le_u32_e64 s[0:1], s46, v24
	s_nop 1
	v_cndmask_b32_e64 v24, v24, v26, s[0:1]
	v_xor_b32_e32 v24, v24, v25
	v_sub_u32_e32 v24, v24, v25
	v_cmp_ne_u32_e64 s[0:1], 0, v24
	s_and_b64 s[0:1], s[0:1], s[8:9]
	s_and_saveexec_b64 s[8:9], s[0:1]
	s_xor_b64 s[0:1], exec, s[8:9]
	s_cbranch_execz .LBB168_17
; %bb.14:                               ;   in Loop: Header=BB168_13 Depth=1
	s_and_saveexec_b64 s[8:9], vcc
; %bb.15:                               ;   in Loop: Header=BB168_13 Depth=1
	ds_write_b32 v15, v16
; %bb.16:                               ;   in Loop: Header=BB168_13 Depth=1
	s_or_b64 exec, exec, s[8:9]
.LBB168_17:                             ;   in Loop: Header=BB168_13 Depth=1
	s_andn2_saveexec_b64 s[8:9], s[0:1]
	s_cbranch_execz .LBB168_12
; %bb.18:                               ;   in Loop: Header=BB168_13 Depth=1
	global_load_dword v23, v[4:5], off
	s_waitcnt vmcnt(0)
	v_mad_i64_i32 v[24:25], s[0:1], v23, s47, v[2:3]
	global_load_ubyte v23, v[24:25], off
	global_load_ubyte v28, v[24:25], off offset:8
	global_load_ubyte v29, v[24:25], off offset:128
	;; [unrolled: 1-line block ×15, first 2 shown]
	v_cmp_lt_i32_e64 s[0:1], v19, v18
	ds_read_b128 v[24:27], v8
	ds_read_b128 v[32:35], v8 offset:16
	ds_read_b128 v[36:39], v8 offset:32
	;; [unrolled: 1-line block ×3, first 2 shown]
	v_cndmask_b32_e64 v57, v17, v19, s[0:1]
	s_load_dword s0, s[12:13], 0x0
	v_lshlrev_b32_e32 v57, 2, v57
	s_waitcnt vmcnt(15)
	v_cvt_f32_fp8_e32 v23, v23
	s_waitcnt vmcnt(14)
	v_cvt_f32_fp8_e32 v28, v28
	;; [unrolled: 2-line block ×5, first 2 shown]
	s_waitcnt lgkmcnt(0)
	v_mul_f32_e32 v28, s0, v28
	s_waitcnt vmcnt(10)
	v_cvt_f32_fp8_e32 v46, v46
	v_mul_f32_e32 v23, s0, v23
	v_mul_f32_e32 v25, v25, v28
	s_waitcnt vmcnt(9)
	v_cvt_f32_fp8_e32 v47, v47
	v_mul_f32_e32 v29, s0, v29
	v_fmac_f32_e32 v25, v24, v23
	s_waitcnt vmcnt(8)
	v_cvt_f32_fp8_e32 v48, v48
	v_mul_f32_e32 v44, s0, v44
	v_fmac_f32_e32 v25, v26, v29
	;; [unrolled: 4-line block ×10, first 2 shown]
	v_mul_f32_e32 v53, s0, v53
	v_fmac_f32_e32 v25, v39, v52
	v_mul_f32_e32 v54, s0, v54
	v_fmac_f32_e32 v25, v40, v53
	v_mul_f32_e32 v55, s0, v55
	v_fmac_f32_e32 v25, v41, v54
	v_mul_f32_e32 v56, s0, v56
	v_fmac_f32_e32 v25, v42, v55
	v_fmac_f32_e32 v25, v43, v56
	ds_bpermute_b32 v23, v57, v25
	v_cmp_lt_i32_e64 s[0:1], v20, v18
	s_waitcnt lgkmcnt(0)
	v_add_f32_e32 v23, v25, v23
	v_cndmask_b32_e64 v24, v17, v20, s[0:1]
	v_lshlrev_b32_e32 v24, 2, v24
	ds_bpermute_b32 v24, v24, v23
	v_cmp_lt_i32_e64 s[0:1], v21, v18
	s_waitcnt lgkmcnt(0)
	v_add_f32_e32 v23, v23, v24
	v_cndmask_b32_e64 v25, v17, v21, s[0:1]
	v_lshlrev_b32_e32 v25, 2, v25
	ds_bpermute_b32 v24, v25, v23
	s_and_saveexec_b64 s[40:41], vcc
	s_cbranch_execz .LBB168_11
; %bb.19:                               ;   in Loop: Header=BB168_13 Depth=1
	v_add_u32_e32 v25, v14, v13
	v_cvt_f32_i32_e32 v25, v25
	s_waitcnt lgkmcnt(0)
	v_add_f32_e32 v23, v23, v24
	v_add_u32_e32 v26, v7, v13
	v_cmp_gt_i32_e64 s[0:1], s33, v26
	v_mul_f32_e32 v24, s44, v25
	v_cndmask_b32_e64 v24, 0, v24, s[2:3]
	v_fmac_f32_e32 v24, s37, v23
	v_cndmask_b32_e64 v23, 0, v24, s[0:1]
	ds_write_b32 v15, v23
	v_max_f32_e32 v23, v9, v9
	v_max_f32_e32 v23, v23, v24
	v_cndmask_b32_e64 v9, v9, v23, s[0:1]
	s_branch .LBB168_11
.LBB168_20:
	s_or_b64 exec, exec, s[38:39]
.LBB168_21:
	s_or_b64 exec, exec, s[18:19]
	v_mbcnt_hi_u32_b32 v2, -1, v6
	v_and_b32_e32 v11, 64, v2
	v_add_u32_e32 v3, 64, v11
	v_xor_b32_e32 v4, 32, v2
	v_cmp_lt_i32_e32 vcc, v4, v3
	v_xor_b32_e32 v7, 16, v2
	v_max_f32_e32 v6, v9, v9
	v_cndmask_b32_e32 v4, v2, v4, vcc
	v_lshlrev_b32_e32 v5, 2, v4
	ds_bpermute_b32 v4, v5, v9
	v_cmp_lt_i32_e32 vcc, v7, v3
	v_xor_b32_e32 v8, 8, v2
	v_and_b32_e32 v32, 63, v0
	s_waitcnt lgkmcnt(0)
	v_max_f32_e32 v4, v4, v4
	v_max_f32_e32 v4, v6, v4
	v_cndmask_b32_e32 v6, v2, v7, vcc
	v_lshlrev_b32_e32 v7, 2, v6
	ds_bpermute_b32 v6, v7, v4
	v_cmp_lt_i32_e32 vcc, v8, v3
	s_waitcnt lgkmcnt(0)
	v_max_f32_e32 v6, v6, v6
	v_max_f32_e32 v6, v4, v6
	v_cndmask_b32_e32 v4, v2, v8, vcc
	v_lshlrev_b32_e32 v8, 2, v4
	ds_bpermute_b32 v9, v8, v6
	v_cmp_eq_u32_e32 vcc, 0, v32
	v_lshlrev_b32_e32 v4, 2, v30
	s_and_saveexec_b64 s[0:1], vcc
	s_cbranch_execz .LBB168_23
; %bb.22:
	s_waitcnt lgkmcnt(0)
	v_max_f32_e32 v9, v9, v9
	v_max_f32_e32 v6, v6, v6
	;; [unrolled: 1-line block ×3, first 2 shown]
	ds_write_b32 v4, v6 offset:512
.LBB168_23:
	s_or_b64 exec, exec, s[0:1]
	v_cmp_gt_u32_e64 s[0:1], 2, v32
	s_waitcnt lgkmcnt(0)
	v_mov_b32_e32 v9, 0xff7fffff
	v_lshlrev_b32_e32 v6, 2, v32
	s_barrier
	s_and_saveexec_b64 s[2:3], s[0:1]
; %bb.24:
	ds_read_b32 v9, v6 offset:512
; %bb.25:
	s_or_b64 exec, exec, s[2:3]
	v_xor_b32_e32 v13, 1, v2
	v_cmp_lt_i32_e64 s[2:3], v13, v3
	v_lshlrev_b32_e32 v11, 2, v11
	s_nop 0
	v_cndmask_b32_e64 v13, v2, v13, s[2:3]
	v_lshlrev_b32_e32 v33, 2, v13
	s_waitcnt lgkmcnt(0)
	ds_bpermute_b32 v13, v33, v9
	v_max_f32_e32 v9, v9, v9
	s_lshl_b32 s2, s20, 3
	s_min_i32 s37, s2, s33
	v_cmp_gt_i32_e64 s[2:3], s37, v0
	s_waitcnt lgkmcnt(0)
	v_max_f32_e32 v13, v13, v13
	v_max_f32_e32 v9, v9, v13
	ds_bpermute_b32 v11, v11, v9
	v_mov_b32_e32 v9, 0
	s_and_saveexec_b64 s[12:13], s[2:3]
	s_cbranch_execz .LBB168_29
; %bb.26:
	v_mov_b32_e32 v9, 0x210
	v_lshl_add_u32 v13, v0, 2, v9
	v_mov_b32_e32 v9, 0
	s_mov_b64 s[18:19], 0
	v_mov_b32_e32 v14, v0
.LBB168_27:                             ; =>This Inner Loop Header: Depth=1
	ds_read_b32 v15, v13
	v_add_u32_e32 v14, 0x80, v14
	v_cmp_le_i32_e64 s[8:9], s37, v14
	s_or_b64 s[18:19], s[8:9], s[18:19]
	s_waitcnt lgkmcnt(0)
	v_sub_f32_e32 v15, v15, v11
	v_mul_f32_e32 v15, 0x3fb8aa3b, v15
	v_exp_f32_e32 v15, v15
	ds_write_b32 v13, v15
	v_add_f32_e32 v9, v9, v15
	v_add_u32_e32 v13, 0x200, v13
	s_andn2_b64 exec, exec, s[18:19]
	s_cbranch_execnz .LBB168_27
; %bb.28:
	s_or_b64 exec, exec, s[18:19]
.LBB168_29:
	s_or_b64 exec, exec, s[12:13]
	ds_bpermute_b32 v5, v5, v9
	s_waitcnt lgkmcnt(0)
	v_add_f32_e32 v5, v9, v5
	ds_bpermute_b32 v7, v7, v5
	s_waitcnt lgkmcnt(0)
	v_add_f32_e32 v5, v5, v7
	ds_bpermute_b32 v7, v8, v5
	v_xor_b32_e32 v8, 4, v2
	v_cmp_lt_i32_e64 s[8:9], v8, v3
	s_waitcnt lgkmcnt(0)
	v_add_f32_e32 v5, v5, v7
	v_cndmask_b32_e64 v8, v2, v8, s[8:9]
	v_lshlrev_b32_e32 v8, 2, v8
	ds_bpermute_b32 v7, v8, v5
	v_xor_b32_e32 v8, 2, v2
	v_cmp_lt_i32_e64 s[8:9], v8, v3
	s_waitcnt lgkmcnt(0)
	v_add_f32_e32 v5, v5, v7
	v_cndmask_b32_e64 v3, v2, v8, s[8:9]
	v_lshlrev_b32_e32 v3, 2, v3
	ds_bpermute_b32 v3, v3, v5
	s_waitcnt lgkmcnt(0)
	v_add_f32_e32 v3, v5, v3
	ds_bpermute_b32 v5, v33, v3
	s_waitcnt lgkmcnt(0)
	v_add_f32_e32 v3, v3, v5
	s_and_saveexec_b64 s[8:9], vcc
; %bb.30:
	ds_write_b32 v4, v3 offset:520
; %bb.31:
	s_or_b64 exec, exec, s[8:9]
	s_waitcnt lgkmcnt(0)
	s_barrier
	s_and_saveexec_b64 s[8:9], s[0:1]
; %bb.32:
	ds_read_b32 v3, v6 offset:520
; %bb.33:
	s_or_b64 exec, exec, s[8:9]
	s_waitcnt lgkmcnt(0)
	ds_bpermute_b32 v4, v33, v3
	v_lshlrev_b32_e32 v2, 2, v2
	v_and_b32_e32 v2, 0x100, v2
	s_waitcnt lgkmcnt(0)
	v_add_f32_e32 v3, v3, v4
	ds_bpermute_b32 v2, v2, v3
	s_and_saveexec_b64 s[0:1], s[2:3]
	s_cbranch_execz .LBB168_46
; %bb.34:
	s_waitcnt lgkmcnt(0)
	v_add_f32_e32 v2, 0x358637bd, v2
	v_div_scale_f32 v3, s[2:3], v2, v2, 1.0
	v_rcp_f32_e32 v4, v3
	v_div_scale_f32 v5, vcc, 1.0, v2, 1.0
	s_movk_i32 s2, 0x7f
	v_fma_f32 v6, -v3, v4, 1.0
	v_fmac_f32_e32 v4, v6, v4
	v_mul_f32_e32 v6, v5, v4
	v_fma_f32 v7, -v3, v6, v5
	v_fmac_f32_e32 v6, v7, v4
	v_fma_f32 v3, -v3, v6, v5
	v_div_fmas_f32 v3, v3, v4, v6
	v_xad_u32 v4, v0, -1, s37
	v_div_fixup_f32 v2, v3, v2, 1.0
	v_cmp_lt_u32_e32 vcc, s2, v4
	s_mov_b64 s[8:9], -1
	v_mov_b32_e32 v3, v0
	s_and_saveexec_b64 s[2:3], vcc
	s_cbranch_execz .LBB168_43
; %bb.35:
	v_lshrrev_b32_e32 v4, 7, v4
	v_add_u32_e32 v6, -1, v4
	v_lshrrev_b32_e32 v5, 1, v6
	v_mov_b32_e32 v3, v2
	v_add_u32_e32 v5, 1, v5
	v_cmp_lt_u32_e32 vcc, 13, v6
	v_mov_b32_e32 v8, 0
	s_and_saveexec_b64 s[8:9], vcc
	s_cbranch_execz .LBB168_39
; %bb.36:
	v_mov_b32_e32 v7, 0x210
	v_and_b32_e32 v6, -8, v5
	v_lshl_add_u32 v7, v0, 2, v7
	s_mov_b32 s18, 0
	s_mov_b64 s[12:13], 0
.LBB168_37:                             ; =>This Inner Loop Header: Depth=1
	ds_read2st64_b32 v[8:9], v7 offset1:2
	ds_read2st64_b32 v[14:15], v7 offset0:4 offset1:6
	ds_read2st64_b32 v[16:17], v7 offset0:8 offset1:10
	;; [unrolled: 1-line block ×3, first 2 shown]
	v_add_u32_e32 v6, -8, v6
	s_waitcnt lgkmcnt(3)
	v_pk_mul_f32 v[8:9], v[2:3], v[8:9]
	s_waitcnt lgkmcnt(2)
	v_pk_mul_f32 v[14:15], v[2:3], v[14:15]
	ds_write2st64_b32 v7, v8, v9 offset1:2
	ds_write2st64_b32 v7, v14, v15 offset0:4 offset1:6
	ds_read2st64_b32 v[14:15], v7 offset0:16 offset1:18
	s_waitcnt lgkmcnt(4)
	v_pk_mul_f32 v[8:9], v[2:3], v[16:17]
	ds_write2st64_b32 v7, v8, v9 offset0:8 offset1:10
	s_waitcnt lgkmcnt(4)
	v_pk_mul_f32 v[8:9], v[2:3], v[18:19]
	ds_write2st64_b32 v7, v8, v9 offset0:12 offset1:14
	ds_read2st64_b32 v[8:9], v7 offset0:20 offset1:22
	s_waitcnt lgkmcnt(3)
	v_pk_mul_f32 v[14:15], v[2:3], v[14:15]
	ds_read2st64_b32 v[16:17], v7 offset0:24 offset1:26
	ds_write2st64_b32 v7, v14, v15 offset0:16 offset1:18
	ds_read2st64_b32 v[14:15], v7 offset0:28 offset1:30
	s_waitcnt lgkmcnt(3)
	v_pk_mul_f32 v[8:9], v[2:3], v[8:9]
	ds_write2st64_b32 v7, v8, v9 offset0:20 offset1:22
	s_waitcnt lgkmcnt(3)
	v_pk_mul_f32 v[8:9], v[2:3], v[16:17]
	ds_write2st64_b32 v7, v8, v9 offset0:24 offset1:26
	s_waitcnt lgkmcnt(2)
	v_pk_mul_f32 v[8:9], v[2:3], v[14:15]
	s_add_i32 s18, s18, 16
	v_cmp_eq_u32_e32 vcc, 0, v6
	ds_write2st64_b32 v7, v8, v9 offset0:28 offset1:30
	v_add_u32_e32 v7, 0x2000, v7
	s_or_b64 s[12:13], vcc, s[12:13]
	v_mov_b32_e32 v8, s18
	s_andn2_b64 exec, exec, s[12:13]
	s_cbranch_execnz .LBB168_37
; %bb.38:
	s_or_b64 exec, exec, s[12:13]
.LBB168_39:
	s_or_b64 exec, exec, s[8:9]
	v_and_b32_e32 v5, 7, v5
	v_cmp_ne_u32_e32 vcc, 0, v5
	s_and_saveexec_b64 s[8:9], vcc
	s_cbranch_execz .LBB168_42
; %bb.40:
	v_lshlrev_b32_e32 v6, 9, v8
	s_movk_i32 s12, 0x210
	v_add3_u32 v6, v6, v10, s12
	s_mov_b64 s[12:13], 0
.LBB168_41:                             ; =>This Inner Loop Header: Depth=1
	ds_read2st64_b32 v[8:9], v6 offset1:2
	v_add_u32_e32 v5, -1, v5
	v_cmp_eq_u32_e32 vcc, 0, v5
	s_or_b64 s[12:13], vcc, s[12:13]
	s_waitcnt lgkmcnt(0)
	v_pk_mul_f32 v[8:9], v[2:3], v[8:9]
	ds_write2st64_b32 v6, v8, v9 offset1:2
	v_add_u32_e32 v6, 0x400, v6
	s_andn2_b64 exec, exec, s[12:13]
	s_cbranch_execnz .LBB168_41
.LBB168_42:
	s_or_b64 exec, exec, s[8:9]
	v_add_u32_e32 v4, 1, v4
	v_and_b32_e32 v5, 0x3fffffe, v4
	v_cmp_ne_u32_e32 vcc, v4, v5
	v_lshl_add_u32 v3, v5, 7, v0
	s_orn2_b64 s[8:9], vcc, exec
.LBB168_43:
	s_or_b64 exec, exec, s[2:3]
	s_and_b64 exec, exec, s[8:9]
	s_cbranch_execz .LBB168_46
; %bb.44:
	v_mov_b32_e32 v4, 0x210
	v_lshl_add_u32 v4, v3, 2, v4
	s_mov_b64 s[2:3], 0
.LBB168_45:                             ; =>This Inner Loop Header: Depth=1
	ds_read_b32 v5, v4
	v_add_u32_e32 v3, 0x80, v3
	v_cmp_le_i32_e32 vcc, s37, v3
	s_or_b64 s[2:3], vcc, s[2:3]
	s_waitcnt lgkmcnt(0)
	v_mul_f32_e32 v5, v2, v5
	ds_write_b32 v4, v5
	v_add_u32_e32 v4, 0x200, v4
	s_andn2_b64 exec, exec, s[2:3]
	s_cbranch_execnz .LBB168_45
.LBB168_46:
	s_or_b64 exec, exec, s[0:1]
	v_mov_b32_e32 v7, 0
	v_and_b32_e32 v34, 1, v0
	v_mov_b32_e32 v6, v7
	v_mov_b32_e32 v9, v7
	;; [unrolled: 1-line block ×3, first 2 shown]
	s_waitcnt lgkmcnt(0)
	s_barrier
	s_and_saveexec_b64 s[2:3], s[6:7]
	s_cbranch_execz .LBB168_60
; %bb.47:
	s_sub_i32 s18, s16, s21
	s_ashr_i32 s1, s43, 31
	s_add_u32 s0, s34, s43
	s_addc_u32 s1, s35, s1
	s_abs_i32 s19, s22
	v_cvt_f32_u32_e32 v2, s19
	v_and_b32_e32 v8, 0xfc, v10
	v_mov_b32_e32 v9, 0
	v_and_b32_e32 v35, 4, v10
	v_rcp_iflag_f32_e32 v2, v2
	v_lshl_add_u64 v[10:11], s[0:1], 0, v[8:9]
	s_sub_i32 s0, 0, s19
	s_add_i32 s22, s20, -1
	v_mul_f32_e32 v2, 0x4f7ffffe, v2
	v_cvt_u32_f32_e32 v2, v2
	v_and_b32_e32 v8, 60, v12
	s_mov_b32 s21, s17
	s_mov_b32 s34, s33
	v_mul_lo_u32 v3, s0, v2
	v_mul_hi_u32 v3, v2, v3
	s_lshl_b64 s[0:1], s[30:31], 2
	v_add_u32_e32 v36, v2, v3
	s_add_u32 s0, s28, s0
	v_lshlrev_b32_e32 v2, 4, v34
	s_addc_u32 s1, s29, s1
	v_lshl_or_b32 v2, v30, 5, v2
	v_lshl_add_u64 v[12:13], s[0:1], 0, v[8:9]
	v_add_u32_e32 v37, 0x210, v2
	s_mov_b64 s[6:7], 0
	v_mov_b32_e32 v8, v9
	v_mov_b32_e32 v6, v9
	;; [unrolled: 1-line block ×3, first 2 shown]
	s_branch .LBB168_50
.LBB168_48:                             ;   in Loop: Header=BB168_50 Depth=1
	s_or_b64 exec, exec, s[0:1]
	v_mul_f32_e32 v26, v2, v26
	v_mul_f32_e32 v22, v2, v22
	;; [unrolled: 1-line block ×3, first 2 shown]
	v_fmac_f32_e32 v26, v3, v27
	v_fmac_f32_e32 v22, v3, v23
	;; [unrolled: 1-line block ×6, first 2 shown]
	v_pk_mul_f32 v[2:3], v[2:3], v[28:29]
	v_fmac_f32_e32 v26, v5, v25
	v_fmac_f32_e32 v22, v5, v21
	v_fmac_f32_e32 v16, v5, v15
	v_pk_mul_f32 v[4:5], v[4:5], v[18:19]
	v_add_f32_e32 v2, v3, v2
	v_add_f32_e32 v2, v4, v2
	;; [unrolled: 1-line block ×7, first 2 shown]
.LBB168_49:                             ;   in Loop: Header=BB168_50 Depth=1
	s_or_b64 exec, exec, s[8:9]
	v_add_u32_e32 v30, 2, v30
	v_cmp_le_i32_e32 vcc, s20, v30
	v_lshl_add_u64 v[12:13], v[12:13], 0, 8
	v_add_u32_e32 v31, 16, v31
	s_or_b64 s[6:7], vcc, s[6:7]
	v_add_u32_e32 v37, 64, v37
	s_andn2_b64 exec, exec, s[6:7]
	s_cbranch_execz .LBB168_59
.LBB168_50:                             ; =>This Inner Loop Header: Depth=1
	v_mul_hi_u32 v2, v31, s42
	v_mul_lo_u32 v3, v2, s25
	v_sub_u32_e32 v3, v31, v3
	v_add_u32_e32 v4, 1, v2
	v_cmp_le_u32_e32 vcc, s25, v3
	s_nop 1
	v_cndmask_b32_e32 v2, v2, v4, vcc
	v_subrev_u32_e32 v4, s25, v3
	v_cndmask_b32_e32 v3, v3, v4, vcc
	v_add_u32_e32 v4, 1, v2
	v_cmp_le_u32_e32 vcc, s25, v3
	s_nop 1
	v_cndmask_b32_e32 v2, v2, v4, vcc
	v_xor_b32_e32 v2, s23, v2
	v_subrev_u32_e32 v2, s23, v2
	v_add_u32_e32 v3, s36, v2
	v_sub_u32_e32 v5, 0, v3
	v_ashrrev_i32_e32 v4, 31, v3
	v_max_i32_e32 v3, v3, v5
	v_mul_hi_u32 v5, v3, v36
	v_mul_lo_u32 v5, v5, s19
	v_sub_u32_e32 v3, v3, v5
	v_subrev_u32_e32 v5, s19, v3
	v_cmp_le_u32_e32 vcc, s19, v3
	v_cmp_lt_i32_e64 s[0:1], s18, v2
	s_nop 0
	v_cndmask_b32_e32 v3, v3, v5, vcc
	v_subrev_u32_e32 v5, s19, v3
	v_cmp_le_u32_e32 vcc, s19, v3
	s_nop 1
	v_cndmask_b32_e32 v3, v3, v5, vcc
	v_xor_b32_e32 v3, v3, v4
	v_sub_u32_e32 v3, v3, v4
	v_cmp_eq_u32_e32 vcc, 0, v3
	s_or_b64 s[0:1], vcc, s[0:1]
	s_and_saveexec_b64 s[8:9], s[0:1]
	s_cbranch_execz .LBB168_49
; %bb.51:                               ;   in Loop: Header=BB168_50 Depth=1
	global_load_dword v2, v[12:13], off
	s_load_dword s12, s[14:15], 0x0
	v_add_u32_e32 v38, v35, v31
	v_cmp_eq_u32_e32 vcc, s22, v30
	v_add_u32_e32 v39, 1, v38
	v_add_u32_e32 v28, 2, v38
	;; [unrolled: 1-line block ×3, first 2 shown]
	s_waitcnt vmcnt(0)
	v_mad_i64_i32 v[18:19], s[0:1], v2, s21, v[10:11]
	global_load_dword v14, v[18:19], off
	ds_read_b128 v[2:5], v37
	s_waitcnt vmcnt(0)
	v_and_b32_e32 v15, 0xffff, v14
	v_lshrrev_b32_e32 v16, 16, v14
	v_cvt_pk_f32_fp8_e32 v[14:15], v15
	v_cvt_pk_f32_fp8_e32 v[20:21], v16
	s_waitcnt lgkmcnt(0)
	v_pk_mul_f32 v[16:17], v[14:15], s[12:13] op_sel_hi:[1,0]
	v_pk_mul_f32 v[14:15], s[12:13], v[20:21] op_sel_hi:[0,1]
	s_and_saveexec_b64 s[16:17], vcc
; %bb.52:                               ;   in Loop: Header=BB168_50 Depth=1
	v_cmp_gt_i32_e64 s[0:1], s33, v38
	s_nop 1
	v_cndmask_b32_e64 v16, 0, v16, s[0:1]
	v_cmp_gt_i32_e64 s[0:1], s33, v39
	s_nop 1
	v_cndmask_b32_e64 v17, 0, v17, s[0:1]
	;; [unrolled: 3-line block ×4, first 2 shown]
; %bb.53:                               ;   in Loop: Header=BB168_50 Depth=1
	s_or_b64 exec, exec, s[16:17]
	global_load_dword v20, v[18:19], off offset:256
	s_mov_b32 s13, s12
	s_waitcnt vmcnt(0)
	v_and_b32_e32 v21, 0xffff, v20
	v_lshrrev_b32_e32 v22, 16, v20
	v_cvt_pk_f32_fp8_e32 v[20:21], v21
	v_cvt_pk_f32_fp8_e32 v[24:25], v22
	v_pk_mul_f32 v[22:23], s[12:13], v[20:21]
	v_pk_mul_f32 v[20:21], s[12:13], v[24:25]
	s_and_saveexec_b64 s[16:17], vcc
; %bb.54:                               ;   in Loop: Header=BB168_50 Depth=1
	v_cmp_gt_i32_e64 s[0:1], s33, v38
	s_nop 1
	v_cndmask_b32_e64 v22, 0, v22, s[0:1]
	v_cmp_gt_i32_e64 s[0:1], s33, v39
	s_nop 1
	v_cndmask_b32_e64 v23, 0, v23, s[0:1]
	;; [unrolled: 3-line block ×4, first 2 shown]
; %bb.55:                               ;   in Loop: Header=BB168_50 Depth=1
	s_or_b64 exec, exec, s[16:17]
	global_load_dword v24, v[18:19], off offset:512
	s_waitcnt vmcnt(0)
	v_and_b32_e32 v25, 0xffff, v24
	v_lshrrev_b32_e32 v26, 16, v24
	v_cvt_pk_f32_fp8_e32 v[24:25], v25
	v_cvt_pk_f32_fp8_e32 v[40:41], v26
	v_pk_mul_f32 v[26:27], s[12:13], v[24:25]
	v_pk_mul_f32 v[24:25], s[12:13], v[40:41]
	s_and_saveexec_b64 s[16:17], vcc
; %bb.56:                               ;   in Loop: Header=BB168_50 Depth=1
	v_cmp_gt_i32_e64 s[0:1], s33, v38
	s_nop 1
	v_cndmask_b32_e64 v26, 0, v26, s[0:1]
	v_cmp_gt_i32_e64 s[0:1], s33, v39
	s_nop 1
	v_cndmask_b32_e64 v27, 0, v27, s[0:1]
	;; [unrolled: 3-line block ×4, first 2 shown]
; %bb.57:                               ;   in Loop: Header=BB168_50 Depth=1
	s_or_b64 exec, exec, s[16:17]
	global_load_dword v18, v[18:19], off offset:768
	s_waitcnt vmcnt(0)
	v_and_b32_e32 v19, 0xffff, v18
	v_lshrrev_b32_e32 v28, 16, v18
	v_cvt_pk_f32_fp8_e32 v[18:19], v19
	v_cvt_pk_f32_fp8_e32 v[40:41], v28
	v_pk_mul_f32 v[28:29], s[12:13], v[18:19]
	v_pk_mul_f32 v[18:19], s[12:13], v[40:41]
	s_and_saveexec_b64 s[0:1], vcc
	s_cbranch_execz .LBB168_48
; %bb.58:                               ;   in Loop: Header=BB168_50 Depth=1
	v_cmp_gt_i32_e32 vcc, s34, v39
	v_or_b32_e32 v39, 3, v38
	s_nop 0
	v_cndmask_b32_e32 v29, 0, v29, vcc
	v_cmp_gt_i32_e32 vcc, s33, v38
	v_or_b32_e32 v38, 2, v38
	s_nop 0
	v_cndmask_b32_e32 v28, 0, v28, vcc
	v_cmp_gt_i32_e32 vcc, s34, v39
	s_nop 1
	v_cndmask_b32_e32 v19, 0, v19, vcc
	v_cmp_gt_i32_e32 vcc, s33, v38
	s_nop 1
	v_cndmask_b32_e32 v18, 0, v18, vcc
	s_branch .LBB168_48
.LBB168_59:
	s_or_b64 exec, exec, s[6:7]
.LBB168_60:
	s_or_b64 exec, exec, s[2:3]
	ds_bpermute_b32 v2, v33, v8
	ds_bpermute_b32 v3, v33, v9
	;; [unrolled: 1-line block ×4, first 2 shown]
	s_waitcnt lgkmcnt(0)
	s_barrier
	v_pk_add_f32 v[2:3], v[8:9], v[2:3]
	v_and_b32_e32 v8, 0x3c1, v0
	v_cmp_ne_u32_e32 vcc, 64, v8
	s_and_saveexec_b64 s[0:1], vcc
	s_xor_b64 s[0:1], exec, s[0:1]
; %bb.61:
                                        ; implicit-def: $vgpr32
; %bb.62:
	s_or_saveexec_b64 s[0:1], s[0:1]
	v_pk_add_f32 v[4:5], v[6:7], v[4:5]
	s_xor_b64 exec, exec, s[0:1]
	s_cbranch_execz .LBB168_64
; %bb.63:
	v_mov_b32_e32 v6, 0x210
	v_lshl_add_u32 v6, v32, 1, v6
	ds_write2_b32 v6, v2, v3 offset1:32
	ds_write2_b32 v6, v4, v5 offset0:64 offset1:96
.LBB168_64:
	s_or_b64 exec, exec, s[0:1]
	v_cmp_gt_u32_e32 vcc, 64, v0
	s_waitcnt lgkmcnt(0)
	s_barrier
	s_and_saveexec_b64 s[0:1], vcc
	s_cbranch_execz .LBB168_71
; %bb.65:
	v_mov_b32_e32 v0, 0x210
	v_cmp_eq_u32_e32 vcc, 0, v34
	v_lshl_add_u32 v0, v1, 2, v0
	s_and_saveexec_b64 s[2:3], vcc
	s_cbranch_execnz .LBB168_74
; %bb.66:
	s_or_b64 exec, exec, s[2:3]
	s_and_saveexec_b64 s[2:3], vcc
	s_cbranch_execnz .LBB168_75
.LBB168_67:
	s_or_b64 exec, exec, s[2:3]
	s_and_saveexec_b64 s[2:3], vcc
	s_cbranch_execnz .LBB168_76
.LBB168_68:
	s_or_b64 exec, exec, s[2:3]
	s_and_saveexec_b64 s[2:3], vcc
	s_cbranch_execz .LBB168_70
.LBB168_69:
	ds_read_b32 v0, v0 offset:384
	s_waitcnt lgkmcnt(0)
	v_add_f32_e32 v5, v5, v0
.LBB168_70:
	s_or_b64 exec, exec, s[2:3]
.LBB168_71:
	s_or_b64 exec, exec, s[0:1]
	v_cmp_eq_u32_e32 vcc, 0, v8
	s_barrier
	s_and_saveexec_b64 s[0:1], vcc
	s_cbranch_execz .LBB168_73
; %bb.72:
	s_mul_i32 s0, s10, s11
	s_mul_i32 s0, s0, s5
	s_lshl_b32 s0, s0, 7
	s_ashr_i32 s1, s0, 31
	s_lshl_b64 s[0:1], s[0:1], 2
	s_add_u32 s2, s26, s0
	s_mul_i32 s0, s11, s24
	s_addc_u32 s3, s27, s1
	s_ashr_i32 s1, s0, 31
	s_lshl_b64 s[0:1], s[0:1], 2
	s_add_u32 s2, s2, s0
	s_addc_u32 s3, s3, s1
	s_lshl_b32 s0, s4, 7
	s_ashr_i32 s1, s0, 31
	s_lshl_b64 s[0:1], s[0:1], 2
	s_add_u32 s0, s2, s0
	s_addc_u32 s1, s3, s1
	v_lshlrev_b32_e32 v0, 2, v1
	global_store_dword v0, v2, s[0:1]
	global_store_dword v0, v3, s[0:1] offset:128
	global_store_dword v0, v4, s[0:1] offset:256
	;; [unrolled: 1-line block ×3, first 2 shown]
.LBB168_73:
	s_endpgm
.LBB168_74:
	ds_read_b32 v6, v0
	s_waitcnt lgkmcnt(0)
	v_add_f32_e32 v2, v2, v6
	s_or_b64 exec, exec, s[2:3]
	s_and_saveexec_b64 s[2:3], vcc
	s_cbranch_execz .LBB168_67
.LBB168_75:
	ds_read_b32 v6, v0 offset:128
	s_waitcnt lgkmcnt(0)
	v_add_f32_e32 v3, v3, v6
	s_or_b64 exec, exec, s[2:3]
	s_and_saveexec_b64 s[2:3], vcc
	s_cbranch_execz .LBB168_68
.LBB168_76:
	ds_read_b32 v6, v0 offset:256
	s_waitcnt lgkmcnt(0)
	v_add_f32_e32 v4, v4, v6
	s_or_b64 exec, exec, s[2:3]
	s_and_saveexec_b64 s[2:3], vcc
	s_cbranch_execnz .LBB168_69
	s_branch .LBB168_70
	.section	.rodata,"a",@progbits
	.p2align	6, 0x0
	.amdhsa_kernel _ZN4vllm25paged_attention_v1_kernelIfhLi128ELi8ELi128ELNS_18Fp8KVCacheDataTypeE1ELb1EEEvPT_PKS2_PKT0_S8_ifPKiSA_iPKfiiiSC_SC_iiiii
		.amdhsa_group_segment_fixed_size 528
		.amdhsa_private_segment_fixed_size 0
		.amdhsa_kernarg_size 384
		.amdhsa_user_sgpr_count 2
		.amdhsa_user_sgpr_dispatch_ptr 0
		.amdhsa_user_sgpr_queue_ptr 0
		.amdhsa_user_sgpr_kernarg_segment_ptr 1
		.amdhsa_user_sgpr_dispatch_id 0
		.amdhsa_user_sgpr_kernarg_preload_length 0
		.amdhsa_user_sgpr_kernarg_preload_offset 0
		.amdhsa_user_sgpr_private_segment_size 0
		.amdhsa_uses_dynamic_stack 0
		.amdhsa_enable_private_segment 0
		.amdhsa_system_sgpr_workgroup_id_x 1
		.amdhsa_system_sgpr_workgroup_id_y 1
		.amdhsa_system_sgpr_workgroup_id_z 1
		.amdhsa_system_sgpr_workgroup_info 0
		.amdhsa_system_vgpr_workitem_id 0
		.amdhsa_next_free_vgpr 58
		.amdhsa_next_free_sgpr 48
		.amdhsa_accum_offset 60
		.amdhsa_reserve_vcc 1
		.amdhsa_float_round_mode_32 0
		.amdhsa_float_round_mode_16_64 0
		.amdhsa_float_denorm_mode_32 3
		.amdhsa_float_denorm_mode_16_64 3
		.amdhsa_dx10_clamp 1
		.amdhsa_ieee_mode 1
		.amdhsa_fp16_overflow 0
		.amdhsa_tg_split 0
		.amdhsa_exception_fp_ieee_invalid_op 0
		.amdhsa_exception_fp_denorm_src 0
		.amdhsa_exception_fp_ieee_div_zero 0
		.amdhsa_exception_fp_ieee_overflow 0
		.amdhsa_exception_fp_ieee_underflow 0
		.amdhsa_exception_fp_ieee_inexact 0
		.amdhsa_exception_int_div_zero 0
	.end_amdhsa_kernel
	.section	.text._ZN4vllm25paged_attention_v1_kernelIfhLi128ELi8ELi128ELNS_18Fp8KVCacheDataTypeE1ELb1EEEvPT_PKS2_PKT0_S8_ifPKiSA_iPKfiiiSC_SC_iiiii,"axG",@progbits,_ZN4vllm25paged_attention_v1_kernelIfhLi128ELi8ELi128ELNS_18Fp8KVCacheDataTypeE1ELb1EEEvPT_PKS2_PKT0_S8_ifPKiSA_iPKfiiiSC_SC_iiiii,comdat
.Lfunc_end168:
	.size	_ZN4vllm25paged_attention_v1_kernelIfhLi128ELi8ELi128ELNS_18Fp8KVCacheDataTypeE1ELb1EEEvPT_PKS2_PKT0_S8_ifPKiSA_iPKfiiiSC_SC_iiiii, .Lfunc_end168-_ZN4vllm25paged_attention_v1_kernelIfhLi128ELi8ELi128ELNS_18Fp8KVCacheDataTypeE1ELb1EEEvPT_PKS2_PKT0_S8_ifPKiSA_iPKfiiiSC_SC_iiiii
                                        ; -- End function
	.set _ZN4vllm25paged_attention_v1_kernelIfhLi128ELi8ELi128ELNS_18Fp8KVCacheDataTypeE1ELb1EEEvPT_PKS2_PKT0_S8_ifPKiSA_iPKfiiiSC_SC_iiiii.num_vgpr, 58
	.set _ZN4vllm25paged_attention_v1_kernelIfhLi128ELi8ELi128ELNS_18Fp8KVCacheDataTypeE1ELb1EEEvPT_PKS2_PKT0_S8_ifPKiSA_iPKfiiiSC_SC_iiiii.num_agpr, 0
	.set _ZN4vllm25paged_attention_v1_kernelIfhLi128ELi8ELi128ELNS_18Fp8KVCacheDataTypeE1ELb1EEEvPT_PKS2_PKT0_S8_ifPKiSA_iPKfiiiSC_SC_iiiii.numbered_sgpr, 48
	.set _ZN4vllm25paged_attention_v1_kernelIfhLi128ELi8ELi128ELNS_18Fp8KVCacheDataTypeE1ELb1EEEvPT_PKS2_PKT0_S8_ifPKiSA_iPKfiiiSC_SC_iiiii.num_named_barrier, 0
	.set _ZN4vllm25paged_attention_v1_kernelIfhLi128ELi8ELi128ELNS_18Fp8KVCacheDataTypeE1ELb1EEEvPT_PKS2_PKT0_S8_ifPKiSA_iPKfiiiSC_SC_iiiii.private_seg_size, 0
	.set _ZN4vllm25paged_attention_v1_kernelIfhLi128ELi8ELi128ELNS_18Fp8KVCacheDataTypeE1ELb1EEEvPT_PKS2_PKT0_S8_ifPKiSA_iPKfiiiSC_SC_iiiii.uses_vcc, 1
	.set _ZN4vllm25paged_attention_v1_kernelIfhLi128ELi8ELi128ELNS_18Fp8KVCacheDataTypeE1ELb1EEEvPT_PKS2_PKT0_S8_ifPKiSA_iPKfiiiSC_SC_iiiii.uses_flat_scratch, 0
	.set _ZN4vllm25paged_attention_v1_kernelIfhLi128ELi8ELi128ELNS_18Fp8KVCacheDataTypeE1ELb1EEEvPT_PKS2_PKT0_S8_ifPKiSA_iPKfiiiSC_SC_iiiii.has_dyn_sized_stack, 0
	.set _ZN4vllm25paged_attention_v1_kernelIfhLi128ELi8ELi128ELNS_18Fp8KVCacheDataTypeE1ELb1EEEvPT_PKS2_PKT0_S8_ifPKiSA_iPKfiiiSC_SC_iiiii.has_recursion, 0
	.set _ZN4vllm25paged_attention_v1_kernelIfhLi128ELi8ELi128ELNS_18Fp8KVCacheDataTypeE1ELb1EEEvPT_PKS2_PKT0_S8_ifPKiSA_iPKfiiiSC_SC_iiiii.has_indirect_call, 0
	.section	.AMDGPU.csdata,"",@progbits
; Kernel info:
; codeLenInByte = 4824
; TotalNumSgprs: 54
; NumVgprs: 58
; NumAgprs: 0
; TotalNumVgprs: 58
; ScratchSize: 0
; MemoryBound: 0
; FloatMode: 240
; IeeeMode: 1
; LDSByteSize: 528 bytes/workgroup (compile time only)
; SGPRBlocks: 6
; VGPRBlocks: 7
; NumSGPRsForWavesPerEU: 54
; NumVGPRsForWavesPerEU: 58
; AccumOffset: 60
; Occupancy: 8
; WaveLimiterHint : 1
; COMPUTE_PGM_RSRC2:SCRATCH_EN: 0
; COMPUTE_PGM_RSRC2:USER_SGPR: 2
; COMPUTE_PGM_RSRC2:TRAP_HANDLER: 0
; COMPUTE_PGM_RSRC2:TGID_X_EN: 1
; COMPUTE_PGM_RSRC2:TGID_Y_EN: 1
; COMPUTE_PGM_RSRC2:TGID_Z_EN: 1
; COMPUTE_PGM_RSRC2:TIDIG_COMP_CNT: 0
; COMPUTE_PGM_RSRC3_GFX90A:ACCUM_OFFSET: 14
; COMPUTE_PGM_RSRC3_GFX90A:TG_SPLIT: 0
	.section	.text._ZN4vllm25paged_attention_v1_kernelIfhLi192ELi8ELi128ELNS_18Fp8KVCacheDataTypeE1ELb1EEEvPT_PKS2_PKT0_S8_ifPKiSA_iPKfiiiSC_SC_iiiii,"axG",@progbits,_ZN4vllm25paged_attention_v1_kernelIfhLi192ELi8ELi128ELNS_18Fp8KVCacheDataTypeE1ELb1EEEvPT_PKS2_PKT0_S8_ifPKiSA_iPKfiiiSC_SC_iiiii,comdat
	.protected	_ZN4vllm25paged_attention_v1_kernelIfhLi192ELi8ELi128ELNS_18Fp8KVCacheDataTypeE1ELb1EEEvPT_PKS2_PKT0_S8_ifPKiSA_iPKfiiiSC_SC_iiiii ; -- Begin function _ZN4vllm25paged_attention_v1_kernelIfhLi192ELi8ELi128ELNS_18Fp8KVCacheDataTypeE1ELb1EEEvPT_PKS2_PKT0_S8_ifPKiSA_iPKfiiiSC_SC_iiiii
	.globl	_ZN4vllm25paged_attention_v1_kernelIfhLi192ELi8ELi128ELNS_18Fp8KVCacheDataTypeE1ELb1EEEvPT_PKS2_PKT0_S8_ifPKiSA_iPKfiiiSC_SC_iiiii
	.p2align	8
	.type	_ZN4vllm25paged_attention_v1_kernelIfhLi192ELi8ELi128ELNS_18Fp8KVCacheDataTypeE1ELb1EEEvPT_PKS2_PKT0_S8_ifPKiSA_iPKfiiiSC_SC_iiiii,@function
_ZN4vllm25paged_attention_v1_kernelIfhLi192ELi8ELi128ELNS_18Fp8KVCacheDataTypeE1ELb1EEEvPT_PKS2_PKT0_S8_ifPKiSA_iPKfiiiSC_SC_iiiii: ; @_ZN4vllm25paged_attention_v1_kernelIfhLi192ELi8ELi128ELNS_18Fp8KVCacheDataTypeE1ELb1EEEvPT_PKS2_PKT0_S8_ifPKiSA_iPKfiiiSC_SC_iiiii
; %bb.0:
	s_load_dword s5, s[0:1], 0x80
	s_load_dwordx2 s[6:7], s[0:1], 0x30
	s_load_dwordx2 s[36:37], s[0:1], 0x20
	s_mov_b32 s10, s3
	s_ashr_i32 s11, s3, 31
	s_lshl_b64 s[8:9], s[10:11], 2
	s_waitcnt lgkmcnt(0)
	s_add_u32 s6, s6, s8
	s_addc_u32 s7, s7, s9
	s_abs_i32 s3, s36
	v_cvt_f32_u32_e32 v1, s3
	s_sub_i32 s11, 0, s3
	s_abs_i32 s9, s5
	s_xor_b32 s8, s5, s36
	v_rcp_iflag_f32_e32 v1, v1
	s_ashr_i32 s8, s8, 31
	s_mov_b32 s44, 0
	v_mul_f32_e32 v1, 0x4f7ffffe, v1
	v_cvt_u32_f32_e32 v1, v1
	s_nop 0
	v_readfirstlane_b32 s12, v1
	s_mul_i32 s11, s11, s12
	s_mul_hi_u32 s11, s12, s11
	s_add_i32 s12, s12, s11
	s_mul_hi_u32 s11, s9, s12
	s_mul_i32 s12, s11, s3
	s_sub_i32 s9, s9, s12
	s_add_i32 s12, s11, 1
	s_sub_i32 s13, s9, s3
	s_cmp_ge_u32 s9, s3
	s_cselect_b32 s11, s12, s11
	s_cselect_b32 s9, s13, s9
	s_add_i32 s12, s11, 1
	s_cmp_ge_u32 s9, s3
	s_cselect_b32 s3, s12, s11
	s_xor_b32 s3, s3, s8
	s_sub_i32 s11, s3, s8
	s_abs_i32 s12, s11
	v_cvt_f32_u32_e32 v1, s12
	s_load_dwordx2 s[8:9], s[0:1], 0x40
	s_sub_i32 s3, 0, s12
	s_abs_i32 s13, s2
	v_rcp_iflag_f32_e32 v1, v1
	s_nop 0
	v_mul_f32_e32 v1, 0x4f7ffffe, v1
	v_cvt_u32_f32_e32 v1, v1
	s_nop 0
	v_readfirstlane_b32 s14, v1
	s_mul_i32 s3, s3, s14
	s_mul_hi_u32 s3, s14, s3
	s_add_i32 s14, s14, s3
	s_waitcnt lgkmcnt(0)
	s_cmp_eq_u64 s[8:9], 0
	s_mul_hi_u32 s14, s13, s14
	s_cbranch_scc1 .LBB169_2
; %bb.1:
	s_ashr_i32 s3, s2, 31
	s_lshl_b64 s[16:17], s[2:3], 2
	s_add_u32 s8, s8, s16
	s_addc_u32 s9, s9, s17
	s_load_dword s44, s[8:9], 0x0
.LBB169_2:
	s_load_dword s33, s[6:7], 0x0
	s_ashr_i32 s26, s11, 31
	s_load_dword s11, s[0:1], 0x88
	s_load_dwordx4 s[16:19], s[0:1], 0x48
	s_movk_i32 s3, 0xc0
	s_ashr_i32 s15, s2, 31
	v_and_b32_e32 v2, 7, v0
	s_mul_i32 s24, s2, 0xc0
	v_cmp_gt_u32_e32 vcc, s3, v0
	v_lshlrev_b32_e32 v12, 2, v0
	s_and_saveexec_b64 s[6:7], vcc
	s_cbranch_execz .LBB169_5
; %bb.3:
	s_load_dwordx2 s[8:9], s[0:1], 0x8
	s_waitcnt lgkmcnt(0)
	s_mul_i32 s20, s16, s10
	s_ashr_i32 s21, s20, 31
	s_lshl_b64 s[20:21], s[20:21], 2
	v_lshrrev_b32_e32 v3, 3, v0
	s_add_u32 s3, s8, s20
	s_addc_u32 s16, s9, s21
	s_ashr_i32 s25, s24, 31
	s_lshl_b64 s[8:9], s[24:25], 2
	s_add_u32 s8, s3, s8
	s_addc_u32 s9, s16, s9
	global_load_dword v4, v12, s[8:9]
	s_movk_i32 s3, 0x60
	v_lshlrev_b32_e32 v1, 2, v3
	v_mad_u32_u24 v1, v2, s3, v1
	v_cmp_gt_u32_e32 vcc, 64, v0
	s_waitcnt vmcnt(0)
	ds_write_b32 v1, v4
	s_and_b64 exec, exec, vcc
	s_cbranch_execz .LBB169_5
; %bb.4:
	v_lshlrev_b32_e32 v3, 5, v3
	v_lshlrev_b32_e32 v4, 2, v2
	s_movk_i32 s3, 0x200
	v_or3_b32 v3, v3, v4, s3
	global_load_dword v3, v3, s[8:9]
	s_waitcnt vmcnt(0)
	ds_write_b32 v1, v3 offset:64
.LBB169_5:
	s_or_b64 exec, exec, s[6:7]
	s_mul_i32 s7, s14, s12
	s_sub_i32 s7, s13, s7
	s_xor_b32 s6, s15, s26
	s_add_i32 s8, s14, 1
	s_sub_i32 s9, s7, s12
	s_load_dwordx4 s[20:23], s[0:1], 0x68
	s_load_dword s3, s[0:1], 0x78
	s_cmp_ge_u32 s7, s12
	s_cselect_b32 s8, s8, s14
	s_cselect_b32 s7, s9, s7
	s_add_i32 s9, s8, 1
	s_cmp_ge_u32 s7, s12
	s_cselect_b32 s7, s9, s8
	s_waitcnt lgkmcnt(0)
	s_abs_i32 s25, s23
	v_cvt_f32_u32_e32 v1, s25
	s_xor_b32 s7, s7, s6
	s_sub_i32 s43, s7, s6
	s_sub_i32 s6, 0, s25
	v_rcp_iflag_f32_e32 v1, v1
	s_add_i32 s12, s33, -1
	s_abs_i32 s8, s12
	v_mul_f32_e32 v1, 0x4f7ffffe, v1
	v_cvt_u32_f32_e32 v1, v1
	s_barrier
	v_readfirstlane_b32 s42, v1
	s_mul_i32 s6, s6, s42
	s_mul_hi_u32 s6, s42, s6
	s_add_i32 s42, s42, s6
	s_cmp_lt_i32 s3, 0
	s_mul_hi_u32 s9, s8, s42
	s_cbranch_scc0 .LBB169_7
; %bb.6:
	s_mul_i32 s6, s20, s36
	s_add_i32 s6, s43, s6
	s_mul_i32 s6, s6, s3
	s_sub_i32 s36, 1, s6
	s_mov_b64 s[6:7], 0
	s_branch .LBB169_8
.LBB169_7:
	s_mov_b64 s[6:7], -1
                                        ; implicit-def: $sgpr36
.LBB169_8:
	s_load_dwordx2 s[28:29], s[0:1], 0x28
	s_ashr_i32 s16, s12, 31
	s_andn2_b64 vcc, exec, s[6:7]
	s_ashr_i32 s23, s23, 31
	s_cbranch_vccnz .LBB169_10
; %bb.9:
	s_mul_i32 s6, s5, s20
	s_add_i32 s2, s6, s2
	s_mul_i32 s2, s2, s3
	s_add_i32 s36, s2, 1
.LBB169_10:
	s_load_dword s2, s[0:1], 0x38
	s_load_dwordx2 s[26:27], s[0:1], 0x0
	s_load_dwordx2 s[34:35], s[0:1], 0x18
	s_load_dwordx4 s[12:15], s[0:1], 0x58
	s_xor_b32 s3, s16, s23
	s_waitcnt lgkmcnt(0)
	s_mul_i32 s30, s2, s10
	s_mul_i32 s2, s9, s25
	s_sub_i32 s2, s8, s2
	s_ashr_i32 s31, s30, 31
	s_add_i32 s6, s9, 1
	s_sub_i32 s7, s2, s25
	s_cmp_ge_u32 s2, s25
	s_cselect_b32 s6, s6, s9
	s_cselect_b32 s2, s7, s2
	s_add_i32 s7, s6, 1
	s_cmp_ge_u32 s2, s25
	s_cselect_b32 s2, s7, s6
	s_xor_b32 s2, s2, s3
	s_sub_i32 s16, s2, s3
	s_add_i32 s2, s33, 7
	s_ashr_i32 s3, s2, 31
	s_lshr_b32 s3, s3, 29
	s_add_i32 s2, s2, s3
	s_ashr_i32 s20, s2, 3
	v_lshrrev_b32_e32 v1, 6, v0
	v_cmp_gt_i32_e64 s[6:7], s20, v1
	v_mov_b32_e32 v9, 0xff7fffff
	s_mul_i32 s43, s43, s18
	v_lshrrev_b32_e32 v14, 4, v0
	v_lshlrev_b32_e32 v40, 3, v1
	v_mbcnt_lo_u32_b32 v6, -1, 0
	s_and_saveexec_b64 s[18:19], s[6:7]
	s_cbranch_execz .LBB169_22
; %bb.11:
	s_load_dwordx2 s[0:1], s[0:1], 0x10
	s_sub_i32 s45, s16, s21
	s_ashr_i32 s2, s43, 31
	v_bfe_u32 v7, v0, 3, 3
	v_mov_b32_e32 v5, 0
	s_waitcnt lgkmcnt(0)
	s_add_u32 s0, s0, s43
	s_addc_u32 s1, s1, s2
	s_abs_i32 s46, s22
	v_cvt_f32_u32_e32 v3, s46
	v_lshlrev_b32_e32 v4, 4, v7
	v_lshl_add_u64 v[16:17], s[0:1], 0, v[4:5]
	s_sub_i32 s0, 0, s46
	v_rcp_iflag_f32_e32 v3, v3
	v_cmp_eq_u32_e32 vcc, 0, v2
	v_mul_u32_u24_e32 v8, 0x60, v2
	s_mov_b32 s47, s17
	v_mul_f32_e32 v3, 0x4f7ffffe, v3
	v_cvt_u32_f32_e32 v9, v3
	v_mov_b32_e32 v3, v5
	v_lshl_add_u64 v[2:3], v[16:17], 0, v[2:3]
	v_mbcnt_hi_u32_b32 v17, -1, v6
	v_mul_lo_u32 v4, s0, v9
	v_mul_hi_u32 v4, v9, v4
	v_add_u32_e32 v10, v9, v4
	v_subrev_u32_e32 v9, s33, v7
	s_lshl_b64 s[0:1], s[30:31], 2
	v_add_u32_e32 v13, 1, v9
	v_lshlrev_b32_e32 v9, 2, v7
	s_add_u32 s0, s28, s0
	v_lshl_or_b32 v9, v1, 5, v9
	v_and_b32_e32 v4, 60, v14
	s_addc_u32 s1, s29, s1
	v_add_u32_e32 v15, 0x310, v9
	v_and_b32_e32 v9, 64, v17
	v_cmp_neq_f32_e64 s[2:3], s44, 0
	v_lshl_add_u64 v[4:5], s[0:1], 0, v[4:5]
	v_lshlrev_b32_e32 v11, 3, v1
	v_mov_b32_e32 v16, 0xff7fffff
	s_mov_b64 s[38:39], 0
	v_add_u32_e32 v18, 64, v9
	v_xor_b32_e32 v19, 4, v17
	v_xor_b32_e32 v20, 2, v17
	;; [unrolled: 1-line block ×3, first 2 shown]
	v_mov_b32_e32 v9, 0xff7fffff
	v_mov_b32_e32 v22, v1
	s_branch .LBB169_14
.LBB169_12:                             ;   in Loop: Header=BB169_14 Depth=1
	s_or_b64 exec, exec, s[40:41]
.LBB169_13:                             ;   in Loop: Header=BB169_14 Depth=1
	s_or_b64 exec, exec, s[8:9]
	v_add_u32_e32 v22, 2, v22
	v_cmp_le_i32_e64 s[0:1], s20, v22
	v_lshl_add_u64 v[4:5], v[4:5], 0, 8
	v_add_u32_e32 v11, 16, v11
	s_or_b64 s[38:39], s[0:1], s[38:39]
	v_add_u32_e32 v15, 64, v15
	s_andn2_b64 exec, exec, s[38:39]
	s_cbranch_execz .LBB169_21
.LBB169_14:                             ; =>This Inner Loop Header: Depth=1
	v_mul_hi_u32 v23, v11, s42
	s_waitcnt lgkmcnt(0)
	v_mul_lo_u32 v24, v23, s25
	v_sub_u32_e32 v24, v11, v24
	v_add_u32_e32 v25, 1, v23
	v_cmp_le_u32_e64 s[0:1], s25, v24
	s_nop 1
	v_cndmask_b32_e64 v23, v23, v25, s[0:1]
	v_subrev_u32_e32 v25, s25, v24
	v_cndmask_b32_e64 v24, v24, v25, s[0:1]
	v_add_u32_e32 v25, 1, v23
	v_cmp_le_u32_e64 s[0:1], s25, v24
	s_nop 1
	v_cndmask_b32_e64 v23, v23, v25, s[0:1]
	v_xor_b32_e32 v23, s23, v23
	v_subrev_u32_e32 v23, s23, v23
	v_add_u32_e32 v24, s36, v23
	v_sub_u32_e32 v26, 0, v24
	v_ashrrev_i32_e32 v25, 31, v24
	v_max_i32_e32 v24, v24, v26
	v_mul_hi_u32 v26, v24, v10
	v_mul_lo_u32 v26, v26, s46
	v_sub_u32_e32 v24, v24, v26
	v_subrev_u32_e32 v26, s46, v24
	v_cmp_le_u32_e64 s[0:1], s46, v24
	v_cmp_ge_i32_e64 s[8:9], s45, v23
	s_nop 0
	v_cndmask_b32_e64 v24, v24, v26, s[0:1]
	v_subrev_u32_e32 v26, s46, v24
	v_cmp_le_u32_e64 s[0:1], s46, v24
	s_nop 1
	v_cndmask_b32_e64 v24, v24, v26, s[0:1]
	v_xor_b32_e32 v24, v24, v25
	v_sub_u32_e32 v24, v24, v25
	v_cmp_ne_u32_e64 s[0:1], 0, v24
	s_and_b64 s[0:1], s[0:1], s[8:9]
	s_and_saveexec_b64 s[8:9], s[0:1]
	s_xor_b64 s[0:1], exec, s[8:9]
	s_cbranch_execz .LBB169_18
; %bb.15:                               ;   in Loop: Header=BB169_14 Depth=1
	s_and_saveexec_b64 s[8:9], vcc
; %bb.16:                               ;   in Loop: Header=BB169_14 Depth=1
	ds_write_b32 v15, v16
; %bb.17:                               ;   in Loop: Header=BB169_14 Depth=1
	s_or_b64 exec, exec, s[8:9]
.LBB169_18:                             ;   in Loop: Header=BB169_14 Depth=1
	s_andn2_saveexec_b64 s[8:9], s[0:1]
	s_cbranch_execz .LBB169_13
; %bb.19:                               ;   in Loop: Header=BB169_14 Depth=1
	global_load_dword v23, v[4:5], off
	s_waitcnt vmcnt(0)
	v_mad_i64_i32 v[24:25], s[0:1], v23, s47, v[2:3]
	global_load_ubyte v23, v[24:25], off
	global_load_ubyte v41, v[24:25], off offset:8
	global_load_ubyte v50, v[24:25], off offset:128
	;; [unrolled: 1-line block ×23, first 2 shown]
	v_cmp_lt_i32_e64 s[0:1], v19, v18
	ds_read_b128 v[24:27], v8
	ds_read_b128 v[28:31], v8 offset:16
	ds_read_b128 v[32:35], v8 offset:32
	;; [unrolled: 1-line block ×5, first 2 shown]
	v_cndmask_b32_e64 v72, v17, v19, s[0:1]
	s_load_dword s0, s[12:13], 0x0
	v_lshlrev_b32_e32 v72, 2, v72
	s_waitcnt vmcnt(23)
	v_cvt_f32_fp8_e32 v23, v23
	s_waitcnt vmcnt(22)
	v_cvt_f32_fp8_e32 v41, v41
	;; [unrolled: 2-line block ×5, first 2 shown]
	s_waitcnt lgkmcnt(0)
	v_mul_f32_e32 v41, s0, v41
	s_waitcnt vmcnt(18)
	v_cvt_f32_fp8_e32 v53, v53
	v_mul_f32_e32 v23, s0, v23
	v_mul_f32_e32 v25, v25, v41
	s_waitcnt vmcnt(17)
	v_cvt_f32_fp8_e32 v54, v54
	v_mul_f32_e32 v50, s0, v50
	v_fmac_f32_e32 v25, v24, v23
	s_waitcnt vmcnt(16)
	v_cvt_f32_fp8_e32 v55, v55
	v_mul_f32_e32 v51, s0, v51
	v_fmac_f32_e32 v25, v26, v50
	;; [unrolled: 4-line block ×18, first 2 shown]
	v_mul_f32_e32 v68, s0, v68
	v_fmac_f32_e32 v25, v45, v67
	v_mul_f32_e32 v69, s0, v69
	v_fmac_f32_e32 v25, v46, v68
	;; [unrolled: 2-line block ×4, first 2 shown]
	v_fmac_f32_e32 v25, v49, v71
	ds_bpermute_b32 v23, v72, v25
	v_cmp_lt_i32_e64 s[0:1], v20, v18
	s_waitcnt lgkmcnt(0)
	v_add_f32_e32 v23, v25, v23
	v_cndmask_b32_e64 v24, v17, v20, s[0:1]
	v_lshlrev_b32_e32 v24, 2, v24
	ds_bpermute_b32 v24, v24, v23
	v_cmp_lt_i32_e64 s[0:1], v21, v18
	s_waitcnt lgkmcnt(0)
	v_add_f32_e32 v23, v23, v24
	v_cndmask_b32_e64 v25, v17, v21, s[0:1]
	v_lshlrev_b32_e32 v25, 2, v25
	ds_bpermute_b32 v24, v25, v23
	s_and_saveexec_b64 s[40:41], vcc
	s_cbranch_execz .LBB169_12
; %bb.20:                               ;   in Loop: Header=BB169_14 Depth=1
	v_add_u32_e32 v25, v13, v11
	v_cvt_f32_i32_e32 v25, v25
	s_waitcnt lgkmcnt(0)
	v_add_f32_e32 v23, v23, v24
	v_add_u32_e32 v26, v7, v11
	v_cmp_gt_i32_e64 s[0:1], s33, v26
	v_mul_f32_e32 v24, s44, v25
	v_cndmask_b32_e64 v24, 0, v24, s[2:3]
	v_fmac_f32_e32 v24, s37, v23
	v_cndmask_b32_e64 v23, 0, v24, s[0:1]
	ds_write_b32 v15, v23
	v_max_f32_e32 v23, v9, v9
	v_max_f32_e32 v23, v23, v24
	v_cndmask_b32_e64 v9, v9, v23, s[0:1]
	s_branch .LBB169_12
.LBB169_21:
	s_or_b64 exec, exec, s[38:39]
.LBB169_22:
	s_or_b64 exec, exec, s[18:19]
	v_mbcnt_hi_u32_b32 v2, -1, v6
	v_and_b32_e32 v10, 64, v2
	v_add_u32_e32 v3, 64, v10
	v_xor_b32_e32 v4, 32, v2
	v_cmp_lt_i32_e32 vcc, v4, v3
	v_xor_b32_e32 v7, 16, v2
	v_max_f32_e32 v6, v9, v9
	v_cndmask_b32_e32 v4, v2, v4, vcc
	v_lshlrev_b32_e32 v5, 2, v4
	ds_bpermute_b32 v4, v5, v9
	v_cmp_lt_i32_e32 vcc, v7, v3
	v_xor_b32_e32 v8, 8, v2
	v_and_b32_e32 v41, 63, v0
	s_waitcnt lgkmcnt(0)
	v_max_f32_e32 v4, v4, v4
	v_max_f32_e32 v4, v6, v4
	v_cndmask_b32_e32 v6, v2, v7, vcc
	v_lshlrev_b32_e32 v7, 2, v6
	ds_bpermute_b32 v6, v7, v4
	v_cmp_lt_i32_e32 vcc, v8, v3
	s_waitcnt lgkmcnt(0)
	v_max_f32_e32 v6, v6, v6
	v_max_f32_e32 v6, v4, v6
	v_cndmask_b32_e32 v4, v2, v8, vcc
	v_lshlrev_b32_e32 v8, 2, v4
	ds_bpermute_b32 v9, v8, v6
	v_cmp_eq_u32_e32 vcc, 0, v41
	v_lshlrev_b32_e32 v4, 2, v1
	s_and_saveexec_b64 s[0:1], vcc
	s_cbranch_execz .LBB169_24
; %bb.23:
	s_waitcnt lgkmcnt(0)
	v_max_f32_e32 v9, v9, v9
	v_max_f32_e32 v6, v6, v6
	v_max_f32_e32 v6, v6, v9
	ds_write_b32 v4, v6 offset:768
.LBB169_24:
	s_or_b64 exec, exec, s[0:1]
	v_cmp_gt_u32_e64 s[0:1], 2, v41
	s_waitcnt lgkmcnt(0)
	v_mov_b32_e32 v9, 0xff7fffff
	v_lshlrev_b32_e32 v6, 2, v41
	s_barrier
	s_and_saveexec_b64 s[2:3], s[0:1]
; %bb.25:
	ds_read_b32 v9, v6 offset:768
; %bb.26:
	s_or_b64 exec, exec, s[2:3]
	v_xor_b32_e32 v11, 1, v2
	v_cmp_lt_i32_e64 s[2:3], v11, v3
	v_lshlrev_b32_e32 v10, 2, v10
	s_nop 0
	v_cndmask_b32_e64 v11, v2, v11, s[2:3]
	v_lshlrev_b32_e32 v42, 2, v11
	s_waitcnt lgkmcnt(0)
	ds_bpermute_b32 v11, v42, v9
	v_max_f32_e32 v9, v9, v9
	s_lshl_b32 s2, s20, 3
	s_min_i32 s37, s2, s33
	v_cmp_gt_i32_e64 s[2:3], s37, v0
	s_waitcnt lgkmcnt(0)
	v_max_f32_e32 v11, v11, v11
	v_max_f32_e32 v9, v9, v11
	ds_bpermute_b32 v10, v10, v9
	v_mov_b32_e32 v9, 0
	s_and_saveexec_b64 s[12:13], s[2:3]
	s_cbranch_execz .LBB169_30
; %bb.27:
	v_mov_b32_e32 v9, 0x310
	v_lshl_add_u32 v11, v0, 2, v9
	v_mov_b32_e32 v9, 0
	s_mov_b64 s[18:19], 0
	v_mov_b32_e32 v13, v0
.LBB169_28:                             ; =>This Inner Loop Header: Depth=1
	ds_read_b32 v15, v11
	v_add_u32_e32 v13, 0x80, v13
	v_cmp_le_i32_e64 s[8:9], s37, v13
	s_or_b64 s[18:19], s[8:9], s[18:19]
	s_waitcnt lgkmcnt(0)
	v_sub_f32_e32 v15, v15, v10
	v_mul_f32_e32 v15, 0x3fb8aa3b, v15
	v_exp_f32_e32 v15, v15
	ds_write_b32 v11, v15
	v_add_f32_e32 v9, v9, v15
	v_add_u32_e32 v11, 0x200, v11
	s_andn2_b64 exec, exec, s[18:19]
	s_cbranch_execnz .LBB169_28
; %bb.29:
	s_or_b64 exec, exec, s[18:19]
.LBB169_30:
	s_or_b64 exec, exec, s[12:13]
	ds_bpermute_b32 v5, v5, v9
	s_waitcnt lgkmcnt(0)
	v_add_f32_e32 v5, v9, v5
	ds_bpermute_b32 v7, v7, v5
	s_waitcnt lgkmcnt(0)
	v_add_f32_e32 v5, v5, v7
	ds_bpermute_b32 v7, v8, v5
	v_xor_b32_e32 v8, 4, v2
	v_cmp_lt_i32_e64 s[8:9], v8, v3
	s_waitcnt lgkmcnt(0)
	v_add_f32_e32 v5, v5, v7
	v_cndmask_b32_e64 v8, v2, v8, s[8:9]
	v_lshlrev_b32_e32 v8, 2, v8
	ds_bpermute_b32 v7, v8, v5
	v_xor_b32_e32 v8, 2, v2
	v_cmp_lt_i32_e64 s[8:9], v8, v3
	s_waitcnt lgkmcnt(0)
	v_add_f32_e32 v5, v5, v7
	v_cndmask_b32_e64 v3, v2, v8, s[8:9]
	v_lshlrev_b32_e32 v3, 2, v3
	ds_bpermute_b32 v3, v3, v5
	s_waitcnt lgkmcnt(0)
	v_add_f32_e32 v3, v5, v3
	ds_bpermute_b32 v5, v42, v3
	s_waitcnt lgkmcnt(0)
	v_add_f32_e32 v3, v3, v5
	s_and_saveexec_b64 s[8:9], vcc
; %bb.31:
	ds_write_b32 v4, v3 offset:776
; %bb.32:
	s_or_b64 exec, exec, s[8:9]
	s_waitcnt lgkmcnt(0)
	s_barrier
	s_and_saveexec_b64 s[8:9], s[0:1]
; %bb.33:
	ds_read_b32 v3, v6 offset:776
; %bb.34:
	s_or_b64 exec, exec, s[8:9]
	s_waitcnt lgkmcnt(0)
	ds_bpermute_b32 v4, v42, v3
	v_lshlrev_b32_e32 v2, 2, v2
	v_and_b32_e32 v2, 0x100, v2
	s_waitcnt lgkmcnt(0)
	v_add_f32_e32 v3, v3, v4
	ds_bpermute_b32 v2, v2, v3
	s_and_saveexec_b64 s[0:1], s[2:3]
	s_cbranch_execz .LBB169_47
; %bb.35:
	s_waitcnt lgkmcnt(0)
	v_add_f32_e32 v2, 0x358637bd, v2
	v_div_scale_f32 v3, s[2:3], v2, v2, 1.0
	v_rcp_f32_e32 v4, v3
	v_div_scale_f32 v5, vcc, 1.0, v2, 1.0
	s_movk_i32 s2, 0x7f
	v_fma_f32 v6, -v3, v4, 1.0
	v_fmac_f32_e32 v4, v6, v4
	v_mul_f32_e32 v6, v5, v4
	v_fma_f32 v7, -v3, v6, v5
	v_fmac_f32_e32 v6, v7, v4
	v_fma_f32 v3, -v3, v6, v5
	v_div_fmas_f32 v3, v3, v4, v6
	v_xad_u32 v4, v0, -1, s37
	v_div_fixup_f32 v2, v3, v2, 1.0
	v_cmp_lt_u32_e32 vcc, s2, v4
	s_mov_b64 s[8:9], -1
	v_mov_b32_e32 v3, v0
	s_and_saveexec_b64 s[2:3], vcc
	s_cbranch_execz .LBB169_44
; %bb.36:
	v_lshrrev_b32_e32 v4, 7, v4
	v_add_u32_e32 v6, -1, v4
	v_lshrrev_b32_e32 v5, 1, v6
	v_mov_b32_e32 v3, v2
	v_add_u32_e32 v5, 1, v5
	v_cmp_lt_u32_e32 vcc, 13, v6
	v_mov_b32_e32 v8, 0
	s_and_saveexec_b64 s[8:9], vcc
	s_cbranch_execz .LBB169_40
; %bb.37:
	v_mov_b32_e32 v7, 0x310
	v_and_b32_e32 v6, -8, v5
	v_lshl_add_u32 v7, v0, 2, v7
	s_mov_b32 s18, 0
	s_mov_b64 s[12:13], 0
.LBB169_38:                             ; =>This Inner Loop Header: Depth=1
	ds_read2st64_b32 v[8:9], v7 offset1:2
	ds_read2st64_b32 v[10:11], v7 offset0:4 offset1:6
	ds_read2st64_b32 v[16:17], v7 offset0:8 offset1:10
	;; [unrolled: 1-line block ×3, first 2 shown]
	v_add_u32_e32 v6, -8, v6
	s_waitcnt lgkmcnt(3)
	v_pk_mul_f32 v[8:9], v[2:3], v[8:9]
	s_waitcnt lgkmcnt(2)
	v_pk_mul_f32 v[10:11], v[2:3], v[10:11]
	ds_write2st64_b32 v7, v8, v9 offset1:2
	ds_write2st64_b32 v7, v10, v11 offset0:4 offset1:6
	ds_read2st64_b32 v[10:11], v7 offset0:16 offset1:18
	s_waitcnt lgkmcnt(4)
	v_pk_mul_f32 v[8:9], v[2:3], v[16:17]
	ds_write2st64_b32 v7, v8, v9 offset0:8 offset1:10
	s_waitcnt lgkmcnt(4)
	v_pk_mul_f32 v[8:9], v[2:3], v[18:19]
	ds_write2st64_b32 v7, v8, v9 offset0:12 offset1:14
	ds_read2st64_b32 v[8:9], v7 offset0:20 offset1:22
	s_waitcnt lgkmcnt(3)
	v_pk_mul_f32 v[10:11], v[2:3], v[10:11]
	ds_read2st64_b32 v[16:17], v7 offset0:24 offset1:26
	ds_write2st64_b32 v7, v10, v11 offset0:16 offset1:18
	ds_read2st64_b32 v[10:11], v7 offset0:28 offset1:30
	s_waitcnt lgkmcnt(3)
	v_pk_mul_f32 v[8:9], v[2:3], v[8:9]
	ds_write2st64_b32 v7, v8, v9 offset0:20 offset1:22
	s_waitcnt lgkmcnt(3)
	v_pk_mul_f32 v[8:9], v[2:3], v[16:17]
	ds_write2st64_b32 v7, v8, v9 offset0:24 offset1:26
	s_waitcnt lgkmcnt(2)
	v_pk_mul_f32 v[8:9], v[2:3], v[10:11]
	s_add_i32 s18, s18, 16
	v_cmp_eq_u32_e32 vcc, 0, v6
	ds_write2st64_b32 v7, v8, v9 offset0:28 offset1:30
	v_add_u32_e32 v7, 0x2000, v7
	s_or_b64 s[12:13], vcc, s[12:13]
	v_mov_b32_e32 v8, s18
	s_andn2_b64 exec, exec, s[12:13]
	s_cbranch_execnz .LBB169_38
; %bb.39:
	s_or_b64 exec, exec, s[12:13]
.LBB169_40:
	s_or_b64 exec, exec, s[8:9]
	v_and_b32_e32 v5, 7, v5
	v_cmp_ne_u32_e32 vcc, 0, v5
	s_and_saveexec_b64 s[8:9], vcc
	s_cbranch_execz .LBB169_43
; %bb.41:
	v_lshlrev_b32_e32 v6, 9, v8
	s_movk_i32 s12, 0x310
	v_add3_u32 v6, v6, v12, s12
	s_mov_b64 s[12:13], 0
.LBB169_42:                             ; =>This Inner Loop Header: Depth=1
	ds_read2st64_b32 v[8:9], v6 offset1:2
	v_add_u32_e32 v5, -1, v5
	v_cmp_eq_u32_e32 vcc, 0, v5
	s_or_b64 s[12:13], vcc, s[12:13]
	s_waitcnt lgkmcnt(0)
	v_pk_mul_f32 v[8:9], v[2:3], v[8:9]
	ds_write2st64_b32 v6, v8, v9 offset1:2
	v_add_u32_e32 v6, 0x400, v6
	s_andn2_b64 exec, exec, s[12:13]
	s_cbranch_execnz .LBB169_42
.LBB169_43:
	s_or_b64 exec, exec, s[8:9]
	v_add_u32_e32 v4, 1, v4
	v_and_b32_e32 v5, 0x3fffffe, v4
	v_cmp_ne_u32_e32 vcc, v4, v5
	v_lshl_add_u32 v3, v5, 7, v0
	s_orn2_b64 s[8:9], vcc, exec
.LBB169_44:
	s_or_b64 exec, exec, s[2:3]
	s_and_b64 exec, exec, s[8:9]
	s_cbranch_execz .LBB169_47
; %bb.45:
	v_mov_b32_e32 v4, 0x310
	v_lshl_add_u32 v4, v3, 2, v4
	s_mov_b64 s[2:3], 0
.LBB169_46:                             ; =>This Inner Loop Header: Depth=1
	ds_read_b32 v5, v4
	v_add_u32_e32 v3, 0x80, v3
	v_cmp_le_i32_e32 vcc, s37, v3
	s_or_b64 s[2:3], vcc, s[2:3]
	s_waitcnt lgkmcnt(0)
	v_mul_f32_e32 v5, v2, v5
	ds_write_b32 v4, v5
	v_add_u32_e32 v4, 0x200, v4
	s_andn2_b64 exec, exec, s[2:3]
	s_cbranch_execnz .LBB169_46
.LBB169_47:
	s_or_b64 exec, exec, s[0:1]
	v_mov_b32_e32 v7, 0
	v_and_b32_e32 v43, 1, v0
	v_mov_b32_e32 v6, v7
	v_mov_b32_e32 v11, v7
	;; [unrolled: 1-line block ×5, first 2 shown]
	s_waitcnt lgkmcnt(0)
	s_barrier
	s_and_saveexec_b64 s[2:3], s[6:7]
	s_cbranch_execz .LBB169_65
; %bb.48:
	s_sub_i32 s18, s16, s21
	s_ashr_i32 s1, s43, 31
	s_add_u32 s0, s34, s43
	s_addc_u32 s1, s35, s1
	s_abs_i32 s19, s22
	v_cvt_f32_u32_e32 v2, s19
	v_and_b32_e32 v8, 0xfc, v12
	v_mov_b32_e32 v9, 0
	v_and_b32_e32 v44, 4, v12
	v_rcp_iflag_f32_e32 v2, v2
	v_lshl_add_u64 v[12:13], s[0:1], 0, v[8:9]
	s_sub_i32 s0, 0, s19
	s_add_i32 s22, s20, -1
	v_mul_f32_e32 v2, 0x4f7ffffe, v2
	v_cvt_u32_f32_e32 v2, v2
	v_and_b32_e32 v8, 60, v14
	s_mov_b32 s21, s17
	s_mov_b32 s34, s33
	v_mul_lo_u32 v3, s0, v2
	v_mul_hi_u32 v3, v2, v3
	s_lshl_b64 s[0:1], s[30:31], 2
	v_add_u32_e32 v45, v2, v3
	s_add_u32 s0, s28, s0
	v_lshlrev_b32_e32 v2, 4, v43
	s_addc_u32 s1, s29, s1
	v_lshl_or_b32 v2, v1, 5, v2
	v_lshl_add_u64 v[14:15], s[0:1], 0, v[8:9]
	v_add_u32_e32 v46, 0x310, v2
	s_mov_b64 s[6:7], 0
	v_mov_b32_e32 v8, v9
	v_mov_b32_e32 v10, v9
	v_mov_b32_e32 v11, v9
	v_mov_b32_e32 v6, v9
	v_mov_b32_e32 v7, v9
	s_branch .LBB169_51
.LBB169_49:                             ;   in Loop: Header=BB169_51 Depth=1
	s_or_b64 exec, exec, s[0:1]
	v_mul_f32_e32 v36, v2, v36
	v_mul_f32_e32 v32, v2, v32
	;; [unrolled: 1-line block ×5, first 2 shown]
	v_fmac_f32_e32 v36, v3, v37
	v_fmac_f32_e32 v32, v3, v33
	;; [unrolled: 1-line block ×10, first 2 shown]
	v_pk_mul_f32 v[2:3], v[2:3], v[38:39]
	v_fmac_f32_e32 v36, v5, v35
	v_fmac_f32_e32 v32, v5, v31
	;; [unrolled: 1-line block ×5, first 2 shown]
	v_pk_mul_f32 v[4:5], v[4:5], v[24:25]
	v_add_f32_e32 v2, v3, v2
	v_add_f32_e32 v2, v4, v2
	;; [unrolled: 1-line block ×9, first 2 shown]
.LBB169_50:                             ;   in Loop: Header=BB169_51 Depth=1
	s_or_b64 exec, exec, s[8:9]
	v_add_u32_e32 v1, 2, v1
	v_cmp_le_i32_e32 vcc, s20, v1
	v_lshl_add_u64 v[14:15], v[14:15], 0, 8
	v_add_u32_e32 v40, 16, v40
	s_or_b64 s[6:7], vcc, s[6:7]
	v_add_u32_e32 v46, 64, v46
	s_andn2_b64 exec, exec, s[6:7]
	s_cbranch_execz .LBB169_64
.LBB169_51:                             ; =>This Inner Loop Header: Depth=1
	v_mul_hi_u32 v2, v40, s42
	v_mul_lo_u32 v3, v2, s25
	v_sub_u32_e32 v3, v40, v3
	v_add_u32_e32 v4, 1, v2
	v_cmp_le_u32_e32 vcc, s25, v3
	s_nop 1
	v_cndmask_b32_e32 v2, v2, v4, vcc
	v_subrev_u32_e32 v4, s25, v3
	v_cndmask_b32_e32 v3, v3, v4, vcc
	v_add_u32_e32 v4, 1, v2
	v_cmp_le_u32_e32 vcc, s25, v3
	s_nop 1
	v_cndmask_b32_e32 v2, v2, v4, vcc
	v_xor_b32_e32 v2, s23, v2
	v_subrev_u32_e32 v2, s23, v2
	v_add_u32_e32 v3, s36, v2
	v_sub_u32_e32 v5, 0, v3
	v_ashrrev_i32_e32 v4, 31, v3
	v_max_i32_e32 v3, v3, v5
	v_mul_hi_u32 v5, v3, v45
	v_mul_lo_u32 v5, v5, s19
	v_sub_u32_e32 v3, v3, v5
	v_subrev_u32_e32 v5, s19, v3
	v_cmp_le_u32_e32 vcc, s19, v3
	v_cmp_lt_i32_e64 s[0:1], s18, v2
	s_nop 0
	v_cndmask_b32_e32 v3, v3, v5, vcc
	v_subrev_u32_e32 v5, s19, v3
	v_cmp_le_u32_e32 vcc, s19, v3
	s_nop 1
	v_cndmask_b32_e32 v3, v3, v5, vcc
	v_xor_b32_e32 v3, v3, v4
	v_sub_u32_e32 v3, v3, v4
	v_cmp_eq_u32_e32 vcc, 0, v3
	s_or_b64 s[0:1], vcc, s[0:1]
	s_and_saveexec_b64 s[8:9], s[0:1]
	s_cbranch_execz .LBB169_50
; %bb.52:                               ;   in Loop: Header=BB169_51 Depth=1
	global_load_dword v2, v[14:15], off
	s_load_dword s12, s[14:15], 0x0
	v_add_u32_e32 v47, v44, v40
	v_cmp_eq_u32_e32 vcc, s22, v1
	v_add_u32_e32 v48, 1, v47
	v_add_u32_e32 v38, 2, v47
	;; [unrolled: 1-line block ×3, first 2 shown]
	s_waitcnt vmcnt(0)
	v_mad_i64_i32 v[24:25], s[0:1], v2, s21, v[12:13]
	global_load_dword v16, v[24:25], off
	ds_read_b128 v[2:5], v46
	s_waitcnt vmcnt(0)
	v_and_b32_e32 v17, 0xffff, v16
	v_lshrrev_b32_e32 v18, 16, v16
	v_cvt_pk_f32_fp8_e32 v[16:17], v17
	v_cvt_pk_f32_fp8_e32 v[20:21], v18
	s_waitcnt lgkmcnt(0)
	v_pk_mul_f32 v[18:19], v[16:17], s[12:13] op_sel_hi:[1,0]
	v_pk_mul_f32 v[16:17], s[12:13], v[20:21] op_sel_hi:[0,1]
	s_and_saveexec_b64 s[16:17], vcc
; %bb.53:                               ;   in Loop: Header=BB169_51 Depth=1
	v_cmp_gt_i32_e64 s[0:1], s33, v47
	s_nop 1
	v_cndmask_b32_e64 v18, 0, v18, s[0:1]
	v_cmp_gt_i32_e64 s[0:1], s33, v48
	s_nop 1
	v_cndmask_b32_e64 v19, 0, v19, s[0:1]
	;; [unrolled: 3-line block ×4, first 2 shown]
; %bb.54:                               ;   in Loop: Header=BB169_51 Depth=1
	s_or_b64 exec, exec, s[16:17]
	global_load_dword v20, v[24:25], off offset:256
	s_mov_b32 s13, s12
	s_waitcnt vmcnt(0)
	v_and_b32_e32 v21, 0xffff, v20
	v_lshrrev_b32_e32 v22, 16, v20
	v_cvt_pk_f32_fp8_e32 v[20:21], v21
	v_cvt_pk_f32_fp8_e32 v[26:27], v22
	v_pk_mul_f32 v[22:23], s[12:13], v[20:21]
	v_pk_mul_f32 v[20:21], s[12:13], v[26:27]
	s_and_saveexec_b64 s[16:17], vcc
; %bb.55:                               ;   in Loop: Header=BB169_51 Depth=1
	v_cmp_gt_i32_e64 s[0:1], s33, v47
	s_nop 1
	v_cndmask_b32_e64 v22, 0, v22, s[0:1]
	v_cmp_gt_i32_e64 s[0:1], s33, v48
	s_nop 1
	v_cndmask_b32_e64 v23, 0, v23, s[0:1]
	v_cmp_gt_i32_e64 s[0:1], s33, v38
	s_nop 1
	v_cndmask_b32_e64 v20, 0, v20, s[0:1]
	v_cmp_gt_i32_e64 s[0:1], s33, v39
	s_nop 1
	v_cndmask_b32_e64 v21, 0, v21, s[0:1]
; %bb.56:                               ;   in Loop: Header=BB169_51 Depth=1
	s_or_b64 exec, exec, s[16:17]
	global_load_dword v26, v[24:25], off offset:512
	s_waitcnt vmcnt(0)
	v_and_b32_e32 v27, 0xffff, v26
	v_lshrrev_b32_e32 v28, 16, v26
	v_cvt_pk_f32_fp8_e32 v[26:27], v27
	v_cvt_pk_f32_fp8_e32 v[30:31], v28
	v_pk_mul_f32 v[28:29], s[12:13], v[26:27]
	v_pk_mul_f32 v[26:27], s[12:13], v[30:31]
	s_and_saveexec_b64 s[16:17], vcc
; %bb.57:                               ;   in Loop: Header=BB169_51 Depth=1
	v_cmp_gt_i32_e64 s[0:1], s33, v47
	s_nop 1
	v_cndmask_b32_e64 v28, 0, v28, s[0:1]
	v_cmp_gt_i32_e64 s[0:1], s33, v48
	s_nop 1
	v_cndmask_b32_e64 v29, 0, v29, s[0:1]
	v_cmp_gt_i32_e64 s[0:1], s33, v38
	s_nop 1
	v_cndmask_b32_e64 v26, 0, v26, s[0:1]
	v_cmp_gt_i32_e64 s[0:1], s33, v39
	s_nop 1
	v_cndmask_b32_e64 v27, 0, v27, s[0:1]
; %bb.58:                               ;   in Loop: Header=BB169_51 Depth=1
	s_or_b64 exec, exec, s[16:17]
	global_load_dword v30, v[24:25], off offset:768
	;; [unrolled: 24-line block ×4, first 2 shown]
	s_waitcnt vmcnt(0)
	v_and_b32_e32 v25, 0xffff, v24
	v_lshrrev_b32_e32 v38, 16, v24
	v_cvt_pk_f32_fp8_e32 v[24:25], v25
	v_cvt_pk_f32_fp8_e32 v[50:51], v38
	v_pk_mul_f32 v[38:39], s[12:13], v[24:25]
	v_pk_mul_f32 v[24:25], s[12:13], v[50:51]
	s_and_saveexec_b64 s[0:1], vcc
	s_cbranch_execz .LBB169_49
; %bb.63:                               ;   in Loop: Header=BB169_51 Depth=1
	v_cmp_gt_i32_e32 vcc, s34, v48
	v_or_b32_e32 v48, 3, v47
	s_nop 0
	v_cndmask_b32_e32 v39, 0, v39, vcc
	v_cmp_gt_i32_e32 vcc, s33, v47
	v_or_b32_e32 v47, 2, v47
	s_nop 0
	v_cndmask_b32_e32 v38, 0, v38, vcc
	v_cmp_gt_i32_e32 vcc, s34, v48
	s_nop 1
	v_cndmask_b32_e32 v25, 0, v25, vcc
	v_cmp_gt_i32_e32 vcc, s33, v47
	s_nop 1
	v_cndmask_b32_e32 v24, 0, v24, vcc
	s_branch .LBB169_49
.LBB169_64:
	s_or_b64 exec, exec, s[6:7]
.LBB169_65:
	s_or_b64 exec, exec, s[2:3]
	ds_bpermute_b32 v2, v42, v8
	ds_bpermute_b32 v3, v42, v9
	;; [unrolled: 1-line block ×4, first 2 shown]
	v_and_b32_e32 v1, 0x3c1, v0
	v_cmp_ne_u32_e32 vcc, 64, v1
	s_waitcnt lgkmcnt(2)
	v_pk_add_f32 v[2:3], v[8:9], v[2:3]
	ds_bpermute_b32 v8, v42, v6
	ds_bpermute_b32 v9, v42, v7
	s_waitcnt lgkmcnt(2)
	v_pk_add_f32 v[4:5], v[10:11], v[4:5]
	s_waitcnt lgkmcnt(0)
	s_barrier
	s_and_saveexec_b64 s[0:1], vcc
	s_xor_b64 s[0:1], exec, s[0:1]
; %bb.66:
                                        ; implicit-def: $vgpr41
; %bb.67:
	s_or_saveexec_b64 s[0:1], s[0:1]
	v_pk_add_f32 v[6:7], v[6:7], v[8:9]
	s_xor_b64 exec, exec, s[0:1]
	s_cbranch_execz .LBB169_69
; %bb.68:
	v_mov_b32_e32 v8, 0x310
	v_lshl_add_u32 v8, v41, 1, v8
	ds_write2_b32 v8, v2, v3 offset1:32
	ds_write2_b32 v8, v4, v5 offset0:64 offset1:96
	ds_write2_b32 v8, v6, v7 offset0:128 offset1:160
.LBB169_69:
	s_or_b64 exec, exec, s[0:1]
	v_cmp_gt_u32_e32 vcc, 64, v0
	v_lshrrev_b32_e32 v0, 1, v0
	s_waitcnt lgkmcnt(0)
	s_barrier
	s_and_saveexec_b64 s[0:1], vcc
	s_cbranch_execz .LBB169_78
; %bb.70:
	v_mov_b32_e32 v8, 0x310
	v_cmp_eq_u32_e32 vcc, 0, v43
	v_lshl_add_u32 v8, v0, 2, v8
	s_and_saveexec_b64 s[2:3], vcc
	s_cbranch_execnz .LBB169_81
; %bb.71:
	s_or_b64 exec, exec, s[2:3]
	s_and_saveexec_b64 s[2:3], vcc
	s_cbranch_execnz .LBB169_82
.LBB169_72:
	s_or_b64 exec, exec, s[2:3]
	s_and_saveexec_b64 s[2:3], vcc
	s_cbranch_execnz .LBB169_83
.LBB169_73:
	s_or_b64 exec, exec, s[2:3]
	s_and_saveexec_b64 s[2:3], vcc
	s_cbranch_execnz .LBB169_84
.LBB169_74:
	s_or_b64 exec, exec, s[2:3]
	s_and_saveexec_b64 s[2:3], vcc
	s_cbranch_execnz .LBB169_85
.LBB169_75:
	s_or_b64 exec, exec, s[2:3]
	s_and_saveexec_b64 s[2:3], vcc
	s_cbranch_execz .LBB169_77
.LBB169_76:
	ds_read_b32 v8, v8 offset:640
	s_waitcnt lgkmcnt(0)
	v_add_f32_e32 v7, v7, v8
.LBB169_77:
	s_or_b64 exec, exec, s[2:3]
.LBB169_78:
	s_or_b64 exec, exec, s[0:1]
	v_cmp_eq_u32_e32 vcc, 0, v1
	s_barrier
	s_and_saveexec_b64 s[0:1], vcc
	s_cbranch_execz .LBB169_80
; %bb.79:
	s_mul_i32 s0, s10, s11
	s_mul_i32 s0, s0, s5
	s_mulk_i32 s0, 0xc0
	s_ashr_i32 s1, s0, 31
	s_lshl_b64 s[0:1], s[0:1], 2
	s_add_u32 s2, s26, s0
	s_mul_i32 s0, s11, s24
	s_addc_u32 s3, s27, s1
	s_ashr_i32 s1, s0, 31
	s_lshl_b64 s[0:1], s[0:1], 2
	s_add_u32 s2, s2, s0
	s_mul_i32 s0, s4, 0xc0
	s_addc_u32 s3, s3, s1
	s_ashr_i32 s1, s0, 31
	s_lshl_b64 s[0:1], s[0:1], 2
	s_add_u32 s0, s2, s0
	s_addc_u32 s1, s3, s1
	v_lshlrev_b32_e32 v0, 2, v0
	global_store_dword v0, v2, s[0:1]
	global_store_dword v0, v3, s[0:1] offset:128
	global_store_dword v0, v4, s[0:1] offset:256
	;; [unrolled: 1-line block ×5, first 2 shown]
.LBB169_80:
	s_endpgm
.LBB169_81:
	ds_read_b32 v9, v8
	s_waitcnt lgkmcnt(0)
	v_add_f32_e32 v2, v2, v9
	s_or_b64 exec, exec, s[2:3]
	s_and_saveexec_b64 s[2:3], vcc
	s_cbranch_execz .LBB169_72
.LBB169_82:
	ds_read_b32 v9, v8 offset:128
	s_waitcnt lgkmcnt(0)
	v_add_f32_e32 v3, v3, v9
	s_or_b64 exec, exec, s[2:3]
	s_and_saveexec_b64 s[2:3], vcc
	s_cbranch_execz .LBB169_73
.LBB169_83:
	ds_read_b32 v9, v8 offset:256
	s_waitcnt lgkmcnt(0)
	v_add_f32_e32 v4, v4, v9
	s_or_b64 exec, exec, s[2:3]
	s_and_saveexec_b64 s[2:3], vcc
	s_cbranch_execz .LBB169_74
.LBB169_84:
	ds_read_b32 v9, v8 offset:384
	s_waitcnt lgkmcnt(0)
	v_add_f32_e32 v5, v5, v9
	s_or_b64 exec, exec, s[2:3]
	s_and_saveexec_b64 s[2:3], vcc
	s_cbranch_execz .LBB169_75
.LBB169_85:
	ds_read_b32 v9, v8 offset:512
	s_waitcnt lgkmcnt(0)
	v_add_f32_e32 v6, v6, v9
	s_or_b64 exec, exec, s[2:3]
	s_and_saveexec_b64 s[2:3], vcc
	s_cbranch_execnz .LBB169_76
	s_branch .LBB169_77
	.section	.rodata,"a",@progbits
	.p2align	6, 0x0
	.amdhsa_kernel _ZN4vllm25paged_attention_v1_kernelIfhLi192ELi8ELi128ELNS_18Fp8KVCacheDataTypeE1ELb1EEEvPT_PKS2_PKT0_S8_ifPKiSA_iPKfiiiSC_SC_iiiii
		.amdhsa_group_segment_fixed_size 784
		.amdhsa_private_segment_fixed_size 0
		.amdhsa_kernarg_size 384
		.amdhsa_user_sgpr_count 2
		.amdhsa_user_sgpr_dispatch_ptr 0
		.amdhsa_user_sgpr_queue_ptr 0
		.amdhsa_user_sgpr_kernarg_segment_ptr 1
		.amdhsa_user_sgpr_dispatch_id 0
		.amdhsa_user_sgpr_kernarg_preload_length 0
		.amdhsa_user_sgpr_kernarg_preload_offset 0
		.amdhsa_user_sgpr_private_segment_size 0
		.amdhsa_uses_dynamic_stack 0
		.amdhsa_enable_private_segment 0
		.amdhsa_system_sgpr_workgroup_id_x 1
		.amdhsa_system_sgpr_workgroup_id_y 1
		.amdhsa_system_sgpr_workgroup_id_z 1
		.amdhsa_system_sgpr_workgroup_info 0
		.amdhsa_system_vgpr_workitem_id 0
		.amdhsa_next_free_vgpr 73
		.amdhsa_next_free_sgpr 48
		.amdhsa_accum_offset 76
		.amdhsa_reserve_vcc 1
		.amdhsa_float_round_mode_32 0
		.amdhsa_float_round_mode_16_64 0
		.amdhsa_float_denorm_mode_32 3
		.amdhsa_float_denorm_mode_16_64 3
		.amdhsa_dx10_clamp 1
		.amdhsa_ieee_mode 1
		.amdhsa_fp16_overflow 0
		.amdhsa_tg_split 0
		.amdhsa_exception_fp_ieee_invalid_op 0
		.amdhsa_exception_fp_denorm_src 0
		.amdhsa_exception_fp_ieee_div_zero 0
		.amdhsa_exception_fp_ieee_overflow 0
		.amdhsa_exception_fp_ieee_underflow 0
		.amdhsa_exception_fp_ieee_inexact 0
		.amdhsa_exception_int_div_zero 0
	.end_amdhsa_kernel
	.section	.text._ZN4vllm25paged_attention_v1_kernelIfhLi192ELi8ELi128ELNS_18Fp8KVCacheDataTypeE1ELb1EEEvPT_PKS2_PKT0_S8_ifPKiSA_iPKfiiiSC_SC_iiiii,"axG",@progbits,_ZN4vllm25paged_attention_v1_kernelIfhLi192ELi8ELi128ELNS_18Fp8KVCacheDataTypeE1ELb1EEEvPT_PKS2_PKT0_S8_ifPKiSA_iPKfiiiSC_SC_iiiii,comdat
.Lfunc_end169:
	.size	_ZN4vllm25paged_attention_v1_kernelIfhLi192ELi8ELi128ELNS_18Fp8KVCacheDataTypeE1ELb1EEEvPT_PKS2_PKT0_S8_ifPKiSA_iPKfiiiSC_SC_iiiii, .Lfunc_end169-_ZN4vllm25paged_attention_v1_kernelIfhLi192ELi8ELi128ELNS_18Fp8KVCacheDataTypeE1ELb1EEEvPT_PKS2_PKT0_S8_ifPKiSA_iPKfiiiSC_SC_iiiii
                                        ; -- End function
	.set _ZN4vllm25paged_attention_v1_kernelIfhLi192ELi8ELi128ELNS_18Fp8KVCacheDataTypeE1ELb1EEEvPT_PKS2_PKT0_S8_ifPKiSA_iPKfiiiSC_SC_iiiii.num_vgpr, 73
	.set _ZN4vllm25paged_attention_v1_kernelIfhLi192ELi8ELi128ELNS_18Fp8KVCacheDataTypeE1ELb1EEEvPT_PKS2_PKT0_S8_ifPKiSA_iPKfiiiSC_SC_iiiii.num_agpr, 0
	.set _ZN4vllm25paged_attention_v1_kernelIfhLi192ELi8ELi128ELNS_18Fp8KVCacheDataTypeE1ELb1EEEvPT_PKS2_PKT0_S8_ifPKiSA_iPKfiiiSC_SC_iiiii.numbered_sgpr, 48
	.set _ZN4vllm25paged_attention_v1_kernelIfhLi192ELi8ELi128ELNS_18Fp8KVCacheDataTypeE1ELb1EEEvPT_PKS2_PKT0_S8_ifPKiSA_iPKfiiiSC_SC_iiiii.num_named_barrier, 0
	.set _ZN4vllm25paged_attention_v1_kernelIfhLi192ELi8ELi128ELNS_18Fp8KVCacheDataTypeE1ELb1EEEvPT_PKS2_PKT0_S8_ifPKiSA_iPKfiiiSC_SC_iiiii.private_seg_size, 0
	.set _ZN4vllm25paged_attention_v1_kernelIfhLi192ELi8ELi128ELNS_18Fp8KVCacheDataTypeE1ELb1EEEvPT_PKS2_PKT0_S8_ifPKiSA_iPKfiiiSC_SC_iiiii.uses_vcc, 1
	.set _ZN4vllm25paged_attention_v1_kernelIfhLi192ELi8ELi128ELNS_18Fp8KVCacheDataTypeE1ELb1EEEvPT_PKS2_PKT0_S8_ifPKiSA_iPKfiiiSC_SC_iiiii.uses_flat_scratch, 0
	.set _ZN4vllm25paged_attention_v1_kernelIfhLi192ELi8ELi128ELNS_18Fp8KVCacheDataTypeE1ELb1EEEvPT_PKS2_PKT0_S8_ifPKiSA_iPKfiiiSC_SC_iiiii.has_dyn_sized_stack, 0
	.set _ZN4vllm25paged_attention_v1_kernelIfhLi192ELi8ELi128ELNS_18Fp8KVCacheDataTypeE1ELb1EEEvPT_PKS2_PKT0_S8_ifPKiSA_iPKfiiiSC_SC_iiiii.has_recursion, 0
	.set _ZN4vllm25paged_attention_v1_kernelIfhLi192ELi8ELi128ELNS_18Fp8KVCacheDataTypeE1ELb1EEEvPT_PKS2_PKT0_S8_ifPKiSA_iPKfiiiSC_SC_iiiii.has_indirect_call, 0
	.section	.AMDGPU.csdata,"",@progbits
; Kernel info:
; codeLenInByte = 5564
; TotalNumSgprs: 54
; NumVgprs: 73
; NumAgprs: 0
; TotalNumVgprs: 73
; ScratchSize: 0
; MemoryBound: 0
; FloatMode: 240
; IeeeMode: 1
; LDSByteSize: 784 bytes/workgroup (compile time only)
; SGPRBlocks: 6
; VGPRBlocks: 9
; NumSGPRsForWavesPerEU: 54
; NumVGPRsForWavesPerEU: 73
; AccumOffset: 76
; Occupancy: 6
; WaveLimiterHint : 1
; COMPUTE_PGM_RSRC2:SCRATCH_EN: 0
; COMPUTE_PGM_RSRC2:USER_SGPR: 2
; COMPUTE_PGM_RSRC2:TRAP_HANDLER: 0
; COMPUTE_PGM_RSRC2:TGID_X_EN: 1
; COMPUTE_PGM_RSRC2:TGID_Y_EN: 1
; COMPUTE_PGM_RSRC2:TGID_Z_EN: 1
; COMPUTE_PGM_RSRC2:TIDIG_COMP_CNT: 0
; COMPUTE_PGM_RSRC3_GFX90A:ACCUM_OFFSET: 18
; COMPUTE_PGM_RSRC3_GFX90A:TG_SPLIT: 0
	.section	.text._ZN4vllm25paged_attention_v1_kernelIfhLi256ELi8ELi128ELNS_18Fp8KVCacheDataTypeE1ELb1EEEvPT_PKS2_PKT0_S8_ifPKiSA_iPKfiiiSC_SC_iiiii,"axG",@progbits,_ZN4vllm25paged_attention_v1_kernelIfhLi256ELi8ELi128ELNS_18Fp8KVCacheDataTypeE1ELb1EEEvPT_PKS2_PKT0_S8_ifPKiSA_iPKfiiiSC_SC_iiiii,comdat
	.protected	_ZN4vllm25paged_attention_v1_kernelIfhLi256ELi8ELi128ELNS_18Fp8KVCacheDataTypeE1ELb1EEEvPT_PKS2_PKT0_S8_ifPKiSA_iPKfiiiSC_SC_iiiii ; -- Begin function _ZN4vllm25paged_attention_v1_kernelIfhLi256ELi8ELi128ELNS_18Fp8KVCacheDataTypeE1ELb1EEEvPT_PKS2_PKT0_S8_ifPKiSA_iPKfiiiSC_SC_iiiii
	.globl	_ZN4vllm25paged_attention_v1_kernelIfhLi256ELi8ELi128ELNS_18Fp8KVCacheDataTypeE1ELb1EEEvPT_PKS2_PKT0_S8_ifPKiSA_iPKfiiiSC_SC_iiiii
	.p2align	8
	.type	_ZN4vllm25paged_attention_v1_kernelIfhLi256ELi8ELi128ELNS_18Fp8KVCacheDataTypeE1ELb1EEEvPT_PKS2_PKT0_S8_ifPKiSA_iPKfiiiSC_SC_iiiii,@function
_ZN4vllm25paged_attention_v1_kernelIfhLi256ELi8ELi128ELNS_18Fp8KVCacheDataTypeE1ELb1EEEvPT_PKS2_PKT0_S8_ifPKiSA_iPKfiiiSC_SC_iiiii: ; @_ZN4vllm25paged_attention_v1_kernelIfhLi256ELi8ELi128ELNS_18Fp8KVCacheDataTypeE1ELb1EEEvPT_PKS2_PKT0_S8_ifPKiSA_iPKfiiiSC_SC_iiiii
; %bb.0:
	s_load_dword s5, s[0:1], 0x80
	s_load_dwordx2 s[6:7], s[0:1], 0x30
	s_load_dwordx2 s[36:37], s[0:1], 0x20
	s_mov_b32 s10, s3
	s_ashr_i32 s11, s3, 31
	s_lshl_b64 s[8:9], s[10:11], 2
	s_waitcnt lgkmcnt(0)
	s_add_u32 s6, s6, s8
	s_addc_u32 s7, s7, s9
	s_abs_i32 s3, s36
	v_cvt_f32_u32_e32 v1, s3
	s_sub_i32 s11, 0, s3
	s_abs_i32 s9, s5
	s_xor_b32 s8, s5, s36
	v_rcp_iflag_f32_e32 v1, v1
	s_ashr_i32 s8, s8, 31
	s_mov_b32 s44, 0
	v_mul_f32_e32 v1, 0x4f7ffffe, v1
	v_cvt_u32_f32_e32 v1, v1
	s_nop 0
	v_readfirstlane_b32 s12, v1
	s_mul_i32 s11, s11, s12
	s_mul_hi_u32 s11, s12, s11
	s_add_i32 s12, s12, s11
	s_mul_hi_u32 s11, s9, s12
	s_mul_i32 s12, s11, s3
	s_sub_i32 s9, s9, s12
	s_add_i32 s12, s11, 1
	s_sub_i32 s13, s9, s3
	s_cmp_ge_u32 s9, s3
	s_cselect_b32 s11, s12, s11
	s_cselect_b32 s9, s13, s9
	s_add_i32 s12, s11, 1
	s_cmp_ge_u32 s9, s3
	s_cselect_b32 s3, s12, s11
	s_xor_b32 s3, s3, s8
	s_sub_i32 s11, s3, s8
	s_abs_i32 s12, s11
	v_cvt_f32_u32_e32 v1, s12
	s_load_dwordx2 s[8:9], s[0:1], 0x40
	s_sub_i32 s3, 0, s12
	s_abs_i32 s13, s2
	v_rcp_iflag_f32_e32 v1, v1
	s_nop 0
	v_mul_f32_e32 v1, 0x4f7ffffe, v1
	v_cvt_u32_f32_e32 v1, v1
	s_nop 0
	v_readfirstlane_b32 s14, v1
	s_mul_i32 s3, s3, s14
	s_mul_hi_u32 s3, s14, s3
	s_add_i32 s14, s14, s3
	s_waitcnt lgkmcnt(0)
	s_cmp_eq_u64 s[8:9], 0
	s_mul_hi_u32 s14, s13, s14
	s_cbranch_scc1 .LBB170_2
; %bb.1:
	s_ashr_i32 s3, s2, 31
	s_lshl_b64 s[16:17], s[2:3], 2
	s_add_u32 s8, s8, s16
	s_addc_u32 s9, s9, s17
	s_load_dword s44, s[8:9], 0x0
.LBB170_2:
	s_load_dword s33, s[6:7], 0x0
	s_ashr_i32 s26, s11, 31
	s_load_dword s11, s[0:1], 0x88
	s_load_dwordx4 s[16:19], s[0:1], 0x48
	s_movk_i32 s3, 0x100
	s_ashr_i32 s15, s2, 31
	v_and_b32_e32 v2, 7, v0
	s_lshl_b32 s24, s2, 8
	v_cmp_gt_u32_e32 vcc, s3, v0
	v_lshlrev_b32_e32 v18, 2, v0
	s_and_saveexec_b64 s[6:7], vcc
	s_cbranch_execz .LBB170_5
; %bb.3:
	s_load_dwordx2 s[8:9], s[0:1], 0x8
	s_waitcnt lgkmcnt(0)
	s_mul_i32 s20, s16, s10
	s_ashr_i32 s21, s20, 31
	s_lshl_b64 s[20:21], s[20:21], 2
	v_lshrrev_b32_e32 v1, 3, v0
	s_add_u32 s3, s8, s20
	s_addc_u32 s16, s9, s21
	s_ashr_i32 s25, s24, 31
	s_lshl_b64 s[8:9], s[24:25], 2
	s_add_u32 s8, s3, s8
	s_addc_u32 s9, s16, s9
	global_load_dword v4, v18, s[8:9]
	s_movk_i32 s3, 0x80
	v_lshlrev_b32_e32 v3, 2, v1
	v_lshl_add_u32 v3, v2, 7, v3
	v_cmp_gt_u32_e32 vcc, s3, v0
	s_waitcnt vmcnt(0)
	ds_write_b32 v3, v4
	s_and_b64 exec, exec, vcc
	s_cbranch_execz .LBB170_5
; %bb.4:
	v_lshlrev_b32_e32 v1, 5, v1
	v_lshlrev_b32_e32 v4, 2, v2
	s_movk_i32 s3, 0x200
	v_or3_b32 v1, v1, v4, s3
	global_load_dword v1, v1, s[8:9]
	s_waitcnt vmcnt(0)
	ds_write_b32 v3, v1 offset:64
.LBB170_5:
	s_or_b64 exec, exec, s[6:7]
	s_mul_i32 s7, s14, s12
	s_sub_i32 s7, s13, s7
	s_xor_b32 s6, s15, s26
	s_add_i32 s8, s14, 1
	s_sub_i32 s9, s7, s12
	s_load_dwordx4 s[20:23], s[0:1], 0x68
	s_load_dword s3, s[0:1], 0x78
	s_cmp_ge_u32 s7, s12
	s_cselect_b32 s8, s8, s14
	s_cselect_b32 s7, s9, s7
	s_add_i32 s9, s8, 1
	s_cmp_ge_u32 s7, s12
	s_cselect_b32 s7, s9, s8
	s_waitcnt lgkmcnt(0)
	s_abs_i32 s25, s23
	v_cvt_f32_u32_e32 v1, s25
	s_xor_b32 s7, s7, s6
	s_sub_i32 s43, s7, s6
	s_sub_i32 s6, 0, s25
	v_rcp_iflag_f32_e32 v1, v1
	s_add_i32 s12, s33, -1
	s_abs_i32 s8, s12
	v_mul_f32_e32 v1, 0x4f7ffffe, v1
	v_cvt_u32_f32_e32 v1, v1
	s_barrier
	v_readfirstlane_b32 s42, v1
	s_mul_i32 s6, s6, s42
	s_mul_hi_u32 s6, s42, s6
	s_add_i32 s42, s42, s6
	s_cmp_lt_i32 s3, 0
	s_mul_hi_u32 s9, s8, s42
	s_cbranch_scc0 .LBB170_7
; %bb.6:
	s_mul_i32 s6, s20, s36
	s_add_i32 s6, s43, s6
	s_mul_i32 s6, s6, s3
	s_sub_i32 s36, 1, s6
	s_mov_b64 s[6:7], 0
	s_branch .LBB170_8
.LBB170_7:
	s_mov_b64 s[6:7], -1
                                        ; implicit-def: $sgpr36
.LBB170_8:
	s_load_dwordx2 s[28:29], s[0:1], 0x28
	s_ashr_i32 s16, s12, 31
	s_andn2_b64 vcc, exec, s[6:7]
	s_ashr_i32 s23, s23, 31
	s_cbranch_vccnz .LBB170_10
; %bb.9:
	s_mul_i32 s6, s5, s20
	s_add_i32 s2, s6, s2
	s_mul_i32 s2, s2, s3
	s_add_i32 s36, s2, 1
.LBB170_10:
	s_load_dword s2, s[0:1], 0x38
	s_load_dwordx2 s[26:27], s[0:1], 0x0
	s_load_dwordx2 s[34:35], s[0:1], 0x18
	s_load_dwordx4 s[12:15], s[0:1], 0x58
	s_xor_b32 s3, s16, s23
	s_waitcnt lgkmcnt(0)
	s_mul_i32 s30, s2, s10
	s_mul_i32 s2, s9, s25
	s_sub_i32 s2, s8, s2
	s_ashr_i32 s31, s30, 31
	s_add_i32 s6, s9, 1
	s_sub_i32 s7, s2, s25
	s_cmp_ge_u32 s2, s25
	s_cselect_b32 s6, s6, s9
	s_cselect_b32 s2, s7, s2
	s_add_i32 s7, s6, 1
	s_cmp_ge_u32 s2, s25
	s_cselect_b32 s2, s7, s6
	s_xor_b32 s2, s2, s3
	s_sub_i32 s16, s2, s3
	s_add_i32 s2, s33, 7
	s_ashr_i32 s3, s2, 31
	s_lshr_b32 s3, s3, 29
	s_add_i32 s2, s2, s3
	s_ashr_i32 s20, s2, 3
	v_lshrrev_b32_e32 v1, 6, v0
	v_cmp_gt_i32_e64 s[6:7], s20, v1
	v_mov_b32_e32 v23, 0xff7fffff
	s_mul_i32 s43, s43, s18
	v_lshrrev_b32_e32 v19, 4, v0
	v_lshlrev_b32_e32 v50, 3, v1
	v_mbcnt_lo_u32_b32 v20, -1, 0
	s_and_saveexec_b64 s[18:19], s[6:7]
	s_cbranch_execz .LBB170_22
; %bb.11:
	s_load_dwordx2 s[0:1], s[0:1], 0x10
	s_sub_i32 s45, s16, s21
	s_ashr_i32 s2, s43, 31
	v_bfe_u32 v21, v0, 3, 3
	v_mov_b32_e32 v5, 0
	s_waitcnt lgkmcnt(0)
	s_add_u32 s0, s0, s43
	s_addc_u32 s1, s1, s2
	s_abs_i32 s46, s22
	v_cvt_f32_u32_e32 v3, s46
	v_lshlrev_b32_e32 v4, 4, v21
	v_lshl_add_u64 v[6:7], s[0:1], 0, v[4:5]
	v_cmp_eq_u32_e32 vcc, 0, v2
	v_rcp_iflag_f32_e32 v3, v3
	v_lshlrev_b32_e32 v22, 7, v2
	s_sub_i32 s0, 0, s46
	v_mbcnt_hi_u32_b32 v29, -1, v20
	v_mul_f32_e32 v3, 0x4f7ffffe, v3
	v_cvt_u32_f32_e32 v8, v3
	v_mov_b32_e32 v3, v5
	v_lshl_add_u64 v[14:15], v[6:7], 0, v[2:3]
	v_subrev_u32_e32 v2, s33, v21
	v_mul_lo_u32 v4, s0, v8
	s_lshl_b64 s[0:1], s[30:31], 2
	v_add_u32_e32 v26, 1, v2
	v_lshlrev_b32_e32 v2, 2, v21
	v_mul_hi_u32 v4, v8, v4
	s_add_u32 s0, s28, s0
	v_lshl_or_b32 v2, v1, 5, v2
	v_add_u32_e32 v24, v8, v4
	v_and_b32_e32 v4, 60, v19
	s_addc_u32 s1, s29, s1
	v_add_u32_e32 v27, 0x410, v2
	v_and_b32_e32 v2, 64, v29
	s_mov_b32 s47, s17
	v_cmp_neq_f32_e64 s[2:3], s44, 0
	v_lshl_add_u64 v[16:17], s[0:1], 0, v[4:5]
	v_lshlrev_b32_e32 v25, 3, v1
	v_mov_b32_e32 v28, 0xff7fffff
	s_mov_b64 s[38:39], 0
	v_add_u32_e32 v30, 64, v2
	v_xor_b32_e32 v31, 4, v29
	v_xor_b32_e32 v32, 2, v29
	;; [unrolled: 1-line block ×3, first 2 shown]
	v_mov_b32_e32 v23, 0xff7fffff
	v_mov_b32_e32 v34, v1
	s_branch .LBB170_14
.LBB170_12:                             ;   in Loop: Header=BB170_14 Depth=1
	s_or_b64 exec, exec, s[40:41]
.LBB170_13:                             ;   in Loop: Header=BB170_14 Depth=1
	s_or_b64 exec, exec, s[8:9]
	v_add_u32_e32 v34, 2, v34
	v_cmp_le_i32_e64 s[0:1], s20, v34
	v_lshl_add_u64 v[16:17], v[16:17], 0, 8
	v_add_u32_e32 v25, 16, v25
	s_or_b64 s[38:39], s[0:1], s[38:39]
	v_add_u32_e32 v27, 64, v27
	s_andn2_b64 exec, exec, s[38:39]
	s_cbranch_execz .LBB170_21
.LBB170_14:                             ; =>This Inner Loop Header: Depth=1
	v_mul_hi_u32 v2, v25, s42
	s_waitcnt lgkmcnt(0)
	v_mul_lo_u32 v3, v2, s25
	v_sub_u32_e32 v3, v25, v3
	v_add_u32_e32 v4, 1, v2
	v_cmp_le_u32_e64 s[0:1], s25, v3
	s_nop 1
	v_cndmask_b32_e64 v2, v2, v4, s[0:1]
	v_subrev_u32_e32 v4, s25, v3
	v_cndmask_b32_e64 v3, v3, v4, s[0:1]
	v_add_u32_e32 v4, 1, v2
	v_cmp_le_u32_e64 s[0:1], s25, v3
	s_nop 1
	v_cndmask_b32_e64 v2, v2, v4, s[0:1]
	v_xor_b32_e32 v2, s23, v2
	v_subrev_u32_e32 v2, s23, v2
	v_add_u32_e32 v3, s36, v2
	v_sub_u32_e32 v5, 0, v3
	v_ashrrev_i32_e32 v4, 31, v3
	v_max_i32_e32 v3, v3, v5
	v_mul_hi_u32 v5, v3, v24
	v_mul_lo_u32 v5, v5, s46
	v_sub_u32_e32 v3, v3, v5
	v_subrev_u32_e32 v5, s46, v3
	v_cmp_le_u32_e64 s[0:1], s46, v3
	v_cmp_ge_i32_e64 s[8:9], s45, v2
	s_nop 0
	v_cndmask_b32_e64 v3, v3, v5, s[0:1]
	v_subrev_u32_e32 v5, s46, v3
	v_cmp_le_u32_e64 s[0:1], s46, v3
	s_nop 1
	v_cndmask_b32_e64 v3, v3, v5, s[0:1]
	v_xor_b32_e32 v3, v3, v4
	v_sub_u32_e32 v3, v3, v4
	v_cmp_ne_u32_e64 s[0:1], 0, v3
	s_and_b64 s[0:1], s[0:1], s[8:9]
	s_and_saveexec_b64 s[8:9], s[0:1]
	s_xor_b64 s[0:1], exec, s[8:9]
	s_cbranch_execz .LBB170_18
; %bb.15:                               ;   in Loop: Header=BB170_14 Depth=1
	s_and_saveexec_b64 s[8:9], vcc
; %bb.16:                               ;   in Loop: Header=BB170_14 Depth=1
	ds_write_b32 v27, v28
; %bb.17:                               ;   in Loop: Header=BB170_14 Depth=1
	s_or_b64 exec, exec, s[8:9]
.LBB170_18:                             ;   in Loop: Header=BB170_14 Depth=1
	s_andn2_saveexec_b64 s[8:9], s[0:1]
	s_cbranch_execz .LBB170_13
; %bb.19:                               ;   in Loop: Header=BB170_14 Depth=1
	global_load_dword v2, v[16:17], off
	s_waitcnt vmcnt(0)
	v_mad_i64_i32 v[2:3], s[0:1], v2, s47, v[14:15]
	global_load_ubyte v35, v[2:3], off
	global_load_ubyte v48, v[2:3], off offset:8
	global_load_ubyte v49, v[2:3], off offset:128
	;; [unrolled: 1-line block ×31, first 2 shown]
	ds_read_b128 v[36:39], v22
	ds_read_b128 v[40:43], v22 offset:16
	ds_read_b128 v[6:9], v22 offset:32
	;; [unrolled: 1-line block ×3, first 2 shown]
	s_load_dword s40, s[12:13], 0x0
	ds_read_b128 v[44:47], v22 offset:64
	ds_read_b128 v[10:13], v22 offset:80
	;; [unrolled: 1-line block ×4, first 2 shown]
	v_cmp_lt_i32_e64 s[0:1], v31, v30
	s_waitcnt vmcnt(31)
	v_cvt_f32_fp8_e32 v35, v35
	s_waitcnt vmcnt(30)
	v_cvt_f32_fp8_e32 v48, v48
	;; [unrolled: 2-line block ×5, first 2 shown]
	s_waitcnt lgkmcnt(0)
	v_mul_f32_e32 v48, s40, v48
	s_waitcnt vmcnt(26)
	v_cvt_f32_fp8_e32 v61, v61
	v_mul_f32_e32 v35, s40, v35
	v_mul_f32_e32 v37, v37, v48
	s_waitcnt vmcnt(25)
	v_cvt_f32_fp8_e32 v62, v62
	v_mul_f32_e32 v49, s40, v49
	v_fmac_f32_e32 v37, v36, v35
	s_waitcnt vmcnt(24)
	v_cvt_f32_fp8_e32 v63, v63
	v_mul_f32_e32 v51, s40, v51
	v_fmac_f32_e32 v37, v38, v49
	;; [unrolled: 4-line block ×26, first 2 shown]
	v_mul_f32_e32 v84, s40, v84
	v_fmac_f32_e32 v37, v55, v83
	v_mul_f32_e32 v85, s40, v85
	v_fmac_f32_e32 v37, v56, v84
	v_mul_f32_e32 v86, s40, v86
	v_fmac_f32_e32 v37, v57, v85
	v_cndmask_b32_e64 v88, v29, v31, s[0:1]
	v_mul_f32_e32 v87, s40, v87
	v_fmac_f32_e32 v37, v58, v86
	v_lshlrev_b32_e32 v35, 2, v88
	v_fmac_f32_e32 v37, v59, v87
	ds_bpermute_b32 v2, v35, v37
	v_cmp_lt_i32_e64 s[0:1], v32, v30
	s_waitcnt lgkmcnt(0)
	v_add_f32_e32 v2, v37, v2
	v_cndmask_b32_e64 v3, v29, v32, s[0:1]
	v_lshlrev_b32_e32 v3, 2, v3
	ds_bpermute_b32 v3, v3, v2
	v_cmp_lt_i32_e64 s[0:1], v33, v30
	s_waitcnt lgkmcnt(0)
	v_add_f32_e32 v2, v2, v3
	v_cndmask_b32_e64 v4, v29, v33, s[0:1]
	v_lshlrev_b32_e32 v4, 2, v4
	ds_bpermute_b32 v3, v4, v2
	s_and_saveexec_b64 s[40:41], vcc
	s_cbranch_execz .LBB170_12
; %bb.20:                               ;   in Loop: Header=BB170_14 Depth=1
	v_add_u32_e32 v4, v26, v25
	v_cvt_f32_i32_e32 v4, v4
	s_waitcnt lgkmcnt(0)
	v_add_f32_e32 v2, v2, v3
	v_add_u32_e32 v5, v21, v25
	v_cmp_gt_i32_e64 s[0:1], s33, v5
	v_mul_f32_e32 v3, s44, v4
	v_cndmask_b32_e64 v3, 0, v3, s[2:3]
	v_fmac_f32_e32 v3, s37, v2
	v_cndmask_b32_e64 v2, 0, v3, s[0:1]
	ds_write_b32 v27, v2
	v_max_f32_e32 v2, v23, v23
	v_max_f32_e32 v2, v2, v3
	v_cndmask_b32_e64 v23, v23, v2, s[0:1]
	s_branch .LBB170_12
.LBB170_21:
	s_or_b64 exec, exec, s[38:39]
.LBB170_22:
	s_or_b64 exec, exec, s[18:19]
	v_mbcnt_hi_u32_b32 v2, -1, v20
	v_and_b32_e32 v9, 64, v2
	s_waitcnt lgkmcnt(0)
	v_add_u32_e32 v3, 64, v9
	v_xor_b32_e32 v4, 32, v2
	v_cmp_lt_i32_e32 vcc, v4, v3
	v_xor_b32_e32 v7, 16, v2
	v_max_f32_e32 v6, v23, v23
	v_cndmask_b32_e32 v4, v2, v4, vcc
	v_lshlrev_b32_e32 v5, 2, v4
	ds_bpermute_b32 v4, v5, v23
	v_cmp_lt_i32_e32 vcc, v7, v3
	v_xor_b32_e32 v8, 8, v2
	v_and_b32_e32 v51, 63, v0
	s_waitcnt lgkmcnt(0)
	v_max_f32_e32 v4, v4, v4
	v_max_f32_e32 v4, v6, v4
	v_cndmask_b32_e32 v6, v2, v7, vcc
	v_lshlrev_b32_e32 v7, 2, v6
	ds_bpermute_b32 v6, v7, v4
	v_cmp_lt_i32_e32 vcc, v8, v3
	s_waitcnt lgkmcnt(0)
	v_max_f32_e32 v6, v6, v6
	v_max_f32_e32 v6, v4, v6
	v_cndmask_b32_e32 v4, v2, v8, vcc
	v_lshlrev_b32_e32 v8, 2, v4
	ds_bpermute_b32 v10, v8, v6
	v_cmp_eq_u32_e32 vcc, 0, v51
	v_lshlrev_b32_e32 v4, 2, v1
	s_and_saveexec_b64 s[0:1], vcc
	s_cbranch_execz .LBB170_24
; %bb.23:
	s_waitcnt lgkmcnt(0)
	v_max_f32_e32 v10, v10, v10
	v_max_f32_e32 v6, v6, v6
	v_max_f32_e32 v6, v6, v10
	ds_write_b32 v4, v6 offset:1024
.LBB170_24:
	s_or_b64 exec, exec, s[0:1]
	v_cmp_gt_u32_e64 s[0:1], 2, v51
	s_waitcnt lgkmcnt(0)
	v_mov_b32_e32 v10, 0xff7fffff
	v_lshlrev_b32_e32 v6, 2, v51
	s_barrier
	s_and_saveexec_b64 s[2:3], s[0:1]
; %bb.25:
	ds_read_b32 v10, v6 offset:1024
; %bb.26:
	s_or_b64 exec, exec, s[2:3]
	v_xor_b32_e32 v11, 1, v2
	v_cmp_lt_i32_e64 s[2:3], v11, v3
	v_lshlrev_b32_e32 v9, 2, v9
	s_nop 0
	v_cndmask_b32_e64 v11, v2, v11, s[2:3]
	v_lshlrev_b32_e32 v52, 2, v11
	s_waitcnt lgkmcnt(0)
	ds_bpermute_b32 v11, v52, v10
	v_max_f32_e32 v10, v10, v10
	s_lshl_b32 s2, s20, 3
	s_min_i32 s37, s2, s33
	v_cmp_gt_i32_e64 s[2:3], s37, v0
	s_waitcnt lgkmcnt(0)
	v_max_f32_e32 v11, v11, v11
	v_max_f32_e32 v10, v10, v11
	ds_bpermute_b32 v10, v9, v10
	v_mov_b32_e32 v9, 0
	s_and_saveexec_b64 s[12:13], s[2:3]
	s_cbranch_execz .LBB170_30
; %bb.27:
	v_mov_b32_e32 v9, 0x410
	v_lshl_add_u32 v11, v0, 2, v9
	v_mov_b32_e32 v9, 0
	s_mov_b64 s[18:19], 0
	v_mov_b32_e32 v12, v0
.LBB170_28:                             ; =>This Inner Loop Header: Depth=1
	ds_read_b32 v13, v11
	v_add_u32_e32 v12, 0x80, v12
	v_cmp_le_i32_e64 s[8:9], s37, v12
	s_or_b64 s[18:19], s[8:9], s[18:19]
	s_waitcnt lgkmcnt(0)
	v_sub_f32_e32 v13, v13, v10
	v_mul_f32_e32 v13, 0x3fb8aa3b, v13
	v_exp_f32_e32 v13, v13
	ds_write_b32 v11, v13
	v_add_f32_e32 v9, v9, v13
	v_add_u32_e32 v11, 0x200, v11
	s_andn2_b64 exec, exec, s[18:19]
	s_cbranch_execnz .LBB170_28
; %bb.29:
	s_or_b64 exec, exec, s[18:19]
.LBB170_30:
	s_or_b64 exec, exec, s[12:13]
	ds_bpermute_b32 v5, v5, v9
	s_waitcnt lgkmcnt(0)
	v_add_f32_e32 v5, v9, v5
	ds_bpermute_b32 v7, v7, v5
	s_waitcnt lgkmcnt(0)
	v_add_f32_e32 v5, v5, v7
	ds_bpermute_b32 v7, v8, v5
	v_xor_b32_e32 v8, 4, v2
	v_cmp_lt_i32_e64 s[8:9], v8, v3
	s_waitcnt lgkmcnt(0)
	v_add_f32_e32 v5, v5, v7
	v_cndmask_b32_e64 v8, v2, v8, s[8:9]
	v_lshlrev_b32_e32 v8, 2, v8
	ds_bpermute_b32 v7, v8, v5
	v_xor_b32_e32 v8, 2, v2
	v_cmp_lt_i32_e64 s[8:9], v8, v3
	s_waitcnt lgkmcnt(0)
	v_add_f32_e32 v5, v5, v7
	v_cndmask_b32_e64 v3, v2, v8, s[8:9]
	v_lshlrev_b32_e32 v3, 2, v3
	ds_bpermute_b32 v3, v3, v5
	s_waitcnt lgkmcnt(0)
	v_add_f32_e32 v3, v5, v3
	ds_bpermute_b32 v5, v52, v3
	s_waitcnt lgkmcnt(0)
	v_add_f32_e32 v3, v3, v5
	s_and_saveexec_b64 s[8:9], vcc
; %bb.31:
	ds_write_b32 v4, v3 offset:1032
; %bb.32:
	s_or_b64 exec, exec, s[8:9]
	s_waitcnt lgkmcnt(0)
	s_barrier
	s_and_saveexec_b64 s[8:9], s[0:1]
; %bb.33:
	ds_read_b32 v3, v6 offset:1032
; %bb.34:
	s_or_b64 exec, exec, s[8:9]
	s_waitcnt lgkmcnt(0)
	ds_bpermute_b32 v4, v52, v3
	v_lshlrev_b32_e32 v2, 2, v2
	v_and_b32_e32 v2, 0x100, v2
	s_waitcnt lgkmcnt(0)
	v_add_f32_e32 v3, v3, v4
	ds_bpermute_b32 v2, v2, v3
	s_and_saveexec_b64 s[0:1], s[2:3]
	s_cbranch_execz .LBB170_47
; %bb.35:
	s_waitcnt lgkmcnt(0)
	v_add_f32_e32 v2, 0x358637bd, v2
	v_div_scale_f32 v3, s[2:3], v2, v2, 1.0
	v_rcp_f32_e32 v4, v3
	v_div_scale_f32 v5, vcc, 1.0, v2, 1.0
	s_movk_i32 s2, 0x7f
	v_fma_f32 v6, -v3, v4, 1.0
	v_fmac_f32_e32 v4, v6, v4
	v_mul_f32_e32 v6, v5, v4
	v_fma_f32 v7, -v3, v6, v5
	v_fmac_f32_e32 v6, v7, v4
	v_fma_f32 v3, -v3, v6, v5
	v_div_fmas_f32 v3, v3, v4, v6
	v_xad_u32 v4, v0, -1, s37
	v_div_fixup_f32 v2, v3, v2, 1.0
	v_cmp_lt_u32_e32 vcc, s2, v4
	s_mov_b64 s[8:9], -1
	v_mov_b32_e32 v3, v0
	s_and_saveexec_b64 s[2:3], vcc
	s_cbranch_execz .LBB170_44
; %bb.36:
	v_lshrrev_b32_e32 v4, 7, v4
	v_add_u32_e32 v6, -1, v4
	v_lshrrev_b32_e32 v5, 1, v6
	v_mov_b32_e32 v3, v2
	v_add_u32_e32 v5, 1, v5
	v_cmp_lt_u32_e32 vcc, 13, v6
	v_mov_b32_e32 v8, 0
	s_and_saveexec_b64 s[8:9], vcc
	s_cbranch_execz .LBB170_40
; %bb.37:
	v_mov_b32_e32 v7, 0x410
	v_and_b32_e32 v6, -8, v5
	v_lshl_add_u32 v7, v0, 2, v7
	s_mov_b32 s18, 0
	s_mov_b64 s[12:13], 0
.LBB170_38:                             ; =>This Inner Loop Header: Depth=1
	ds_read2st64_b32 v[8:9], v7 offset1:2
	ds_read2st64_b32 v[10:11], v7 offset0:4 offset1:6
	ds_read2st64_b32 v[12:13], v7 offset0:8 offset1:10
	;; [unrolled: 1-line block ×3, first 2 shown]
	v_add_u32_e32 v6, -8, v6
	s_waitcnt lgkmcnt(3)
	v_pk_mul_f32 v[8:9], v[2:3], v[8:9]
	s_waitcnt lgkmcnt(2)
	v_pk_mul_f32 v[10:11], v[2:3], v[10:11]
	ds_write2st64_b32 v7, v8, v9 offset1:2
	ds_write2st64_b32 v7, v10, v11 offset0:4 offset1:6
	ds_read2st64_b32 v[10:11], v7 offset0:16 offset1:18
	s_waitcnt lgkmcnt(4)
	v_pk_mul_f32 v[8:9], v[2:3], v[12:13]
	ds_write2st64_b32 v7, v8, v9 offset0:8 offset1:10
	s_waitcnt lgkmcnt(4)
	v_pk_mul_f32 v[8:9], v[2:3], v[14:15]
	ds_write2st64_b32 v7, v8, v9 offset0:12 offset1:14
	ds_read2st64_b32 v[8:9], v7 offset0:20 offset1:22
	s_waitcnt lgkmcnt(3)
	v_pk_mul_f32 v[10:11], v[2:3], v[10:11]
	ds_read2st64_b32 v[12:13], v7 offset0:24 offset1:26
	ds_write2st64_b32 v7, v10, v11 offset0:16 offset1:18
	ds_read2st64_b32 v[10:11], v7 offset0:28 offset1:30
	s_waitcnt lgkmcnt(3)
	v_pk_mul_f32 v[8:9], v[2:3], v[8:9]
	ds_write2st64_b32 v7, v8, v9 offset0:20 offset1:22
	s_waitcnt lgkmcnt(3)
	v_pk_mul_f32 v[8:9], v[2:3], v[12:13]
	ds_write2st64_b32 v7, v8, v9 offset0:24 offset1:26
	s_waitcnt lgkmcnt(2)
	v_pk_mul_f32 v[8:9], v[2:3], v[10:11]
	s_add_i32 s18, s18, 16
	v_cmp_eq_u32_e32 vcc, 0, v6
	ds_write2st64_b32 v7, v8, v9 offset0:28 offset1:30
	v_add_u32_e32 v7, 0x2000, v7
	s_or_b64 s[12:13], vcc, s[12:13]
	v_mov_b32_e32 v8, s18
	s_andn2_b64 exec, exec, s[12:13]
	s_cbranch_execnz .LBB170_38
; %bb.39:
	s_or_b64 exec, exec, s[12:13]
.LBB170_40:
	s_or_b64 exec, exec, s[8:9]
	v_and_b32_e32 v5, 7, v5
	v_cmp_ne_u32_e32 vcc, 0, v5
	s_and_saveexec_b64 s[8:9], vcc
	s_cbranch_execz .LBB170_43
; %bb.41:
	v_lshlrev_b32_e32 v6, 9, v8
	s_movk_i32 s12, 0x410
	v_add3_u32 v6, v6, v18, s12
	s_mov_b64 s[12:13], 0
.LBB170_42:                             ; =>This Inner Loop Header: Depth=1
	ds_read2st64_b32 v[8:9], v6 offset1:2
	v_add_u32_e32 v5, -1, v5
	v_cmp_eq_u32_e32 vcc, 0, v5
	s_or_b64 s[12:13], vcc, s[12:13]
	s_waitcnt lgkmcnt(0)
	v_pk_mul_f32 v[8:9], v[2:3], v[8:9]
	ds_write2st64_b32 v6, v8, v9 offset1:2
	v_add_u32_e32 v6, 0x400, v6
	s_andn2_b64 exec, exec, s[12:13]
	s_cbranch_execnz .LBB170_42
.LBB170_43:
	s_or_b64 exec, exec, s[8:9]
	v_add_u32_e32 v4, 1, v4
	v_and_b32_e32 v5, 0x3fffffe, v4
	v_cmp_ne_u32_e32 vcc, v4, v5
	v_lshl_add_u32 v3, v5, 7, v0
	s_orn2_b64 s[8:9], vcc, exec
.LBB170_44:
	s_or_b64 exec, exec, s[2:3]
	s_and_b64 exec, exec, s[8:9]
	s_cbranch_execz .LBB170_47
; %bb.45:
	v_mov_b32_e32 v4, 0x410
	v_lshl_add_u32 v4, v3, 2, v4
	s_mov_b64 s[2:3], 0
.LBB170_46:                             ; =>This Inner Loop Header: Depth=1
	ds_read_b32 v5, v4
	v_add_u32_e32 v3, 0x80, v3
	v_cmp_le_i32_e32 vcc, s37, v3
	s_or_b64 s[2:3], vcc, s[2:3]
	s_waitcnt lgkmcnt(0)
	v_mul_f32_e32 v5, v2, v5
	ds_write_b32 v4, v5
	v_add_u32_e32 v4, 0x200, v4
	s_andn2_b64 exec, exec, s[2:3]
	s_cbranch_execnz .LBB170_46
.LBB170_47:
	s_or_b64 exec, exec, s[0:1]
	v_mov_b32_e32 v7, 0
	v_and_b32_e32 v53, 1, v0
	v_mov_b32_e32 v6, v7
	v_mov_b32_e32 v11, v7
	;; [unrolled: 1-line block ×7, first 2 shown]
	s_waitcnt lgkmcnt(0)
	s_barrier
	s_and_saveexec_b64 s[2:3], s[6:7]
	s_cbranch_execz .LBB170_69
; %bb.48:
	s_sub_i32 s18, s16, s21
	s_ashr_i32 s1, s43, 31
	s_add_u32 s0, s34, s43
	s_addc_u32 s1, s35, s1
	s_abs_i32 s19, s22
	v_cvt_f32_u32_e32 v2, s19
	v_and_b32_e32 v8, 0xfc, v18
	v_mov_b32_e32 v9, 0
	v_lshl_add_u64 v[14:15], s[0:1], 0, v[8:9]
	v_rcp_iflag_f32_e32 v2, v2
	s_sub_i32 s0, 0, s19
	s_add_i32 s22, s20, -1
	v_and_b32_e32 v8, 60, v19
	v_mul_f32_e32 v2, 0x4f7ffffe, v2
	v_cvt_u32_f32_e32 v2, v2
	v_and_b32_e32 v54, 4, v18
	s_mov_b32 s21, s17
	s_mov_b32 s34, s33
	v_mul_lo_u32 v3, s0, v2
	v_mul_hi_u32 v3, v2, v3
	s_lshl_b64 s[0:1], s[30:31], 2
	v_add_u32_e32 v55, v2, v3
	s_add_u32 s0, s28, s0
	v_lshlrev_b32_e32 v2, 4, v53
	s_addc_u32 s1, s29, s1
	v_lshl_or_b32 v2, v1, 5, v2
	v_lshl_add_u64 v[16:17], s[0:1], 0, v[8:9]
	v_add_u32_e32 v56, 0x410, v2
	s_mov_b64 s[6:7], 0
	v_mov_b32_e32 v8, v9
	v_mov_b32_e32 v12, v9
	;; [unrolled: 1-line block ×7, first 2 shown]
	s_branch .LBB170_51
.LBB170_49:                             ;   in Loop: Header=BB170_51 Depth=1
	s_or_b64 exec, exec, s[0:1]
	v_mul_f32_e32 v48, v2, v48
	v_mul_f32_e32 v42, v2, v42
	;; [unrolled: 1-line block ×7, first 2 shown]
	v_fmac_f32_e32 v48, v3, v49
	v_fmac_f32_e32 v42, v3, v43
	;; [unrolled: 1-line block ×14, first 2 shown]
	v_pk_mul_f32 v[2:3], v[2:3], v[44:45]
	v_fmac_f32_e32 v48, v5, v47
	v_fmac_f32_e32 v42, v5, v41
	;; [unrolled: 1-line block ×7, first 2 shown]
	v_pk_mul_f32 v[4:5], v[4:5], v[26:27]
	v_add_f32_e32 v2, v3, v2
	v_add_f32_e32 v2, v4, v2
	;; [unrolled: 1-line block ×11, first 2 shown]
.LBB170_50:                             ;   in Loop: Header=BB170_51 Depth=1
	s_or_b64 exec, exec, s[8:9]
	v_add_u32_e32 v1, 2, v1
	v_cmp_le_i32_e32 vcc, s20, v1
	v_lshl_add_u64 v[16:17], v[16:17], 0, 8
	v_add_u32_e32 v50, 16, v50
	s_or_b64 s[6:7], vcc, s[6:7]
	v_add_u32_e32 v56, 64, v56
	s_andn2_b64 exec, exec, s[6:7]
	s_cbranch_execz .LBB170_68
.LBB170_51:                             ; =>This Inner Loop Header: Depth=1
	v_mul_hi_u32 v2, v50, s42
	v_mul_lo_u32 v3, v2, s25
	v_sub_u32_e32 v3, v50, v3
	v_add_u32_e32 v4, 1, v2
	v_cmp_le_u32_e32 vcc, s25, v3
	s_nop 1
	v_cndmask_b32_e32 v2, v2, v4, vcc
	v_subrev_u32_e32 v4, s25, v3
	v_cndmask_b32_e32 v3, v3, v4, vcc
	v_add_u32_e32 v4, 1, v2
	v_cmp_le_u32_e32 vcc, s25, v3
	s_nop 1
	v_cndmask_b32_e32 v2, v2, v4, vcc
	v_xor_b32_e32 v2, s23, v2
	v_subrev_u32_e32 v2, s23, v2
	v_add_u32_e32 v3, s36, v2
	v_sub_u32_e32 v5, 0, v3
	v_ashrrev_i32_e32 v4, 31, v3
	v_max_i32_e32 v3, v3, v5
	v_mul_hi_u32 v5, v3, v55
	v_mul_lo_u32 v5, v5, s19
	v_sub_u32_e32 v3, v3, v5
	v_subrev_u32_e32 v5, s19, v3
	v_cmp_le_u32_e32 vcc, s19, v3
	v_cmp_lt_i32_e64 s[0:1], s18, v2
	s_nop 0
	v_cndmask_b32_e32 v3, v3, v5, vcc
	v_subrev_u32_e32 v5, s19, v3
	v_cmp_le_u32_e32 vcc, s19, v3
	s_nop 1
	v_cndmask_b32_e32 v3, v3, v5, vcc
	v_xor_b32_e32 v3, v3, v4
	v_sub_u32_e32 v3, v3, v4
	v_cmp_eq_u32_e32 vcc, 0, v3
	s_or_b64 s[0:1], vcc, s[0:1]
	s_and_saveexec_b64 s[8:9], s[0:1]
	s_cbranch_execz .LBB170_50
; %bb.52:                               ;   in Loop: Header=BB170_51 Depth=1
	global_load_dword v2, v[16:17], off
	s_load_dword s12, s[14:15], 0x0
	v_add_u32_e32 v57, v54, v50
	v_cmp_eq_u32_e32 vcc, s22, v1
	v_add_u32_e32 v58, 1, v57
	v_add_u32_e32 v44, 2, v57
	;; [unrolled: 1-line block ×3, first 2 shown]
	s_waitcnt vmcnt(0)
	v_mad_i64_i32 v[26:27], s[0:1], v2, s21, v[14:15]
	global_load_dword v18, v[26:27], off
	ds_read_b128 v[2:5], v56
	s_waitcnt vmcnt(0)
	v_and_b32_e32 v19, 0xffff, v18
	v_lshrrev_b32_e32 v20, 16, v18
	v_cvt_pk_f32_fp8_e32 v[18:19], v19
	v_cvt_pk_f32_fp8_e32 v[22:23], v20
	s_waitcnt lgkmcnt(0)
	v_pk_mul_f32 v[20:21], v[18:19], s[12:13] op_sel_hi:[1,0]
	v_pk_mul_f32 v[18:19], s[12:13], v[22:23] op_sel_hi:[0,1]
	s_and_saveexec_b64 s[16:17], vcc
; %bb.53:                               ;   in Loop: Header=BB170_51 Depth=1
	v_cmp_gt_i32_e64 s[0:1], s33, v57
	s_nop 1
	v_cndmask_b32_e64 v20, 0, v20, s[0:1]
	v_cmp_gt_i32_e64 s[0:1], s33, v58
	s_nop 1
	v_cndmask_b32_e64 v21, 0, v21, s[0:1]
	;; [unrolled: 3-line block ×4, first 2 shown]
; %bb.54:                               ;   in Loop: Header=BB170_51 Depth=1
	s_or_b64 exec, exec, s[16:17]
	global_load_dword v22, v[26:27], off offset:256
	s_mov_b32 s13, s12
	s_waitcnt vmcnt(0)
	v_and_b32_e32 v23, 0xffff, v22
	v_lshrrev_b32_e32 v24, 16, v22
	v_cvt_pk_f32_fp8_e32 v[22:23], v23
	v_cvt_pk_f32_fp8_e32 v[28:29], v24
	v_pk_mul_f32 v[24:25], s[12:13], v[22:23]
	v_pk_mul_f32 v[22:23], s[12:13], v[28:29]
	s_and_saveexec_b64 s[16:17], vcc
; %bb.55:                               ;   in Loop: Header=BB170_51 Depth=1
	v_cmp_gt_i32_e64 s[0:1], s33, v57
	s_nop 1
	v_cndmask_b32_e64 v24, 0, v24, s[0:1]
	v_cmp_gt_i32_e64 s[0:1], s33, v58
	s_nop 1
	v_cndmask_b32_e64 v25, 0, v25, s[0:1]
	v_cmp_gt_i32_e64 s[0:1], s33, v44
	s_nop 1
	v_cndmask_b32_e64 v22, 0, v22, s[0:1]
	v_cmp_gt_i32_e64 s[0:1], s33, v45
	s_nop 1
	v_cndmask_b32_e64 v23, 0, v23, s[0:1]
; %bb.56:                               ;   in Loop: Header=BB170_51 Depth=1
	s_or_b64 exec, exec, s[16:17]
	global_load_dword v28, v[26:27], off offset:512
	s_waitcnt vmcnt(0)
	v_and_b32_e32 v29, 0xffff, v28
	v_lshrrev_b32_e32 v30, 16, v28
	v_cvt_pk_f32_fp8_e32 v[28:29], v29
	v_cvt_pk_f32_fp8_e32 v[32:33], v30
	v_pk_mul_f32 v[30:31], s[12:13], v[28:29]
	v_pk_mul_f32 v[28:29], s[12:13], v[32:33]
	s_and_saveexec_b64 s[16:17], vcc
; %bb.57:                               ;   in Loop: Header=BB170_51 Depth=1
	v_cmp_gt_i32_e64 s[0:1], s33, v57
	s_nop 1
	v_cndmask_b32_e64 v30, 0, v30, s[0:1]
	v_cmp_gt_i32_e64 s[0:1], s33, v58
	s_nop 1
	v_cndmask_b32_e64 v31, 0, v31, s[0:1]
	v_cmp_gt_i32_e64 s[0:1], s33, v44
	s_nop 1
	v_cndmask_b32_e64 v28, 0, v28, s[0:1]
	v_cmp_gt_i32_e64 s[0:1], s33, v45
	s_nop 1
	v_cndmask_b32_e64 v29, 0, v29, s[0:1]
; %bb.58:                               ;   in Loop: Header=BB170_51 Depth=1
	s_or_b64 exec, exec, s[16:17]
	global_load_dword v32, v[26:27], off offset:768
	;; [unrolled: 24-line block ×6, first 2 shown]
	s_waitcnt vmcnt(0)
	v_and_b32_e32 v27, 0xffff, v26
	v_lshrrev_b32_e32 v44, 16, v26
	v_cvt_pk_f32_fp8_e32 v[26:27], v27
	v_cvt_pk_f32_fp8_e32 v[60:61], v44
	v_pk_mul_f32 v[44:45], s[12:13], v[26:27]
	v_pk_mul_f32 v[26:27], s[12:13], v[60:61]
	s_and_saveexec_b64 s[0:1], vcc
	s_cbranch_execz .LBB170_49
; %bb.67:                               ;   in Loop: Header=BB170_51 Depth=1
	v_cmp_gt_i32_e32 vcc, s34, v58
	v_or_b32_e32 v58, 3, v57
	s_nop 0
	v_cndmask_b32_e32 v45, 0, v45, vcc
	v_cmp_gt_i32_e32 vcc, s33, v57
	v_or_b32_e32 v57, 2, v57
	s_nop 0
	v_cndmask_b32_e32 v44, 0, v44, vcc
	v_cmp_gt_i32_e32 vcc, s34, v58
	s_nop 1
	v_cndmask_b32_e32 v27, 0, v27, vcc
	v_cmp_gt_i32_e32 vcc, s33, v57
	s_nop 1
	v_cndmask_b32_e32 v26, 0, v26, vcc
	s_branch .LBB170_49
.LBB170_68:
	s_or_b64 exec, exec, s[6:7]
.LBB170_69:
	s_or_b64 exec, exec, s[2:3]
	ds_bpermute_b32 v2, v52, v8
	ds_bpermute_b32 v3, v52, v9
	;; [unrolled: 1-line block ×6, first 2 shown]
	s_waitcnt lgkmcnt(4)
	v_pk_add_f32 v[4:5], v[8:9], v[2:3]
	v_and_b32_e32 v1, 0x3c1, v0
	s_waitcnt lgkmcnt(2)
	v_pk_add_f32 v[8:9], v[10:11], v[16:17]
	ds_bpermute_b32 v10, v52, v6
	ds_bpermute_b32 v11, v52, v7
	s_waitcnt lgkmcnt(2)
	v_pk_add_f32 v[2:3], v[12:13], v[14:15]
	v_cmp_ne_u32_e32 vcc, 64, v1
	s_waitcnt lgkmcnt(0)
	s_barrier
	s_and_saveexec_b64 s[0:1], vcc
	s_xor_b64 s[0:1], exec, s[0:1]
; %bb.70:
                                        ; implicit-def: $vgpr51
; %bb.71:
	s_or_saveexec_b64 s[0:1], s[0:1]
	v_pk_add_f32 v[6:7], v[6:7], v[10:11]
	s_xor_b64 exec, exec, s[0:1]
	s_cbranch_execz .LBB170_73
; %bb.72:
	v_mov_b32_e32 v10, 0x410
	v_lshl_add_u32 v10, v51, 1, v10
	ds_write2_b32 v10, v4, v5 offset1:32
	ds_write2_b32 v10, v2, v3 offset0:64 offset1:96
	ds_write2_b32 v10, v8, v9 offset0:128 offset1:160
	;; [unrolled: 1-line block ×3, first 2 shown]
.LBB170_73:
	s_or_b64 exec, exec, s[0:1]
	v_cmp_gt_u32_e32 vcc, 64, v0
	v_lshrrev_b32_e32 v0, 1, v0
	s_waitcnt lgkmcnt(0)
	s_barrier
	s_and_saveexec_b64 s[0:1], vcc
	s_cbranch_execz .LBB170_84
; %bb.74:
	v_mov_b32_e32 v10, 0x410
	v_cmp_eq_u32_e32 vcc, 0, v53
	v_lshl_add_u32 v10, v0, 2, v10
	s_and_saveexec_b64 s[2:3], vcc
	s_cbranch_execnz .LBB170_87
; %bb.75:
	s_or_b64 exec, exec, s[2:3]
	s_and_saveexec_b64 s[2:3], vcc
	s_cbranch_execnz .LBB170_88
.LBB170_76:
	s_or_b64 exec, exec, s[2:3]
	s_and_saveexec_b64 s[2:3], vcc
	s_cbranch_execnz .LBB170_89
.LBB170_77:
	s_or_b64 exec, exec, s[2:3]
	s_and_saveexec_b64 s[2:3], vcc
	s_cbranch_execnz .LBB170_90
.LBB170_78:
	s_or_b64 exec, exec, s[2:3]
	s_and_saveexec_b64 s[2:3], vcc
	s_cbranch_execnz .LBB170_91
.LBB170_79:
	s_or_b64 exec, exec, s[2:3]
	s_and_saveexec_b64 s[2:3], vcc
	s_cbranch_execnz .LBB170_92
.LBB170_80:
	s_or_b64 exec, exec, s[2:3]
	s_and_saveexec_b64 s[2:3], vcc
	s_cbranch_execnz .LBB170_93
.LBB170_81:
	s_or_b64 exec, exec, s[2:3]
	s_and_saveexec_b64 s[2:3], vcc
	s_cbranch_execz .LBB170_83
.LBB170_82:
	ds_read_b32 v10, v10 offset:896
	s_waitcnt lgkmcnt(0)
	v_add_f32_e32 v7, v7, v10
.LBB170_83:
	s_or_b64 exec, exec, s[2:3]
.LBB170_84:
	s_or_b64 exec, exec, s[0:1]
	v_cmp_eq_u32_e32 vcc, 0, v1
	s_barrier
	s_and_saveexec_b64 s[0:1], vcc
	s_cbranch_execz .LBB170_86
; %bb.85:
	s_mul_i32 s0, s10, s11
	s_mul_i32 s0, s0, s5
	s_lshl_b32 s0, s0, 8
	s_ashr_i32 s1, s0, 31
	s_lshl_b64 s[0:1], s[0:1], 2
	s_add_u32 s2, s26, s0
	s_mul_i32 s0, s11, s24
	s_addc_u32 s3, s27, s1
	s_ashr_i32 s1, s0, 31
	s_lshl_b64 s[0:1], s[0:1], 2
	s_add_u32 s2, s2, s0
	s_addc_u32 s3, s3, s1
	s_lshl_b32 s0, s4, 8
	s_ashr_i32 s1, s0, 31
	s_lshl_b64 s[0:1], s[0:1], 2
	s_add_u32 s0, s2, s0
	s_addc_u32 s1, s3, s1
	v_lshlrev_b32_e32 v0, 2, v0
	global_store_dword v0, v4, s[0:1]
	global_store_dword v0, v5, s[0:1] offset:128
	global_store_dword v0, v2, s[0:1] offset:256
	;; [unrolled: 1-line block ×7, first 2 shown]
.LBB170_86:
	s_endpgm
.LBB170_87:
	ds_read_b32 v11, v10
	s_waitcnt lgkmcnt(0)
	v_add_f32_e32 v4, v4, v11
	s_or_b64 exec, exec, s[2:3]
	s_and_saveexec_b64 s[2:3], vcc
	s_cbranch_execz .LBB170_76
.LBB170_88:
	ds_read_b32 v11, v10 offset:128
	s_waitcnt lgkmcnt(0)
	v_add_f32_e32 v5, v5, v11
	s_or_b64 exec, exec, s[2:3]
	s_and_saveexec_b64 s[2:3], vcc
	s_cbranch_execz .LBB170_77
.LBB170_89:
	ds_read_b32 v11, v10 offset:256
	s_waitcnt lgkmcnt(0)
	v_add_f32_e32 v2, v2, v11
	s_or_b64 exec, exec, s[2:3]
	s_and_saveexec_b64 s[2:3], vcc
	s_cbranch_execz .LBB170_78
.LBB170_90:
	ds_read_b32 v11, v10 offset:384
	s_waitcnt lgkmcnt(0)
	v_add_f32_e32 v3, v3, v11
	s_or_b64 exec, exec, s[2:3]
	s_and_saveexec_b64 s[2:3], vcc
	s_cbranch_execz .LBB170_79
.LBB170_91:
	ds_read_b32 v11, v10 offset:512
	s_waitcnt lgkmcnt(0)
	v_add_f32_e32 v8, v8, v11
	s_or_b64 exec, exec, s[2:3]
	s_and_saveexec_b64 s[2:3], vcc
	s_cbranch_execz .LBB170_80
.LBB170_92:
	ds_read_b32 v11, v10 offset:640
	s_waitcnt lgkmcnt(0)
	v_add_f32_e32 v9, v9, v11
	s_or_b64 exec, exec, s[2:3]
	s_and_saveexec_b64 s[2:3], vcc
	s_cbranch_execz .LBB170_81
.LBB170_93:
	ds_read_b32 v11, v10 offset:768
	s_waitcnt lgkmcnt(0)
	v_add_f32_e32 v6, v6, v11
	s_or_b64 exec, exec, s[2:3]
	s_and_saveexec_b64 s[2:3], vcc
	s_cbranch_execnz .LBB170_82
	s_branch .LBB170_83
	.section	.rodata,"a",@progbits
	.p2align	6, 0x0
	.amdhsa_kernel _ZN4vllm25paged_attention_v1_kernelIfhLi256ELi8ELi128ELNS_18Fp8KVCacheDataTypeE1ELb1EEEvPT_PKS2_PKT0_S8_ifPKiSA_iPKfiiiSC_SC_iiiii
		.amdhsa_group_segment_fixed_size 1040
		.amdhsa_private_segment_fixed_size 0
		.amdhsa_kernarg_size 384
		.amdhsa_user_sgpr_count 2
		.amdhsa_user_sgpr_dispatch_ptr 0
		.amdhsa_user_sgpr_queue_ptr 0
		.amdhsa_user_sgpr_kernarg_segment_ptr 1
		.amdhsa_user_sgpr_dispatch_id 0
		.amdhsa_user_sgpr_kernarg_preload_length 0
		.amdhsa_user_sgpr_kernarg_preload_offset 0
		.amdhsa_user_sgpr_private_segment_size 0
		.amdhsa_uses_dynamic_stack 0
		.amdhsa_enable_private_segment 0
		.amdhsa_system_sgpr_workgroup_id_x 1
		.amdhsa_system_sgpr_workgroup_id_y 1
		.amdhsa_system_sgpr_workgroup_id_z 1
		.amdhsa_system_sgpr_workgroup_info 0
		.amdhsa_system_vgpr_workitem_id 0
		.amdhsa_next_free_vgpr 89
		.amdhsa_next_free_sgpr 48
		.amdhsa_accum_offset 92
		.amdhsa_reserve_vcc 1
		.amdhsa_float_round_mode_32 0
		.amdhsa_float_round_mode_16_64 0
		.amdhsa_float_denorm_mode_32 3
		.amdhsa_float_denorm_mode_16_64 3
		.amdhsa_dx10_clamp 1
		.amdhsa_ieee_mode 1
		.amdhsa_fp16_overflow 0
		.amdhsa_tg_split 0
		.amdhsa_exception_fp_ieee_invalid_op 0
		.amdhsa_exception_fp_denorm_src 0
		.amdhsa_exception_fp_ieee_div_zero 0
		.amdhsa_exception_fp_ieee_overflow 0
		.amdhsa_exception_fp_ieee_underflow 0
		.amdhsa_exception_fp_ieee_inexact 0
		.amdhsa_exception_int_div_zero 0
	.end_amdhsa_kernel
	.section	.text._ZN4vllm25paged_attention_v1_kernelIfhLi256ELi8ELi128ELNS_18Fp8KVCacheDataTypeE1ELb1EEEvPT_PKS2_PKT0_S8_ifPKiSA_iPKfiiiSC_SC_iiiii,"axG",@progbits,_ZN4vllm25paged_attention_v1_kernelIfhLi256ELi8ELi128ELNS_18Fp8KVCacheDataTypeE1ELb1EEEvPT_PKS2_PKT0_S8_ifPKiSA_iPKfiiiSC_SC_iiiii,comdat
.Lfunc_end170:
	.size	_ZN4vllm25paged_attention_v1_kernelIfhLi256ELi8ELi128ELNS_18Fp8KVCacheDataTypeE1ELb1EEEvPT_PKS2_PKT0_S8_ifPKiSA_iPKfiiiSC_SC_iiiii, .Lfunc_end170-_ZN4vllm25paged_attention_v1_kernelIfhLi256ELi8ELi128ELNS_18Fp8KVCacheDataTypeE1ELb1EEEvPT_PKS2_PKT0_S8_ifPKiSA_iPKfiiiSC_SC_iiiii
                                        ; -- End function
	.set _ZN4vllm25paged_attention_v1_kernelIfhLi256ELi8ELi128ELNS_18Fp8KVCacheDataTypeE1ELb1EEEvPT_PKS2_PKT0_S8_ifPKiSA_iPKfiiiSC_SC_iiiii.num_vgpr, 89
	.set _ZN4vllm25paged_attention_v1_kernelIfhLi256ELi8ELi128ELNS_18Fp8KVCacheDataTypeE1ELb1EEEvPT_PKS2_PKT0_S8_ifPKiSA_iPKfiiiSC_SC_iiiii.num_agpr, 0
	.set _ZN4vllm25paged_attention_v1_kernelIfhLi256ELi8ELi128ELNS_18Fp8KVCacheDataTypeE1ELb1EEEvPT_PKS2_PKT0_S8_ifPKiSA_iPKfiiiSC_SC_iiiii.numbered_sgpr, 48
	.set _ZN4vllm25paged_attention_v1_kernelIfhLi256ELi8ELi128ELNS_18Fp8KVCacheDataTypeE1ELb1EEEvPT_PKS2_PKT0_S8_ifPKiSA_iPKfiiiSC_SC_iiiii.num_named_barrier, 0
	.set _ZN4vllm25paged_attention_v1_kernelIfhLi256ELi8ELi128ELNS_18Fp8KVCacheDataTypeE1ELb1EEEvPT_PKS2_PKT0_S8_ifPKiSA_iPKfiiiSC_SC_iiiii.private_seg_size, 0
	.set _ZN4vllm25paged_attention_v1_kernelIfhLi256ELi8ELi128ELNS_18Fp8KVCacheDataTypeE1ELb1EEEvPT_PKS2_PKT0_S8_ifPKiSA_iPKfiiiSC_SC_iiiii.uses_vcc, 1
	.set _ZN4vllm25paged_attention_v1_kernelIfhLi256ELi8ELi128ELNS_18Fp8KVCacheDataTypeE1ELb1EEEvPT_PKS2_PKT0_S8_ifPKiSA_iPKfiiiSC_SC_iiiii.uses_flat_scratch, 0
	.set _ZN4vllm25paged_attention_v1_kernelIfhLi256ELi8ELi128ELNS_18Fp8KVCacheDataTypeE1ELb1EEEvPT_PKS2_PKT0_S8_ifPKiSA_iPKfiiiSC_SC_iiiii.has_dyn_sized_stack, 0
	.set _ZN4vllm25paged_attention_v1_kernelIfhLi256ELi8ELi128ELNS_18Fp8KVCacheDataTypeE1ELb1EEEvPT_PKS2_PKT0_S8_ifPKiSA_iPKfiiiSC_SC_iiiii.has_recursion, 0
	.set _ZN4vllm25paged_attention_v1_kernelIfhLi256ELi8ELi128ELNS_18Fp8KVCacheDataTypeE1ELb1EEEvPT_PKS2_PKT0_S8_ifPKiSA_iPKfiiiSC_SC_iiiii.has_indirect_call, 0
	.section	.AMDGPU.csdata,"",@progbits
; Kernel info:
; codeLenInByte = 6224
; TotalNumSgprs: 54
; NumVgprs: 89
; NumAgprs: 0
; TotalNumVgprs: 89
; ScratchSize: 0
; MemoryBound: 0
; FloatMode: 240
; IeeeMode: 1
; LDSByteSize: 1040 bytes/workgroup (compile time only)
; SGPRBlocks: 6
; VGPRBlocks: 11
; NumSGPRsForWavesPerEU: 54
; NumVGPRsForWavesPerEU: 89
; AccumOffset: 92
; Occupancy: 5
; WaveLimiterHint : 1
; COMPUTE_PGM_RSRC2:SCRATCH_EN: 0
; COMPUTE_PGM_RSRC2:USER_SGPR: 2
; COMPUTE_PGM_RSRC2:TRAP_HANDLER: 0
; COMPUTE_PGM_RSRC2:TGID_X_EN: 1
; COMPUTE_PGM_RSRC2:TGID_Y_EN: 1
; COMPUTE_PGM_RSRC2:TGID_Z_EN: 1
; COMPUTE_PGM_RSRC2:TIDIG_COMP_CNT: 0
; COMPUTE_PGM_RSRC3_GFX90A:ACCUM_OFFSET: 22
; COMPUTE_PGM_RSRC3_GFX90A:TG_SPLIT: 0
	.section	.text._ZN4vllm25paged_attention_v1_kernelIfhLi32ELi8ELi128ELNS_18Fp8KVCacheDataTypeE1ELb0EEEvPT_PKS2_PKT0_S8_ifPKiSA_iPKfiiiSC_SC_iiiii,"axG",@progbits,_ZN4vllm25paged_attention_v1_kernelIfhLi32ELi8ELi128ELNS_18Fp8KVCacheDataTypeE1ELb0EEEvPT_PKS2_PKT0_S8_ifPKiSA_iPKfiiiSC_SC_iiiii,comdat
	.protected	_ZN4vllm25paged_attention_v1_kernelIfhLi32ELi8ELi128ELNS_18Fp8KVCacheDataTypeE1ELb0EEEvPT_PKS2_PKT0_S8_ifPKiSA_iPKfiiiSC_SC_iiiii ; -- Begin function _ZN4vllm25paged_attention_v1_kernelIfhLi32ELi8ELi128ELNS_18Fp8KVCacheDataTypeE1ELb0EEEvPT_PKS2_PKT0_S8_ifPKiSA_iPKfiiiSC_SC_iiiii
	.globl	_ZN4vllm25paged_attention_v1_kernelIfhLi32ELi8ELi128ELNS_18Fp8KVCacheDataTypeE1ELb0EEEvPT_PKS2_PKT0_S8_ifPKiSA_iPKfiiiSC_SC_iiiii
	.p2align	8
	.type	_ZN4vllm25paged_attention_v1_kernelIfhLi32ELi8ELi128ELNS_18Fp8KVCacheDataTypeE1ELb0EEEvPT_PKS2_PKT0_S8_ifPKiSA_iPKfiiiSC_SC_iiiii,@function
_ZN4vllm25paged_attention_v1_kernelIfhLi32ELi8ELi128ELNS_18Fp8KVCacheDataTypeE1ELb0EEEvPT_PKS2_PKT0_S8_ifPKiSA_iPKfiiiSC_SC_iiiii: ; @_ZN4vllm25paged_attention_v1_kernelIfhLi32ELi8ELi128ELNS_18Fp8KVCacheDataTypeE1ELb0EEEvPT_PKS2_PKT0_S8_ifPKiSA_iPKfiiiSC_SC_iiiii
; %bb.0:
	s_load_dword s5, s[0:1], 0x80
	s_load_dwordx2 s[6:7], s[0:1], 0x30
	s_load_dwordx2 s[28:29], s[0:1], 0x20
	s_mov_b32 s16, s3
	s_ashr_i32 s17, s3, 31
	s_lshl_b64 s[8:9], s[16:17], 2
	s_waitcnt lgkmcnt(0)
	s_add_u32 s6, s6, s8
	s_addc_u32 s7, s7, s9
	s_abs_i32 s3, s28
	v_cvt_f32_u32_e32 v1, s3
	s_sub_i32 s10, 0, s3
	s_abs_i32 s9, s5
	s_xor_b32 s8, s5, s28
	v_rcp_iflag_f32_e32 v1, v1
	s_ashr_i32 s8, s8, 31
	s_mov_b32 s28, 0
	v_mul_f32_e32 v1, 0x4f7ffffe, v1
	v_cvt_u32_f32_e32 v1, v1
	s_nop 0
	v_readfirstlane_b32 s11, v1
	s_mul_i32 s10, s10, s11
	s_mul_hi_u32 s10, s11, s10
	s_add_i32 s11, s11, s10
	s_mul_hi_u32 s10, s9, s11
	s_mul_i32 s11, s10, s3
	s_sub_i32 s9, s9, s11
	s_add_i32 s11, s10, 1
	s_sub_i32 s12, s9, s3
	s_cmp_ge_u32 s9, s3
	s_cselect_b32 s10, s11, s10
	s_cselect_b32 s9, s12, s9
	s_add_i32 s11, s10, 1
	s_cmp_ge_u32 s9, s3
	s_cselect_b32 s3, s11, s10
	s_xor_b32 s3, s3, s8
	s_sub_i32 s12, s3, s8
	s_abs_i32 s10, s12
	v_cvt_f32_u32_e32 v1, s10
	s_load_dwordx2 s[8:9], s[0:1], 0x40
	s_sub_i32 s3, 0, s10
	s_abs_i32 s11, s2
	v_rcp_iflag_f32_e32 v1, v1
	s_nop 0
	v_mul_f32_e32 v1, 0x4f7ffffe, v1
	v_cvt_u32_f32_e32 v1, v1
	s_nop 0
	v_readfirstlane_b32 s13, v1
	s_mul_i32 s3, s3, s13
	s_mul_hi_u32 s3, s13, s3
	s_add_i32 s13, s13, s3
	s_waitcnt lgkmcnt(0)
	s_cmp_eq_u64 s[8:9], 0
	s_mul_hi_u32 s20, s11, s13
	s_cbranch_scc1 .LBB171_2
; %bb.1:
	s_ashr_i32 s3, s2, 31
	s_lshl_b64 s[14:15], s[2:3], 2
	s_add_u32 s8, s8, s14
	s_addc_u32 s9, s9, s15
	s_load_dword s28, s[8:9], 0x0
.LBB171_2:
	s_load_dword s17, s[6:7], 0x0
	s_ashr_i32 s7, s12, 31
	s_load_dwordx4 s[12:15], s[0:1], 0x48
	s_ashr_i32 s6, s2, 31
	v_and_b32_e32 v6, 7, v0
	s_lshl_b32 s18, s2, 5
	v_cmp_gt_u32_e32 vcc, 32, v0
	v_lshlrev_b32_e32 v10, 2, v0
	v_lshrrev_b32_e32 v1, 1, v0
	s_and_saveexec_b64 s[2:3], vcc
	s_cbranch_execz .LBB171_4
; %bb.3:
	s_load_dwordx2 s[8:9], s[0:1], 0x8
	s_waitcnt lgkmcnt(0)
	s_mul_i32 s22, s12, s16
	s_ashr_i32 s23, s22, 31
	s_lshl_b64 s[22:23], s[22:23], 2
	v_and_b32_e32 v3, 0x1fc, v1
	s_add_u32 s12, s8, s22
	s_addc_u32 s15, s9, s23
	s_ashr_i32 s19, s18, 31
	s_lshl_b64 s[8:9], s[18:19], 2
	s_add_u32 s8, s12, s8
	s_addc_u32 s9, s15, s9
	global_load_dword v2, v10, s[8:9]
	v_lshl_add_u32 v3, v6, 4, v3
	s_waitcnt vmcnt(0)
	ds_write_b32 v3, v2
.LBB171_4:
	s_or_b64 exec, exec, s[2:3]
	s_waitcnt lgkmcnt(0)
	s_add_i32 s3, s17, 7
	s_ashr_i32 s8, s3, 31
	s_lshr_b32 s8, s8, 29
	s_add_i32 s3, s3, s8
	s_ashr_i32 s19, s3, 3
	s_xor_b32 s3, s6, s7
	s_mul_i32 s6, s20, s10
	s_sub_i32 s6, s11, s6
	s_add_i32 s7, s20, 1
	s_sub_i32 s8, s6, s10
	s_load_dwordx2 s[22:23], s[0:1], 0x28
	s_load_dword s2, s[0:1], 0x38
	s_cmp_ge_u32 s6, s10
	s_cselect_b32 s7, s7, s20
	s_cselect_b32 s6, s8, s6
	s_add_i32 s8, s7, 1
	s_cmp_ge_u32 s6, s10
	s_cselect_b32 s6, s8, s7
	v_lshrrev_b32_e32 v16, 6, v0
	s_xor_b32 s6, s6, s3
	s_waitcnt lgkmcnt(0)
	s_mul_i32 s24, s2, s16
	s_sub_i32 s33, s6, s3
	s_ashr_i32 s25, s24, 31
	v_cmp_gt_i32_e64 s[2:3], s19, v16
	v_cmp_le_i32_e32 vcc, s19, v16
	v_mbcnt_lo_u32_b32 v7, -1, 0
	s_barrier
                                        ; implicit-def: $vgpr12
                                        ; implicit-def: $vgpr14
                                        ; implicit-def: $vgpr13
	s_and_saveexec_b64 s[6:7], vcc
	s_xor_b64 s[6:7], exec, s[6:7]
; %bb.5:
	v_mbcnt_hi_u32_b32 v12, -1, v7
	v_and_b32_e32 v14, 64, v12
	v_add_u32_e32 v13, 64, v14
                                        ; implicit-def: $vgpr6
                                        ; implicit-def: $vgpr7
; %bb.6:
	s_or_saveexec_b64 s[30:31], s[6:7]
	s_load_dwordx2 s[20:21], s[0:1], 0x0
	s_load_dwordx2 s[26:27], s[0:1], 0x18
	s_load_dword s12, s[0:1], 0x88
	s_load_dwordx4 s[8:11], s[0:1], 0x58
	v_mov_b32_e32 v15, 0xff7fffff
	s_mul_i32 s33, s33, s14
	v_lshrrev_b32_e32 v11, 4, v0
	s_xor_b64 exec, exec, s[30:31]
	s_cbranch_execz .LBB171_12
; %bb.7:
	v_mbcnt_hi_u32_b32 v12, -1, v7
	v_and_b32_e32 v14, 64, v12
	v_add_u32_e32 v13, 64, v14
	v_xor_b32_e32 v7, 4, v12
	s_load_dwordx2 s[0:1], s[0:1], 0x10
	v_cmp_lt_i32_e32 vcc, v7, v13
	s_ashr_i32 s6, s33, 31
	v_bfe_u32 v15, v0, 3, 3
	v_cndmask_b32_e32 v7, v12, v7, vcc
	v_lshlrev_b32_e32 v17, 2, v7
	v_xor_b32_e32 v7, 2, v12
	v_cmp_lt_i32_e32 vcc, v7, v13
	s_waitcnt lgkmcnt(0)
	s_add_u32 s0, s0, s33
	v_lshlrev_b32_e32 v2, 4, v6
	v_cndmask_b32_e32 v7, v12, v7, vcc
	v_lshlrev_b32_e32 v18, 2, v7
	v_xor_b32_e32 v7, 1, v12
	v_lshlrev_b32_e32 v8, 4, v15
	s_addc_u32 s1, s1, s6
	v_mov_b32_e32 v9, 0
	ds_read_b128 v[2:5], v2
	v_cmp_lt_i32_e32 vcc, v7, v13
	s_load_dword s35, s[8:9], 0x0
	v_lshl_add_u64 v[20:21], s[0:1], 0, v[8:9]
	v_cndmask_b32_e32 v7, v12, v7, vcc
	s_sub_i32 s36, 1, s17
	v_lshlrev_b32_e32 v8, 2, v15
	s_lshl_b64 s[6:7], s[24:25], 2
	v_lshlrev_b32_e32 v19, 2, v7
	v_mov_b32_e32 v7, v9
	v_lshl_or_b32 v8, v16, 5, v8
	s_add_u32 s6, s22, s6
	v_cmp_eq_u32_e32 vcc, 0, v6
	v_lshl_add_u64 v[6:7], v[20:21], 0, v[6:7]
	v_add_u32_e32 v21, 0x90, v8
	v_and_b32_e32 v8, 60, v11
	s_addc_u32 s7, s23, s7
	s_mov_b32 s34, s13
	v_cmp_neq_f32_e64 s[0:1], s28, 0
	v_lshl_or_b32 v20, v16, 3, v15
	v_lshl_add_u64 v[8:9], s[6:7], 0, v[8:9]
	v_mov_b32_e32 v15, 0xff7fffff
	s_mov_b64 s[8:9], 0
	v_mov_b32_e32 v22, v16
	s_branch .LBB171_9
.LBB171_8:                              ;   in Loop: Header=BB171_9 Depth=1
	s_or_b64 exec, exec, s[14:15]
	v_add_u32_e32 v22, 2, v22
	v_cmp_le_i32_e64 s[6:7], s19, v22
	v_add_u32_e32 v20, 16, v20
	v_add_u32_e32 v21, 64, v21
	s_or_b64 s[8:9], s[6:7], s[8:9]
	v_lshl_add_u64 v[8:9], v[8:9], 0, 8
	s_andn2_b64 exec, exec, s[8:9]
	s_cbranch_execz .LBB171_11
.LBB171_9:                              ; =>This Inner Loop Header: Depth=1
	global_load_dword v23, v[8:9], off
	s_waitcnt vmcnt(0) lgkmcnt(0)
	v_mad_i64_i32 v[24:25], s[6:7], v23, s34, v[6:7]
	global_load_ubyte v23, v[24:25], off
	global_load_ubyte v26, v[24:25], off offset:8
	global_load_ubyte v27, v[24:25], off offset:128
	;; [unrolled: 1-line block ×3, first 2 shown]
	s_waitcnt vmcnt(3)
	v_cvt_f32_fp8_e32 v23, v23
	s_waitcnt vmcnt(2)
	v_cvt_f32_fp8_e32 v24, v26
	;; [unrolled: 2-line block ×4, first 2 shown]
	s_waitcnt lgkmcnt(0)
	v_mul_f32_e32 v23, s35, v23
	v_mul_f32_e32 v24, s35, v24
	;; [unrolled: 1-line block ×4, first 2 shown]
	v_fmac_f32_e32 v24, v2, v23
	v_mul_f32_e32 v26, s35, v26
	v_fmac_f32_e32 v24, v4, v25
	v_fmac_f32_e32 v24, v5, v26
	ds_bpermute_b32 v23, v17, v24
	s_waitcnt lgkmcnt(0)
	v_add_f32_e32 v23, v24, v23
	ds_bpermute_b32 v24, v18, v23
	s_waitcnt lgkmcnt(0)
	v_add_f32_e32 v23, v23, v24
	ds_bpermute_b32 v24, v19, v23
	s_and_saveexec_b64 s[14:15], vcc
	s_cbranch_execz .LBB171_8
; %bb.10:                               ;   in Loop: Header=BB171_9 Depth=1
	v_add_u32_e32 v25, s36, v20
	v_cvt_f32_i32_e32 v25, v25
	s_waitcnt lgkmcnt(0)
	v_add_f32_e32 v23, v23, v24
	v_cmp_gt_i32_e64 s[6:7], s17, v20
	v_max_f32_e32 v24, v15, v15
	v_mul_f32_e32 v25, s28, v25
	v_cndmask_b32_e64 v25, 0, v25, s[0:1]
	v_fmac_f32_e32 v25, s29, v23
	v_cndmask_b32_e64 v23, 0, v25, s[6:7]
	ds_write_b32 v21, v23
	v_max_f32_e32 v23, v24, v25
	v_cndmask_b32_e64 v15, v15, v23, s[6:7]
	s_branch .LBB171_8
.LBB171_11:
	s_or_b64 exec, exec, s[8:9]
.LBB171_12:
	s_or_b64 exec, exec, s[30:31]
	v_xor_b32_e32 v2, 32, v12
	v_cmp_lt_i32_e32 vcc, v2, v13
	v_xor_b32_e32 v5, 16, v12
	v_max_f32_e32 v4, v15, v15
	v_cndmask_b32_e32 v2, v12, v2, vcc
	v_lshlrev_b32_e32 v3, 2, v2
	ds_bpermute_b32 v2, v3, v15
	v_cmp_lt_i32_e32 vcc, v5, v13
	v_xor_b32_e32 v6, 8, v12
	v_and_b32_e32 v17, 63, v0
	s_waitcnt lgkmcnt(0)
	v_max_f32_e32 v2, v2, v2
	v_max_f32_e32 v2, v4, v2
	v_cndmask_b32_e32 v4, v12, v5, vcc
	v_lshlrev_b32_e32 v5, 2, v4
	ds_bpermute_b32 v4, v5, v2
	v_cmp_lt_i32_e32 vcc, v6, v13
	s_waitcnt lgkmcnt(0)
	v_max_f32_e32 v4, v4, v4
	v_max_f32_e32 v4, v2, v4
	v_cndmask_b32_e32 v2, v12, v6, vcc
	v_lshlrev_b32_e32 v6, 2, v2
	ds_bpermute_b32 v7, v6, v4
	v_cmp_eq_u32_e32 vcc, 0, v17
	v_lshlrev_b32_e32 v2, 2, v16
	s_and_saveexec_b64 s[0:1], vcc
	s_cbranch_execz .LBB171_14
; %bb.13:
	s_waitcnt lgkmcnt(0)
	v_max_f32_e32 v7, v7, v7
	v_max_f32_e32 v4, v4, v4
	;; [unrolled: 1-line block ×3, first 2 shown]
	ds_write_b32 v2, v4 offset:128
.LBB171_14:
	s_or_b64 exec, exec, s[0:1]
	v_cmp_gt_u32_e64 s[0:1], 2, v17
	s_waitcnt lgkmcnt(0)
	v_mov_b32_e32 v7, 0xff7fffff
	v_lshlrev_b32_e32 v4, 2, v17
	s_barrier
	s_and_saveexec_b64 s[6:7], s[0:1]
; %bb.15:
	ds_read_b32 v7, v4 offset:128
; %bb.16:
	s_or_b64 exec, exec, s[6:7]
	v_xor_b32_e32 v8, 1, v12
	v_cmp_lt_i32_e64 s[6:7], v8, v13
	s_nop 1
	v_cndmask_b32_e64 v8, v12, v8, s[6:7]
	v_lshlrev_b32_e32 v18, 2, v8
	s_waitcnt lgkmcnt(0)
	ds_bpermute_b32 v8, v18, v7
	v_max_f32_e32 v7, v7, v7
	s_lshl_b32 s6, s19, 3
	s_min_i32 s30, s6, s17
	v_cmp_gt_i32_e64 s[6:7], s30, v0
	s_waitcnt lgkmcnt(0)
	v_max_f32_e32 v8, v8, v8
	v_max_f32_e32 v7, v7, v8
	v_lshlrev_b32_e32 v8, 2, v14
	ds_bpermute_b32 v8, v8, v7
	v_mov_b32_e32 v7, 0
	s_and_saveexec_b64 s[14:15], s[6:7]
	s_cbranch_execz .LBB171_20
; %bb.17:
	v_mov_b32_e32 v7, 0x90
	v_lshl_add_u32 v9, v0, 2, v7
	v_mov_b32_e32 v7, 0
	s_mov_b64 s[28:29], 0
	v_mov_b32_e32 v14, v0
.LBB171_18:                             ; =>This Inner Loop Header: Depth=1
	ds_read_b32 v15, v9
	v_add_u32_e32 v14, 0x80, v14
	v_cmp_le_i32_e64 s[8:9], s30, v14
	s_or_b64 s[28:29], s[8:9], s[28:29]
	s_waitcnt lgkmcnt(0)
	v_sub_f32_e32 v15, v15, v8
	v_mul_f32_e32 v15, 0x3fb8aa3b, v15
	v_exp_f32_e32 v15, v15
	ds_write_b32 v9, v15
	v_add_f32_e32 v7, v7, v15
	v_add_u32_e32 v9, 0x200, v9
	s_andn2_b64 exec, exec, s[28:29]
	s_cbranch_execnz .LBB171_18
; %bb.19:
	s_or_b64 exec, exec, s[28:29]
.LBB171_20:
	s_or_b64 exec, exec, s[14:15]
	ds_bpermute_b32 v3, v3, v7
	s_waitcnt lgkmcnt(0)
	v_add_f32_e32 v3, v7, v3
	ds_bpermute_b32 v5, v5, v3
	s_waitcnt lgkmcnt(0)
	v_add_f32_e32 v3, v3, v5
	ds_bpermute_b32 v5, v6, v3
	v_xor_b32_e32 v6, 4, v12
	v_cmp_lt_i32_e64 s[8:9], v6, v13
	s_waitcnt lgkmcnt(0)
	v_add_f32_e32 v3, v3, v5
	v_cndmask_b32_e64 v6, v12, v6, s[8:9]
	v_lshlrev_b32_e32 v6, 2, v6
	ds_bpermute_b32 v5, v6, v3
	v_xor_b32_e32 v6, 2, v12
	v_cmp_lt_i32_e64 s[8:9], v6, v13
	s_waitcnt lgkmcnt(0)
	v_add_f32_e32 v3, v3, v5
	v_cndmask_b32_e64 v6, v12, v6, s[8:9]
	v_lshlrev_b32_e32 v5, 2, v6
	ds_bpermute_b32 v5, v5, v3
	s_waitcnt lgkmcnt(0)
	v_add_f32_e32 v3, v3, v5
	ds_bpermute_b32 v5, v18, v3
	s_waitcnt lgkmcnt(0)
	v_add_f32_e32 v3, v3, v5
	s_and_saveexec_b64 s[8:9], vcc
; %bb.21:
	ds_write_b32 v2, v3 offset:136
; %bb.22:
	s_or_b64 exec, exec, s[8:9]
	s_waitcnt lgkmcnt(0)
	s_barrier
	s_and_saveexec_b64 s[8:9], s[0:1]
; %bb.23:
	ds_read_b32 v3, v4 offset:136
; %bb.24:
	s_or_b64 exec, exec, s[8:9]
	s_waitcnt lgkmcnt(0)
	ds_bpermute_b32 v2, v18, v3
	v_lshlrev_b32_e32 v4, 2, v12
	s_waitcnt lgkmcnt(0)
	v_add_f32_e32 v2, v3, v2
	v_and_b32_e32 v3, 0xffffff00, v4
	ds_bpermute_b32 v2, v3, v2
	s_and_saveexec_b64 s[0:1], s[6:7]
	s_cbranch_execz .LBB171_37
; %bb.25:
	s_waitcnt lgkmcnt(0)
	v_add_f32_e32 v2, 0x358637bd, v2
	v_div_scale_f32 v3, s[6:7], v2, v2, 1.0
	v_rcp_f32_e32 v4, v3
	v_div_scale_f32 v5, vcc, 1.0, v2, 1.0
	s_movk_i32 s6, 0x7f
	v_fma_f32 v6, -v3, v4, 1.0
	v_fmac_f32_e32 v4, v6, v4
	v_mul_f32_e32 v6, v5, v4
	v_fma_f32 v7, -v3, v6, v5
	v_fmac_f32_e32 v6, v7, v4
	v_fma_f32 v3, -v3, v6, v5
	v_div_fmas_f32 v3, v3, v4, v6
	v_xad_u32 v4, v0, -1, s30
	v_div_fixup_f32 v2, v3, v2, 1.0
	v_cmp_lt_u32_e32 vcc, s6, v4
	s_mov_b64 s[8:9], -1
	v_mov_b32_e32 v3, v0
	s_and_saveexec_b64 s[6:7], vcc
	s_cbranch_execz .LBB171_34
; %bb.26:
	v_lshrrev_b32_e32 v4, 7, v4
	v_add_u32_e32 v6, -1, v4
	v_lshrrev_b32_e32 v5, 1, v6
	v_mov_b32_e32 v3, v2
	v_add_u32_e32 v5, 1, v5
	v_cmp_lt_u32_e32 vcc, 13, v6
	v_mov_b32_e32 v8, 0
	s_and_saveexec_b64 s[8:9], vcc
	s_cbranch_execz .LBB171_30
; %bb.27:
	v_mov_b32_e32 v7, 0x90
	v_and_b32_e32 v6, -8, v5
	v_lshl_add_u32 v7, v0, 2, v7
	s_mov_b32 s28, 0
	s_mov_b64 s[14:15], 0
.LBB171_28:                             ; =>This Inner Loop Header: Depth=1
	ds_read2st64_b32 v[8:9], v7 offset1:2
	ds_read2st64_b32 v[12:13], v7 offset0:4 offset1:6
	ds_read2st64_b32 v[14:15], v7 offset0:8 offset1:10
	;; [unrolled: 1-line block ×3, first 2 shown]
	v_add_u32_e32 v6, -8, v6
	s_waitcnt lgkmcnt(3)
	v_pk_mul_f32 v[8:9], v[2:3], v[8:9]
	s_waitcnt lgkmcnt(2)
	v_pk_mul_f32 v[12:13], v[2:3], v[12:13]
	ds_write2st64_b32 v7, v8, v9 offset1:2
	ds_write2st64_b32 v7, v12, v13 offset0:4 offset1:6
	ds_read2st64_b32 v[12:13], v7 offset0:16 offset1:18
	s_waitcnt lgkmcnt(4)
	v_pk_mul_f32 v[8:9], v[2:3], v[14:15]
	ds_write2st64_b32 v7, v8, v9 offset0:8 offset1:10
	s_waitcnt lgkmcnt(4)
	v_pk_mul_f32 v[8:9], v[2:3], v[20:21]
	ds_write2st64_b32 v7, v8, v9 offset0:12 offset1:14
	ds_read2st64_b32 v[8:9], v7 offset0:20 offset1:22
	s_waitcnt lgkmcnt(3)
	v_pk_mul_f32 v[12:13], v[2:3], v[12:13]
	ds_read2st64_b32 v[14:15], v7 offset0:24 offset1:26
	ds_write2st64_b32 v7, v12, v13 offset0:16 offset1:18
	ds_read2st64_b32 v[12:13], v7 offset0:28 offset1:30
	s_waitcnt lgkmcnt(3)
	v_pk_mul_f32 v[8:9], v[2:3], v[8:9]
	ds_write2st64_b32 v7, v8, v9 offset0:20 offset1:22
	s_waitcnt lgkmcnt(3)
	v_pk_mul_f32 v[8:9], v[2:3], v[14:15]
	ds_write2st64_b32 v7, v8, v9 offset0:24 offset1:26
	s_waitcnt lgkmcnt(2)
	v_pk_mul_f32 v[8:9], v[2:3], v[12:13]
	s_add_i32 s28, s28, 16
	v_cmp_eq_u32_e32 vcc, 0, v6
	ds_write2st64_b32 v7, v8, v9 offset0:28 offset1:30
	v_add_u32_e32 v7, 0x2000, v7
	s_or_b64 s[14:15], vcc, s[14:15]
	v_mov_b32_e32 v8, s28
	s_andn2_b64 exec, exec, s[14:15]
	s_cbranch_execnz .LBB171_28
; %bb.29:
	s_or_b64 exec, exec, s[14:15]
.LBB171_30:
	s_or_b64 exec, exec, s[8:9]
	v_and_b32_e32 v5, 7, v5
	v_cmp_ne_u32_e32 vcc, 0, v5
	s_and_saveexec_b64 s[8:9], vcc
	s_cbranch_execz .LBB171_33
; %bb.31:
	v_lshlrev_b32_e32 v6, 9, v8
	s_movk_i32 s14, 0x90
	v_add3_u32 v6, v6, v10, s14
	s_mov_b64 s[14:15], 0
.LBB171_32:                             ; =>This Inner Loop Header: Depth=1
	ds_read2st64_b32 v[8:9], v6 offset1:2
	v_add_u32_e32 v5, -1, v5
	v_cmp_eq_u32_e32 vcc, 0, v5
	s_or_b64 s[14:15], vcc, s[14:15]
	s_waitcnt lgkmcnt(0)
	v_pk_mul_f32 v[8:9], v[2:3], v[8:9]
	ds_write2st64_b32 v6, v8, v9 offset1:2
	v_add_u32_e32 v6, 0x400, v6
	s_andn2_b64 exec, exec, s[14:15]
	s_cbranch_execnz .LBB171_32
.LBB171_33:
	s_or_b64 exec, exec, s[8:9]
	v_add_u32_e32 v4, 1, v4
	v_and_b32_e32 v5, 0x3fffffe, v4
	v_cmp_ne_u32_e32 vcc, v4, v5
	v_lshl_add_u32 v3, v5, 7, v0
	s_orn2_b64 s[8:9], vcc, exec
.LBB171_34:
	s_or_b64 exec, exec, s[6:7]
	s_and_b64 exec, exec, s[8:9]
	s_cbranch_execz .LBB171_37
; %bb.35:
	v_mov_b32_e32 v4, 0x90
	v_lshl_add_u32 v4, v3, 2, v4
	s_mov_b64 s[6:7], 0
.LBB171_36:                             ; =>This Inner Loop Header: Depth=1
	ds_read_b32 v5, v4
	v_add_u32_e32 v3, 0x80, v3
	v_cmp_le_i32_e32 vcc, s30, v3
	s_or_b64 s[6:7], vcc, s[6:7]
	s_waitcnt lgkmcnt(0)
	v_mul_f32_e32 v5, v2, v5
	ds_write_b32 v4, v5
	v_add_u32_e32 v4, 0x200, v4
	s_andn2_b64 exec, exec, s[6:7]
	s_cbranch_execnz .LBB171_36
.LBB171_37:
	s_or_b64 exec, exec, s[0:1]
	v_mov_b32_e32 v7, 0
	s_waitcnt lgkmcnt(0)
	s_barrier
	s_and_saveexec_b64 s[0:1], s[2:3]
	s_cbranch_execz .LBB171_43
; %bb.38:
	s_ashr_i32 s3, s33, 31
	s_add_u32 s6, s26, s33
	s_load_dword s2, s[10:11], 0x0
	v_and_b32_e32 v2, 4, v10
	s_addc_u32 s7, s27, s3
	v_and_b32_e32 v6, 0xfc, v10
	v_mov_b32_e32 v7, 0
	v_lshl_add_u64 v[8:9], s[6:7], 0, v[6:7]
	s_add_i32 s10, s19, -1
	v_lshl_or_b32 v19, v16, 3, v2
	v_and_b32_e32 v2, 1, v0
	s_lshl_b64 s[6:7], s[24:25], 2
	v_lshlrev_b32_e32 v2, 4, v2
	s_add_u32 s6, s22, s6
	v_lshl_or_b32 v2, v16, 5, v2
	v_and_b32_e32 v6, 60, v11
	s_addc_u32 s7, s23, s7
	s_waitcnt lgkmcnt(0)
	s_mov_b32 s3, s2
	s_mov_b32 s11, s17
	v_add_u32_e32 v20, 0x90, v2
	v_lshl_add_u64 v[10:11], s[6:7], 0, v[6:7]
	s_mov_b64 s[6:7], 0
	s_branch .LBB171_40
.LBB171_39:                             ;   in Loop: Header=BB171_40 Depth=1
	s_or_b64 exec, exec, s[8:9]
	s_waitcnt lgkmcnt(0)
	v_pk_mul_f32 v[2:3], v[2:3], v[14:15]
	v_pk_mul_f32 v[4:5], v[4:5], v[12:13]
	v_add_f32_e32 v2, v3, v2
	v_add_f32_e32 v2, v4, v2
	v_add_u32_e32 v16, 2, v16
	v_add_f32_e32 v2, v5, v2
	v_cmp_le_i32_e32 vcc, s19, v16
	v_add_f32_e32 v7, v7, v2
	v_add_u32_e32 v19, 16, v19
	v_add_u32_e32 v20, 64, v20
	s_or_b64 s[6:7], vcc, s[6:7]
	v_lshl_add_u64 v[10:11], v[10:11], 0, 8
	s_andn2_b64 exec, exec, s[6:7]
	s_cbranch_execz .LBB171_42
.LBB171_40:                             ; =>This Inner Loop Header: Depth=1
	global_load_dword v2, v[10:11], off
	v_cmp_eq_u32_e32 vcc, s10, v16
	s_waitcnt vmcnt(0)
	v_mad_i64_i32 v[2:3], s[8:9], v2, s13, v[8:9]
	global_load_dword v2, v[2:3], off
	s_waitcnt vmcnt(0)
	v_and_b32_e32 v3, 0xffff, v2
	v_lshrrev_b32_e32 v2, 16, v2
	v_cvt_pk_f32_fp8_e32 v[12:13], v3
	v_cvt_pk_f32_fp8_e32 v[22:23], v2
	ds_read_b128 v[2:5], v20
	v_pk_mul_f32 v[14:15], s[2:3], v[12:13]
	v_pk_mul_f32 v[12:13], s[2:3], v[22:23]
	s_and_saveexec_b64 s[8:9], vcc
	s_cbranch_execz .LBB171_39
; %bb.41:                               ;   in Loop: Header=BB171_40 Depth=1
	v_add_u32_e32 v6, 1, v19
	v_cmp_gt_i32_e32 vcc, s11, v6
	v_or_b32_e32 v6, 3, v19
	v_or_b32_e32 v21, 2, v19
	v_cndmask_b32_e32 v15, 0, v15, vcc
	v_cmp_gt_i32_e32 vcc, s17, v19
	s_nop 1
	v_cndmask_b32_e32 v14, 0, v14, vcc
	v_cmp_gt_i32_e32 vcc, s11, v6
	s_nop 1
	;; [unrolled: 3-line block ×3, first 2 shown]
	v_cndmask_b32_e32 v12, 0, v12, vcc
	s_branch .LBB171_39
.LBB171_42:
	s_or_b64 exec, exec, s[6:7]
.LBB171_43:
	s_or_b64 exec, exec, s[0:1]
	ds_bpermute_b32 v3, v18, v7
	v_and_b32_e32 v2, 0x3c1, v0
	v_cmp_eq_u32_e32 vcc, 64, v2
	s_waitcnt lgkmcnt(0)
	s_barrier
	v_add_f32_e32 v0, v7, v3
	s_and_saveexec_b64 s[0:1], vcc
; %bb.44:
	v_mov_b32_e32 v3, 0x90
	v_lshl_add_u32 v3, v17, 1, v3
	ds_write_b32 v3, v0
; %bb.45:
	s_or_b64 exec, exec, s[0:1]
	v_cmp_eq_u32_e32 vcc, 0, v2
	s_waitcnt lgkmcnt(0)
	s_barrier
	s_and_saveexec_b64 s[0:1], vcc
	s_cbranch_execz .LBB171_47
; %bb.46:
	v_mov_b32_e32 v2, 0x90
	v_lshl_add_u32 v2, v1, 2, v2
	ds_read_b32 v2, v2
	s_waitcnt lgkmcnt(0)
	v_add_f32_e32 v0, v0, v2
.LBB171_47:
	s_or_b64 exec, exec, s[0:1]
	s_barrier
	s_and_saveexec_b64 s[0:1], vcc
	s_cbranch_execz .LBB171_49
; %bb.48:
	s_mul_i32 s0, s16, s12
	s_mul_i32 s0, s0, s5
	s_lshl_b32 s0, s0, 5
	s_ashr_i32 s1, s0, 31
	s_lshl_b64 s[0:1], s[0:1], 2
	s_add_u32 s2, s20, s0
	s_mul_i32 s0, s12, s18
	s_addc_u32 s3, s21, s1
	s_ashr_i32 s1, s0, 31
	s_lshl_b64 s[0:1], s[0:1], 2
	s_add_u32 s2, s2, s0
	s_addc_u32 s3, s3, s1
	s_lshl_b32 s0, s4, 5
	s_ashr_i32 s1, s0, 31
	s_lshl_b64 s[0:1], s[0:1], 2
	s_add_u32 s0, s2, s0
	s_addc_u32 s1, s3, s1
	v_lshlrev_b32_e32 v1, 2, v1
	global_store_dword v1, v0, s[0:1]
.LBB171_49:
	s_endpgm
	.section	.rodata,"a",@progbits
	.p2align	6, 0x0
	.amdhsa_kernel _ZN4vllm25paged_attention_v1_kernelIfhLi32ELi8ELi128ELNS_18Fp8KVCacheDataTypeE1ELb0EEEvPT_PKS2_PKT0_S8_ifPKiSA_iPKfiiiSC_SC_iiiii
		.amdhsa_group_segment_fixed_size 144
		.amdhsa_private_segment_fixed_size 0
		.amdhsa_kernarg_size 384
		.amdhsa_user_sgpr_count 2
		.amdhsa_user_sgpr_dispatch_ptr 0
		.amdhsa_user_sgpr_queue_ptr 0
		.amdhsa_user_sgpr_kernarg_segment_ptr 1
		.amdhsa_user_sgpr_dispatch_id 0
		.amdhsa_user_sgpr_kernarg_preload_length 0
		.amdhsa_user_sgpr_kernarg_preload_offset 0
		.amdhsa_user_sgpr_private_segment_size 0
		.amdhsa_uses_dynamic_stack 0
		.amdhsa_enable_private_segment 0
		.amdhsa_system_sgpr_workgroup_id_x 1
		.amdhsa_system_sgpr_workgroup_id_y 1
		.amdhsa_system_sgpr_workgroup_id_z 1
		.amdhsa_system_sgpr_workgroup_info 0
		.amdhsa_system_vgpr_workitem_id 0
		.amdhsa_next_free_vgpr 29
		.amdhsa_next_free_sgpr 37
		.amdhsa_accum_offset 32
		.amdhsa_reserve_vcc 1
		.amdhsa_float_round_mode_32 0
		.amdhsa_float_round_mode_16_64 0
		.amdhsa_float_denorm_mode_32 3
		.amdhsa_float_denorm_mode_16_64 3
		.amdhsa_dx10_clamp 1
		.amdhsa_ieee_mode 1
		.amdhsa_fp16_overflow 0
		.amdhsa_tg_split 0
		.amdhsa_exception_fp_ieee_invalid_op 0
		.amdhsa_exception_fp_denorm_src 0
		.amdhsa_exception_fp_ieee_div_zero 0
		.amdhsa_exception_fp_ieee_overflow 0
		.amdhsa_exception_fp_ieee_underflow 0
		.amdhsa_exception_fp_ieee_inexact 0
		.amdhsa_exception_int_div_zero 0
	.end_amdhsa_kernel
	.section	.text._ZN4vllm25paged_attention_v1_kernelIfhLi32ELi8ELi128ELNS_18Fp8KVCacheDataTypeE1ELb0EEEvPT_PKS2_PKT0_S8_ifPKiSA_iPKfiiiSC_SC_iiiii,"axG",@progbits,_ZN4vllm25paged_attention_v1_kernelIfhLi32ELi8ELi128ELNS_18Fp8KVCacheDataTypeE1ELb0EEEvPT_PKS2_PKT0_S8_ifPKiSA_iPKfiiiSC_SC_iiiii,comdat
.Lfunc_end171:
	.size	_ZN4vllm25paged_attention_v1_kernelIfhLi32ELi8ELi128ELNS_18Fp8KVCacheDataTypeE1ELb0EEEvPT_PKS2_PKT0_S8_ifPKiSA_iPKfiiiSC_SC_iiiii, .Lfunc_end171-_ZN4vllm25paged_attention_v1_kernelIfhLi32ELi8ELi128ELNS_18Fp8KVCacheDataTypeE1ELb0EEEvPT_PKS2_PKT0_S8_ifPKiSA_iPKfiiiSC_SC_iiiii
                                        ; -- End function
	.set _ZN4vllm25paged_attention_v1_kernelIfhLi32ELi8ELi128ELNS_18Fp8KVCacheDataTypeE1ELb0EEEvPT_PKS2_PKT0_S8_ifPKiSA_iPKfiiiSC_SC_iiiii.num_vgpr, 29
	.set _ZN4vllm25paged_attention_v1_kernelIfhLi32ELi8ELi128ELNS_18Fp8KVCacheDataTypeE1ELb0EEEvPT_PKS2_PKT0_S8_ifPKiSA_iPKfiiiSC_SC_iiiii.num_agpr, 0
	.set _ZN4vllm25paged_attention_v1_kernelIfhLi32ELi8ELi128ELNS_18Fp8KVCacheDataTypeE1ELb0EEEvPT_PKS2_PKT0_S8_ifPKiSA_iPKfiiiSC_SC_iiiii.numbered_sgpr, 37
	.set _ZN4vllm25paged_attention_v1_kernelIfhLi32ELi8ELi128ELNS_18Fp8KVCacheDataTypeE1ELb0EEEvPT_PKS2_PKT0_S8_ifPKiSA_iPKfiiiSC_SC_iiiii.num_named_barrier, 0
	.set _ZN4vllm25paged_attention_v1_kernelIfhLi32ELi8ELi128ELNS_18Fp8KVCacheDataTypeE1ELb0EEEvPT_PKS2_PKT0_S8_ifPKiSA_iPKfiiiSC_SC_iiiii.private_seg_size, 0
	.set _ZN4vllm25paged_attention_v1_kernelIfhLi32ELi8ELi128ELNS_18Fp8KVCacheDataTypeE1ELb0EEEvPT_PKS2_PKT0_S8_ifPKiSA_iPKfiiiSC_SC_iiiii.uses_vcc, 1
	.set _ZN4vllm25paged_attention_v1_kernelIfhLi32ELi8ELi128ELNS_18Fp8KVCacheDataTypeE1ELb0EEEvPT_PKS2_PKT0_S8_ifPKiSA_iPKfiiiSC_SC_iiiii.uses_flat_scratch, 0
	.set _ZN4vllm25paged_attention_v1_kernelIfhLi32ELi8ELi128ELNS_18Fp8KVCacheDataTypeE1ELb0EEEvPT_PKS2_PKT0_S8_ifPKiSA_iPKfiiiSC_SC_iiiii.has_dyn_sized_stack, 0
	.set _ZN4vllm25paged_attention_v1_kernelIfhLi32ELi8ELi128ELNS_18Fp8KVCacheDataTypeE1ELb0EEEvPT_PKS2_PKT0_S8_ifPKiSA_iPKfiiiSC_SC_iiiii.has_recursion, 0
	.set _ZN4vllm25paged_attention_v1_kernelIfhLi32ELi8ELi128ELNS_18Fp8KVCacheDataTypeE1ELb0EEEvPT_PKS2_PKT0_S8_ifPKiSA_iPKfiiiSC_SC_iiiii.has_indirect_call, 0
	.section	.AMDGPU.csdata,"",@progbits
; Kernel info:
; codeLenInByte = 3044
; TotalNumSgprs: 43
; NumVgprs: 29
; NumAgprs: 0
; TotalNumVgprs: 29
; ScratchSize: 0
; MemoryBound: 0
; FloatMode: 240
; IeeeMode: 1
; LDSByteSize: 144 bytes/workgroup (compile time only)
; SGPRBlocks: 5
; VGPRBlocks: 3
; NumSGPRsForWavesPerEU: 43
; NumVGPRsForWavesPerEU: 29
; AccumOffset: 32
; Occupancy: 8
; WaveLimiterHint : 1
; COMPUTE_PGM_RSRC2:SCRATCH_EN: 0
; COMPUTE_PGM_RSRC2:USER_SGPR: 2
; COMPUTE_PGM_RSRC2:TRAP_HANDLER: 0
; COMPUTE_PGM_RSRC2:TGID_X_EN: 1
; COMPUTE_PGM_RSRC2:TGID_Y_EN: 1
; COMPUTE_PGM_RSRC2:TGID_Z_EN: 1
; COMPUTE_PGM_RSRC2:TIDIG_COMP_CNT: 0
; COMPUTE_PGM_RSRC3_GFX90A:ACCUM_OFFSET: 7
; COMPUTE_PGM_RSRC3_GFX90A:TG_SPLIT: 0
	.section	.text._ZN4vllm25paged_attention_v1_kernelIfhLi64ELi8ELi128ELNS_18Fp8KVCacheDataTypeE1ELb0EEEvPT_PKS2_PKT0_S8_ifPKiSA_iPKfiiiSC_SC_iiiii,"axG",@progbits,_ZN4vllm25paged_attention_v1_kernelIfhLi64ELi8ELi128ELNS_18Fp8KVCacheDataTypeE1ELb0EEEvPT_PKS2_PKT0_S8_ifPKiSA_iPKfiiiSC_SC_iiiii,comdat
	.protected	_ZN4vllm25paged_attention_v1_kernelIfhLi64ELi8ELi128ELNS_18Fp8KVCacheDataTypeE1ELb0EEEvPT_PKS2_PKT0_S8_ifPKiSA_iPKfiiiSC_SC_iiiii ; -- Begin function _ZN4vllm25paged_attention_v1_kernelIfhLi64ELi8ELi128ELNS_18Fp8KVCacheDataTypeE1ELb0EEEvPT_PKS2_PKT0_S8_ifPKiSA_iPKfiiiSC_SC_iiiii
	.globl	_ZN4vllm25paged_attention_v1_kernelIfhLi64ELi8ELi128ELNS_18Fp8KVCacheDataTypeE1ELb0EEEvPT_PKS2_PKT0_S8_ifPKiSA_iPKfiiiSC_SC_iiiii
	.p2align	8
	.type	_ZN4vllm25paged_attention_v1_kernelIfhLi64ELi8ELi128ELNS_18Fp8KVCacheDataTypeE1ELb0EEEvPT_PKS2_PKT0_S8_ifPKiSA_iPKfiiiSC_SC_iiiii,@function
_ZN4vllm25paged_attention_v1_kernelIfhLi64ELi8ELi128ELNS_18Fp8KVCacheDataTypeE1ELb0EEEvPT_PKS2_PKT0_S8_ifPKiSA_iPKfiiiSC_SC_iiiii: ; @_ZN4vllm25paged_attention_v1_kernelIfhLi64ELi8ELi128ELNS_18Fp8KVCacheDataTypeE1ELb0EEEvPT_PKS2_PKT0_S8_ifPKiSA_iPKfiiiSC_SC_iiiii
; %bb.0:
	s_load_dword s5, s[0:1], 0x80
	s_load_dwordx2 s[6:7], s[0:1], 0x30
	s_load_dwordx2 s[10:11], s[0:1], 0x20
	s_mov_b32 s20, s3
	s_ashr_i32 s21, s3, 31
	s_lshl_b64 s[8:9], s[20:21], 2
	s_waitcnt lgkmcnt(0)
	s_add_u32 s6, s6, s8
	s_addc_u32 s7, s7, s9
	s_abs_i32 s3, s10
	v_cvt_f32_u32_e32 v1, s3
	s_xor_b32 s8, s5, s10
	s_sub_i32 s10, 0, s3
	s_abs_i32 s9, s5
	v_rcp_iflag_f32_e32 v1, v1
	s_ashr_i32 s8, s8, 31
	v_mul_f32_e32 v1, 0x4f7ffffe, v1
	v_cvt_u32_f32_e32 v1, v1
	s_nop 0
	v_readfirstlane_b32 s12, v1
	s_mul_i32 s10, s10, s12
	s_mul_hi_u32 s10, s12, s10
	s_add_i32 s12, s12, s10
	s_mul_hi_u32 s10, s9, s12
	s_mul_i32 s12, s10, s3
	s_sub_i32 s9, s9, s12
	s_add_i32 s12, s10, 1
	s_sub_i32 s13, s9, s3
	s_cmp_ge_u32 s9, s3
	s_cselect_b32 s10, s12, s10
	s_cselect_b32 s9, s13, s9
	s_add_i32 s12, s10, 1
	s_cmp_ge_u32 s9, s3
	s_cselect_b32 s3, s12, s10
	s_xor_b32 s3, s3, s8
	s_sub_i32 s12, s3, s8
	s_abs_i32 s16, s12
	v_cvt_f32_u32_e32 v1, s16
	s_load_dwordx2 s[8:9], s[0:1], 0x40
	s_sub_i32 s3, 0, s16
	s_abs_i32 s17, s2
	v_rcp_iflag_f32_e32 v1, v1
	s_mov_b32 s10, 0
	v_mul_f32_e32 v1, 0x4f7ffffe, v1
	v_cvt_u32_f32_e32 v1, v1
	s_nop 0
	v_readfirstlane_b32 s13, v1
	s_mul_i32 s3, s3, s13
	s_mul_hi_u32 s3, s13, s3
	s_add_i32 s13, s13, s3
	s_waitcnt lgkmcnt(0)
	s_cmp_eq_u64 s[8:9], 0
	s_mul_hi_u32 s18, s17, s13
	s_cbranch_scc1 .LBB172_2
; %bb.1:
	s_ashr_i32 s3, s2, 31
	s_lshl_b64 s[14:15], s[2:3], 2
	s_add_u32 s8, s8, s14
	s_addc_u32 s9, s9, s15
	s_load_dword s10, s[8:9], 0x0
.LBB172_2:
	s_load_dword s33, s[6:7], 0x0
	s_ashr_i32 s7, s12, 31
	s_load_dwordx4 s[12:15], s[0:1], 0x48
	s_ashr_i32 s6, s2, 31
	v_and_b32_e32 v10, 7, v0
	s_lshl_b32 s22, s2, 6
	v_cmp_gt_u32_e64 s[8:9], 64, v0
	v_lshlrev_b32_e32 v14, 2, v0
	v_lshrrev_b32_e32 v1, 1, v0
	s_and_saveexec_b64 s[2:3], s[8:9]
	s_cbranch_execz .LBB172_4
; %bb.3:
	s_load_dwordx2 s[24:25], s[0:1], 0x8
	s_waitcnt lgkmcnt(0)
	s_mul_i32 s26, s12, s20
	s_ashr_i32 s27, s26, 31
	s_lshl_b64 s[26:27], s[26:27], 2
	v_and_b32_e32 v3, 0x1fc, v1
	s_add_u32 s12, s24, s26
	s_addc_u32 s15, s25, s27
	s_ashr_i32 s23, s22, 31
	s_lshl_b64 s[24:25], s[22:23], 2
	s_add_u32 s24, s12, s24
	s_addc_u32 s25, s15, s25
	global_load_dword v2, v14, s[24:25]
	v_lshl_add_u32 v3, v10, 5, v3
	s_waitcnt vmcnt(0)
	ds_write_b32 v3, v2
.LBB172_4:
	s_or_b64 exec, exec, s[2:3]
	s_waitcnt lgkmcnt(0)
	s_add_i32 s3, s33, 7
	s_ashr_i32 s12, s3, 31
	s_lshr_b32 s12, s12, 29
	s_add_i32 s3, s3, s12
	s_ashr_i32 s23, s3, 3
	s_xor_b32 s3, s6, s7
	s_mul_i32 s6, s18, s16
	s_sub_i32 s6, s17, s6
	s_add_i32 s7, s18, 1
	s_sub_i32 s12, s6, s16
	s_load_dwordx2 s[26:27], s[0:1], 0x28
	s_load_dword s2, s[0:1], 0x38
	s_cmp_ge_u32 s6, s16
	s_cselect_b32 s7, s7, s18
	s_cselect_b32 s6, s12, s6
	s_add_i32 s12, s7, 1
	s_cmp_ge_u32 s6, s16
	s_cselect_b32 s6, s12, s7
	v_lshrrev_b32_e32 v20, 6, v0
	s_xor_b32 s6, s6, s3
	s_waitcnt lgkmcnt(0)
	s_mul_i32 s28, s2, s20
	s_sub_i32 s12, s6, s3
	s_ashr_i32 s29, s28, 31
	v_cmp_gt_i32_e64 s[2:3], s23, v20
	v_cmp_le_i32_e32 vcc, s23, v20
	v_mbcnt_lo_u32_b32 v11, -1, 0
	s_barrier
                                        ; implicit-def: $vgpr16
                                        ; implicit-def: $vgpr18
                                        ; implicit-def: $vgpr17
	s_and_saveexec_b64 s[6:7], vcc
	s_xor_b64 s[6:7], exec, s[6:7]
; %bb.5:
	v_mbcnt_hi_u32_b32 v16, -1, v11
	v_and_b32_e32 v18, 64, v16
	v_add_u32_e32 v17, 64, v18
                                        ; implicit-def: $vgpr10
                                        ; implicit-def: $vgpr11
; %bb.6:
	s_or_saveexec_b64 s[34:35], s[6:7]
	s_load_dwordx2 s[24:25], s[0:1], 0x0
	s_load_dwordx2 s[30:31], s[0:1], 0x18
	s_load_dword s21, s[0:1], 0x88
	s_load_dwordx4 s[16:19], s[0:1], 0x58
	v_mov_b32_e32 v19, 0xff7fffff
	s_mul_i32 s12, s12, s14
	v_lshrrev_b32_e32 v15, 4, v0
	s_xor_b64 exec, exec, s[34:35]
	s_cbranch_execz .LBB172_12
; %bb.7:
	v_mbcnt_hi_u32_b32 v16, -1, v11
	v_and_b32_e32 v18, 64, v16
	v_add_u32_e32 v17, 64, v18
	v_xor_b32_e32 v11, 4, v16
	s_load_dwordx2 s[0:1], s[0:1], 0x10
	v_cmp_lt_i32_e32 vcc, v11, v17
	s_ashr_i32 s6, s12, 31
	v_bfe_u32 v19, v0, 3, 3
	v_cndmask_b32_e32 v11, v16, v11, vcc
	v_lshlrev_b32_e32 v21, 2, v11
	v_xor_b32_e32 v11, 2, v16
	v_cmp_lt_i32_e32 vcc, v11, v17
	s_waitcnt lgkmcnt(0)
	s_add_u32 s0, s0, s12
	v_lshlrev_b32_e32 v6, 5, v10
	v_cndmask_b32_e32 v11, v16, v11, vcc
	v_lshlrev_b32_e32 v22, 2, v11
	v_xor_b32_e32 v11, 1, v16
	v_lshlrev_b32_e32 v12, 4, v19
	s_addc_u32 s1, s1, s6
	v_mov_b32_e32 v13, 0
	ds_read_b128 v[2:5], v6
	ds_read_b128 v[6:9], v6 offset:16
	v_cmp_lt_i32_e32 vcc, v11, v17
	s_load_dword s37, s[16:17], 0x0
	v_lshl_add_u64 v[24:25], s[0:1], 0, v[12:13]
	v_cndmask_b32_e32 v11, v16, v11, vcc
	s_sub_i32 s38, 1, s33
	v_lshlrev_b32_e32 v12, 2, v19
	s_lshl_b64 s[6:7], s[28:29], 2
	v_lshlrev_b32_e32 v23, 2, v11
	v_mov_b32_e32 v11, v13
	v_lshl_or_b32 v12, v20, 5, v12
	s_add_u32 s6, s26, s6
	v_cmp_eq_u32_e32 vcc, 0, v10
	v_lshl_add_u64 v[10:11], v[24:25], 0, v[10:11]
	v_add_u32_e32 v25, 0x110, v12
	v_and_b32_e32 v12, 60, v15
	s_addc_u32 s7, s27, s7
	s_mov_b32 s36, s13
	v_cmp_neq_f32_e64 s[0:1], s10, 0
	v_lshl_or_b32 v24, v20, 3, v19
	v_lshl_add_u64 v[12:13], s[6:7], 0, v[12:13]
	v_mov_b32_e32 v19, 0xff7fffff
	s_mov_b64 s[14:15], 0
	v_mov_b32_e32 v26, v20
	s_branch .LBB172_9
.LBB172_8:                              ;   in Loop: Header=BB172_9 Depth=1
	s_or_b64 exec, exec, s[16:17]
	v_add_u32_e32 v26, 2, v26
	v_cmp_le_i32_e64 s[6:7], s23, v26
	v_add_u32_e32 v24, 16, v24
	v_add_u32_e32 v25, 64, v25
	s_or_b64 s[14:15], s[6:7], s[14:15]
	v_lshl_add_u64 v[12:13], v[12:13], 0, 8
	s_andn2_b64 exec, exec, s[14:15]
	s_cbranch_execz .LBB172_11
.LBB172_9:                              ; =>This Inner Loop Header: Depth=1
	global_load_dword v27, v[12:13], off
	s_waitcnt vmcnt(0) lgkmcnt(0)
	v_mad_i64_i32 v[28:29], s[6:7], v27, s36, v[10:11]
	global_load_ubyte v27, v[28:29], off
	global_load_ubyte v30, v[28:29], off offset:8
	global_load_ubyte v31, v[28:29], off offset:128
	;; [unrolled: 1-line block ×7, first 2 shown]
	s_waitcnt vmcnt(7)
	v_cvt_f32_fp8_e32 v27, v27
	s_waitcnt vmcnt(6)
	v_cvt_f32_fp8_e32 v28, v30
	;; [unrolled: 2-line block ×5, first 2 shown]
	s_waitcnt lgkmcnt(0)
	v_mul_f32_e32 v28, s37, v28
	s_waitcnt vmcnt(2)
	v_cvt_f32_fp8_e32 v32, v34
	v_mul_f32_e32 v27, s37, v27
	v_mul_f32_e32 v28, v3, v28
	s_waitcnt vmcnt(1)
	v_cvt_f32_fp8_e32 v33, v35
	v_mul_f32_e32 v29, s37, v29
	v_fmac_f32_e32 v28, v2, v27
	s_waitcnt vmcnt(0)
	v_cvt_f32_fp8_e32 v34, v36
	v_mul_f32_e32 v30, s37, v30
	v_fmac_f32_e32 v28, v4, v29
	v_mul_f32_e32 v31, s37, v31
	v_fmac_f32_e32 v28, v5, v30
	;; [unrolled: 2-line block ×5, first 2 shown]
	v_fmac_f32_e32 v28, v9, v34
	ds_bpermute_b32 v27, v21, v28
	s_waitcnt lgkmcnt(0)
	v_add_f32_e32 v27, v28, v27
	ds_bpermute_b32 v28, v22, v27
	s_waitcnt lgkmcnt(0)
	v_add_f32_e32 v27, v27, v28
	ds_bpermute_b32 v28, v23, v27
	s_and_saveexec_b64 s[16:17], vcc
	s_cbranch_execz .LBB172_8
; %bb.10:                               ;   in Loop: Header=BB172_9 Depth=1
	v_add_u32_e32 v29, s38, v24
	v_cvt_f32_i32_e32 v29, v29
	s_waitcnt lgkmcnt(0)
	v_add_f32_e32 v27, v27, v28
	v_cmp_gt_i32_e64 s[6:7], s33, v24
	v_max_f32_e32 v28, v19, v19
	v_mul_f32_e32 v29, s10, v29
	v_cndmask_b32_e64 v29, 0, v29, s[0:1]
	v_fmac_f32_e32 v29, s11, v27
	v_cndmask_b32_e64 v27, 0, v29, s[6:7]
	ds_write_b32 v25, v27
	v_max_f32_e32 v27, v28, v29
	v_cndmask_b32_e64 v19, v19, v27, s[6:7]
	s_branch .LBB172_8
.LBB172_11:
	s_or_b64 exec, exec, s[14:15]
.LBB172_12:
	s_or_b64 exec, exec, s[34:35]
	v_xor_b32_e32 v2, 32, v16
	v_cmp_lt_i32_e32 vcc, v2, v17
	v_xor_b32_e32 v5, 16, v16
	v_max_f32_e32 v4, v19, v19
	v_cndmask_b32_e32 v2, v16, v2, vcc
	v_lshlrev_b32_e32 v3, 2, v2
	ds_bpermute_b32 v2, v3, v19
	v_cmp_lt_i32_e32 vcc, v5, v17
	v_xor_b32_e32 v6, 8, v16
	v_and_b32_e32 v21, 63, v0
	s_waitcnt lgkmcnt(0)
	v_max_f32_e32 v2, v2, v2
	v_max_f32_e32 v2, v4, v2
	v_cndmask_b32_e32 v4, v16, v5, vcc
	v_lshlrev_b32_e32 v5, 2, v4
	ds_bpermute_b32 v4, v5, v2
	v_cmp_lt_i32_e32 vcc, v6, v17
	s_waitcnt lgkmcnt(0)
	v_max_f32_e32 v4, v4, v4
	v_max_f32_e32 v4, v2, v4
	v_cndmask_b32_e32 v2, v16, v6, vcc
	v_lshlrev_b32_e32 v6, 2, v2
	ds_bpermute_b32 v7, v6, v4
	v_cmp_eq_u32_e32 vcc, 0, v21
	v_lshlrev_b32_e32 v2, 2, v20
	s_and_saveexec_b64 s[0:1], vcc
	s_cbranch_execz .LBB172_14
; %bb.13:
	s_waitcnt lgkmcnt(0)
	v_max_f32_e32 v7, v7, v7
	v_max_f32_e32 v4, v4, v4
	;; [unrolled: 1-line block ×3, first 2 shown]
	ds_write_b32 v2, v4 offset:256
.LBB172_14:
	s_or_b64 exec, exec, s[0:1]
	v_cmp_gt_u32_e64 s[0:1], 2, v21
	s_waitcnt lgkmcnt(0)
	v_mov_b32_e32 v7, 0xff7fffff
	v_lshlrev_b32_e32 v4, 2, v21
	s_barrier
	s_and_saveexec_b64 s[6:7], s[0:1]
; %bb.15:
	ds_read_b32 v7, v4 offset:256
; %bb.16:
	s_or_b64 exec, exec, s[6:7]
	v_xor_b32_e32 v8, 1, v16
	v_cmp_lt_i32_e64 s[6:7], v8, v17
	s_nop 1
	v_cndmask_b32_e64 v8, v16, v8, s[6:7]
	v_lshlrev_b32_e32 v22, 2, v8
	s_waitcnt lgkmcnt(0)
	ds_bpermute_b32 v8, v22, v7
	v_max_f32_e32 v7, v7, v7
	s_lshl_b32 s6, s23, 3
	s_min_i32 s34, s6, s33
	v_cmp_gt_i32_e64 s[6:7], s34, v0
	s_waitcnt lgkmcnt(0)
	v_max_f32_e32 v8, v8, v8
	v_max_f32_e32 v7, v7, v8
	v_lshlrev_b32_e32 v8, 2, v18
	ds_bpermute_b32 v8, v8, v7
	v_mov_b32_e32 v7, 0
	s_and_saveexec_b64 s[14:15], s[6:7]
	s_cbranch_execz .LBB172_20
; %bb.17:
	v_mov_b32_e32 v7, 0x110
	v_lshl_add_u32 v9, v0, 2, v7
	v_mov_b32_e32 v7, 0
	s_mov_b64 s[16:17], 0
	v_mov_b32_e32 v10, v0
.LBB172_18:                             ; =>This Inner Loop Header: Depth=1
	ds_read_b32 v11, v9
	v_add_u32_e32 v10, 0x80, v10
	v_cmp_le_i32_e64 s[10:11], s34, v10
	s_or_b64 s[16:17], s[10:11], s[16:17]
	s_waitcnt lgkmcnt(0)
	v_sub_f32_e32 v11, v11, v8
	v_mul_f32_e32 v11, 0x3fb8aa3b, v11
	v_exp_f32_e32 v11, v11
	ds_write_b32 v9, v11
	v_add_f32_e32 v7, v7, v11
	v_add_u32_e32 v9, 0x200, v9
	s_andn2_b64 exec, exec, s[16:17]
	s_cbranch_execnz .LBB172_18
; %bb.19:
	s_or_b64 exec, exec, s[16:17]
.LBB172_20:
	s_or_b64 exec, exec, s[14:15]
	ds_bpermute_b32 v3, v3, v7
	s_waitcnt lgkmcnt(0)
	v_add_f32_e32 v3, v7, v3
	ds_bpermute_b32 v5, v5, v3
	s_waitcnt lgkmcnt(0)
	v_add_f32_e32 v3, v3, v5
	ds_bpermute_b32 v5, v6, v3
	v_xor_b32_e32 v6, 4, v16
	v_cmp_lt_i32_e64 s[10:11], v6, v17
	s_waitcnt lgkmcnt(0)
	v_add_f32_e32 v3, v3, v5
	v_cndmask_b32_e64 v6, v16, v6, s[10:11]
	v_lshlrev_b32_e32 v6, 2, v6
	ds_bpermute_b32 v5, v6, v3
	v_xor_b32_e32 v6, 2, v16
	v_cmp_lt_i32_e64 s[10:11], v6, v17
	s_waitcnt lgkmcnt(0)
	v_add_f32_e32 v3, v3, v5
	v_cndmask_b32_e64 v6, v16, v6, s[10:11]
	v_lshlrev_b32_e32 v5, 2, v6
	ds_bpermute_b32 v5, v5, v3
	s_waitcnt lgkmcnt(0)
	v_add_f32_e32 v3, v3, v5
	ds_bpermute_b32 v5, v22, v3
	s_waitcnt lgkmcnt(0)
	v_add_f32_e32 v3, v3, v5
	s_and_saveexec_b64 s[10:11], vcc
; %bb.21:
	ds_write_b32 v2, v3 offset:264
; %bb.22:
	s_or_b64 exec, exec, s[10:11]
	s_waitcnt lgkmcnt(0)
	s_barrier
	s_and_saveexec_b64 s[10:11], s[0:1]
; %bb.23:
	ds_read_b32 v3, v4 offset:264
; %bb.24:
	s_or_b64 exec, exec, s[10:11]
	s_waitcnt lgkmcnt(0)
	ds_bpermute_b32 v2, v22, v3
	v_lshlrev_b32_e32 v4, 2, v16
	s_waitcnt lgkmcnt(0)
	v_add_f32_e32 v2, v3, v2
	v_and_b32_e32 v3, 0xffffff00, v4
	ds_bpermute_b32 v2, v3, v2
	s_and_saveexec_b64 s[0:1], s[6:7]
	s_cbranch_execz .LBB172_37
; %bb.25:
	s_waitcnt lgkmcnt(0)
	v_add_f32_e32 v2, 0x358637bd, v2
	v_div_scale_f32 v3, s[6:7], v2, v2, 1.0
	v_rcp_f32_e32 v4, v3
	v_div_scale_f32 v5, vcc, 1.0, v2, 1.0
	s_movk_i32 s6, 0x7f
	v_fma_f32 v6, -v3, v4, 1.0
	v_fmac_f32_e32 v4, v6, v4
	v_mul_f32_e32 v6, v5, v4
	v_fma_f32 v7, -v3, v6, v5
	v_fmac_f32_e32 v6, v7, v4
	v_fma_f32 v3, -v3, v6, v5
	v_div_fmas_f32 v3, v3, v4, v6
	v_xad_u32 v4, v0, -1, s34
	v_div_fixup_f32 v2, v3, v2, 1.0
	v_cmp_lt_u32_e32 vcc, s6, v4
	s_mov_b64 s[10:11], -1
	v_mov_b32_e32 v3, v0
	s_and_saveexec_b64 s[6:7], vcc
	s_cbranch_execz .LBB172_34
; %bb.26:
	v_lshrrev_b32_e32 v4, 7, v4
	v_add_u32_e32 v6, -1, v4
	v_lshrrev_b32_e32 v5, 1, v6
	v_mov_b32_e32 v3, v2
	v_add_u32_e32 v5, 1, v5
	v_cmp_lt_u32_e32 vcc, 13, v6
	v_mov_b32_e32 v8, 0
	s_and_saveexec_b64 s[10:11], vcc
	s_cbranch_execz .LBB172_30
; %bb.27:
	v_mov_b32_e32 v7, 0x110
	v_and_b32_e32 v6, -8, v5
	v_lshl_add_u32 v7, v0, 2, v7
	s_mov_b32 s16, 0
	s_mov_b64 s[14:15], 0
.LBB172_28:                             ; =>This Inner Loop Header: Depth=1
	ds_read2st64_b32 v[8:9], v7 offset1:2
	ds_read2st64_b32 v[10:11], v7 offset0:4 offset1:6
	ds_read2st64_b32 v[12:13], v7 offset0:8 offset1:10
	;; [unrolled: 1-line block ×3, first 2 shown]
	v_add_u32_e32 v6, -8, v6
	s_waitcnt lgkmcnt(3)
	v_pk_mul_f32 v[8:9], v[2:3], v[8:9]
	s_waitcnt lgkmcnt(2)
	v_pk_mul_f32 v[10:11], v[2:3], v[10:11]
	ds_write2st64_b32 v7, v8, v9 offset1:2
	ds_write2st64_b32 v7, v10, v11 offset0:4 offset1:6
	ds_read2st64_b32 v[10:11], v7 offset0:16 offset1:18
	s_waitcnt lgkmcnt(4)
	v_pk_mul_f32 v[8:9], v[2:3], v[12:13]
	ds_write2st64_b32 v7, v8, v9 offset0:8 offset1:10
	s_waitcnt lgkmcnt(4)
	v_pk_mul_f32 v[8:9], v[2:3], v[16:17]
	ds_write2st64_b32 v7, v8, v9 offset0:12 offset1:14
	ds_read2st64_b32 v[8:9], v7 offset0:20 offset1:22
	s_waitcnt lgkmcnt(3)
	v_pk_mul_f32 v[10:11], v[2:3], v[10:11]
	ds_read2st64_b32 v[12:13], v7 offset0:24 offset1:26
	ds_write2st64_b32 v7, v10, v11 offset0:16 offset1:18
	ds_read2st64_b32 v[10:11], v7 offset0:28 offset1:30
	s_waitcnt lgkmcnt(3)
	v_pk_mul_f32 v[8:9], v[2:3], v[8:9]
	ds_write2st64_b32 v7, v8, v9 offset0:20 offset1:22
	s_waitcnt lgkmcnt(3)
	v_pk_mul_f32 v[8:9], v[2:3], v[12:13]
	ds_write2st64_b32 v7, v8, v9 offset0:24 offset1:26
	s_waitcnt lgkmcnt(2)
	v_pk_mul_f32 v[8:9], v[2:3], v[10:11]
	s_add_i32 s16, s16, 16
	v_cmp_eq_u32_e32 vcc, 0, v6
	ds_write2st64_b32 v7, v8, v9 offset0:28 offset1:30
	v_add_u32_e32 v7, 0x2000, v7
	s_or_b64 s[14:15], vcc, s[14:15]
	v_mov_b32_e32 v8, s16
	s_andn2_b64 exec, exec, s[14:15]
	s_cbranch_execnz .LBB172_28
; %bb.29:
	s_or_b64 exec, exec, s[14:15]
.LBB172_30:
	s_or_b64 exec, exec, s[10:11]
	v_and_b32_e32 v5, 7, v5
	v_cmp_ne_u32_e32 vcc, 0, v5
	s_and_saveexec_b64 s[10:11], vcc
	s_cbranch_execz .LBB172_33
; %bb.31:
	v_lshlrev_b32_e32 v6, 9, v8
	s_movk_i32 s14, 0x110
	v_add3_u32 v6, v6, v14, s14
	s_mov_b64 s[14:15], 0
.LBB172_32:                             ; =>This Inner Loop Header: Depth=1
	ds_read2st64_b32 v[8:9], v6 offset1:2
	v_add_u32_e32 v5, -1, v5
	v_cmp_eq_u32_e32 vcc, 0, v5
	s_or_b64 s[14:15], vcc, s[14:15]
	s_waitcnt lgkmcnt(0)
	v_pk_mul_f32 v[8:9], v[2:3], v[8:9]
	ds_write2st64_b32 v6, v8, v9 offset1:2
	v_add_u32_e32 v6, 0x400, v6
	s_andn2_b64 exec, exec, s[14:15]
	s_cbranch_execnz .LBB172_32
.LBB172_33:
	s_or_b64 exec, exec, s[10:11]
	v_add_u32_e32 v4, 1, v4
	v_and_b32_e32 v5, 0x3fffffe, v4
	v_cmp_ne_u32_e32 vcc, v4, v5
	v_lshl_add_u32 v3, v5, 7, v0
	s_orn2_b64 s[10:11], vcc, exec
.LBB172_34:
	s_or_b64 exec, exec, s[6:7]
	s_and_b64 exec, exec, s[10:11]
	s_cbranch_execz .LBB172_37
; %bb.35:
	v_mov_b32_e32 v4, 0x110
	v_lshl_add_u32 v4, v3, 2, v4
	s_mov_b64 s[6:7], 0
.LBB172_36:                             ; =>This Inner Loop Header: Depth=1
	ds_read_b32 v5, v4
	v_add_u32_e32 v3, 0x80, v3
	v_cmp_le_i32_e32 vcc, s34, v3
	s_or_b64 s[6:7], vcc, s[6:7]
	s_waitcnt lgkmcnt(0)
	v_mul_f32_e32 v5, v2, v5
	ds_write_b32 v4, v5
	v_add_u32_e32 v4, 0x200, v4
	s_andn2_b64 exec, exec, s[6:7]
	s_cbranch_execnz .LBB172_36
.LBB172_37:
	s_or_b64 exec, exec, s[0:1]
	v_mov_b32_e32 v7, 0
	v_and_b32_e32 v23, 1, v0
	v_mov_b32_e32 v6, 0
	s_waitcnt lgkmcnt(0)
	s_barrier
	s_and_saveexec_b64 s[6:7], s[2:3]
	s_cbranch_execz .LBB172_45
; %bb.38:
	s_ashr_i32 s1, s12, 31
	s_load_dword s2, s[18:19], 0x0
	s_add_u32 s0, s30, s12
	s_addc_u32 s1, s31, s1
	v_and_b32_e32 v6, 0xfc, v14
	v_mov_b32_e32 v7, 0
	v_and_b32_e32 v2, 4, v14
	s_add_i32 s15, s23, -1
	v_lshl_add_u64 v[8:9], s[0:1], 0, v[6:7]
	s_lshl_b64 s[0:1], s[28:29], 2
	v_lshl_or_b32 v24, v20, 3, v2
	v_lshlrev_b32_e32 v2, 4, v23
	s_add_u32 s0, s26, s0
	v_lshl_or_b32 v2, v20, 5, v2
	v_and_b32_e32 v6, 60, v15
	s_addc_u32 s1, s27, s1
	s_mov_b32 s14, s13
	s_waitcnt lgkmcnt(0)
	s_mov_b32 s3, s2
	s_mov_b32 s16, s33
	v_add_u32_e32 v25, 0x110, v2
	v_lshl_add_u64 v[10:11], s[0:1], 0, v[6:7]
	s_mov_b64 s[10:11], 0
	v_mov_b32_e32 v6, v7
	s_branch .LBB172_40
.LBB172_39:                             ;   in Loop: Header=BB172_40 Depth=1
	s_or_b64 exec, exec, s[0:1]
	s_waitcnt lgkmcnt(0)
	v_mul_f32_e32 v14, v2, v14
	v_fmac_f32_e32 v14, v3, v15
	v_fmac_f32_e32 v14, v4, v12
	v_pk_mul_f32 v[2:3], v[2:3], v[18:19]
	v_fmac_f32_e32 v14, v5, v13
	v_pk_mul_f32 v[4:5], v[4:5], v[16:17]
	v_add_f32_e32 v2, v3, v2
	v_add_f32_e32 v2, v4, v2
	v_add_u32_e32 v20, 2, v20
	v_add_f32_e32 v2, v5, v2
	v_cmp_le_i32_e32 vcc, s23, v20
	v_add_f32_e32 v6, v6, v14
	v_add_f32_e32 v7, v7, v2
	v_add_u32_e32 v24, 16, v24
	v_add_u32_e32 v25, 64, v25
	s_or_b64 s[10:11], vcc, s[10:11]
	v_lshl_add_u64 v[10:11], v[10:11], 0, 8
	s_andn2_b64 exec, exec, s[10:11]
	s_cbranch_execz .LBB172_44
.LBB172_40:                             ; =>This Inner Loop Header: Depth=1
	global_load_dword v2, v[10:11], off
	v_cmp_eq_u32_e32 vcc, s15, v20
	v_add_u32_e32 v26, 1, v24
	s_waitcnt vmcnt(0)
	v_mad_i64_i32 v[16:17], s[0:1], v2, s14, v[8:9]
	global_load_dword v2, v[16:17], off
	s_waitcnt vmcnt(0)
	v_and_b32_e32 v3, 0xffff, v2
	v_lshrrev_b32_e32 v2, 16, v2
	v_cvt_pk_f32_fp8_e32 v[12:13], v3
	v_cvt_pk_f32_fp8_e32 v[18:19], v2
	ds_read_b128 v[2:5], v25
	v_pk_mul_f32 v[14:15], s[2:3], v[12:13]
	v_pk_mul_f32 v[12:13], s[2:3], v[18:19]
	s_and_saveexec_b64 s[12:13], vcc
	s_cbranch_execz .LBB172_42
; %bb.41:                               ;   in Loop: Header=BB172_40 Depth=1
	v_cmp_gt_i32_e64 s[0:1], s33, v24
	v_add_u32_e32 v18, 2, v24
	s_nop 0
	v_cndmask_b32_e64 v14, 0, v14, s[0:1]
	v_cmp_gt_i32_e64 s[0:1], s33, v26
	s_nop 1
	v_cndmask_b32_e64 v15, 0, v15, s[0:1]
	v_cmp_gt_i32_e64 s[0:1], s33, v18
	v_add_u32_e32 v18, 3, v24
	s_nop 0
	v_cndmask_b32_e64 v12, 0, v12, s[0:1]
	v_cmp_gt_i32_e64 s[0:1], s33, v18
	s_nop 1
	v_cndmask_b32_e64 v13, 0, v13, s[0:1]
.LBB172_42:                             ;   in Loop: Header=BB172_40 Depth=1
	s_or_b64 exec, exec, s[12:13]
	global_load_dword v16, v[16:17], off offset:256
	s_waitcnt vmcnt(0)
	v_and_b32_e32 v17, 0xffff, v16
	v_lshrrev_b32_e32 v18, 16, v16
	v_cvt_pk_f32_fp8_e32 v[16:17], v17
	v_cvt_pk_f32_fp8_e32 v[28:29], v18
	v_pk_mul_f32 v[18:19], s[2:3], v[16:17]
	v_pk_mul_f32 v[16:17], s[2:3], v[28:29]
	s_and_saveexec_b64 s[0:1], vcc
	s_cbranch_execz .LBB172_39
; %bb.43:                               ;   in Loop: Header=BB172_40 Depth=1
	v_cmp_gt_i32_e32 vcc, s16, v26
	v_or_b32_e32 v26, 3, v24
	v_or_b32_e32 v27, 2, v24
	v_cndmask_b32_e32 v19, 0, v19, vcc
	v_cmp_gt_i32_e32 vcc, s33, v24
	s_nop 1
	v_cndmask_b32_e32 v18, 0, v18, vcc
	v_cmp_gt_i32_e32 vcc, s16, v26
	s_nop 1
	;; [unrolled: 3-line block ×3, first 2 shown]
	v_cndmask_b32_e32 v16, 0, v16, vcc
	s_branch .LBB172_39
.LBB172_44:
	s_or_b64 exec, exec, s[10:11]
.LBB172_45:
	s_or_b64 exec, exec, s[6:7]
	ds_bpermute_b32 v2, v22, v6
	ds_bpermute_b32 v3, v22, v7
	v_and_b32_e32 v0, 0x3c1, v0
	v_cmp_eq_u32_e32 vcc, 64, v0
	s_waitcnt lgkmcnt(0)
	s_barrier
	v_pk_add_f32 v[2:3], v[6:7], v[2:3]
	s_and_saveexec_b64 s[0:1], vcc
; %bb.46:
	v_mov_b32_e32 v4, 0x110
	v_lshl_add_u32 v4, v21, 1, v4
	ds_write2_b32 v4, v2, v3 offset1:32
; %bb.47:
	s_or_b64 exec, exec, s[0:1]
	s_waitcnt lgkmcnt(0)
	s_barrier
	s_and_saveexec_b64 s[0:1], s[8:9]
	s_cbranch_execz .LBB172_53
; %bb.48:
	v_mov_b32_e32 v4, 0x110
	v_cmp_eq_u32_e32 vcc, 0, v23
	v_lshl_add_u32 v4, v1, 2, v4
	s_and_saveexec_b64 s[2:3], vcc
	s_cbranch_execz .LBB172_50
; %bb.49:
	ds_read_b32 v5, v4
	s_waitcnt lgkmcnt(0)
	v_add_f32_e32 v2, v2, v5
.LBB172_50:
	s_or_b64 exec, exec, s[2:3]
	s_and_saveexec_b64 s[2:3], vcc
	s_cbranch_execz .LBB172_52
; %bb.51:
	ds_read_b32 v4, v4 offset:128
	s_waitcnt lgkmcnt(0)
	v_add_f32_e32 v3, v3, v4
.LBB172_52:
	s_or_b64 exec, exec, s[2:3]
.LBB172_53:
	s_or_b64 exec, exec, s[0:1]
	v_cmp_eq_u32_e32 vcc, 0, v0
	s_barrier
	s_and_saveexec_b64 s[0:1], vcc
	s_cbranch_execz .LBB172_55
; %bb.54:
	s_mul_i32 s0, s20, s21
	s_mul_i32 s0, s0, s5
	s_lshl_b32 s0, s0, 6
	s_ashr_i32 s1, s0, 31
	s_lshl_b64 s[0:1], s[0:1], 2
	s_add_u32 s2, s24, s0
	s_mul_i32 s0, s21, s22
	s_addc_u32 s3, s25, s1
	s_ashr_i32 s1, s0, 31
	s_lshl_b64 s[0:1], s[0:1], 2
	s_add_u32 s2, s2, s0
	s_addc_u32 s3, s3, s1
	s_lshl_b32 s0, s4, 6
	s_ashr_i32 s1, s0, 31
	s_lshl_b64 s[0:1], s[0:1], 2
	s_add_u32 s0, s2, s0
	s_addc_u32 s1, s3, s1
	v_lshlrev_b32_e32 v0, 2, v1
	global_store_dword v0, v2, s[0:1]
	global_store_dword v0, v3, s[0:1] offset:128
.LBB172_55:
	s_endpgm
	.section	.rodata,"a",@progbits
	.p2align	6, 0x0
	.amdhsa_kernel _ZN4vllm25paged_attention_v1_kernelIfhLi64ELi8ELi128ELNS_18Fp8KVCacheDataTypeE1ELb0EEEvPT_PKS2_PKT0_S8_ifPKiSA_iPKfiiiSC_SC_iiiii
		.amdhsa_group_segment_fixed_size 272
		.amdhsa_private_segment_fixed_size 0
		.amdhsa_kernarg_size 384
		.amdhsa_user_sgpr_count 2
		.amdhsa_user_sgpr_dispatch_ptr 0
		.amdhsa_user_sgpr_queue_ptr 0
		.amdhsa_user_sgpr_kernarg_segment_ptr 1
		.amdhsa_user_sgpr_dispatch_id 0
		.amdhsa_user_sgpr_kernarg_preload_length 0
		.amdhsa_user_sgpr_kernarg_preload_offset 0
		.amdhsa_user_sgpr_private_segment_size 0
		.amdhsa_uses_dynamic_stack 0
		.amdhsa_enable_private_segment 0
		.amdhsa_system_sgpr_workgroup_id_x 1
		.amdhsa_system_sgpr_workgroup_id_y 1
		.amdhsa_system_sgpr_workgroup_id_z 1
		.amdhsa_system_sgpr_workgroup_info 0
		.amdhsa_system_vgpr_workitem_id 0
		.amdhsa_next_free_vgpr 37
		.amdhsa_next_free_sgpr 39
		.amdhsa_accum_offset 40
		.amdhsa_reserve_vcc 1
		.amdhsa_float_round_mode_32 0
		.amdhsa_float_round_mode_16_64 0
		.amdhsa_float_denorm_mode_32 3
		.amdhsa_float_denorm_mode_16_64 3
		.amdhsa_dx10_clamp 1
		.amdhsa_ieee_mode 1
		.amdhsa_fp16_overflow 0
		.amdhsa_tg_split 0
		.amdhsa_exception_fp_ieee_invalid_op 0
		.amdhsa_exception_fp_denorm_src 0
		.amdhsa_exception_fp_ieee_div_zero 0
		.amdhsa_exception_fp_ieee_overflow 0
		.amdhsa_exception_fp_ieee_underflow 0
		.amdhsa_exception_fp_ieee_inexact 0
		.amdhsa_exception_int_div_zero 0
	.end_amdhsa_kernel
	.section	.text._ZN4vllm25paged_attention_v1_kernelIfhLi64ELi8ELi128ELNS_18Fp8KVCacheDataTypeE1ELb0EEEvPT_PKS2_PKT0_S8_ifPKiSA_iPKfiiiSC_SC_iiiii,"axG",@progbits,_ZN4vllm25paged_attention_v1_kernelIfhLi64ELi8ELi128ELNS_18Fp8KVCacheDataTypeE1ELb0EEEvPT_PKS2_PKT0_S8_ifPKiSA_iPKfiiiSC_SC_iiiii,comdat
.Lfunc_end172:
	.size	_ZN4vllm25paged_attention_v1_kernelIfhLi64ELi8ELi128ELNS_18Fp8KVCacheDataTypeE1ELb0EEEvPT_PKS2_PKT0_S8_ifPKiSA_iPKfiiiSC_SC_iiiii, .Lfunc_end172-_ZN4vllm25paged_attention_v1_kernelIfhLi64ELi8ELi128ELNS_18Fp8KVCacheDataTypeE1ELb0EEEvPT_PKS2_PKT0_S8_ifPKiSA_iPKfiiiSC_SC_iiiii
                                        ; -- End function
	.set _ZN4vllm25paged_attention_v1_kernelIfhLi64ELi8ELi128ELNS_18Fp8KVCacheDataTypeE1ELb0EEEvPT_PKS2_PKT0_S8_ifPKiSA_iPKfiiiSC_SC_iiiii.num_vgpr, 37
	.set _ZN4vllm25paged_attention_v1_kernelIfhLi64ELi8ELi128ELNS_18Fp8KVCacheDataTypeE1ELb0EEEvPT_PKS2_PKT0_S8_ifPKiSA_iPKfiiiSC_SC_iiiii.num_agpr, 0
	.set _ZN4vllm25paged_attention_v1_kernelIfhLi64ELi8ELi128ELNS_18Fp8KVCacheDataTypeE1ELb0EEEvPT_PKS2_PKT0_S8_ifPKiSA_iPKfiiiSC_SC_iiiii.numbered_sgpr, 39
	.set _ZN4vllm25paged_attention_v1_kernelIfhLi64ELi8ELi128ELNS_18Fp8KVCacheDataTypeE1ELb0EEEvPT_PKS2_PKT0_S8_ifPKiSA_iPKfiiiSC_SC_iiiii.num_named_barrier, 0
	.set _ZN4vllm25paged_attention_v1_kernelIfhLi64ELi8ELi128ELNS_18Fp8KVCacheDataTypeE1ELb0EEEvPT_PKS2_PKT0_S8_ifPKiSA_iPKfiiiSC_SC_iiiii.private_seg_size, 0
	.set _ZN4vllm25paged_attention_v1_kernelIfhLi64ELi8ELi128ELNS_18Fp8KVCacheDataTypeE1ELb0EEEvPT_PKS2_PKT0_S8_ifPKiSA_iPKfiiiSC_SC_iiiii.uses_vcc, 1
	.set _ZN4vllm25paged_attention_v1_kernelIfhLi64ELi8ELi128ELNS_18Fp8KVCacheDataTypeE1ELb0EEEvPT_PKS2_PKT0_S8_ifPKiSA_iPKfiiiSC_SC_iiiii.uses_flat_scratch, 0
	.set _ZN4vllm25paged_attention_v1_kernelIfhLi64ELi8ELi128ELNS_18Fp8KVCacheDataTypeE1ELb0EEEvPT_PKS2_PKT0_S8_ifPKiSA_iPKfiiiSC_SC_iiiii.has_dyn_sized_stack, 0
	.set _ZN4vllm25paged_attention_v1_kernelIfhLi64ELi8ELi128ELNS_18Fp8KVCacheDataTypeE1ELb0EEEvPT_PKS2_PKT0_S8_ifPKiSA_iPKfiiiSC_SC_iiiii.has_recursion, 0
	.set _ZN4vllm25paged_attention_v1_kernelIfhLi64ELi8ELi128ELNS_18Fp8KVCacheDataTypeE1ELb0EEEvPT_PKS2_PKT0_S8_ifPKiSA_iPKfiiiSC_SC_iiiii.has_indirect_call, 0
	.section	.AMDGPU.csdata,"",@progbits
; Kernel info:
; codeLenInByte = 3392
; TotalNumSgprs: 45
; NumVgprs: 37
; NumAgprs: 0
; TotalNumVgprs: 37
; ScratchSize: 0
; MemoryBound: 0
; FloatMode: 240
; IeeeMode: 1
; LDSByteSize: 272 bytes/workgroup (compile time only)
; SGPRBlocks: 5
; VGPRBlocks: 4
; NumSGPRsForWavesPerEU: 45
; NumVGPRsForWavesPerEU: 37
; AccumOffset: 40
; Occupancy: 8
; WaveLimiterHint : 1
; COMPUTE_PGM_RSRC2:SCRATCH_EN: 0
; COMPUTE_PGM_RSRC2:USER_SGPR: 2
; COMPUTE_PGM_RSRC2:TRAP_HANDLER: 0
; COMPUTE_PGM_RSRC2:TGID_X_EN: 1
; COMPUTE_PGM_RSRC2:TGID_Y_EN: 1
; COMPUTE_PGM_RSRC2:TGID_Z_EN: 1
; COMPUTE_PGM_RSRC2:TIDIG_COMP_CNT: 0
; COMPUTE_PGM_RSRC3_GFX90A:ACCUM_OFFSET: 9
; COMPUTE_PGM_RSRC3_GFX90A:TG_SPLIT: 0
	.section	.text._ZN4vllm25paged_attention_v1_kernelIfhLi80ELi8ELi128ELNS_18Fp8KVCacheDataTypeE1ELb0EEEvPT_PKS2_PKT0_S8_ifPKiSA_iPKfiiiSC_SC_iiiii,"axG",@progbits,_ZN4vllm25paged_attention_v1_kernelIfhLi80ELi8ELi128ELNS_18Fp8KVCacheDataTypeE1ELb0EEEvPT_PKS2_PKT0_S8_ifPKiSA_iPKfiiiSC_SC_iiiii,comdat
	.protected	_ZN4vllm25paged_attention_v1_kernelIfhLi80ELi8ELi128ELNS_18Fp8KVCacheDataTypeE1ELb0EEEvPT_PKS2_PKT0_S8_ifPKiSA_iPKfiiiSC_SC_iiiii ; -- Begin function _ZN4vllm25paged_attention_v1_kernelIfhLi80ELi8ELi128ELNS_18Fp8KVCacheDataTypeE1ELb0EEEvPT_PKS2_PKT0_S8_ifPKiSA_iPKfiiiSC_SC_iiiii
	.globl	_ZN4vllm25paged_attention_v1_kernelIfhLi80ELi8ELi128ELNS_18Fp8KVCacheDataTypeE1ELb0EEEvPT_PKS2_PKT0_S8_ifPKiSA_iPKfiiiSC_SC_iiiii
	.p2align	8
	.type	_ZN4vllm25paged_attention_v1_kernelIfhLi80ELi8ELi128ELNS_18Fp8KVCacheDataTypeE1ELb0EEEvPT_PKS2_PKT0_S8_ifPKiSA_iPKfiiiSC_SC_iiiii,@function
_ZN4vllm25paged_attention_v1_kernelIfhLi80ELi8ELi128ELNS_18Fp8KVCacheDataTypeE1ELb0EEEvPT_PKS2_PKT0_S8_ifPKiSA_iPKfiiiSC_SC_iiiii: ; @_ZN4vllm25paged_attention_v1_kernelIfhLi80ELi8ELi128ELNS_18Fp8KVCacheDataTypeE1ELb0EEEvPT_PKS2_PKT0_S8_ifPKiSA_iPKfiiiSC_SC_iiiii
; %bb.0:
	s_load_dword s5, s[0:1], 0x80
	s_load_dwordx2 s[6:7], s[0:1], 0x30
	s_load_dwordx2 s[28:29], s[0:1], 0x20
	s_mov_b32 s16, s3
	s_ashr_i32 s17, s3, 31
	s_lshl_b64 s[8:9], s[16:17], 2
	s_waitcnt lgkmcnt(0)
	s_add_u32 s6, s6, s8
	s_addc_u32 s7, s7, s9
	s_abs_i32 s3, s28
	v_cvt_f32_u32_e32 v1, s3
	s_sub_i32 s10, 0, s3
	s_abs_i32 s9, s5
	s_xor_b32 s8, s5, s28
	v_rcp_iflag_f32_e32 v1, v1
	s_ashr_i32 s8, s8, 31
	s_mov_b32 s28, 0
	v_mul_f32_e32 v1, 0x4f7ffffe, v1
	v_cvt_u32_f32_e32 v1, v1
	s_nop 0
	v_readfirstlane_b32 s11, v1
	s_mul_i32 s10, s10, s11
	s_mul_hi_u32 s10, s11, s10
	s_add_i32 s11, s11, s10
	s_mul_hi_u32 s10, s9, s11
	s_mul_i32 s11, s10, s3
	s_sub_i32 s9, s9, s11
	s_add_i32 s11, s10, 1
	s_sub_i32 s12, s9, s3
	s_cmp_ge_u32 s9, s3
	s_cselect_b32 s10, s11, s10
	s_cselect_b32 s9, s12, s9
	s_add_i32 s11, s10, 1
	s_cmp_ge_u32 s9, s3
	s_cselect_b32 s3, s11, s10
	s_xor_b32 s3, s3, s8
	s_sub_i32 s12, s3, s8
	s_abs_i32 s10, s12
	v_cvt_f32_u32_e32 v1, s10
	s_load_dwordx2 s[8:9], s[0:1], 0x40
	s_sub_i32 s3, 0, s10
	s_abs_i32 s11, s2
	v_rcp_iflag_f32_e32 v1, v1
	s_nop 0
	v_mul_f32_e32 v1, 0x4f7ffffe, v1
	v_cvt_u32_f32_e32 v1, v1
	s_nop 0
	v_readfirstlane_b32 s13, v1
	s_mul_i32 s3, s3, s13
	s_mul_hi_u32 s3, s13, s3
	s_add_i32 s13, s13, s3
	s_waitcnt lgkmcnt(0)
	s_cmp_eq_u64 s[8:9], 0
	s_mul_hi_u32 s17, s11, s13
	s_cbranch_scc1 .LBB173_2
; %bb.1:
	s_ashr_i32 s3, s2, 31
	s_lshl_b64 s[14:15], s[2:3], 2
	s_add_u32 s8, s8, s14
	s_addc_u32 s9, s9, s15
	s_load_dword s28, s[8:9], 0x0
.LBB173_2:
	s_load_dword s33, s[6:7], 0x0
	s_ashr_i32 s7, s12, 31
	s_load_dwordx4 s[12:15], s[0:1], 0x48
	s_movk_i32 s3, 0x50
	s_ashr_i32 s6, s2, 31
	v_and_b32_e32 v12, 7, v0
	s_mul_i32 s18, s2, 0x50
	v_cmp_gt_u32_e32 vcc, s3, v0
	v_lshlrev_b32_e32 v16, 2, v0
	v_lshrrev_b32_e32 v1, 1, v0
	s_and_saveexec_b64 s[2:3], vcc
	s_cbranch_execz .LBB173_4
; %bb.3:
	s_load_dwordx2 s[8:9], s[0:1], 0x8
	s_waitcnt lgkmcnt(0)
	s_mul_i32 s20, s12, s16
	s_ashr_i32 s21, s20, 31
	s_lshl_b64 s[20:21], s[20:21], 2
	v_and_b32_e32 v3, 0x1fc, v1
	s_add_u32 s12, s8, s20
	s_addc_u32 s15, s9, s21
	s_ashr_i32 s19, s18, 31
	s_lshl_b64 s[8:9], s[18:19], 2
	s_add_u32 s8, s12, s8
	s_addc_u32 s9, s15, s9
	global_load_dword v2, v16, s[8:9]
	v_mad_u32_u24 v3, v12, 40, v3
	s_waitcnt vmcnt(0)
	ds_write_b32 v3, v2
.LBB173_4:
	s_or_b64 exec, exec, s[2:3]
	s_waitcnt lgkmcnt(0)
	s_add_i32 s3, s33, 7
	s_ashr_i32 s8, s3, 31
	s_lshr_b32 s8, s8, 29
	s_add_i32 s3, s3, s8
	s_ashr_i32 s19, s3, 3
	s_xor_b32 s3, s6, s7
	s_mul_i32 s6, s17, s10
	s_sub_i32 s6, s11, s6
	s_add_i32 s7, s17, 1
	s_sub_i32 s8, s6, s10
	s_load_dwordx2 s[22:23], s[0:1], 0x28
	s_load_dword s2, s[0:1], 0x38
	s_cmp_ge_u32 s6, s10
	s_cselect_b32 s7, s7, s17
	s_cselect_b32 s6, s8, s6
	s_add_i32 s8, s7, 1
	s_cmp_ge_u32 s6, s10
	s_cselect_b32 s6, s8, s7
	v_lshrrev_b32_e32 v28, 6, v0
	s_xor_b32 s6, s6, s3
	s_waitcnt lgkmcnt(0)
	s_mul_i32 s24, s2, s16
	s_sub_i32 s12, s6, s3
	s_ashr_i32 s25, s24, 31
	v_cmp_le_i32_e64 s[2:3], s19, v28
	v_mbcnt_lo_u32_b32 v13, -1, 0
	s_barrier
                                        ; implicit-def: $vgpr18
                                        ; implicit-def: $vgpr20
                                        ; implicit-def: $vgpr19
	s_and_saveexec_b64 s[6:7], s[2:3]
	s_xor_b64 s[6:7], exec, s[6:7]
; %bb.5:
	v_mbcnt_hi_u32_b32 v18, -1, v13
	v_and_b32_e32 v20, 64, v18
	v_add_u32_e32 v19, 64, v20
                                        ; implicit-def: $vgpr12
                                        ; implicit-def: $vgpr13
; %bb.6:
	s_or_saveexec_b64 s[30:31], s[6:7]
	s_load_dwordx2 s[20:21], s[0:1], 0x0
	s_load_dwordx2 s[26:27], s[0:1], 0x18
	s_load_dword s17, s[0:1], 0x88
	s_load_dwordx4 s[8:11], s[0:1], 0x58
	v_mov_b32_e32 v21, 0xff7fffff
	s_mul_i32 s12, s12, s14
	v_lshrrev_b32_e32 v17, 4, v0
	s_xor_b64 exec, exec, s[30:31]
	s_cbranch_execz .LBB173_12
; %bb.7:
	v_mbcnt_hi_u32_b32 v18, -1, v13
	v_and_b32_e32 v20, 64, v18
	v_add_u32_e32 v19, 64, v20
	v_xor_b32_e32 v13, 4, v18
	s_load_dwordx2 s[0:1], s[0:1], 0x10
	v_cmp_lt_i32_e32 vcc, v13, v19
	s_ashr_i32 s6, s12, 31
	v_mul_u32_u24_e32 v10, 40, v12
	v_cndmask_b32_e32 v13, v18, v13, vcc
	v_lshlrev_b32_e32 v22, 2, v13
	v_xor_b32_e32 v13, 2, v18
	v_cmp_lt_i32_e32 vcc, v13, v19
	v_bfe_u32 v21, v0, 3, 3
	s_waitcnt lgkmcnt(0)
	s_add_u32 s0, s0, s12
	v_cndmask_b32_e32 v13, v18, v13, vcc
	ds_read2_b64 v[2:5], v10 offset1:1
	ds_read2_b64 v[6:9], v10 offset0:2 offset1:3
	ds_read_b64 v[10:11], v10 offset:32
	v_lshlrev_b32_e32 v23, 2, v13
	v_xor_b32_e32 v13, 1, v18
	v_lshlrev_b32_e32 v14, 4, v21
	s_addc_u32 s1, s1, s6
	v_mov_b32_e32 v15, 0
	v_cmp_lt_i32_e32 vcc, v13, v19
	s_load_dword s35, s[8:9], 0x0
	v_lshl_add_u64 v[26:27], s[0:1], 0, v[14:15]
	v_cndmask_b32_e32 v13, v18, v13, vcc
	s_sub_i32 s36, 1, s33
	v_lshlrev_b32_e32 v14, 2, v21
	s_lshl_b64 s[6:7], s[24:25], 2
	v_lshlrev_b32_e32 v24, 2, v13
	v_mov_b32_e32 v13, v15
	v_lshl_or_b32 v14, v28, 5, v14
	s_add_u32 s6, s22, s6
	v_cmp_eq_u32_e32 vcc, 0, v12
	v_lshl_add_u64 v[12:13], v[26:27], 0, v[12:13]
	v_add_u32_e32 v26, 0x150, v14
	v_and_b32_e32 v14, 60, v17
	s_addc_u32 s7, s23, s7
	s_mov_b32 s34, s13
	v_cmp_neq_f32_e64 s[0:1], s28, 0
	v_lshl_or_b32 v25, v28, 3, v21
	v_lshl_add_u64 v[14:15], s[6:7], 0, v[14:15]
	v_mov_b32_e32 v21, 0xff7fffff
	s_mov_b64 s[8:9], 0
	v_mov_b32_e32 v27, v28
	s_branch .LBB173_9
.LBB173_8:                              ;   in Loop: Header=BB173_9 Depth=1
	s_or_b64 exec, exec, s[14:15]
	v_add_u32_e32 v27, 2, v27
	v_cmp_le_i32_e64 s[6:7], s19, v27
	v_add_u32_e32 v25, 16, v25
	v_add_u32_e32 v26, 64, v26
	s_or_b64 s[8:9], s[6:7], s[8:9]
	v_lshl_add_u64 v[14:15], v[14:15], 0, 8
	s_andn2_b64 exec, exec, s[8:9]
	s_cbranch_execz .LBB173_11
.LBB173_9:                              ; =>This Inner Loop Header: Depth=1
	global_load_dword v29, v[14:15], off
	s_waitcnt vmcnt(0) lgkmcnt(0)
	v_mad_i64_i32 v[30:31], s[6:7], v29, s34, v[12:13]
	global_load_ubyte v29, v[30:31], off
	global_load_ubyte v32, v[30:31], off offset:8
	global_load_ubyte v33, v[30:31], off offset:128
	;; [unrolled: 1-line block ×9, first 2 shown]
	s_waitcnt vmcnt(9)
	v_cvt_f32_fp8_e32 v29, v29
	s_waitcnt vmcnt(8)
	v_cvt_f32_fp8_e32 v30, v32
	;; [unrolled: 2-line block ×5, first 2 shown]
	s_waitcnt lgkmcnt(0)
	v_mul_f32_e32 v30, s35, v30
	s_waitcnt vmcnt(4)
	v_cvt_f32_fp8_e32 v34, v36
	v_mul_f32_e32 v29, s35, v29
	v_mul_f32_e32 v30, v3, v30
	s_waitcnt vmcnt(3)
	v_cvt_f32_fp8_e32 v35, v37
	v_mul_f32_e32 v31, s35, v31
	v_fmac_f32_e32 v30, v2, v29
	s_waitcnt vmcnt(2)
	v_cvt_f32_fp8_e32 v36, v38
	v_mul_f32_e32 v32, s35, v32
	v_fmac_f32_e32 v30, v4, v31
	;; [unrolled: 4-line block ×4, first 2 shown]
	v_mul_f32_e32 v35, s35, v35
	v_fmac_f32_e32 v30, v7, v34
	v_mul_f32_e32 v36, s35, v36
	v_fmac_f32_e32 v30, v8, v35
	;; [unrolled: 2-line block ×4, first 2 shown]
	v_fmac_f32_e32 v30, v11, v38
	ds_bpermute_b32 v29, v22, v30
	s_waitcnt lgkmcnt(0)
	v_add_f32_e32 v29, v30, v29
	ds_bpermute_b32 v30, v23, v29
	s_waitcnt lgkmcnt(0)
	v_add_f32_e32 v29, v29, v30
	ds_bpermute_b32 v30, v24, v29
	s_and_saveexec_b64 s[14:15], vcc
	s_cbranch_execz .LBB173_8
; %bb.10:                               ;   in Loop: Header=BB173_9 Depth=1
	v_add_u32_e32 v31, s36, v25
	v_cvt_f32_i32_e32 v31, v31
	s_waitcnt lgkmcnt(0)
	v_add_f32_e32 v29, v29, v30
	v_cmp_gt_i32_e64 s[6:7], s33, v25
	v_max_f32_e32 v30, v21, v21
	v_mul_f32_e32 v31, s28, v31
	v_cndmask_b32_e64 v31, 0, v31, s[0:1]
	v_fmac_f32_e32 v31, s29, v29
	v_cndmask_b32_e64 v29, 0, v31, s[6:7]
	ds_write_b32 v26, v29
	v_max_f32_e32 v29, v30, v31
	v_cndmask_b32_e64 v21, v21, v29, s[6:7]
	s_branch .LBB173_8
.LBB173_11:
	s_or_b64 exec, exec, s[8:9]
.LBB173_12:
	s_or_b64 exec, exec, s[30:31]
	v_xor_b32_e32 v2, 32, v18
	v_cmp_lt_i32_e32 vcc, v2, v19
	v_xor_b32_e32 v5, 16, v18
	v_max_f32_e32 v4, v21, v21
	v_cndmask_b32_e32 v2, v18, v2, vcc
	v_lshlrev_b32_e32 v3, 2, v2
	ds_bpermute_b32 v2, v3, v21
	v_cmp_lt_i32_e32 vcc, v5, v19
	v_xor_b32_e32 v7, 8, v18
	s_waitcnt lgkmcnt(0)
	v_max_f32_e32 v2, v2, v2
	v_max_f32_e32 v2, v4, v2
	v_cndmask_b32_e32 v4, v18, v5, vcc
	v_lshlrev_b32_e32 v6, 2, v4
	ds_bpermute_b32 v4, v6, v2
	v_cmp_lt_i32_e32 vcc, v7, v19
	s_waitcnt lgkmcnt(0)
	v_max_f32_e32 v4, v4, v4
	v_max_f32_e32 v5, v2, v4
	v_cndmask_b32_e32 v2, v18, v7, vcc
	v_lshlrev_b32_e32 v7, 2, v2
	ds_bpermute_b32 v8, v7, v5
	v_and_b32_e32 v4, 63, v0
	v_cmp_eq_u32_e32 vcc, 0, v4
	v_lshlrev_b32_e32 v2, 2, v28
	s_and_saveexec_b64 s[0:1], vcc
	s_cbranch_execz .LBB173_14
; %bb.13:
	s_waitcnt lgkmcnt(0)
	v_max_f32_e32 v8, v8, v8
	v_max_f32_e32 v5, v5, v5
	;; [unrolled: 1-line block ×3, first 2 shown]
	ds_write_b32 v2, v5 offset:320
.LBB173_14:
	s_or_b64 exec, exec, s[0:1]
	v_cmp_gt_u32_e64 s[0:1], 2, v4
	s_waitcnt lgkmcnt(0)
	v_mov_b32_e32 v8, 0xff7fffff
	v_lshlrev_b32_e32 v5, 2, v4
	s_barrier
	s_and_saveexec_b64 s[6:7], s[0:1]
; %bb.15:
	ds_read_b32 v8, v5 offset:320
; %bb.16:
	s_or_b64 exec, exec, s[6:7]
	v_xor_b32_e32 v9, 1, v18
	v_cmp_lt_i32_e64 s[6:7], v9, v19
	s_nop 1
	v_cndmask_b32_e64 v9, v18, v9, s[6:7]
	v_lshlrev_b32_e32 v29, 2, v9
	s_waitcnt lgkmcnt(0)
	ds_bpermute_b32 v9, v29, v8
	v_max_f32_e32 v8, v8, v8
	s_lshl_b32 s6, s19, 3
	s_min_i32 s30, s6, s33
	v_cmp_gt_i32_e64 s[6:7], s30, v0
	s_waitcnt lgkmcnt(0)
	v_max_f32_e32 v9, v9, v9
	v_max_f32_e32 v8, v8, v9
	v_lshlrev_b32_e32 v9, 2, v20
	ds_bpermute_b32 v9, v9, v8
	v_mov_b32_e32 v8, 0
	s_and_saveexec_b64 s[14:15], s[6:7]
	s_cbranch_execz .LBB173_20
; %bb.17:
	v_mov_b32_e32 v8, 0x150
	v_lshl_add_u32 v10, v0, 2, v8
	v_mov_b32_e32 v8, 0
	s_mov_b64 s[28:29], 0
	v_mov_b32_e32 v11, v0
.LBB173_18:                             ; =>This Inner Loop Header: Depth=1
	ds_read_b32 v12, v10
	v_add_u32_e32 v11, 0x80, v11
	v_cmp_le_i32_e64 s[8:9], s30, v11
	s_or_b64 s[28:29], s[8:9], s[28:29]
	s_waitcnt lgkmcnt(0)
	v_sub_f32_e32 v12, v12, v9
	v_mul_f32_e32 v12, 0x3fb8aa3b, v12
	v_exp_f32_e32 v12, v12
	ds_write_b32 v10, v12
	v_add_f32_e32 v8, v8, v12
	v_add_u32_e32 v10, 0x200, v10
	s_andn2_b64 exec, exec, s[28:29]
	s_cbranch_execnz .LBB173_18
; %bb.19:
	s_or_b64 exec, exec, s[28:29]
.LBB173_20:
	s_or_b64 exec, exec, s[14:15]
	ds_bpermute_b32 v3, v3, v8
	s_waitcnt lgkmcnt(0)
	v_add_f32_e32 v3, v8, v3
	ds_bpermute_b32 v6, v6, v3
	s_waitcnt lgkmcnt(0)
	v_add_f32_e32 v3, v3, v6
	ds_bpermute_b32 v6, v7, v3
	v_xor_b32_e32 v7, 4, v18
	v_cmp_lt_i32_e64 s[8:9], v7, v19
	s_waitcnt lgkmcnt(0)
	v_add_f32_e32 v3, v3, v6
	v_cndmask_b32_e64 v7, v18, v7, s[8:9]
	v_lshlrev_b32_e32 v7, 2, v7
	ds_bpermute_b32 v6, v7, v3
	v_xor_b32_e32 v7, 2, v18
	v_cmp_lt_i32_e64 s[8:9], v7, v19
	s_waitcnt lgkmcnt(0)
	v_add_f32_e32 v3, v3, v6
	v_cndmask_b32_e64 v7, v18, v7, s[8:9]
	v_lshlrev_b32_e32 v6, 2, v7
	ds_bpermute_b32 v6, v6, v3
	s_waitcnt lgkmcnt(0)
	v_add_f32_e32 v3, v3, v6
	ds_bpermute_b32 v6, v29, v3
	s_waitcnt lgkmcnt(0)
	v_add_f32_e32 v3, v3, v6
	s_and_saveexec_b64 s[8:9], vcc
; %bb.21:
	ds_write_b32 v2, v3 offset:328
; %bb.22:
	s_or_b64 exec, exec, s[8:9]
	s_waitcnt lgkmcnt(0)
	s_barrier
	s_and_saveexec_b64 s[8:9], s[0:1]
; %bb.23:
	ds_read_b32 v3, v5 offset:328
; %bb.24:
	s_or_b64 exec, exec, s[8:9]
	s_waitcnt lgkmcnt(0)
	ds_bpermute_b32 v2, v29, v3
	v_lshlrev_b32_e32 v5, 2, v18
	s_waitcnt lgkmcnt(0)
	v_add_f32_e32 v2, v3, v2
	v_and_b32_e32 v3, 0xffffff00, v5
	ds_bpermute_b32 v2, v3, v2
	s_and_saveexec_b64 s[0:1], s[6:7]
	s_cbranch_execz .LBB173_37
; %bb.25:
	s_waitcnt lgkmcnt(0)
	v_add_f32_e32 v2, 0x358637bd, v2
	v_div_scale_f32 v3, s[6:7], v2, v2, 1.0
	v_rcp_f32_e32 v5, v3
	v_div_scale_f32 v6, vcc, 1.0, v2, 1.0
	s_movk_i32 s6, 0x7f
	v_fma_f32 v7, -v3, v5, 1.0
	v_fmac_f32_e32 v5, v7, v5
	v_mul_f32_e32 v7, v6, v5
	v_fma_f32 v8, -v3, v7, v6
	v_fmac_f32_e32 v7, v8, v5
	v_fma_f32 v3, -v3, v7, v6
	v_div_fmas_f32 v3, v3, v5, v7
	v_xad_u32 v5, v0, -1, s30
	v_div_fixup_f32 v2, v3, v2, 1.0
	v_cmp_lt_u32_e32 vcc, s6, v5
	s_mov_b64 s[8:9], -1
	v_mov_b32_e32 v3, v0
	s_and_saveexec_b64 s[6:7], vcc
	s_cbranch_execz .LBB173_34
; %bb.26:
	v_lshrrev_b32_e32 v5, 7, v5
	v_add_u32_e32 v7, -1, v5
	v_lshrrev_b32_e32 v6, 1, v7
	v_mov_b32_e32 v3, v2
	v_add_u32_e32 v6, 1, v6
	v_cmp_lt_u32_e32 vcc, 13, v7
	v_mov_b32_e32 v9, 0
	s_and_saveexec_b64 s[8:9], vcc
	s_cbranch_execz .LBB173_30
; %bb.27:
	v_mov_b32_e32 v8, 0x150
	v_and_b32_e32 v7, -8, v6
	v_lshl_add_u32 v8, v0, 2, v8
	s_mov_b32 s28, 0
	s_mov_b64 s[14:15], 0
.LBB173_28:                             ; =>This Inner Loop Header: Depth=1
	ds_read2st64_b32 v[10:11], v8 offset1:2
	ds_read2st64_b32 v[12:13], v8 offset0:4 offset1:6
	ds_read2st64_b32 v[14:15], v8 offset0:8 offset1:10
	;; [unrolled: 1-line block ×3, first 2 shown]
	v_add_u32_e32 v7, -8, v7
	s_waitcnt lgkmcnt(3)
	v_pk_mul_f32 v[10:11], v[2:3], v[10:11]
	s_waitcnt lgkmcnt(2)
	v_pk_mul_f32 v[12:13], v[2:3], v[12:13]
	ds_write2st64_b32 v8, v10, v11 offset1:2
	ds_write2st64_b32 v8, v12, v13 offset0:4 offset1:6
	ds_read2st64_b32 v[12:13], v8 offset0:16 offset1:18
	s_waitcnt lgkmcnt(4)
	v_pk_mul_f32 v[10:11], v[2:3], v[14:15]
	ds_write2st64_b32 v8, v10, v11 offset0:8 offset1:10
	s_waitcnt lgkmcnt(4)
	v_pk_mul_f32 v[10:11], v[2:3], v[18:19]
	ds_write2st64_b32 v8, v10, v11 offset0:12 offset1:14
	ds_read2st64_b32 v[10:11], v8 offset0:20 offset1:22
	s_waitcnt lgkmcnt(3)
	v_pk_mul_f32 v[12:13], v[2:3], v[12:13]
	ds_read2st64_b32 v[14:15], v8 offset0:24 offset1:26
	ds_write2st64_b32 v8, v12, v13 offset0:16 offset1:18
	ds_read2st64_b32 v[12:13], v8 offset0:28 offset1:30
	s_waitcnt lgkmcnt(3)
	v_pk_mul_f32 v[10:11], v[2:3], v[10:11]
	ds_write2st64_b32 v8, v10, v11 offset0:20 offset1:22
	s_waitcnt lgkmcnt(3)
	v_pk_mul_f32 v[10:11], v[2:3], v[14:15]
	ds_write2st64_b32 v8, v10, v11 offset0:24 offset1:26
	s_waitcnt lgkmcnt(2)
	v_pk_mul_f32 v[10:11], v[2:3], v[12:13]
	s_add_i32 s28, s28, 16
	v_cmp_eq_u32_e32 vcc, 0, v7
	ds_write2st64_b32 v8, v10, v11 offset0:28 offset1:30
	v_add_u32_e32 v8, 0x2000, v8
	s_or_b64 s[14:15], vcc, s[14:15]
	v_mov_b32_e32 v9, s28
	s_andn2_b64 exec, exec, s[14:15]
	s_cbranch_execnz .LBB173_28
; %bb.29:
	s_or_b64 exec, exec, s[14:15]
.LBB173_30:
	s_or_b64 exec, exec, s[8:9]
	v_and_b32_e32 v6, 7, v6
	v_cmp_ne_u32_e32 vcc, 0, v6
	s_and_saveexec_b64 s[8:9], vcc
	s_cbranch_execz .LBB173_33
; %bb.31:
	v_lshlrev_b32_e32 v7, 9, v9
	s_movk_i32 s14, 0x150
	v_add3_u32 v7, v7, v16, s14
	s_mov_b64 s[14:15], 0
.LBB173_32:                             ; =>This Inner Loop Header: Depth=1
	ds_read2st64_b32 v[8:9], v7 offset1:2
	v_add_u32_e32 v6, -1, v6
	v_cmp_eq_u32_e32 vcc, 0, v6
	s_or_b64 s[14:15], vcc, s[14:15]
	s_waitcnt lgkmcnt(0)
	v_pk_mul_f32 v[8:9], v[2:3], v[8:9]
	ds_write2st64_b32 v7, v8, v9 offset1:2
	v_add_u32_e32 v7, 0x400, v7
	s_andn2_b64 exec, exec, s[14:15]
	s_cbranch_execnz .LBB173_32
.LBB173_33:
	s_or_b64 exec, exec, s[8:9]
	v_add_u32_e32 v5, 1, v5
	v_and_b32_e32 v6, 0x3fffffe, v5
	v_cmp_ne_u32_e32 vcc, v5, v6
	v_lshl_add_u32 v3, v6, 7, v0
	s_orn2_b64 s[8:9], vcc, exec
.LBB173_34:
	s_or_b64 exec, exec, s[6:7]
	s_and_b64 exec, exec, s[8:9]
	s_cbranch_execz .LBB173_37
; %bb.35:
	v_mov_b32_e32 v5, 0x150
	v_lshl_add_u32 v5, v3, 2, v5
	s_mov_b64 s[6:7], 0
.LBB173_36:                             ; =>This Inner Loop Header: Depth=1
	ds_read_b32 v6, v5
	v_add_u32_e32 v3, 0x80, v3
	v_cmp_le_i32_e32 vcc, s30, v3
	s_or_b64 s[6:7], vcc, s[6:7]
	s_waitcnt lgkmcnt(0)
	v_mul_f32_e32 v6, v2, v6
	ds_write_b32 v5, v6
	v_add_u32_e32 v5, 0x200, v5
	s_andn2_b64 exec, exec, s[6:7]
	s_cbranch_execnz .LBB173_36
.LBB173_37:
	s_or_b64 exec, exec, s[0:1]
	v_lshrrev_b32_e32 v30, 1, v4
	s_waitcnt lgkmcnt(0)
	s_barrier
	s_and_saveexec_b64 s[0:1], s[2:3]
	s_xor_b64 s[0:1], exec, s[0:1]
; %bb.38:
	v_lshrrev_b32_e32 v30, 1, v4
                                        ; implicit-def: $vgpr28
                                        ; implicit-def: $vgpr16
                                        ; implicit-def: $vgpr17
; %bb.39:
	s_or_saveexec_b64 s[6:7], s[0:1]
	v_mov_b32_e32 v7, 0
	v_and_b32_e32 v31, 1, v0
	v_mov_b32_e32 v6, 0
	v_mov_b32_e32 v32, 0
	s_xor_b64 exec, exec, s[6:7]
	s_cbranch_execz .LBB173_51
; %bb.40:
	s_ashr_i32 s1, s12, 31
	s_load_dword s8, s[10:11], 0x0
	v_and_b32_e32 v2, 4, v16
	s_add_u32 s0, s26, s12
	v_or_b32_e32 v3, 64, v30
	s_movk_i32 s2, 0x50
	s_addc_u32 s1, s27, s1
	s_add_i32 s15, s19, -1
	v_lshl_or_b32 v8, v30, 3, v2
	v_cmp_gt_u32_e32 vcc, s2, v3
	v_lshl_or_b32 v10, v3, 3, v2
	v_lshl_or_b32 v33, v28, 3, v2
	v_lshlrev_b32_e32 v2, 4, v31
	s_lshl_b64 s[2:3], s[24:25], 2
	v_mov_b32_e32 v9, 0
	v_lshl_or_b32 v2, v28, 5, v2
	s_add_u32 s2, s22, s2
	v_add_u32_e32 v34, 0x150, v2
	v_and_b32_e32 v2, 60, v17
	v_mov_b32_e32 v3, v9
	s_addc_u32 s3, s23, s3
	s_mov_b32 s14, s13
	s_waitcnt lgkmcnt(0)
	s_mov_b32 s9, s8
	v_mov_b32_e32 v11, v9
	s_mov_b32 s26, s33
	v_lshl_add_u64 v[12:13], s[2:3], 0, v[2:3]
	s_mov_b64 s[10:11], 0
	v_mov_b64_e32 v[14:15], s[0:1]
	v_mov_b32_e32 v32, v9
	v_mov_b32_e32 v7, v9
	;; [unrolled: 1-line block ×3, first 2 shown]
	s_branch .LBB173_43
.LBB173_41:                             ;   in Loop: Header=BB173_43 Depth=1
	s_or_b64 exec, exec, s[12:13]
	s_waitcnt lgkmcnt(0)
	v_pk_mul_f32 v[26:27], v[2:3], v[26:27]
	v_pk_mul_f32 v[22:23], v[4:5], v[22:23]
	v_add_f32_e32 v26, v27, v26
	v_add_f32_e32 v22, v22, v26
	;; [unrolled: 1-line block ×4, first 2 shown]
.LBB173_42:                             ;   in Loop: Header=BB173_43 Depth=1
	s_or_b64 exec, exec, s[2:3]
	s_waitcnt lgkmcnt(0)
	v_mul_f32_e32 v22, v2, v24
	v_mul_f32_e32 v2, v2, v18
	v_fmac_f32_e32 v22, v3, v25
	v_fmac_f32_e32 v2, v3, v19
	v_fmac_f32_e32 v22, v4, v20
	v_fmac_f32_e32 v2, v4, v16
	v_add_u32_e32 v28, 2, v28
	v_fmac_f32_e32 v22, v5, v21
	v_fmac_f32_e32 v2, v5, v17
	v_cmp_le_i32_e64 s[0:1], s19, v28
	v_add_f32_e32 v7, v7, v22
	v_add_f32_e32 v6, v6, v2
	v_add_u32_e32 v33, 16, v33
	v_add_u32_e32 v34, 64, v34
	s_or_b64 s[10:11], s[0:1], s[10:11]
	v_lshl_add_u64 v[12:13], v[12:13], 0, 8
	s_andn2_b64 exec, exec, s[10:11]
	s_cbranch_execz .LBB173_50
.LBB173_43:                             ; =>This Inner Loop Header: Depth=1
	global_load_dword v2, v[12:13], off
	v_add_u32_e32 v26, 2, v33
	v_add_u32_e32 v27, 3, v33
	s_waitcnt vmcnt(0)
	v_mad_i64_i32 v[22:23], s[0:1], v2, s14, v[14:15]
	v_lshl_add_u64 v[20:21], v[22:23], 0, v[8:9]
	global_load_dword v16, v[20:21], off
	ds_read_b128 v[2:5], v34
	v_cmp_eq_u32_e64 s[0:1], s15, v28
	s_waitcnt vmcnt(0)
	v_and_b32_e32 v17, 0xffff, v16
	v_lshrrev_b32_e32 v18, 16, v16
	v_cvt_pk_f32_fp8_e32 v[16:17], v17
	v_cvt_pk_f32_fp8_e32 v[24:25], v18
	v_pk_mul_f32 v[18:19], s[8:9], v[16:17]
	v_pk_mul_f32 v[16:17], s[8:9], v[24:25]
	s_and_saveexec_b64 s[12:13], s[0:1]
; %bb.44:                               ;   in Loop: Header=BB173_43 Depth=1
	v_cmp_gt_i32_e64 s[2:3], s33, v33
	v_add_u32_e32 v24, 1, v33
	s_nop 0
	v_cndmask_b32_e64 v18, 0, v18, s[2:3]
	v_cmp_gt_i32_e64 s[2:3], s33, v24
	s_nop 1
	v_cndmask_b32_e64 v19, 0, v19, s[2:3]
	v_cmp_gt_i32_e64 s[2:3], s33, v26
	;; [unrolled: 3-line block ×3, first 2 shown]
	s_nop 1
	v_cndmask_b32_e64 v17, 0, v17, s[2:3]
; %bb.45:                               ;   in Loop: Header=BB173_43 Depth=1
	s_or_b64 exec, exec, s[12:13]
	global_load_dword v20, v[20:21], off offset:256
	s_waitcnt vmcnt(0)
	v_and_b32_e32 v21, 0xffff, v20
	v_lshrrev_b32_e32 v24, 16, v20
	v_cvt_pk_f32_fp8_e32 v[20:21], v21
	v_cvt_pk_f32_fp8_e32 v[36:37], v24
	v_pk_mul_f32 v[24:25], s[8:9], v[20:21]
	v_pk_mul_f32 v[20:21], s[8:9], v[36:37]
	s_and_saveexec_b64 s[12:13], s[0:1]
; %bb.46:                               ;   in Loop: Header=BB173_43 Depth=1
	v_cmp_gt_i32_e64 s[2:3], s33, v33
	v_add_u32_e32 v35, 1, v33
	s_nop 0
	v_cndmask_b32_e64 v24, 0, v24, s[2:3]
	v_cmp_gt_i32_e64 s[2:3], s33, v35
	s_nop 1
	v_cndmask_b32_e64 v25, 0, v25, s[2:3]
	v_cmp_gt_i32_e64 s[2:3], s33, v26
	;; [unrolled: 3-line block ×3, first 2 shown]
	s_nop 1
	v_cndmask_b32_e64 v21, 0, v21, s[2:3]
; %bb.47:                               ;   in Loop: Header=BB173_43 Depth=1
	s_or_b64 exec, exec, s[12:13]
	s_and_saveexec_b64 s[2:3], vcc
	s_cbranch_execz .LBB173_42
; %bb.48:                               ;   in Loop: Header=BB173_43 Depth=1
	v_lshl_add_u64 v[22:23], v[22:23], 0, v[10:11]
	global_load_dword v22, v[22:23], off
	s_waitcnt vmcnt(0)
	v_and_b32_e32 v23, 0xffff, v22
	v_lshrrev_b32_e32 v26, 16, v22
	v_cvt_pk_f32_fp8_e32 v[22:23], v23
	v_cvt_pk_f32_fp8_e32 v[36:37], v26
	v_pk_mul_f32 v[26:27], s[8:9], v[22:23]
	v_pk_mul_f32 v[22:23], s[8:9], v[36:37]
	s_and_saveexec_b64 s[12:13], s[0:1]
	s_cbranch_execz .LBB173_41
; %bb.49:                               ;   in Loop: Header=BB173_43 Depth=1
	v_add_u32_e32 v35, 1, v33
	v_cmp_gt_i32_e64 s[0:1], s26, v35
	v_or_b32_e32 v35, 3, v33
	v_or_b32_e32 v36, 2, v33
	v_cndmask_b32_e64 v27, 0, v27, s[0:1]
	v_cmp_gt_i32_e64 s[0:1], s33, v33
	s_nop 1
	v_cndmask_b32_e64 v26, 0, v26, s[0:1]
	v_cmp_gt_i32_e64 s[0:1], s26, v35
	s_nop 1
	;; [unrolled: 3-line block ×3, first 2 shown]
	v_cndmask_b32_e64 v22, 0, v22, s[0:1]
	s_branch .LBB173_41
.LBB173_50:
	s_or_b64 exec, exec, s[10:11]
.LBB173_51:
	s_or_b64 exec, exec, s[6:7]
	ds_bpermute_b32 v2, v29, v6
	ds_bpermute_b32 v3, v29, v7
	;; [unrolled: 1-line block ×3, first 2 shown]
	v_and_b32_e32 v5, 0x3c0, v0
	v_cmp_eq_u32_e64 s[0:1], 64, v5
	v_cmp_eq_u32_e32 vcc, 0, v31
	s_waitcnt lgkmcnt(1)
	v_pk_add_f32 v[2:3], v[6:7], v[2:3]
	s_waitcnt lgkmcnt(0)
	v_add_f32_e32 v4, v32, v4
	s_barrier
	s_and_saveexec_b64 s[2:3], s[0:1]
	s_cbranch_execz .LBB173_56
; %bb.52:
	s_and_saveexec_b64 s[0:1], vcc
; %bb.53:
	v_mov_b32_e32 v5, 0x150
	v_lshl_add_u32 v5, v30, 2, v5
	ds_write2_b32 v5, v2, v3 offset1:32
; %bb.54:
	s_or_b64 exec, exec, s[0:1]
	v_or_b32_e32 v5, 64, v30
	s_movk_i32 s0, 0x50
	v_cmp_gt_u32_e64 s[0:1], s0, v5
	s_and_b64 s[0:1], vcc, s[0:1]
	s_and_b64 exec, exec, s[0:1]
; %bb.55:
	v_mov_b32_e32 v5, 0x150
	v_lshl_add_u32 v5, v30, 2, v5
	ds_write_b32 v5, v4 offset:256
.LBB173_56:
	s_or_b64 exec, exec, s[2:3]
	v_cmp_gt_u32_e64 s[0:1], 64, v0
	s_waitcnt lgkmcnt(0)
	s_barrier
	s_and_saveexec_b64 s[6:7], s[0:1]
	s_cbranch_execz .LBB173_64
; %bb.57:
	s_and_saveexec_b64 s[2:3], vcc
	s_cbranch_execz .LBB173_59
; %bb.58:
	v_mov_b32_e32 v0, 0x150
	v_lshl_add_u32 v0, v1, 2, v0
	ds_read_b32 v0, v0
	s_waitcnt lgkmcnt(0)
	v_add_f32_e32 v2, v2, v0
.LBB173_59:
	s_or_b64 exec, exec, s[2:3]
	v_or_b32_e32 v0, 32, v1
	s_movk_i32 s8, 0x50
	v_cmp_gt_u32_e64 s[2:3], s8, v0
	s_and_b64 s[10:11], vcc, s[2:3]
	s_and_saveexec_b64 s[2:3], s[10:11]
	s_cbranch_execz .LBB173_61
; %bb.60:
	v_mov_b32_e32 v0, 0x150
	v_lshl_add_u32 v0, v1, 2, v0
	ds_read_b32 v0, v0 offset:128
	s_waitcnt lgkmcnt(0)
	v_add_f32_e32 v3, v3, v0
.LBB173_61:
	s_or_b64 exec, exec, s[2:3]
	v_or_b32_e32 v0, 64, v1
	v_cmp_gt_u32_e64 s[2:3], s8, v0
	s_and_b64 s[8:9], vcc, s[2:3]
	s_and_saveexec_b64 s[2:3], s[8:9]
	s_cbranch_execz .LBB173_63
; %bb.62:
	v_mov_b32_e32 v0, 0x150
	v_lshl_add_u32 v0, v1, 2, v0
	ds_read_b32 v0, v0 offset:256
	s_waitcnt lgkmcnt(0)
	v_add_f32_e32 v4, v4, v0
.LBB173_63:
	s_or_b64 exec, exec, s[2:3]
.LBB173_64:
	s_or_b64 exec, exec, s[6:7]
	s_barrier
	s_and_saveexec_b64 s[2:3], s[0:1]
	s_cbranch_execz .LBB173_71
; %bb.65:
	s_mul_i32 s0, s16, s17
	s_mul_i32 s0, s0, s5
	s_mulk_i32 s0, 0x50
	s_ashr_i32 s1, s0, 31
	s_lshl_b64 s[0:1], s[0:1], 2
	s_add_u32 s2, s20, s0
	s_mul_i32 s0, s17, s18
	s_addc_u32 s3, s21, s1
	s_ashr_i32 s1, s0, 31
	s_lshl_b64 s[0:1], s[0:1], 2
	s_add_u32 s2, s2, s0
	s_mul_i32 s0, s4, 0x50
	s_addc_u32 s3, s3, s1
	s_ashr_i32 s1, s0, 31
	s_lshl_b64 s[0:1], s[0:1], 2
	s_add_u32 s2, s2, s0
	s_movk_i32 s5, 0x50
	s_addc_u32 s3, s3, s1
	v_lshlrev_b32_e32 v0, 2, v1
	s_and_saveexec_b64 s[0:1], vcc
	s_cbranch_execz .LBB173_67
; %bb.66:
	global_store_dword v0, v2, s[2:3]
.LBB173_67:
	s_or_b64 exec, exec, s[0:1]
	v_or_b32_e32 v2, 32, v1
	v_cmp_gt_u32_e64 s[0:1], s5, v2
	s_and_b64 s[4:5], vcc, s[0:1]
	s_and_saveexec_b64 s[0:1], s[4:5]
	s_cbranch_execz .LBB173_69
; %bb.68:
	global_store_dword v0, v3, s[2:3] offset:128
.LBB173_69:
	s_or_b64 exec, exec, s[0:1]
	v_or_b32_e32 v1, 64, v1
	s_movk_i32 s0, 0x50
	v_cmp_gt_u32_e64 s[0:1], s0, v1
	s_and_b64 s[0:1], vcc, s[0:1]
	s_and_b64 exec, exec, s[0:1]
	s_cbranch_execz .LBB173_71
; %bb.70:
	global_store_dword v0, v4, s[2:3] offset:256
.LBB173_71:
	s_endpgm
	.section	.rodata,"a",@progbits
	.p2align	6, 0x0
	.amdhsa_kernel _ZN4vllm25paged_attention_v1_kernelIfhLi80ELi8ELi128ELNS_18Fp8KVCacheDataTypeE1ELb0EEEvPT_PKS2_PKT0_S8_ifPKiSA_iPKfiiiSC_SC_iiiii
		.amdhsa_group_segment_fixed_size 336
		.amdhsa_private_segment_fixed_size 0
		.amdhsa_kernarg_size 384
		.amdhsa_user_sgpr_count 2
		.amdhsa_user_sgpr_dispatch_ptr 0
		.amdhsa_user_sgpr_queue_ptr 0
		.amdhsa_user_sgpr_kernarg_segment_ptr 1
		.amdhsa_user_sgpr_dispatch_id 0
		.amdhsa_user_sgpr_kernarg_preload_length 0
		.amdhsa_user_sgpr_kernarg_preload_offset 0
		.amdhsa_user_sgpr_private_segment_size 0
		.amdhsa_uses_dynamic_stack 0
		.amdhsa_enable_private_segment 0
		.amdhsa_system_sgpr_workgroup_id_x 1
		.amdhsa_system_sgpr_workgroup_id_y 1
		.amdhsa_system_sgpr_workgroup_id_z 1
		.amdhsa_system_sgpr_workgroup_info 0
		.amdhsa_system_vgpr_workitem_id 0
		.amdhsa_next_free_vgpr 41
		.amdhsa_next_free_sgpr 37
		.amdhsa_accum_offset 44
		.amdhsa_reserve_vcc 1
		.amdhsa_float_round_mode_32 0
		.amdhsa_float_round_mode_16_64 0
		.amdhsa_float_denorm_mode_32 3
		.amdhsa_float_denorm_mode_16_64 3
		.amdhsa_dx10_clamp 1
		.amdhsa_ieee_mode 1
		.amdhsa_fp16_overflow 0
		.amdhsa_tg_split 0
		.amdhsa_exception_fp_ieee_invalid_op 0
		.amdhsa_exception_fp_denorm_src 0
		.amdhsa_exception_fp_ieee_div_zero 0
		.amdhsa_exception_fp_ieee_overflow 0
		.amdhsa_exception_fp_ieee_underflow 0
		.amdhsa_exception_fp_ieee_inexact 0
		.amdhsa_exception_int_div_zero 0
	.end_amdhsa_kernel
	.section	.text._ZN4vllm25paged_attention_v1_kernelIfhLi80ELi8ELi128ELNS_18Fp8KVCacheDataTypeE1ELb0EEEvPT_PKS2_PKT0_S8_ifPKiSA_iPKfiiiSC_SC_iiiii,"axG",@progbits,_ZN4vllm25paged_attention_v1_kernelIfhLi80ELi8ELi128ELNS_18Fp8KVCacheDataTypeE1ELb0EEEvPT_PKS2_PKT0_S8_ifPKiSA_iPKfiiiSC_SC_iiiii,comdat
.Lfunc_end173:
	.size	_ZN4vllm25paged_attention_v1_kernelIfhLi80ELi8ELi128ELNS_18Fp8KVCacheDataTypeE1ELb0EEEvPT_PKS2_PKT0_S8_ifPKiSA_iPKfiiiSC_SC_iiiii, .Lfunc_end173-_ZN4vllm25paged_attention_v1_kernelIfhLi80ELi8ELi128ELNS_18Fp8KVCacheDataTypeE1ELb0EEEvPT_PKS2_PKT0_S8_ifPKiSA_iPKfiiiSC_SC_iiiii
                                        ; -- End function
	.set _ZN4vllm25paged_attention_v1_kernelIfhLi80ELi8ELi128ELNS_18Fp8KVCacheDataTypeE1ELb0EEEvPT_PKS2_PKT0_S8_ifPKiSA_iPKfiiiSC_SC_iiiii.num_vgpr, 41
	.set _ZN4vllm25paged_attention_v1_kernelIfhLi80ELi8ELi128ELNS_18Fp8KVCacheDataTypeE1ELb0EEEvPT_PKS2_PKT0_S8_ifPKiSA_iPKfiiiSC_SC_iiiii.num_agpr, 0
	.set _ZN4vllm25paged_attention_v1_kernelIfhLi80ELi8ELi128ELNS_18Fp8KVCacheDataTypeE1ELb0EEEvPT_PKS2_PKT0_S8_ifPKiSA_iPKfiiiSC_SC_iiiii.numbered_sgpr, 37
	.set _ZN4vllm25paged_attention_v1_kernelIfhLi80ELi8ELi128ELNS_18Fp8KVCacheDataTypeE1ELb0EEEvPT_PKS2_PKT0_S8_ifPKiSA_iPKfiiiSC_SC_iiiii.num_named_barrier, 0
	.set _ZN4vllm25paged_attention_v1_kernelIfhLi80ELi8ELi128ELNS_18Fp8KVCacheDataTypeE1ELb0EEEvPT_PKS2_PKT0_S8_ifPKiSA_iPKfiiiSC_SC_iiiii.private_seg_size, 0
	.set _ZN4vllm25paged_attention_v1_kernelIfhLi80ELi8ELi128ELNS_18Fp8KVCacheDataTypeE1ELb0EEEvPT_PKS2_PKT0_S8_ifPKiSA_iPKfiiiSC_SC_iiiii.uses_vcc, 1
	.set _ZN4vllm25paged_attention_v1_kernelIfhLi80ELi8ELi128ELNS_18Fp8KVCacheDataTypeE1ELb0EEEvPT_PKS2_PKT0_S8_ifPKiSA_iPKfiiiSC_SC_iiiii.uses_flat_scratch, 0
	.set _ZN4vllm25paged_attention_v1_kernelIfhLi80ELi8ELi128ELNS_18Fp8KVCacheDataTypeE1ELb0EEEvPT_PKS2_PKT0_S8_ifPKiSA_iPKfiiiSC_SC_iiiii.has_dyn_sized_stack, 0
	.set _ZN4vllm25paged_attention_v1_kernelIfhLi80ELi8ELi128ELNS_18Fp8KVCacheDataTypeE1ELb0EEEvPT_PKS2_PKT0_S8_ifPKiSA_iPKfiiiSC_SC_iiiii.has_recursion, 0
	.set _ZN4vllm25paged_attention_v1_kernelIfhLi80ELi8ELi128ELNS_18Fp8KVCacheDataTypeE1ELb0EEEvPT_PKS2_PKT0_S8_ifPKiSA_iPKfiiiSC_SC_iiiii.has_indirect_call, 0
	.section	.AMDGPU.csdata,"",@progbits
; Kernel info:
; codeLenInByte = 4004
; TotalNumSgprs: 43
; NumVgprs: 41
; NumAgprs: 0
; TotalNumVgprs: 41
; ScratchSize: 0
; MemoryBound: 0
; FloatMode: 240
; IeeeMode: 1
; LDSByteSize: 336 bytes/workgroup (compile time only)
; SGPRBlocks: 5
; VGPRBlocks: 5
; NumSGPRsForWavesPerEU: 43
; NumVGPRsForWavesPerEU: 41
; AccumOffset: 44
; Occupancy: 8
; WaveLimiterHint : 1
; COMPUTE_PGM_RSRC2:SCRATCH_EN: 0
; COMPUTE_PGM_RSRC2:USER_SGPR: 2
; COMPUTE_PGM_RSRC2:TRAP_HANDLER: 0
; COMPUTE_PGM_RSRC2:TGID_X_EN: 1
; COMPUTE_PGM_RSRC2:TGID_Y_EN: 1
; COMPUTE_PGM_RSRC2:TGID_Z_EN: 1
; COMPUTE_PGM_RSRC2:TIDIG_COMP_CNT: 0
; COMPUTE_PGM_RSRC3_GFX90A:ACCUM_OFFSET: 10
; COMPUTE_PGM_RSRC3_GFX90A:TG_SPLIT: 0
	.section	.text._ZN4vllm25paged_attention_v1_kernelIfhLi96ELi8ELi128ELNS_18Fp8KVCacheDataTypeE1ELb0EEEvPT_PKS2_PKT0_S8_ifPKiSA_iPKfiiiSC_SC_iiiii,"axG",@progbits,_ZN4vllm25paged_attention_v1_kernelIfhLi96ELi8ELi128ELNS_18Fp8KVCacheDataTypeE1ELb0EEEvPT_PKS2_PKT0_S8_ifPKiSA_iPKfiiiSC_SC_iiiii,comdat
	.protected	_ZN4vllm25paged_attention_v1_kernelIfhLi96ELi8ELi128ELNS_18Fp8KVCacheDataTypeE1ELb0EEEvPT_PKS2_PKT0_S8_ifPKiSA_iPKfiiiSC_SC_iiiii ; -- Begin function _ZN4vllm25paged_attention_v1_kernelIfhLi96ELi8ELi128ELNS_18Fp8KVCacheDataTypeE1ELb0EEEvPT_PKS2_PKT0_S8_ifPKiSA_iPKfiiiSC_SC_iiiii
	.globl	_ZN4vllm25paged_attention_v1_kernelIfhLi96ELi8ELi128ELNS_18Fp8KVCacheDataTypeE1ELb0EEEvPT_PKS2_PKT0_S8_ifPKiSA_iPKfiiiSC_SC_iiiii
	.p2align	8
	.type	_ZN4vllm25paged_attention_v1_kernelIfhLi96ELi8ELi128ELNS_18Fp8KVCacheDataTypeE1ELb0EEEvPT_PKS2_PKT0_S8_ifPKiSA_iPKfiiiSC_SC_iiiii,@function
_ZN4vllm25paged_attention_v1_kernelIfhLi96ELi8ELi128ELNS_18Fp8KVCacheDataTypeE1ELb0EEEvPT_PKS2_PKT0_S8_ifPKiSA_iPKfiiiSC_SC_iiiii: ; @_ZN4vllm25paged_attention_v1_kernelIfhLi96ELi8ELi128ELNS_18Fp8KVCacheDataTypeE1ELb0EEEvPT_PKS2_PKT0_S8_ifPKiSA_iPKfiiiSC_SC_iiiii
; %bb.0:
	s_load_dword s5, s[0:1], 0x80
	s_load_dwordx2 s[6:7], s[0:1], 0x30
	s_load_dwordx2 s[28:29], s[0:1], 0x20
	s_mov_b32 s16, s3
	s_ashr_i32 s17, s3, 31
	s_lshl_b64 s[8:9], s[16:17], 2
	s_waitcnt lgkmcnt(0)
	s_add_u32 s6, s6, s8
	s_addc_u32 s7, s7, s9
	s_abs_i32 s3, s28
	v_cvt_f32_u32_e32 v1, s3
	s_sub_i32 s10, 0, s3
	s_abs_i32 s9, s5
	s_xor_b32 s8, s5, s28
	v_rcp_iflag_f32_e32 v1, v1
	s_ashr_i32 s8, s8, 31
	s_mov_b32 s28, 0
	v_mul_f32_e32 v1, 0x4f7ffffe, v1
	v_cvt_u32_f32_e32 v1, v1
	s_nop 0
	v_readfirstlane_b32 s11, v1
	s_mul_i32 s10, s10, s11
	s_mul_hi_u32 s10, s11, s10
	s_add_i32 s11, s11, s10
	s_mul_hi_u32 s10, s9, s11
	s_mul_i32 s11, s10, s3
	s_sub_i32 s9, s9, s11
	s_add_i32 s11, s10, 1
	s_sub_i32 s12, s9, s3
	s_cmp_ge_u32 s9, s3
	s_cselect_b32 s10, s11, s10
	s_cselect_b32 s9, s12, s9
	s_add_i32 s11, s10, 1
	s_cmp_ge_u32 s9, s3
	s_cselect_b32 s3, s11, s10
	s_xor_b32 s3, s3, s8
	s_sub_i32 s12, s3, s8
	s_abs_i32 s10, s12
	v_cvt_f32_u32_e32 v1, s10
	s_load_dwordx2 s[8:9], s[0:1], 0x40
	s_sub_i32 s3, 0, s10
	s_abs_i32 s11, s2
	v_rcp_iflag_f32_e32 v1, v1
	s_nop 0
	v_mul_f32_e32 v1, 0x4f7ffffe, v1
	v_cvt_u32_f32_e32 v1, v1
	s_nop 0
	v_readfirstlane_b32 s13, v1
	s_mul_i32 s3, s3, s13
	s_mul_hi_u32 s3, s13, s3
	s_add_i32 s13, s13, s3
	s_waitcnt lgkmcnt(0)
	s_cmp_eq_u64 s[8:9], 0
	s_mul_hi_u32 s20, s11, s13
	s_cbranch_scc1 .LBB174_2
; %bb.1:
	s_ashr_i32 s3, s2, 31
	s_lshl_b64 s[14:15], s[2:3], 2
	s_add_u32 s8, s8, s14
	s_addc_u32 s9, s9, s15
	s_load_dword s28, s[8:9], 0x0
.LBB174_2:
	s_load_dword s17, s[6:7], 0x0
	s_ashr_i32 s7, s12, 31
	s_load_dwordx4 s[12:15], s[0:1], 0x48
	s_movk_i32 s3, 0x60
	s_ashr_i32 s6, s2, 31
	v_and_b32_e32 v14, 7, v0
	s_mul_i32 s18, s2, 0x60
	v_cmp_gt_u32_e32 vcc, s3, v0
	v_lshlrev_b32_e32 v18, 2, v0
	v_lshrrev_b32_e32 v1, 1, v0
	s_and_saveexec_b64 s[2:3], vcc
	s_cbranch_execz .LBB174_4
; %bb.3:
	s_load_dwordx2 s[8:9], s[0:1], 0x8
	s_waitcnt lgkmcnt(0)
	s_mul_i32 s22, s12, s16
	s_ashr_i32 s23, s22, 31
	s_lshl_b64 s[22:23], s[22:23], 2
	v_and_b32_e32 v3, 0x1fc, v1
	s_add_u32 s12, s8, s22
	s_addc_u32 s15, s9, s23
	s_ashr_i32 s19, s18, 31
	s_lshl_b64 s[8:9], s[18:19], 2
	s_add_u32 s8, s12, s8
	s_addc_u32 s9, s15, s9
	global_load_dword v2, v18, s[8:9]
	v_mad_u32_u24 v3, v14, 48, v3
	s_waitcnt vmcnt(0)
	ds_write_b32 v3, v2
.LBB174_4:
	s_or_b64 exec, exec, s[2:3]
	s_waitcnt lgkmcnt(0)
	s_add_i32 s3, s17, 7
	s_ashr_i32 s8, s3, 31
	s_lshr_b32 s8, s8, 29
	s_add_i32 s3, s3, s8
	s_ashr_i32 s19, s3, 3
	s_xor_b32 s3, s6, s7
	s_mul_i32 s6, s20, s10
	s_sub_i32 s6, s11, s6
	s_add_i32 s7, s20, 1
	s_sub_i32 s8, s6, s10
	s_load_dwordx2 s[22:23], s[0:1], 0x28
	s_load_dword s2, s[0:1], 0x38
	s_cmp_ge_u32 s6, s10
	s_cselect_b32 s7, s7, s20
	s_cselect_b32 s6, s8, s6
	s_add_i32 s8, s7, 1
	s_cmp_ge_u32 s6, s10
	s_cselect_b32 s6, s8, s7
	v_lshrrev_b32_e32 v26, 6, v0
	s_xor_b32 s6, s6, s3
	s_waitcnt lgkmcnt(0)
	s_mul_i32 s24, s2, s16
	s_sub_i32 s33, s6, s3
	s_ashr_i32 s25, s24, 31
	v_cmp_gt_i32_e64 s[2:3], s19, v26
	v_cmp_le_i32_e32 vcc, s19, v26
	v_mbcnt_lo_u32_b32 v15, -1, 0
	s_barrier
                                        ; implicit-def: $vgpr20
                                        ; implicit-def: $vgpr22
                                        ; implicit-def: $vgpr21
	s_and_saveexec_b64 s[6:7], vcc
	s_xor_b64 s[6:7], exec, s[6:7]
; %bb.5:
	v_mbcnt_hi_u32_b32 v20, -1, v15
	v_and_b32_e32 v22, 64, v20
	v_add_u32_e32 v21, 64, v22
                                        ; implicit-def: $vgpr14
                                        ; implicit-def: $vgpr15
; %bb.6:
	s_or_saveexec_b64 s[30:31], s[6:7]
	s_load_dwordx2 s[20:21], s[0:1], 0x0
	s_load_dwordx2 s[26:27], s[0:1], 0x18
	s_load_dword s12, s[0:1], 0x88
	s_load_dwordx4 s[8:11], s[0:1], 0x58
	v_mov_b32_e32 v23, 0xff7fffff
	s_mul_i32 s33, s33, s14
	v_lshrrev_b32_e32 v19, 4, v0
	s_xor_b64 exec, exec, s[30:31]
	s_cbranch_execz .LBB174_12
; %bb.7:
	v_mbcnt_hi_u32_b32 v20, -1, v15
	v_and_b32_e32 v22, 64, v20
	v_add_u32_e32 v21, 64, v22
	v_xor_b32_e32 v15, 4, v20
	s_load_dwordx2 s[0:1], s[0:1], 0x10
	v_cmp_lt_i32_e32 vcc, v15, v21
	s_ashr_i32 s6, s33, 31
	v_mul_u32_u24_e32 v10, 48, v14
	v_cndmask_b32_e32 v15, v20, v15, vcc
	v_lshlrev_b32_e32 v24, 2, v15
	v_xor_b32_e32 v15, 2, v20
	v_cmp_lt_i32_e32 vcc, v15, v21
	v_bfe_u32 v23, v0, 3, 3
	s_waitcnt lgkmcnt(0)
	s_add_u32 s0, s0, s33
	v_cndmask_b32_e32 v15, v20, v15, vcc
	ds_read_b128 v[2:5], v10
	ds_read_b128 v[6:9], v10 offset:16
	ds_read_b128 v[10:13], v10 offset:32
	v_lshlrev_b32_e32 v25, 2, v15
	v_xor_b32_e32 v15, 1, v20
	v_lshlrev_b32_e32 v16, 4, v23
	s_addc_u32 s1, s1, s6
	v_mov_b32_e32 v17, 0
	v_cmp_lt_i32_e32 vcc, v15, v21
	s_load_dword s35, s[8:9], 0x0
	v_lshl_add_u64 v[28:29], s[0:1], 0, v[16:17]
	v_cndmask_b32_e32 v15, v20, v15, vcc
	s_sub_i32 s36, 1, s17
	v_lshlrev_b32_e32 v16, 2, v23
	s_lshl_b64 s[6:7], s[24:25], 2
	v_lshlrev_b32_e32 v27, 2, v15
	v_mov_b32_e32 v15, v17
	v_lshl_or_b32 v16, v26, 5, v16
	s_add_u32 s6, s22, s6
	v_cmp_eq_u32_e32 vcc, 0, v14
	v_lshl_add_u64 v[14:15], v[28:29], 0, v[14:15]
	v_add_u32_e32 v29, 0x190, v16
	v_and_b32_e32 v16, 60, v19
	s_addc_u32 s7, s23, s7
	s_mov_b32 s34, s13
	v_cmp_neq_f32_e64 s[0:1], s28, 0
	v_lshl_or_b32 v28, v26, 3, v23
	v_lshl_add_u64 v[16:17], s[6:7], 0, v[16:17]
	v_mov_b32_e32 v23, 0xff7fffff
	s_mov_b64 s[8:9], 0
	v_mov_b32_e32 v30, v26
	s_branch .LBB174_9
.LBB174_8:                              ;   in Loop: Header=BB174_9 Depth=1
	s_or_b64 exec, exec, s[14:15]
	v_add_u32_e32 v30, 2, v30
	v_cmp_le_i32_e64 s[6:7], s19, v30
	v_add_u32_e32 v28, 16, v28
	v_add_u32_e32 v29, 64, v29
	s_or_b64 s[8:9], s[6:7], s[8:9]
	v_lshl_add_u64 v[16:17], v[16:17], 0, 8
	s_andn2_b64 exec, exec, s[8:9]
	s_cbranch_execz .LBB174_11
.LBB174_9:                              ; =>This Inner Loop Header: Depth=1
	global_load_dword v31, v[16:17], off
	s_waitcnt vmcnt(0) lgkmcnt(0)
	v_mad_i64_i32 v[32:33], s[6:7], v31, s34, v[14:15]
	global_load_ubyte v31, v[32:33], off
	global_load_ubyte v34, v[32:33], off offset:8
	global_load_ubyte v35, v[32:33], off offset:128
	global_load_ubyte v36, v[32:33], off offset:136
	global_load_ubyte v37, v[32:33], off offset:256
	global_load_ubyte v38, v[32:33], off offset:264
	global_load_ubyte v39, v[32:33], off offset:384
	global_load_ubyte v40, v[32:33], off offset:392
	global_load_ubyte v41, v[32:33], off offset:512
	global_load_ubyte v42, v[32:33], off offset:520
	global_load_ubyte v43, v[32:33], off offset:640
	global_load_ubyte v44, v[32:33], off offset:648
	s_waitcnt vmcnt(11)
	v_cvt_f32_fp8_e32 v31, v31
	s_waitcnt vmcnt(10)
	v_cvt_f32_fp8_e32 v32, v34
	;; [unrolled: 2-line block ×5, first 2 shown]
	s_waitcnt lgkmcnt(0)
	v_mul_f32_e32 v32, s35, v32
	s_waitcnt vmcnt(6)
	v_cvt_f32_fp8_e32 v36, v38
	v_mul_f32_e32 v31, s35, v31
	v_mul_f32_e32 v32, v3, v32
	s_waitcnt vmcnt(5)
	v_cvt_f32_fp8_e32 v37, v39
	v_mul_f32_e32 v33, s35, v33
	v_fmac_f32_e32 v32, v2, v31
	s_waitcnt vmcnt(4)
	v_cvt_f32_fp8_e32 v38, v40
	v_mul_f32_e32 v34, s35, v34
	v_fmac_f32_e32 v32, v4, v33
	;; [unrolled: 4-line block ×6, first 2 shown]
	v_mul_f32_e32 v39, s35, v39
	v_fmac_f32_e32 v32, v9, v38
	v_mul_f32_e32 v40, s35, v40
	v_fmac_f32_e32 v32, v10, v39
	;; [unrolled: 2-line block ×4, first 2 shown]
	v_fmac_f32_e32 v32, v13, v42
	ds_bpermute_b32 v31, v24, v32
	s_waitcnt lgkmcnt(0)
	v_add_f32_e32 v31, v32, v31
	ds_bpermute_b32 v32, v25, v31
	s_waitcnt lgkmcnt(0)
	v_add_f32_e32 v31, v31, v32
	ds_bpermute_b32 v32, v27, v31
	s_and_saveexec_b64 s[14:15], vcc
	s_cbranch_execz .LBB174_8
; %bb.10:                               ;   in Loop: Header=BB174_9 Depth=1
	v_add_u32_e32 v33, s36, v28
	v_cvt_f32_i32_e32 v33, v33
	s_waitcnt lgkmcnt(0)
	v_add_f32_e32 v31, v31, v32
	v_cmp_gt_i32_e64 s[6:7], s17, v28
	v_max_f32_e32 v32, v23, v23
	v_mul_f32_e32 v33, s28, v33
	v_cndmask_b32_e64 v33, 0, v33, s[0:1]
	v_fmac_f32_e32 v33, s29, v31
	v_cndmask_b32_e64 v31, 0, v33, s[6:7]
	ds_write_b32 v29, v31
	v_max_f32_e32 v31, v32, v33
	v_cndmask_b32_e64 v23, v23, v31, s[6:7]
	s_branch .LBB174_8
.LBB174_11:
	s_or_b64 exec, exec, s[8:9]
.LBB174_12:
	s_or_b64 exec, exec, s[30:31]
	v_xor_b32_e32 v2, 32, v20
	v_cmp_lt_i32_e32 vcc, v2, v21
	v_xor_b32_e32 v5, 16, v20
	v_max_f32_e32 v4, v23, v23
	v_cndmask_b32_e32 v2, v20, v2, vcc
	v_lshlrev_b32_e32 v3, 2, v2
	ds_bpermute_b32 v2, v3, v23
	v_cmp_lt_i32_e32 vcc, v5, v21
	v_xor_b32_e32 v6, 8, v20
	v_and_b32_e32 v27, 63, v0
	s_waitcnt lgkmcnt(0)
	v_max_f32_e32 v2, v2, v2
	v_max_f32_e32 v2, v4, v2
	v_cndmask_b32_e32 v4, v20, v5, vcc
	v_lshlrev_b32_e32 v5, 2, v4
	ds_bpermute_b32 v4, v5, v2
	v_cmp_lt_i32_e32 vcc, v6, v21
	s_waitcnt lgkmcnt(0)
	v_max_f32_e32 v4, v4, v4
	v_max_f32_e32 v4, v2, v4
	v_cndmask_b32_e32 v2, v20, v6, vcc
	v_lshlrev_b32_e32 v6, 2, v2
	ds_bpermute_b32 v7, v6, v4
	v_cmp_eq_u32_e32 vcc, 0, v27
	v_lshlrev_b32_e32 v2, 2, v26
	s_and_saveexec_b64 s[0:1], vcc
	s_cbranch_execz .LBB174_14
; %bb.13:
	s_waitcnt lgkmcnt(0)
	v_max_f32_e32 v7, v7, v7
	v_max_f32_e32 v4, v4, v4
	;; [unrolled: 1-line block ×3, first 2 shown]
	ds_write_b32 v2, v4 offset:384
.LBB174_14:
	s_or_b64 exec, exec, s[0:1]
	v_cmp_gt_u32_e64 s[0:1], 2, v27
	s_waitcnt lgkmcnt(0)
	v_mov_b32_e32 v7, 0xff7fffff
	v_lshlrev_b32_e32 v4, 2, v27
	s_barrier
	s_and_saveexec_b64 s[6:7], s[0:1]
; %bb.15:
	ds_read_b32 v7, v4 offset:384
; %bb.16:
	s_or_b64 exec, exec, s[6:7]
	v_xor_b32_e32 v8, 1, v20
	v_cmp_lt_i32_e64 s[6:7], v8, v21
	s_nop 1
	v_cndmask_b32_e64 v8, v20, v8, s[6:7]
	v_lshlrev_b32_e32 v28, 2, v8
	s_waitcnt lgkmcnt(0)
	ds_bpermute_b32 v8, v28, v7
	v_max_f32_e32 v7, v7, v7
	s_lshl_b32 s6, s19, 3
	s_min_i32 s30, s6, s17
	v_cmp_gt_i32_e64 s[6:7], s30, v0
	s_waitcnt lgkmcnt(0)
	v_max_f32_e32 v8, v8, v8
	v_max_f32_e32 v7, v7, v8
	v_lshlrev_b32_e32 v8, 2, v22
	ds_bpermute_b32 v8, v8, v7
	v_mov_b32_e32 v7, 0
	s_and_saveexec_b64 s[14:15], s[6:7]
	s_cbranch_execz .LBB174_20
; %bb.17:
	v_mov_b32_e32 v7, 0x190
	v_lshl_add_u32 v9, v0, 2, v7
	v_mov_b32_e32 v7, 0
	s_mov_b64 s[28:29], 0
	v_mov_b32_e32 v10, v0
.LBB174_18:                             ; =>This Inner Loop Header: Depth=1
	ds_read_b32 v11, v9
	v_add_u32_e32 v10, 0x80, v10
	v_cmp_le_i32_e64 s[8:9], s30, v10
	s_or_b64 s[28:29], s[8:9], s[28:29]
	s_waitcnt lgkmcnt(0)
	v_sub_f32_e32 v11, v11, v8
	v_mul_f32_e32 v11, 0x3fb8aa3b, v11
	v_exp_f32_e32 v11, v11
	ds_write_b32 v9, v11
	v_add_f32_e32 v7, v7, v11
	v_add_u32_e32 v9, 0x200, v9
	s_andn2_b64 exec, exec, s[28:29]
	s_cbranch_execnz .LBB174_18
; %bb.19:
	s_or_b64 exec, exec, s[28:29]
.LBB174_20:
	s_or_b64 exec, exec, s[14:15]
	ds_bpermute_b32 v3, v3, v7
	s_waitcnt lgkmcnt(0)
	v_add_f32_e32 v3, v7, v3
	ds_bpermute_b32 v5, v5, v3
	s_waitcnt lgkmcnt(0)
	v_add_f32_e32 v3, v3, v5
	ds_bpermute_b32 v5, v6, v3
	v_xor_b32_e32 v6, 4, v20
	v_cmp_lt_i32_e64 s[8:9], v6, v21
	s_waitcnt lgkmcnt(0)
	v_add_f32_e32 v3, v3, v5
	v_cndmask_b32_e64 v6, v20, v6, s[8:9]
	v_lshlrev_b32_e32 v6, 2, v6
	ds_bpermute_b32 v5, v6, v3
	v_xor_b32_e32 v6, 2, v20
	v_cmp_lt_i32_e64 s[8:9], v6, v21
	s_waitcnt lgkmcnt(0)
	v_add_f32_e32 v3, v3, v5
	v_cndmask_b32_e64 v6, v20, v6, s[8:9]
	v_lshlrev_b32_e32 v5, 2, v6
	ds_bpermute_b32 v5, v5, v3
	s_waitcnt lgkmcnt(0)
	v_add_f32_e32 v3, v3, v5
	ds_bpermute_b32 v5, v28, v3
	s_waitcnt lgkmcnt(0)
	v_add_f32_e32 v3, v3, v5
	s_and_saveexec_b64 s[8:9], vcc
; %bb.21:
	ds_write_b32 v2, v3 offset:392
; %bb.22:
	s_or_b64 exec, exec, s[8:9]
	s_waitcnt lgkmcnt(0)
	s_barrier
	s_and_saveexec_b64 s[8:9], s[0:1]
; %bb.23:
	ds_read_b32 v3, v4 offset:392
; %bb.24:
	s_or_b64 exec, exec, s[8:9]
	s_waitcnt lgkmcnt(0)
	ds_bpermute_b32 v2, v28, v3
	v_lshlrev_b32_e32 v4, 2, v20
	s_waitcnt lgkmcnt(0)
	v_add_f32_e32 v2, v3, v2
	v_and_b32_e32 v3, 0xffffff00, v4
	ds_bpermute_b32 v2, v3, v2
	s_and_saveexec_b64 s[0:1], s[6:7]
	s_cbranch_execz .LBB174_37
; %bb.25:
	s_waitcnt lgkmcnt(0)
	v_add_f32_e32 v2, 0x358637bd, v2
	v_div_scale_f32 v3, s[6:7], v2, v2, 1.0
	v_rcp_f32_e32 v4, v3
	v_div_scale_f32 v5, vcc, 1.0, v2, 1.0
	s_movk_i32 s6, 0x7f
	v_fma_f32 v6, -v3, v4, 1.0
	v_fmac_f32_e32 v4, v6, v4
	v_mul_f32_e32 v6, v5, v4
	v_fma_f32 v7, -v3, v6, v5
	v_fmac_f32_e32 v6, v7, v4
	v_fma_f32 v3, -v3, v6, v5
	v_div_fmas_f32 v3, v3, v4, v6
	v_xad_u32 v4, v0, -1, s30
	v_div_fixup_f32 v2, v3, v2, 1.0
	v_cmp_lt_u32_e32 vcc, s6, v4
	s_mov_b64 s[8:9], -1
	v_mov_b32_e32 v3, v0
	s_and_saveexec_b64 s[6:7], vcc
	s_cbranch_execz .LBB174_34
; %bb.26:
	v_lshrrev_b32_e32 v4, 7, v4
	v_add_u32_e32 v6, -1, v4
	v_lshrrev_b32_e32 v5, 1, v6
	v_mov_b32_e32 v3, v2
	v_add_u32_e32 v5, 1, v5
	v_cmp_lt_u32_e32 vcc, 13, v6
	v_mov_b32_e32 v8, 0
	s_and_saveexec_b64 s[8:9], vcc
	s_cbranch_execz .LBB174_30
; %bb.27:
	v_mov_b32_e32 v7, 0x190
	v_and_b32_e32 v6, -8, v5
	v_lshl_add_u32 v7, v0, 2, v7
	s_mov_b32 s28, 0
	s_mov_b64 s[14:15], 0
.LBB174_28:                             ; =>This Inner Loop Header: Depth=1
	ds_read2st64_b32 v[8:9], v7 offset1:2
	ds_read2st64_b32 v[10:11], v7 offset0:4 offset1:6
	ds_read2st64_b32 v[12:13], v7 offset0:8 offset1:10
	;; [unrolled: 1-line block ×3, first 2 shown]
	v_add_u32_e32 v6, -8, v6
	s_waitcnt lgkmcnt(3)
	v_pk_mul_f32 v[8:9], v[2:3], v[8:9]
	s_waitcnt lgkmcnt(2)
	v_pk_mul_f32 v[10:11], v[2:3], v[10:11]
	ds_write2st64_b32 v7, v8, v9 offset1:2
	ds_write2st64_b32 v7, v10, v11 offset0:4 offset1:6
	ds_read2st64_b32 v[10:11], v7 offset0:16 offset1:18
	s_waitcnt lgkmcnt(4)
	v_pk_mul_f32 v[8:9], v[2:3], v[12:13]
	ds_write2st64_b32 v7, v8, v9 offset0:8 offset1:10
	s_waitcnt lgkmcnt(4)
	v_pk_mul_f32 v[8:9], v[2:3], v[14:15]
	ds_write2st64_b32 v7, v8, v9 offset0:12 offset1:14
	ds_read2st64_b32 v[8:9], v7 offset0:20 offset1:22
	s_waitcnt lgkmcnt(3)
	v_pk_mul_f32 v[10:11], v[2:3], v[10:11]
	ds_read2st64_b32 v[12:13], v7 offset0:24 offset1:26
	ds_write2st64_b32 v7, v10, v11 offset0:16 offset1:18
	ds_read2st64_b32 v[10:11], v7 offset0:28 offset1:30
	s_waitcnt lgkmcnt(3)
	v_pk_mul_f32 v[8:9], v[2:3], v[8:9]
	ds_write2st64_b32 v7, v8, v9 offset0:20 offset1:22
	s_waitcnt lgkmcnt(3)
	v_pk_mul_f32 v[8:9], v[2:3], v[12:13]
	ds_write2st64_b32 v7, v8, v9 offset0:24 offset1:26
	s_waitcnt lgkmcnt(2)
	v_pk_mul_f32 v[8:9], v[2:3], v[10:11]
	s_add_i32 s28, s28, 16
	v_cmp_eq_u32_e32 vcc, 0, v6
	ds_write2st64_b32 v7, v8, v9 offset0:28 offset1:30
	v_add_u32_e32 v7, 0x2000, v7
	s_or_b64 s[14:15], vcc, s[14:15]
	v_mov_b32_e32 v8, s28
	s_andn2_b64 exec, exec, s[14:15]
	s_cbranch_execnz .LBB174_28
; %bb.29:
	s_or_b64 exec, exec, s[14:15]
.LBB174_30:
	s_or_b64 exec, exec, s[8:9]
	v_and_b32_e32 v5, 7, v5
	v_cmp_ne_u32_e32 vcc, 0, v5
	s_and_saveexec_b64 s[8:9], vcc
	s_cbranch_execz .LBB174_33
; %bb.31:
	v_lshlrev_b32_e32 v6, 9, v8
	s_movk_i32 s14, 0x190
	v_add3_u32 v6, v6, v18, s14
	s_mov_b64 s[14:15], 0
.LBB174_32:                             ; =>This Inner Loop Header: Depth=1
	ds_read2st64_b32 v[8:9], v6 offset1:2
	v_add_u32_e32 v5, -1, v5
	v_cmp_eq_u32_e32 vcc, 0, v5
	s_or_b64 s[14:15], vcc, s[14:15]
	s_waitcnt lgkmcnt(0)
	v_pk_mul_f32 v[8:9], v[2:3], v[8:9]
	ds_write2st64_b32 v6, v8, v9 offset1:2
	v_add_u32_e32 v6, 0x400, v6
	s_andn2_b64 exec, exec, s[14:15]
	s_cbranch_execnz .LBB174_32
.LBB174_33:
	s_or_b64 exec, exec, s[8:9]
	v_add_u32_e32 v4, 1, v4
	v_and_b32_e32 v5, 0x3fffffe, v4
	v_cmp_ne_u32_e32 vcc, v4, v5
	v_lshl_add_u32 v3, v5, 7, v0
	s_orn2_b64 s[8:9], vcc, exec
.LBB174_34:
	s_or_b64 exec, exec, s[6:7]
	s_and_b64 exec, exec, s[8:9]
	s_cbranch_execz .LBB174_37
; %bb.35:
	v_mov_b32_e32 v4, 0x190
	v_lshl_add_u32 v4, v3, 2, v4
	s_mov_b64 s[6:7], 0
.LBB174_36:                             ; =>This Inner Loop Header: Depth=1
	ds_read_b32 v5, v4
	v_add_u32_e32 v3, 0x80, v3
	v_cmp_le_i32_e32 vcc, s30, v3
	s_or_b64 s[6:7], vcc, s[6:7]
	s_waitcnt lgkmcnt(0)
	v_mul_f32_e32 v5, v2, v5
	ds_write_b32 v4, v5
	v_add_u32_e32 v4, 0x200, v4
	s_andn2_b64 exec, exec, s[6:7]
	s_cbranch_execnz .LBB174_36
.LBB174_37:
	s_or_b64 exec, exec, s[0:1]
	v_mov_b32_e32 v9, 0
	v_and_b32_e32 v29, 1, v0
	v_mov_b32_e32 v8, 0
	v_mov_b32_e32 v7, 0
	s_waitcnt lgkmcnt(0)
	s_barrier
	s_and_saveexec_b64 s[6:7], s[2:3]
	s_cbranch_execz .LBB174_47
; %bb.38:
	s_ashr_i32 s1, s33, 31
	s_load_dword s2, s[10:11], 0x0
	s_add_u32 s0, s26, s33
	s_addc_u32 s1, s27, s1
	v_and_b32_e32 v6, 0xfc, v18
	v_mov_b32_e32 v7, 0
	v_and_b32_e32 v2, 4, v18
	s_add_i32 s14, s19, -1
	v_lshl_add_u64 v[10:11], s[0:1], 0, v[6:7]
	s_lshl_b64 s[0:1], s[24:25], 2
	v_lshl_or_b32 v30, v26, 3, v2
	v_lshlrev_b32_e32 v2, 4, v29
	s_add_u32 s0, s22, s0
	v_lshl_or_b32 v2, v26, 5, v2
	v_and_b32_e32 v6, 60, v19
	s_addc_u32 s1, s23, s1
	s_waitcnt lgkmcnt(0)
	s_mov_b32 s3, s2
	s_mov_b32 s15, s17
	v_add_u32_e32 v31, 0x190, v2
	v_lshl_add_u64 v[12:13], s[0:1], 0, v[6:7]
	s_mov_b64 s[8:9], 0
	v_mov_b32_e32 v9, v7
	v_mov_b32_e32 v8, v7
	s_branch .LBB174_40
.LBB174_39:                             ;   in Loop: Header=BB174_40 Depth=1
	s_or_b64 exec, exec, s[0:1]
	s_waitcnt lgkmcnt(0)
	v_mul_f32_e32 v6, v2, v22
	v_fmac_f32_e32 v6, v3, v23
	v_fmac_f32_e32 v6, v4, v20
	;; [unrolled: 1-line block ×3, first 2 shown]
	v_add_f32_e32 v9, v9, v6
	v_mul_f32_e32 v6, v2, v16
	v_fmac_f32_e32 v6, v3, v17
	v_fmac_f32_e32 v6, v4, v14
	v_pk_mul_f32 v[2:3], v[2:3], v[24:25]
	v_fmac_f32_e32 v6, v5, v15
	v_pk_mul_f32 v[4:5], v[4:5], v[18:19]
	v_add_f32_e32 v2, v3, v2
	v_add_f32_e32 v2, v4, v2
	v_add_u32_e32 v26, 2, v26
	v_add_f32_e32 v2, v5, v2
	v_cmp_le_i32_e32 vcc, s19, v26
	v_add_f32_e32 v8, v8, v6
	v_add_f32_e32 v7, v7, v2
	v_add_u32_e32 v30, 16, v30
	v_add_u32_e32 v31, 64, v31
	s_or_b64 s[8:9], vcc, s[8:9]
	v_lshl_add_u64 v[12:13], v[12:13], 0, 8
	s_andn2_b64 exec, exec, s[8:9]
	s_cbranch_execz .LBB174_46
.LBB174_40:                             ; =>This Inner Loop Header: Depth=1
	global_load_dword v2, v[12:13], off
	v_cmp_eq_u32_e32 vcc, s14, v26
	v_add_u32_e32 v24, 2, v30
	v_add_u32_e32 v25, 3, v30
	s_waitcnt vmcnt(0)
	v_mad_i64_i32 v[18:19], s[0:1], v2, s13, v[10:11]
	global_load_dword v6, v[18:19], off
	ds_read_b128 v[2:5], v31
	s_waitcnt vmcnt(0)
	v_and_b32_e32 v14, 0xffff, v6
	v_lshrrev_b32_e32 v6, 16, v6
	v_cvt_pk_f32_fp8_e32 v[14:15], v14
	v_cvt_pk_f32_fp8_e32 v[20:21], v6
	v_add_u32_e32 v6, 1, v30
	v_pk_mul_f32 v[16:17], s[2:3], v[14:15]
	v_pk_mul_f32 v[14:15], s[2:3], v[20:21]
	s_and_saveexec_b64 s[10:11], vcc
; %bb.41:                               ;   in Loop: Header=BB174_40 Depth=1
	v_cmp_gt_i32_e64 s[0:1], s17, v30
	s_nop 1
	v_cndmask_b32_e64 v16, 0, v16, s[0:1]
	v_cmp_gt_i32_e64 s[0:1], s17, v6
	s_nop 1
	v_cndmask_b32_e64 v17, 0, v17, s[0:1]
	;; [unrolled: 3-line block ×4, first 2 shown]
; %bb.42:                               ;   in Loop: Header=BB174_40 Depth=1
	s_or_b64 exec, exec, s[10:11]
	global_load_dword v20, v[18:19], off offset:256
	s_waitcnt vmcnt(0)
	v_and_b32_e32 v21, 0xffff, v20
	v_lshrrev_b32_e32 v22, 16, v20
	v_cvt_pk_f32_fp8_e32 v[20:21], v21
	v_cvt_pk_f32_fp8_e32 v[32:33], v22
	v_pk_mul_f32 v[22:23], s[2:3], v[20:21]
	v_pk_mul_f32 v[20:21], s[2:3], v[32:33]
	s_and_saveexec_b64 s[10:11], vcc
; %bb.43:                               ;   in Loop: Header=BB174_40 Depth=1
	v_cmp_gt_i32_e64 s[0:1], s17, v30
	s_nop 1
	v_cndmask_b32_e64 v22, 0, v22, s[0:1]
	v_cmp_gt_i32_e64 s[0:1], s17, v6
	s_nop 1
	v_cndmask_b32_e64 v23, 0, v23, s[0:1]
	v_cmp_gt_i32_e64 s[0:1], s17, v24
	s_nop 1
	v_cndmask_b32_e64 v20, 0, v20, s[0:1]
	v_cmp_gt_i32_e64 s[0:1], s17, v25
	s_nop 1
	v_cndmask_b32_e64 v21, 0, v21, s[0:1]
; %bb.44:                               ;   in Loop: Header=BB174_40 Depth=1
	s_or_b64 exec, exec, s[10:11]
	global_load_dword v18, v[18:19], off offset:512
	s_waitcnt vmcnt(0)
	v_and_b32_e32 v19, 0xffff, v18
	v_lshrrev_b32_e32 v24, 16, v18
	v_cvt_pk_f32_fp8_e32 v[18:19], v19
	v_cvt_pk_f32_fp8_e32 v[32:33], v24
	v_pk_mul_f32 v[24:25], s[2:3], v[18:19]
	v_pk_mul_f32 v[18:19], s[2:3], v[32:33]
	s_and_saveexec_b64 s[0:1], vcc
	s_cbranch_execz .LBB174_39
; %bb.45:                               ;   in Loop: Header=BB174_40 Depth=1
	v_cmp_gt_i32_e32 vcc, s15, v6
	v_or_b32_e32 v6, 3, v30
	v_or_b32_e32 v32, 2, v30
	v_cndmask_b32_e32 v25, 0, v25, vcc
	v_cmp_gt_i32_e32 vcc, s17, v30
	s_nop 1
	v_cndmask_b32_e32 v24, 0, v24, vcc
	v_cmp_gt_i32_e32 vcc, s15, v6
	s_nop 1
	;; [unrolled: 3-line block ×3, first 2 shown]
	v_cndmask_b32_e32 v18, 0, v18, vcc
	s_branch .LBB174_39
.LBB174_46:
	s_or_b64 exec, exec, s[8:9]
.LBB174_47:
	s_or_b64 exec, exec, s[6:7]
	ds_bpermute_b32 v2, v28, v8
	ds_bpermute_b32 v3, v28, v9
	;; [unrolled: 1-line block ×3, first 2 shown]
	v_and_b32_e32 v5, 0x3c1, v0
	v_cmp_ne_u32_e32 vcc, 64, v5
	s_waitcnt lgkmcnt(0)
	v_pk_add_f32 v[2:3], v[8:9], v[2:3]
	s_barrier
	s_and_saveexec_b64 s[0:1], vcc
	s_xor_b64 s[0:1], exec, s[0:1]
; %bb.48:
                                        ; implicit-def: $vgpr27
; %bb.49:
	s_or_saveexec_b64 s[0:1], s[0:1]
	v_add_f32_e32 v4, v7, v4
	s_xor_b64 exec, exec, s[0:1]
	s_cbranch_execz .LBB174_51
; %bb.50:
	v_mov_b32_e32 v6, 0x190
	v_lshl_add_u32 v6, v27, 1, v6
	ds_write2_b32 v6, v2, v3 offset1:32
	ds_write_b32 v6, v4 offset:256
.LBB174_51:
	s_or_b64 exec, exec, s[0:1]
	v_cmp_gt_u32_e32 vcc, 64, v0
	s_waitcnt lgkmcnt(0)
	s_barrier
	s_and_saveexec_b64 s[0:1], vcc
	s_cbranch_execz .LBB174_57
; %bb.52:
	v_mov_b32_e32 v0, 0x190
	v_cmp_eq_u32_e32 vcc, 0, v29
	v_lshl_add_u32 v0, v1, 2, v0
	s_and_saveexec_b64 s[2:3], vcc
	s_cbranch_execnz .LBB174_60
; %bb.53:
	s_or_b64 exec, exec, s[2:3]
	s_and_saveexec_b64 s[2:3], vcc
	s_cbranch_execnz .LBB174_61
.LBB174_54:
	s_or_b64 exec, exec, s[2:3]
	s_and_saveexec_b64 s[2:3], vcc
	s_cbranch_execz .LBB174_56
.LBB174_55:
	ds_read_b32 v0, v0 offset:256
	s_waitcnt lgkmcnt(0)
	v_add_f32_e32 v4, v4, v0
.LBB174_56:
	s_or_b64 exec, exec, s[2:3]
.LBB174_57:
	s_or_b64 exec, exec, s[0:1]
	v_cmp_eq_u32_e32 vcc, 0, v5
	s_barrier
	s_and_saveexec_b64 s[0:1], vcc
	s_cbranch_execz .LBB174_59
; %bb.58:
	s_mul_i32 s0, s16, s12
	s_mul_i32 s0, s0, s5
	s_mulk_i32 s0, 0x60
	s_ashr_i32 s1, s0, 31
	s_lshl_b64 s[0:1], s[0:1], 2
	s_add_u32 s2, s20, s0
	s_mul_i32 s0, s12, s18
	s_addc_u32 s3, s21, s1
	s_ashr_i32 s1, s0, 31
	s_lshl_b64 s[0:1], s[0:1], 2
	s_add_u32 s2, s2, s0
	s_mul_i32 s0, s4, 0x60
	s_addc_u32 s3, s3, s1
	s_ashr_i32 s1, s0, 31
	s_lshl_b64 s[0:1], s[0:1], 2
	s_add_u32 s0, s2, s0
	s_addc_u32 s1, s3, s1
	v_lshlrev_b32_e32 v0, 2, v1
	global_store_dword v0, v2, s[0:1]
	global_store_dword v0, v3, s[0:1] offset:128
	global_store_dword v0, v4, s[0:1] offset:256
.LBB174_59:
	s_endpgm
.LBB174_60:
	ds_read_b32 v6, v0
	s_waitcnt lgkmcnt(0)
	v_add_f32_e32 v2, v2, v6
	s_or_b64 exec, exec, s[2:3]
	s_and_saveexec_b64 s[2:3], vcc
	s_cbranch_execz .LBB174_54
.LBB174_61:
	ds_read_b32 v6, v0 offset:128
	s_waitcnt lgkmcnt(0)
	v_add_f32_e32 v3, v3, v6
	s_or_b64 exec, exec, s[2:3]
	s_and_saveexec_b64 s[2:3], vcc
	s_cbranch_execnz .LBB174_55
	s_branch .LBB174_56
	.section	.rodata,"a",@progbits
	.p2align	6, 0x0
	.amdhsa_kernel _ZN4vllm25paged_attention_v1_kernelIfhLi96ELi8ELi128ELNS_18Fp8KVCacheDataTypeE1ELb0EEEvPT_PKS2_PKT0_S8_ifPKiSA_iPKfiiiSC_SC_iiiii
		.amdhsa_group_segment_fixed_size 400
		.amdhsa_private_segment_fixed_size 0
		.amdhsa_kernarg_size 384
		.amdhsa_user_sgpr_count 2
		.amdhsa_user_sgpr_dispatch_ptr 0
		.amdhsa_user_sgpr_queue_ptr 0
		.amdhsa_user_sgpr_kernarg_segment_ptr 1
		.amdhsa_user_sgpr_dispatch_id 0
		.amdhsa_user_sgpr_kernarg_preload_length 0
		.amdhsa_user_sgpr_kernarg_preload_offset 0
		.amdhsa_user_sgpr_private_segment_size 0
		.amdhsa_uses_dynamic_stack 0
		.amdhsa_enable_private_segment 0
		.amdhsa_system_sgpr_workgroup_id_x 1
		.amdhsa_system_sgpr_workgroup_id_y 1
		.amdhsa_system_sgpr_workgroup_id_z 1
		.amdhsa_system_sgpr_workgroup_info 0
		.amdhsa_system_vgpr_workitem_id 0
		.amdhsa_next_free_vgpr 45
		.amdhsa_next_free_sgpr 37
		.amdhsa_accum_offset 48
		.amdhsa_reserve_vcc 1
		.amdhsa_float_round_mode_32 0
		.amdhsa_float_round_mode_16_64 0
		.amdhsa_float_denorm_mode_32 3
		.amdhsa_float_denorm_mode_16_64 3
		.amdhsa_dx10_clamp 1
		.amdhsa_ieee_mode 1
		.amdhsa_fp16_overflow 0
		.amdhsa_tg_split 0
		.amdhsa_exception_fp_ieee_invalid_op 0
		.amdhsa_exception_fp_denorm_src 0
		.amdhsa_exception_fp_ieee_div_zero 0
		.amdhsa_exception_fp_ieee_overflow 0
		.amdhsa_exception_fp_ieee_underflow 0
		.amdhsa_exception_fp_ieee_inexact 0
		.amdhsa_exception_int_div_zero 0
	.end_amdhsa_kernel
	.section	.text._ZN4vllm25paged_attention_v1_kernelIfhLi96ELi8ELi128ELNS_18Fp8KVCacheDataTypeE1ELb0EEEvPT_PKS2_PKT0_S8_ifPKiSA_iPKfiiiSC_SC_iiiii,"axG",@progbits,_ZN4vllm25paged_attention_v1_kernelIfhLi96ELi8ELi128ELNS_18Fp8KVCacheDataTypeE1ELb0EEEvPT_PKS2_PKT0_S8_ifPKiSA_iPKfiiiSC_SC_iiiii,comdat
.Lfunc_end174:
	.size	_ZN4vllm25paged_attention_v1_kernelIfhLi96ELi8ELi128ELNS_18Fp8KVCacheDataTypeE1ELb0EEEvPT_PKS2_PKT0_S8_ifPKiSA_iPKfiiiSC_SC_iiiii, .Lfunc_end174-_ZN4vllm25paged_attention_v1_kernelIfhLi96ELi8ELi128ELNS_18Fp8KVCacheDataTypeE1ELb0EEEvPT_PKS2_PKT0_S8_ifPKiSA_iPKfiiiSC_SC_iiiii
                                        ; -- End function
	.set _ZN4vllm25paged_attention_v1_kernelIfhLi96ELi8ELi128ELNS_18Fp8KVCacheDataTypeE1ELb0EEEvPT_PKS2_PKT0_S8_ifPKiSA_iPKfiiiSC_SC_iiiii.num_vgpr, 45
	.set _ZN4vllm25paged_attention_v1_kernelIfhLi96ELi8ELi128ELNS_18Fp8KVCacheDataTypeE1ELb0EEEvPT_PKS2_PKT0_S8_ifPKiSA_iPKfiiiSC_SC_iiiii.num_agpr, 0
	.set _ZN4vllm25paged_attention_v1_kernelIfhLi96ELi8ELi128ELNS_18Fp8KVCacheDataTypeE1ELb0EEEvPT_PKS2_PKT0_S8_ifPKiSA_iPKfiiiSC_SC_iiiii.numbered_sgpr, 37
	.set _ZN4vllm25paged_attention_v1_kernelIfhLi96ELi8ELi128ELNS_18Fp8KVCacheDataTypeE1ELb0EEEvPT_PKS2_PKT0_S8_ifPKiSA_iPKfiiiSC_SC_iiiii.num_named_barrier, 0
	.set _ZN4vllm25paged_attention_v1_kernelIfhLi96ELi8ELi128ELNS_18Fp8KVCacheDataTypeE1ELb0EEEvPT_PKS2_PKT0_S8_ifPKiSA_iPKfiiiSC_SC_iiiii.private_seg_size, 0
	.set _ZN4vllm25paged_attention_v1_kernelIfhLi96ELi8ELi128ELNS_18Fp8KVCacheDataTypeE1ELb0EEEvPT_PKS2_PKT0_S8_ifPKiSA_iPKfiiiSC_SC_iiiii.uses_vcc, 1
	.set _ZN4vllm25paged_attention_v1_kernelIfhLi96ELi8ELi128ELNS_18Fp8KVCacheDataTypeE1ELb0EEEvPT_PKS2_PKT0_S8_ifPKiSA_iPKfiiiSC_SC_iiiii.uses_flat_scratch, 0
	.set _ZN4vllm25paged_attention_v1_kernelIfhLi96ELi8ELi128ELNS_18Fp8KVCacheDataTypeE1ELb0EEEvPT_PKS2_PKT0_S8_ifPKiSA_iPKfiiiSC_SC_iiiii.has_dyn_sized_stack, 0
	.set _ZN4vllm25paged_attention_v1_kernelIfhLi96ELi8ELi128ELNS_18Fp8KVCacheDataTypeE1ELb0EEEvPT_PKS2_PKT0_S8_ifPKiSA_iPKfiiiSC_SC_iiiii.has_recursion, 0
	.set _ZN4vllm25paged_attention_v1_kernelIfhLi96ELi8ELi128ELNS_18Fp8KVCacheDataTypeE1ELb0EEEvPT_PKS2_PKT0_S8_ifPKiSA_iPKfiiiSC_SC_iiiii.has_indirect_call, 0
	.section	.AMDGPU.csdata,"",@progbits
; Kernel info:
; codeLenInByte = 3768
; TotalNumSgprs: 43
; NumVgprs: 45
; NumAgprs: 0
; TotalNumVgprs: 45
; ScratchSize: 0
; MemoryBound: 0
; FloatMode: 240
; IeeeMode: 1
; LDSByteSize: 400 bytes/workgroup (compile time only)
; SGPRBlocks: 5
; VGPRBlocks: 5
; NumSGPRsForWavesPerEU: 43
; NumVGPRsForWavesPerEU: 45
; AccumOffset: 48
; Occupancy: 8
; WaveLimiterHint : 1
; COMPUTE_PGM_RSRC2:SCRATCH_EN: 0
; COMPUTE_PGM_RSRC2:USER_SGPR: 2
; COMPUTE_PGM_RSRC2:TRAP_HANDLER: 0
; COMPUTE_PGM_RSRC2:TGID_X_EN: 1
; COMPUTE_PGM_RSRC2:TGID_Y_EN: 1
; COMPUTE_PGM_RSRC2:TGID_Z_EN: 1
; COMPUTE_PGM_RSRC2:TIDIG_COMP_CNT: 0
; COMPUTE_PGM_RSRC3_GFX90A:ACCUM_OFFSET: 11
; COMPUTE_PGM_RSRC3_GFX90A:TG_SPLIT: 0
	.section	.text._ZN4vllm25paged_attention_v1_kernelIfhLi112ELi8ELi128ELNS_18Fp8KVCacheDataTypeE1ELb0EEEvPT_PKS2_PKT0_S8_ifPKiSA_iPKfiiiSC_SC_iiiii,"axG",@progbits,_ZN4vllm25paged_attention_v1_kernelIfhLi112ELi8ELi128ELNS_18Fp8KVCacheDataTypeE1ELb0EEEvPT_PKS2_PKT0_S8_ifPKiSA_iPKfiiiSC_SC_iiiii,comdat
	.protected	_ZN4vllm25paged_attention_v1_kernelIfhLi112ELi8ELi128ELNS_18Fp8KVCacheDataTypeE1ELb0EEEvPT_PKS2_PKT0_S8_ifPKiSA_iPKfiiiSC_SC_iiiii ; -- Begin function _ZN4vllm25paged_attention_v1_kernelIfhLi112ELi8ELi128ELNS_18Fp8KVCacheDataTypeE1ELb0EEEvPT_PKS2_PKT0_S8_ifPKiSA_iPKfiiiSC_SC_iiiii
	.globl	_ZN4vllm25paged_attention_v1_kernelIfhLi112ELi8ELi128ELNS_18Fp8KVCacheDataTypeE1ELb0EEEvPT_PKS2_PKT0_S8_ifPKiSA_iPKfiiiSC_SC_iiiii
	.p2align	8
	.type	_ZN4vllm25paged_attention_v1_kernelIfhLi112ELi8ELi128ELNS_18Fp8KVCacheDataTypeE1ELb0EEEvPT_PKS2_PKT0_S8_ifPKiSA_iPKfiiiSC_SC_iiiii,@function
_ZN4vllm25paged_attention_v1_kernelIfhLi112ELi8ELi128ELNS_18Fp8KVCacheDataTypeE1ELb0EEEvPT_PKS2_PKT0_S8_ifPKiSA_iPKfiiiSC_SC_iiiii: ; @_ZN4vllm25paged_attention_v1_kernelIfhLi112ELi8ELi128ELNS_18Fp8KVCacheDataTypeE1ELb0EEEvPT_PKS2_PKT0_S8_ifPKiSA_iPKfiiiSC_SC_iiiii
; %bb.0:
	s_load_dword s5, s[0:1], 0x80
	s_load_dwordx2 s[6:7], s[0:1], 0x30
	s_load_dwordx2 s[28:29], s[0:1], 0x20
	s_mov_b32 s16, s3
	s_ashr_i32 s17, s3, 31
	s_lshl_b64 s[8:9], s[16:17], 2
	s_waitcnt lgkmcnt(0)
	s_add_u32 s6, s6, s8
	s_addc_u32 s7, s7, s9
	s_abs_i32 s3, s28
	v_cvt_f32_u32_e32 v1, s3
	s_sub_i32 s10, 0, s3
	s_abs_i32 s9, s5
	s_xor_b32 s8, s5, s28
	v_rcp_iflag_f32_e32 v1, v1
	s_ashr_i32 s8, s8, 31
	s_mov_b32 s28, 0
	v_mul_f32_e32 v1, 0x4f7ffffe, v1
	v_cvt_u32_f32_e32 v1, v1
	s_nop 0
	v_readfirstlane_b32 s11, v1
	s_mul_i32 s10, s10, s11
	s_mul_hi_u32 s10, s11, s10
	s_add_i32 s11, s11, s10
	s_mul_hi_u32 s10, s9, s11
	s_mul_i32 s11, s10, s3
	s_sub_i32 s9, s9, s11
	s_add_i32 s11, s10, 1
	s_sub_i32 s12, s9, s3
	s_cmp_ge_u32 s9, s3
	s_cselect_b32 s10, s11, s10
	s_cselect_b32 s9, s12, s9
	s_add_i32 s11, s10, 1
	s_cmp_ge_u32 s9, s3
	s_cselect_b32 s3, s11, s10
	s_xor_b32 s3, s3, s8
	s_sub_i32 s12, s3, s8
	s_abs_i32 s10, s12
	v_cvt_f32_u32_e32 v1, s10
	s_load_dwordx2 s[8:9], s[0:1], 0x40
	s_sub_i32 s3, 0, s10
	s_abs_i32 s11, s2
	v_rcp_iflag_f32_e32 v1, v1
	s_nop 0
	v_mul_f32_e32 v1, 0x4f7ffffe, v1
	v_cvt_u32_f32_e32 v1, v1
	s_nop 0
	v_readfirstlane_b32 s13, v1
	s_mul_i32 s3, s3, s13
	s_mul_hi_u32 s3, s13, s3
	s_add_i32 s13, s13, s3
	s_waitcnt lgkmcnt(0)
	s_cmp_eq_u64 s[8:9], 0
	s_mul_hi_u32 s17, s11, s13
	s_cbranch_scc1 .LBB175_2
; %bb.1:
	s_ashr_i32 s3, s2, 31
	s_lshl_b64 s[14:15], s[2:3], 2
	s_add_u32 s8, s8, s14
	s_addc_u32 s9, s9, s15
	s_load_dword s28, s[8:9], 0x0
.LBB175_2:
	s_load_dword s33, s[6:7], 0x0
	s_ashr_i32 s7, s12, 31
	s_load_dwordx4 s[12:15], s[0:1], 0x48
	s_movk_i32 s3, 0x70
	s_ashr_i32 s6, s2, 31
	v_and_b32_e32 v16, 7, v0
	s_mul_i32 s18, s2, 0x70
	v_cmp_gt_u32_e32 vcc, s3, v0
	v_lshlrev_b32_e32 v20, 2, v0
	v_lshrrev_b32_e32 v1, 1, v0
	s_and_saveexec_b64 s[2:3], vcc
	s_cbranch_execz .LBB175_4
; %bb.3:
	s_load_dwordx2 s[8:9], s[0:1], 0x8
	s_waitcnt lgkmcnt(0)
	s_mul_i32 s20, s12, s16
	s_ashr_i32 s21, s20, 31
	s_lshl_b64 s[20:21], s[20:21], 2
	v_and_b32_e32 v3, 0x1fc, v1
	s_add_u32 s12, s8, s20
	s_addc_u32 s15, s9, s21
	s_ashr_i32 s19, s18, 31
	s_lshl_b64 s[8:9], s[18:19], 2
	s_add_u32 s8, s12, s8
	s_addc_u32 s9, s15, s9
	global_load_dword v2, v20, s[8:9]
	v_mad_u32_u24 v3, v16, 56, v3
	s_waitcnt vmcnt(0)
	ds_write_b32 v3, v2
.LBB175_4:
	s_or_b64 exec, exec, s[2:3]
	s_waitcnt lgkmcnt(0)
	s_add_i32 s3, s33, 7
	s_ashr_i32 s8, s3, 31
	s_lshr_b32 s8, s8, 29
	s_add_i32 s3, s3, s8
	s_ashr_i32 s19, s3, 3
	s_xor_b32 s3, s6, s7
	s_mul_i32 s6, s17, s10
	s_sub_i32 s6, s11, s6
	s_add_i32 s7, s17, 1
	s_sub_i32 s8, s6, s10
	s_load_dwordx2 s[22:23], s[0:1], 0x28
	s_load_dword s2, s[0:1], 0x38
	s_cmp_ge_u32 s6, s10
	s_cselect_b32 s7, s7, s17
	s_cselect_b32 s6, s8, s6
	s_add_i32 s8, s7, 1
	s_cmp_ge_u32 s6, s10
	s_cselect_b32 s6, s8, s7
	v_lshrrev_b32_e32 v34, 6, v0
	s_xor_b32 s6, s6, s3
	s_waitcnt lgkmcnt(0)
	s_mul_i32 s24, s2, s16
	s_sub_i32 s12, s6, s3
	s_ashr_i32 s25, s24, 31
	v_cmp_le_i32_e64 s[2:3], s19, v34
	v_mbcnt_lo_u32_b32 v17, -1, 0
	s_barrier
                                        ; implicit-def: $vgpr22
                                        ; implicit-def: $vgpr24
                                        ; implicit-def: $vgpr23
	s_and_saveexec_b64 s[6:7], s[2:3]
	s_xor_b64 s[6:7], exec, s[6:7]
; %bb.5:
	v_mbcnt_hi_u32_b32 v22, -1, v17
	v_and_b32_e32 v24, 64, v22
	v_add_u32_e32 v23, 64, v24
                                        ; implicit-def: $vgpr16
                                        ; implicit-def: $vgpr17
; %bb.6:
	s_or_saveexec_b64 s[30:31], s[6:7]
	s_load_dwordx2 s[20:21], s[0:1], 0x0
	s_load_dwordx2 s[26:27], s[0:1], 0x18
	s_load_dword s17, s[0:1], 0x88
	s_load_dwordx4 s[8:11], s[0:1], 0x58
	v_mov_b32_e32 v25, 0xff7fffff
	s_mul_i32 s12, s12, s14
	v_lshrrev_b32_e32 v21, 4, v0
	s_xor_b64 exec, exec, s[30:31]
	s_cbranch_execz .LBB175_12
; %bb.7:
	v_mbcnt_hi_u32_b32 v22, -1, v17
	v_and_b32_e32 v24, 64, v22
	v_add_u32_e32 v23, 64, v24
	v_xor_b32_e32 v17, 4, v22
	s_load_dwordx2 s[0:1], s[0:1], 0x10
	v_cmp_lt_i32_e32 vcc, v17, v23
	v_mul_u32_u24_e32 v14, 56, v16
	s_ashr_i32 s6, s12, 31
	v_cndmask_b32_e32 v17, v22, v17, vcc
	v_lshlrev_b32_e32 v26, 2, v17
	v_xor_b32_e32 v17, 2, v22
	v_cmp_lt_i32_e32 vcc, v17, v23
	ds_read2_b64 v[2:5], v14 offset1:1
	ds_read2_b64 v[6:9], v14 offset0:2 offset1:3
	ds_read2_b64 v[10:13], v14 offset0:4 offset1:5
	ds_read_b64 v[14:15], v14 offset:48
	v_cndmask_b32_e32 v17, v22, v17, vcc
	v_bfe_u32 v25, v0, 3, 3
	s_waitcnt lgkmcnt(0)
	s_add_u32 s0, s0, s12
	v_lshlrev_b32_e32 v27, 2, v17
	v_xor_b32_e32 v17, 1, v22
	v_lshlrev_b32_e32 v18, 4, v25
	s_addc_u32 s1, s1, s6
	v_mov_b32_e32 v19, 0
	v_cmp_lt_i32_e32 vcc, v17, v23
	s_load_dword s35, s[8:9], 0x0
	v_lshl_add_u64 v[30:31], s[0:1], 0, v[18:19]
	v_cndmask_b32_e32 v17, v22, v17, vcc
	s_sub_i32 s36, 1, s33
	v_lshlrev_b32_e32 v18, 2, v25
	s_lshl_b64 s[6:7], s[24:25], 2
	v_lshlrev_b32_e32 v28, 2, v17
	v_mov_b32_e32 v17, v19
	v_lshl_or_b32 v18, v34, 5, v18
	s_add_u32 s6, s22, s6
	v_cmp_eq_u32_e32 vcc, 0, v16
	v_lshl_add_u64 v[16:17], v[30:31], 0, v[16:17]
	v_add_u32_e32 v30, 0x1d0, v18
	v_and_b32_e32 v18, 60, v21
	s_addc_u32 s7, s23, s7
	s_mov_b32 s34, s13
	v_cmp_neq_f32_e64 s[0:1], s28, 0
	v_lshl_or_b32 v29, v34, 3, v25
	v_lshl_add_u64 v[18:19], s[6:7], 0, v[18:19]
	v_mov_b32_e32 v25, 0xff7fffff
	s_mov_b64 s[8:9], 0
	v_mov_b32_e32 v31, v34
	s_branch .LBB175_9
.LBB175_8:                              ;   in Loop: Header=BB175_9 Depth=1
	s_or_b64 exec, exec, s[14:15]
	v_add_u32_e32 v31, 2, v31
	v_cmp_le_i32_e64 s[6:7], s19, v31
	v_add_u32_e32 v29, 16, v29
	v_add_u32_e32 v30, 64, v30
	s_or_b64 s[8:9], s[6:7], s[8:9]
	v_lshl_add_u64 v[18:19], v[18:19], 0, 8
	s_andn2_b64 exec, exec, s[8:9]
	s_cbranch_execz .LBB175_11
.LBB175_9:                              ; =>This Inner Loop Header: Depth=1
	global_load_dword v32, v[18:19], off
	s_waitcnt vmcnt(0) lgkmcnt(0)
	v_mad_i64_i32 v[32:33], s[6:7], v32, s34, v[16:17]
	global_load_ubyte v35, v[32:33], off
	global_load_ubyte v36, v[32:33], off offset:8
	global_load_ubyte v37, v[32:33], off offset:128
	global_load_ubyte v38, v[32:33], off offset:136
	global_load_ubyte v39, v[32:33], off offset:256
	global_load_ubyte v40, v[32:33], off offset:264
	global_load_ubyte v41, v[32:33], off offset:384
	global_load_ubyte v42, v[32:33], off offset:392
	global_load_ubyte v43, v[32:33], off offset:512
	global_load_ubyte v44, v[32:33], off offset:520
	global_load_ubyte v45, v[32:33], off offset:640
	global_load_ubyte v46, v[32:33], off offset:648
	global_load_ubyte v47, v[32:33], off offset:768
	global_load_ubyte v48, v[32:33], off offset:776
	s_waitcnt vmcnt(13)
	v_cvt_f32_fp8_e32 v32, v35
	s_waitcnt vmcnt(12)
	v_cvt_f32_fp8_e32 v33, v36
	;; [unrolled: 2-line block ×5, first 2 shown]
	s_waitcnt lgkmcnt(0)
	v_mul_f32_e32 v33, s35, v33
	s_waitcnt vmcnt(8)
	v_cvt_f32_fp8_e32 v38, v40
	v_mul_f32_e32 v32, s35, v32
	v_mul_f32_e32 v33, v3, v33
	s_waitcnt vmcnt(7)
	v_cvt_f32_fp8_e32 v39, v41
	v_mul_f32_e32 v35, s35, v35
	v_fmac_f32_e32 v33, v2, v32
	s_waitcnt vmcnt(6)
	v_cvt_f32_fp8_e32 v40, v42
	v_mul_f32_e32 v36, s35, v36
	v_fmac_f32_e32 v33, v4, v35
	;; [unrolled: 4-line block ×8, first 2 shown]
	v_mul_f32_e32 v43, s35, v43
	v_fmac_f32_e32 v33, v11, v42
	v_mul_f32_e32 v44, s35, v44
	v_fmac_f32_e32 v33, v12, v43
	;; [unrolled: 2-line block ×4, first 2 shown]
	v_fmac_f32_e32 v33, v15, v46
	ds_bpermute_b32 v32, v26, v33
	s_waitcnt lgkmcnt(0)
	v_add_f32_e32 v32, v33, v32
	ds_bpermute_b32 v33, v27, v32
	s_waitcnt lgkmcnt(0)
	v_add_f32_e32 v32, v32, v33
	ds_bpermute_b32 v33, v28, v32
	s_and_saveexec_b64 s[14:15], vcc
	s_cbranch_execz .LBB175_8
; %bb.10:                               ;   in Loop: Header=BB175_9 Depth=1
	v_add_u32_e32 v35, s36, v29
	v_cvt_f32_i32_e32 v35, v35
	s_waitcnt lgkmcnt(0)
	v_add_f32_e32 v32, v32, v33
	v_cmp_gt_i32_e64 s[6:7], s33, v29
	v_max_f32_e32 v33, v25, v25
	v_mul_f32_e32 v35, s28, v35
	v_cndmask_b32_e64 v35, 0, v35, s[0:1]
	v_fmac_f32_e32 v35, s29, v32
	v_cndmask_b32_e64 v32, 0, v35, s[6:7]
	ds_write_b32 v30, v32
	v_max_f32_e32 v32, v33, v35
	v_cndmask_b32_e64 v25, v25, v32, s[6:7]
	s_branch .LBB175_8
.LBB175_11:
	s_or_b64 exec, exec, s[8:9]
.LBB175_12:
	s_or_b64 exec, exec, s[30:31]
	v_xor_b32_e32 v2, 32, v22
	v_cmp_lt_i32_e32 vcc, v2, v23
	v_xor_b32_e32 v5, 16, v22
	v_max_f32_e32 v4, v25, v25
	v_cndmask_b32_e32 v2, v22, v2, vcc
	v_lshlrev_b32_e32 v3, 2, v2
	ds_bpermute_b32 v2, v3, v25
	v_cmp_lt_i32_e32 vcc, v5, v23
	v_xor_b32_e32 v7, 8, v22
	s_waitcnt lgkmcnt(0)
	v_max_f32_e32 v2, v2, v2
	v_max_f32_e32 v2, v4, v2
	v_cndmask_b32_e32 v4, v22, v5, vcc
	v_lshlrev_b32_e32 v6, 2, v4
	ds_bpermute_b32 v4, v6, v2
	v_cmp_lt_i32_e32 vcc, v7, v23
	s_waitcnt lgkmcnt(0)
	v_max_f32_e32 v4, v4, v4
	v_max_f32_e32 v5, v2, v4
	v_cndmask_b32_e32 v2, v22, v7, vcc
	v_lshlrev_b32_e32 v7, 2, v2
	ds_bpermute_b32 v8, v7, v5
	v_and_b32_e32 v4, 63, v0
	v_cmp_eq_u32_e32 vcc, 0, v4
	v_lshlrev_b32_e32 v2, 2, v34
	s_and_saveexec_b64 s[0:1], vcc
	s_cbranch_execz .LBB175_14
; %bb.13:
	s_waitcnt lgkmcnt(0)
	v_max_f32_e32 v8, v8, v8
	v_max_f32_e32 v5, v5, v5
	;; [unrolled: 1-line block ×3, first 2 shown]
	ds_write_b32 v2, v5 offset:448
.LBB175_14:
	s_or_b64 exec, exec, s[0:1]
	v_cmp_gt_u32_e64 s[0:1], 2, v4
	s_waitcnt lgkmcnt(0)
	v_mov_b32_e32 v8, 0xff7fffff
	v_lshlrev_b32_e32 v5, 2, v4
	s_barrier
	s_and_saveexec_b64 s[6:7], s[0:1]
; %bb.15:
	ds_read_b32 v8, v5 offset:448
; %bb.16:
	s_or_b64 exec, exec, s[6:7]
	v_xor_b32_e32 v9, 1, v22
	v_cmp_lt_i32_e64 s[6:7], v9, v23
	s_nop 1
	v_cndmask_b32_e64 v9, v22, v9, s[6:7]
	v_lshlrev_b32_e32 v35, 2, v9
	s_waitcnt lgkmcnt(0)
	ds_bpermute_b32 v9, v35, v8
	v_max_f32_e32 v8, v8, v8
	s_lshl_b32 s6, s19, 3
	s_min_i32 s30, s6, s33
	v_cmp_gt_i32_e64 s[6:7], s30, v0
	s_waitcnt lgkmcnt(0)
	v_max_f32_e32 v9, v9, v9
	v_max_f32_e32 v8, v8, v9
	v_lshlrev_b32_e32 v9, 2, v24
	ds_bpermute_b32 v9, v9, v8
	v_mov_b32_e32 v8, 0
	s_and_saveexec_b64 s[14:15], s[6:7]
	s_cbranch_execz .LBB175_20
; %bb.17:
	v_mov_b32_e32 v8, 0x1d0
	v_lshl_add_u32 v10, v0, 2, v8
	v_mov_b32_e32 v8, 0
	s_mov_b64 s[28:29], 0
	v_mov_b32_e32 v11, v0
.LBB175_18:                             ; =>This Inner Loop Header: Depth=1
	ds_read_b32 v12, v10
	v_add_u32_e32 v11, 0x80, v11
	v_cmp_le_i32_e64 s[8:9], s30, v11
	s_or_b64 s[28:29], s[8:9], s[28:29]
	s_waitcnt lgkmcnt(0)
	v_sub_f32_e32 v12, v12, v9
	v_mul_f32_e32 v12, 0x3fb8aa3b, v12
	v_exp_f32_e32 v12, v12
	ds_write_b32 v10, v12
	v_add_f32_e32 v8, v8, v12
	v_add_u32_e32 v10, 0x200, v10
	s_andn2_b64 exec, exec, s[28:29]
	s_cbranch_execnz .LBB175_18
; %bb.19:
	s_or_b64 exec, exec, s[28:29]
.LBB175_20:
	s_or_b64 exec, exec, s[14:15]
	ds_bpermute_b32 v3, v3, v8
	s_waitcnt lgkmcnt(0)
	v_add_f32_e32 v3, v8, v3
	ds_bpermute_b32 v6, v6, v3
	s_waitcnt lgkmcnt(0)
	v_add_f32_e32 v3, v3, v6
	ds_bpermute_b32 v6, v7, v3
	v_xor_b32_e32 v7, 4, v22
	v_cmp_lt_i32_e64 s[8:9], v7, v23
	s_waitcnt lgkmcnt(0)
	v_add_f32_e32 v3, v3, v6
	v_cndmask_b32_e64 v7, v22, v7, s[8:9]
	v_lshlrev_b32_e32 v7, 2, v7
	ds_bpermute_b32 v6, v7, v3
	v_xor_b32_e32 v7, 2, v22
	v_cmp_lt_i32_e64 s[8:9], v7, v23
	s_waitcnt lgkmcnt(0)
	v_add_f32_e32 v3, v3, v6
	v_cndmask_b32_e64 v7, v22, v7, s[8:9]
	v_lshlrev_b32_e32 v6, 2, v7
	ds_bpermute_b32 v6, v6, v3
	s_waitcnt lgkmcnt(0)
	v_add_f32_e32 v3, v3, v6
	ds_bpermute_b32 v6, v35, v3
	s_waitcnt lgkmcnt(0)
	v_add_f32_e32 v3, v3, v6
	s_and_saveexec_b64 s[8:9], vcc
; %bb.21:
	ds_write_b32 v2, v3 offset:456
; %bb.22:
	s_or_b64 exec, exec, s[8:9]
	s_waitcnt lgkmcnt(0)
	s_barrier
	s_and_saveexec_b64 s[8:9], s[0:1]
; %bb.23:
	ds_read_b32 v3, v5 offset:456
; %bb.24:
	s_or_b64 exec, exec, s[8:9]
	s_waitcnt lgkmcnt(0)
	ds_bpermute_b32 v2, v35, v3
	v_lshlrev_b32_e32 v5, 2, v22
	s_waitcnt lgkmcnt(0)
	v_add_f32_e32 v2, v3, v2
	v_and_b32_e32 v3, 0xffffff00, v5
	ds_bpermute_b32 v2, v3, v2
	s_and_saveexec_b64 s[0:1], s[6:7]
	s_cbranch_execz .LBB175_37
; %bb.25:
	s_waitcnt lgkmcnt(0)
	v_add_f32_e32 v2, 0x358637bd, v2
	v_div_scale_f32 v3, s[6:7], v2, v2, 1.0
	v_rcp_f32_e32 v5, v3
	v_div_scale_f32 v6, vcc, 1.0, v2, 1.0
	s_movk_i32 s6, 0x7f
	v_fma_f32 v7, -v3, v5, 1.0
	v_fmac_f32_e32 v5, v7, v5
	v_mul_f32_e32 v7, v6, v5
	v_fma_f32 v8, -v3, v7, v6
	v_fmac_f32_e32 v7, v8, v5
	v_fma_f32 v3, -v3, v7, v6
	v_div_fmas_f32 v3, v3, v5, v7
	v_xad_u32 v5, v0, -1, s30
	v_div_fixup_f32 v2, v3, v2, 1.0
	v_cmp_lt_u32_e32 vcc, s6, v5
	s_mov_b64 s[8:9], -1
	v_mov_b32_e32 v3, v0
	s_and_saveexec_b64 s[6:7], vcc
	s_cbranch_execz .LBB175_34
; %bb.26:
	v_lshrrev_b32_e32 v5, 7, v5
	v_add_u32_e32 v7, -1, v5
	v_lshrrev_b32_e32 v6, 1, v7
	v_mov_b32_e32 v3, v2
	v_add_u32_e32 v6, 1, v6
	v_cmp_lt_u32_e32 vcc, 13, v7
	v_mov_b32_e32 v9, 0
	s_and_saveexec_b64 s[8:9], vcc
	s_cbranch_execz .LBB175_30
; %bb.27:
	v_mov_b32_e32 v8, 0x1d0
	v_and_b32_e32 v7, -8, v6
	v_lshl_add_u32 v8, v0, 2, v8
	s_mov_b32 s28, 0
	s_mov_b64 s[14:15], 0
.LBB175_28:                             ; =>This Inner Loop Header: Depth=1
	ds_read2st64_b32 v[10:11], v8 offset1:2
	ds_read2st64_b32 v[12:13], v8 offset0:4 offset1:6
	ds_read2st64_b32 v[14:15], v8 offset0:8 offset1:10
	;; [unrolled: 1-line block ×3, first 2 shown]
	v_add_u32_e32 v7, -8, v7
	s_waitcnt lgkmcnt(3)
	v_pk_mul_f32 v[10:11], v[2:3], v[10:11]
	s_waitcnt lgkmcnt(2)
	v_pk_mul_f32 v[12:13], v[2:3], v[12:13]
	ds_write2st64_b32 v8, v10, v11 offset1:2
	ds_write2st64_b32 v8, v12, v13 offset0:4 offset1:6
	ds_read2st64_b32 v[12:13], v8 offset0:16 offset1:18
	s_waitcnt lgkmcnt(4)
	v_pk_mul_f32 v[10:11], v[2:3], v[14:15]
	ds_write2st64_b32 v8, v10, v11 offset0:8 offset1:10
	s_waitcnt lgkmcnt(4)
	v_pk_mul_f32 v[10:11], v[2:3], v[16:17]
	ds_write2st64_b32 v8, v10, v11 offset0:12 offset1:14
	ds_read2st64_b32 v[10:11], v8 offset0:20 offset1:22
	s_waitcnt lgkmcnt(3)
	v_pk_mul_f32 v[12:13], v[2:3], v[12:13]
	ds_read2st64_b32 v[14:15], v8 offset0:24 offset1:26
	ds_write2st64_b32 v8, v12, v13 offset0:16 offset1:18
	ds_read2st64_b32 v[12:13], v8 offset0:28 offset1:30
	s_waitcnt lgkmcnt(3)
	v_pk_mul_f32 v[10:11], v[2:3], v[10:11]
	ds_write2st64_b32 v8, v10, v11 offset0:20 offset1:22
	s_waitcnt lgkmcnt(3)
	v_pk_mul_f32 v[10:11], v[2:3], v[14:15]
	ds_write2st64_b32 v8, v10, v11 offset0:24 offset1:26
	s_waitcnt lgkmcnt(2)
	v_pk_mul_f32 v[10:11], v[2:3], v[12:13]
	s_add_i32 s28, s28, 16
	v_cmp_eq_u32_e32 vcc, 0, v7
	ds_write2st64_b32 v8, v10, v11 offset0:28 offset1:30
	v_add_u32_e32 v8, 0x2000, v8
	s_or_b64 s[14:15], vcc, s[14:15]
	v_mov_b32_e32 v9, s28
	s_andn2_b64 exec, exec, s[14:15]
	s_cbranch_execnz .LBB175_28
; %bb.29:
	s_or_b64 exec, exec, s[14:15]
.LBB175_30:
	s_or_b64 exec, exec, s[8:9]
	v_and_b32_e32 v6, 7, v6
	v_cmp_ne_u32_e32 vcc, 0, v6
	s_and_saveexec_b64 s[8:9], vcc
	s_cbranch_execz .LBB175_33
; %bb.31:
	v_lshlrev_b32_e32 v7, 9, v9
	s_movk_i32 s14, 0x1d0
	v_add3_u32 v7, v7, v20, s14
	s_mov_b64 s[14:15], 0
.LBB175_32:                             ; =>This Inner Loop Header: Depth=1
	ds_read2st64_b32 v[8:9], v7 offset1:2
	v_add_u32_e32 v6, -1, v6
	v_cmp_eq_u32_e32 vcc, 0, v6
	s_or_b64 s[14:15], vcc, s[14:15]
	s_waitcnt lgkmcnt(0)
	v_pk_mul_f32 v[8:9], v[2:3], v[8:9]
	ds_write2st64_b32 v7, v8, v9 offset1:2
	v_add_u32_e32 v7, 0x400, v7
	s_andn2_b64 exec, exec, s[14:15]
	s_cbranch_execnz .LBB175_32
.LBB175_33:
	s_or_b64 exec, exec, s[8:9]
	v_add_u32_e32 v5, 1, v5
	v_and_b32_e32 v6, 0x3fffffe, v5
	v_cmp_ne_u32_e32 vcc, v5, v6
	v_lshl_add_u32 v3, v6, 7, v0
	s_orn2_b64 s[8:9], vcc, exec
.LBB175_34:
	s_or_b64 exec, exec, s[6:7]
	s_and_b64 exec, exec, s[8:9]
	s_cbranch_execz .LBB175_37
; %bb.35:
	v_mov_b32_e32 v5, 0x1d0
	v_lshl_add_u32 v5, v3, 2, v5
	s_mov_b64 s[6:7], 0
.LBB175_36:                             ; =>This Inner Loop Header: Depth=1
	ds_read_b32 v6, v5
	v_add_u32_e32 v3, 0x80, v3
	v_cmp_le_i32_e32 vcc, s30, v3
	s_or_b64 s[6:7], vcc, s[6:7]
	s_waitcnt lgkmcnt(0)
	v_mul_f32_e32 v6, v2, v6
	ds_write_b32 v5, v6
	v_add_u32_e32 v5, 0x200, v5
	s_andn2_b64 exec, exec, s[6:7]
	s_cbranch_execnz .LBB175_36
.LBB175_37:
	s_or_b64 exec, exec, s[0:1]
	v_lshrrev_b32_e32 v36, 1, v4
	s_waitcnt lgkmcnt(0)
	s_barrier
	s_and_saveexec_b64 s[0:1], s[2:3]
	s_xor_b64 s[0:1], exec, s[0:1]
; %bb.38:
	v_lshrrev_b32_e32 v36, 1, v4
                                        ; implicit-def: $vgpr34
                                        ; implicit-def: $vgpr20
                                        ; implicit-def: $vgpr21
; %bb.39:
	s_or_saveexec_b64 s[6:7], s[0:1]
	v_mov_b32_e32 v7, 0
	v_and_b32_e32 v37, 1, v0
	v_mov_b32_e32 v6, 0
	v_mov_b32_e32 v9, 0
	;; [unrolled: 1-line block ×3, first 2 shown]
	s_xor_b64 exec, exec, s[6:7]
	s_cbranch_execz .LBB175_53
; %bb.40:
	s_ashr_i32 s1, s12, 31
	s_load_dword s8, s[10:11], 0x0
	v_and_b32_e32 v2, 4, v20
	s_add_u32 s0, s26, s12
	v_or_b32_e32 v3, 0x60, v36
	s_movk_i32 s2, 0x70
	s_addc_u32 s1, s27, s1
	s_add_i32 s15, s19, -1
	v_lshl_or_b32 v10, v36, 3, v2
	v_cmp_gt_u32_e32 vcc, s2, v3
	v_lshl_or_b32 v12, v3, 3, v2
	v_lshl_or_b32 v38, v34, 3, v2
	v_lshlrev_b32_e32 v2, 4, v37
	s_lshl_b64 s[2:3], s[24:25], 2
	v_mov_b32_e32 v11, 0
	v_lshl_or_b32 v2, v34, 5, v2
	s_add_u32 s2, s22, s2
	v_add_u32_e32 v39, 0x1d0, v2
	v_and_b32_e32 v2, 60, v21
	v_mov_b32_e32 v3, v11
	s_addc_u32 s3, s23, s3
	s_mov_b32 s14, s13
	s_waitcnt lgkmcnt(0)
	s_mov_b32 s9, s8
	v_mov_b32_e32 v13, v11
	s_mov_b32 s26, s33
	v_lshl_add_u64 v[14:15], s[2:3], 0, v[2:3]
	s_mov_b64 s[10:11], 0
	v_mov_b64_e32 v[16:17], s[0:1]
	v_mov_b32_e32 v7, v11
	v_mov_b32_e32 v6, v11
	;; [unrolled: 1-line block ×4, first 2 shown]
	s_branch .LBB175_43
.LBB175_41:                             ;   in Loop: Header=BB175_43 Depth=1
	s_or_b64 exec, exec, s[12:13]
	s_waitcnt lgkmcnt(0)
	v_pk_mul_f32 v[32:33], v[2:3], v[32:33]
	v_pk_mul_f32 v[26:27], v[4:5], v[26:27]
	v_add_f32_e32 v32, v33, v32
	v_add_f32_e32 v26, v26, v32
	;; [unrolled: 1-line block ×4, first 2 shown]
.LBB175_42:                             ;   in Loop: Header=BB175_43 Depth=1
	s_or_b64 exec, exec, s[2:3]
	s_waitcnt lgkmcnt(0)
	v_mul_f32_e32 v26, v2, v30
	v_mul_f32_e32 v24, v2, v24
	;; [unrolled: 1-line block ×3, first 2 shown]
	v_fmac_f32_e32 v26, v3, v31
	v_fmac_f32_e32 v24, v3, v25
	;; [unrolled: 1-line block ×6, first 2 shown]
	v_add_u32_e32 v34, 2, v34
	v_fmac_f32_e32 v26, v5, v29
	v_fmac_f32_e32 v24, v5, v23
	;; [unrolled: 1-line block ×3, first 2 shown]
	v_cmp_le_i32_e64 s[0:1], s19, v34
	v_add_f32_e32 v6, v6, v26
	v_add_f32_e32 v9, v9, v24
	;; [unrolled: 1-line block ×3, first 2 shown]
	v_add_u32_e32 v38, 16, v38
	v_add_u32_e32 v39, 64, v39
	s_or_b64 s[10:11], s[0:1], s[10:11]
	v_lshl_add_u64 v[14:15], v[14:15], 0, 8
	s_andn2_b64 exec, exec, s[10:11]
	s_cbranch_execz .LBB175_52
.LBB175_43:                             ; =>This Inner Loop Header: Depth=1
	global_load_dword v2, v[14:15], off
	v_add_u32_e32 v32, 2, v38
	v_add_u32_e32 v33, 3, v38
	s_waitcnt vmcnt(0)
	v_mad_i64_i32 v[26:27], s[0:1], v2, s14, v[16:17]
	v_lshl_add_u64 v[28:29], v[26:27], 0, v[10:11]
	global_load_dword v18, v[28:29], off
	ds_read_b128 v[2:5], v39
	v_cmp_eq_u32_e64 s[0:1], s15, v34
	s_waitcnt vmcnt(0)
	v_and_b32_e32 v19, 0xffff, v18
	v_lshrrev_b32_e32 v20, 16, v18
	v_cvt_pk_f32_fp8_e32 v[18:19], v19
	v_cvt_pk_f32_fp8_e32 v[22:23], v20
	v_pk_mul_f32 v[20:21], s[8:9], v[18:19]
	v_pk_mul_f32 v[18:19], s[8:9], v[22:23]
	s_and_saveexec_b64 s[12:13], s[0:1]
; %bb.44:                               ;   in Loop: Header=BB175_43 Depth=1
	v_cmp_gt_i32_e64 s[2:3], s33, v38
	v_add_u32_e32 v22, 1, v38
	s_nop 0
	v_cndmask_b32_e64 v20, 0, v20, s[2:3]
	v_cmp_gt_i32_e64 s[2:3], s33, v22
	s_nop 1
	v_cndmask_b32_e64 v21, 0, v21, s[2:3]
	v_cmp_gt_i32_e64 s[2:3], s33, v32
	;; [unrolled: 3-line block ×3, first 2 shown]
	s_nop 1
	v_cndmask_b32_e64 v19, 0, v19, s[2:3]
; %bb.45:                               ;   in Loop: Header=BB175_43 Depth=1
	s_or_b64 exec, exec, s[12:13]
	global_load_dword v22, v[28:29], off offset:256
	s_waitcnt vmcnt(0)
	v_and_b32_e32 v23, 0xffff, v22
	v_lshrrev_b32_e32 v24, 16, v22
	v_cvt_pk_f32_fp8_e32 v[22:23], v23
	v_cvt_pk_f32_fp8_e32 v[30:31], v24
	v_pk_mul_f32 v[24:25], s[8:9], v[22:23]
	v_pk_mul_f32 v[22:23], s[8:9], v[30:31]
	s_and_saveexec_b64 s[12:13], s[0:1]
; %bb.46:                               ;   in Loop: Header=BB175_43 Depth=1
	v_cmp_gt_i32_e64 s[2:3], s33, v38
	v_add_u32_e32 v30, 1, v38
	s_nop 0
	v_cndmask_b32_e64 v24, 0, v24, s[2:3]
	v_cmp_gt_i32_e64 s[2:3], s33, v30
	s_nop 1
	v_cndmask_b32_e64 v25, 0, v25, s[2:3]
	v_cmp_gt_i32_e64 s[2:3], s33, v32
	;; [unrolled: 3-line block ×3, first 2 shown]
	s_nop 1
	v_cndmask_b32_e64 v23, 0, v23, s[2:3]
; %bb.47:                               ;   in Loop: Header=BB175_43 Depth=1
	s_or_b64 exec, exec, s[12:13]
	global_load_dword v28, v[28:29], off offset:512
	s_waitcnt vmcnt(0)
	v_and_b32_e32 v29, 0xffff, v28
	v_lshrrev_b32_e32 v30, 16, v28
	v_cvt_pk_f32_fp8_e32 v[28:29], v29
	v_cvt_pk_f32_fp8_e32 v[40:41], v30
	v_pk_mul_f32 v[30:31], s[8:9], v[28:29]
	v_pk_mul_f32 v[28:29], s[8:9], v[40:41]
	s_and_saveexec_b64 s[12:13], s[0:1]
; %bb.48:                               ;   in Loop: Header=BB175_43 Depth=1
	v_cmp_gt_i32_e64 s[2:3], s33, v38
	v_add_u32_e32 v40, 1, v38
	s_nop 0
	v_cndmask_b32_e64 v30, 0, v30, s[2:3]
	v_cmp_gt_i32_e64 s[2:3], s33, v40
	s_nop 1
	v_cndmask_b32_e64 v31, 0, v31, s[2:3]
	v_cmp_gt_i32_e64 s[2:3], s33, v32
	;; [unrolled: 3-line block ×3, first 2 shown]
	s_nop 1
	v_cndmask_b32_e64 v29, 0, v29, s[2:3]
; %bb.49:                               ;   in Loop: Header=BB175_43 Depth=1
	s_or_b64 exec, exec, s[12:13]
	s_and_saveexec_b64 s[2:3], vcc
	s_cbranch_execz .LBB175_42
; %bb.50:                               ;   in Loop: Header=BB175_43 Depth=1
	v_lshl_add_u64 v[26:27], v[26:27], 0, v[12:13]
	global_load_dword v26, v[26:27], off
	s_waitcnt vmcnt(0)
	v_and_b32_e32 v27, 0xffff, v26
	v_lshrrev_b32_e32 v32, 16, v26
	v_cvt_pk_f32_fp8_e32 v[26:27], v27
	v_cvt_pk_f32_fp8_e32 v[40:41], v32
	v_pk_mul_f32 v[32:33], s[8:9], v[26:27]
	v_pk_mul_f32 v[26:27], s[8:9], v[40:41]
	s_and_saveexec_b64 s[12:13], s[0:1]
	s_cbranch_execz .LBB175_41
; %bb.51:                               ;   in Loop: Header=BB175_43 Depth=1
	v_add_u32_e32 v40, 1, v38
	v_cmp_gt_i32_e64 s[0:1], s26, v40
	v_or_b32_e32 v40, 3, v38
	v_or_b32_e32 v41, 2, v38
	v_cndmask_b32_e64 v33, 0, v33, s[0:1]
	v_cmp_gt_i32_e64 s[0:1], s33, v38
	s_nop 1
	v_cndmask_b32_e64 v32, 0, v32, s[0:1]
	v_cmp_gt_i32_e64 s[0:1], s26, v40
	s_nop 1
	;; [unrolled: 3-line block ×3, first 2 shown]
	v_cndmask_b32_e64 v26, 0, v26, s[0:1]
	s_branch .LBB175_41
.LBB175_52:
	s_or_b64 exec, exec, s[10:11]
.LBB175_53:
	s_or_b64 exec, exec, s[6:7]
	ds_bpermute_b32 v2, v35, v8
	ds_bpermute_b32 v3, v35, v9
	;; [unrolled: 1-line block ×4, first 2 shown]
	v_cmp_eq_u32_e32 vcc, 0, v37
	s_waitcnt lgkmcnt(0)
	v_pk_add_f32 v[4:5], v[8:9], v[2:3]
	s_barrier
	v_pk_add_f32 v[2:3], v[6:7], v[10:11]
	v_and_b32_e32 v6, 0x3c0, v0
	v_cmp_eq_u32_e64 s[0:1], 64, v6
	s_and_saveexec_b64 s[2:3], s[0:1]
	s_cbranch_execz .LBB175_58
; %bb.54:
	s_and_saveexec_b64 s[0:1], vcc
	s_cbranch_execz .LBB175_56
; %bb.55:
	v_mov_b32_e32 v6, 0x1d0
	v_lshl_add_u32 v6, v36, 2, v6
	ds_write2_b32 v6, v4, v5 offset1:32
	ds_write_b32 v6, v2 offset:256
.LBB175_56:
	s_or_b64 exec, exec, s[0:1]
	v_or_b32_e32 v6, 0x60, v36
	s_movk_i32 s0, 0x70
	v_cmp_gt_u32_e64 s[0:1], s0, v6
	s_and_b64 s[0:1], vcc, s[0:1]
	s_and_b64 exec, exec, s[0:1]
; %bb.57:
	v_mov_b32_e32 v6, 0x1d0
	v_lshl_add_u32 v6, v36, 2, v6
	ds_write_b32 v6, v3 offset:384
.LBB175_58:
	s_or_b64 exec, exec, s[2:3]
	v_cmp_gt_u32_e64 s[0:1], 64, v0
	s_waitcnt lgkmcnt(0)
	s_barrier
	s_and_saveexec_b64 s[6:7], s[0:1]
	s_cbranch_execz .LBB175_68
; %bb.59:
	s_and_saveexec_b64 s[2:3], vcc
	s_cbranch_execz .LBB175_61
; %bb.60:
	v_mov_b32_e32 v0, 0x1d0
	v_lshl_add_u32 v0, v1, 2, v0
	ds_read_b32 v0, v0
	s_waitcnt lgkmcnt(0)
	v_add_f32_e32 v4, v4, v0
.LBB175_61:
	s_or_b64 exec, exec, s[2:3]
	v_or_b32_e32 v0, 32, v1
	s_movk_i32 s8, 0x70
	v_cmp_gt_u32_e64 s[2:3], s8, v0
	s_and_b64 s[10:11], vcc, s[2:3]
	s_and_saveexec_b64 s[2:3], s[10:11]
	s_cbranch_execz .LBB175_63
; %bb.62:
	v_mov_b32_e32 v0, 0x1d0
	v_lshl_add_u32 v0, v1, 2, v0
	ds_read_b32 v0, v0 offset:128
	s_waitcnt lgkmcnt(0)
	v_add_f32_e32 v5, v5, v0
.LBB175_63:
	s_or_b64 exec, exec, s[2:3]
	v_or_b32_e32 v0, 64, v1
	v_cmp_gt_u32_e64 s[2:3], s8, v0
	s_and_b64 s[8:9], vcc, s[2:3]
	s_and_saveexec_b64 s[2:3], s[8:9]
	s_cbranch_execz .LBB175_65
; %bb.64:
	v_mov_b32_e32 v0, 0x1d0
	v_lshl_add_u32 v0, v1, 2, v0
	ds_read_b32 v0, v0 offset:256
	s_waitcnt lgkmcnt(0)
	v_add_f32_e32 v2, v2, v0
.LBB175_65:
	s_or_b64 exec, exec, s[2:3]
	v_or_b32_e32 v0, 0x60, v1
	s_movk_i32 s2, 0x70
	v_cmp_gt_u32_e64 s[2:3], s2, v0
	s_and_b64 s[8:9], vcc, s[2:3]
	s_and_saveexec_b64 s[2:3], s[8:9]
	s_cbranch_execz .LBB175_67
; %bb.66:
	v_mov_b32_e32 v0, 0x1d0
	v_lshl_add_u32 v0, v1, 2, v0
	ds_read_b32 v0, v0 offset:384
	s_waitcnt lgkmcnt(0)
	v_add_f32_e32 v3, v3, v0
.LBB175_67:
	s_or_b64 exec, exec, s[2:3]
.LBB175_68:
	s_or_b64 exec, exec, s[6:7]
	s_barrier
	s_and_saveexec_b64 s[2:3], s[0:1]
	s_cbranch_execz .LBB175_77
; %bb.69:
	s_mul_i32 s0, s16, s17
	s_mul_i32 s0, s0, s5
	s_mulk_i32 s0, 0x70
	s_ashr_i32 s1, s0, 31
	s_lshl_b64 s[0:1], s[0:1], 2
	s_add_u32 s2, s20, s0
	s_mul_i32 s0, s17, s18
	s_addc_u32 s3, s21, s1
	s_ashr_i32 s1, s0, 31
	s_lshl_b64 s[0:1], s[0:1], 2
	s_add_u32 s2, s2, s0
	s_mul_i32 s0, s4, 0x70
	s_addc_u32 s3, s3, s1
	s_ashr_i32 s1, s0, 31
	s_lshl_b64 s[0:1], s[0:1], 2
	s_add_u32 s2, s2, s0
	s_movk_i32 s5, 0x70
	s_addc_u32 s3, s3, s1
	v_lshlrev_b32_e32 v0, 2, v1
	s_and_saveexec_b64 s[0:1], vcc
	s_cbranch_execz .LBB175_71
; %bb.70:
	global_store_dword v0, v4, s[2:3]
.LBB175_71:
	s_or_b64 exec, exec, s[0:1]
	v_or_b32_e32 v4, 32, v1
	v_cmp_gt_u32_e64 s[0:1], s5, v4
	s_and_b64 s[4:5], vcc, s[0:1]
	s_and_saveexec_b64 s[0:1], s[4:5]
	s_cbranch_execz .LBB175_73
; %bb.72:
	global_store_dword v0, v5, s[2:3] offset:128
.LBB175_73:
	s_or_b64 exec, exec, s[0:1]
	v_or_b32_e32 v4, 64, v1
	s_movk_i32 s4, 0x70
	v_cmp_gt_u32_e64 s[0:1], s4, v4
	s_and_b64 s[6:7], vcc, s[0:1]
	s_and_saveexec_b64 s[0:1], s[6:7]
	s_cbranch_execz .LBB175_75
; %bb.74:
	global_store_dword v0, v2, s[2:3] offset:256
.LBB175_75:
	s_or_b64 exec, exec, s[0:1]
	v_or_b32_e32 v1, 0x60, v1
	v_cmp_gt_u32_e64 s[0:1], s4, v1
	s_and_b64 s[0:1], vcc, s[0:1]
	s_and_b64 exec, exec, s[0:1]
	s_cbranch_execz .LBB175_77
; %bb.76:
	global_store_dword v0, v3, s[2:3] offset:384
.LBB175_77:
	s_endpgm
	.section	.rodata,"a",@progbits
	.p2align	6, 0x0
	.amdhsa_kernel _ZN4vllm25paged_attention_v1_kernelIfhLi112ELi8ELi128ELNS_18Fp8KVCacheDataTypeE1ELb0EEEvPT_PKS2_PKT0_S8_ifPKiSA_iPKfiiiSC_SC_iiiii
		.amdhsa_group_segment_fixed_size 464
		.amdhsa_private_segment_fixed_size 0
		.amdhsa_kernarg_size 384
		.amdhsa_user_sgpr_count 2
		.amdhsa_user_sgpr_dispatch_ptr 0
		.amdhsa_user_sgpr_queue_ptr 0
		.amdhsa_user_sgpr_kernarg_segment_ptr 1
		.amdhsa_user_sgpr_dispatch_id 0
		.amdhsa_user_sgpr_kernarg_preload_length 0
		.amdhsa_user_sgpr_kernarg_preload_offset 0
		.amdhsa_user_sgpr_private_segment_size 0
		.amdhsa_uses_dynamic_stack 0
		.amdhsa_enable_private_segment 0
		.amdhsa_system_sgpr_workgroup_id_x 1
		.amdhsa_system_sgpr_workgroup_id_y 1
		.amdhsa_system_sgpr_workgroup_id_z 1
		.amdhsa_system_sgpr_workgroup_info 0
		.amdhsa_system_vgpr_workitem_id 0
		.amdhsa_next_free_vgpr 49
		.amdhsa_next_free_sgpr 37
		.amdhsa_accum_offset 52
		.amdhsa_reserve_vcc 1
		.amdhsa_float_round_mode_32 0
		.amdhsa_float_round_mode_16_64 0
		.amdhsa_float_denorm_mode_32 3
		.amdhsa_float_denorm_mode_16_64 3
		.amdhsa_dx10_clamp 1
		.amdhsa_ieee_mode 1
		.amdhsa_fp16_overflow 0
		.amdhsa_tg_split 0
		.amdhsa_exception_fp_ieee_invalid_op 0
		.amdhsa_exception_fp_denorm_src 0
		.amdhsa_exception_fp_ieee_div_zero 0
		.amdhsa_exception_fp_ieee_overflow 0
		.amdhsa_exception_fp_ieee_underflow 0
		.amdhsa_exception_fp_ieee_inexact 0
		.amdhsa_exception_int_div_zero 0
	.end_amdhsa_kernel
	.section	.text._ZN4vllm25paged_attention_v1_kernelIfhLi112ELi8ELi128ELNS_18Fp8KVCacheDataTypeE1ELb0EEEvPT_PKS2_PKT0_S8_ifPKiSA_iPKfiiiSC_SC_iiiii,"axG",@progbits,_ZN4vllm25paged_attention_v1_kernelIfhLi112ELi8ELi128ELNS_18Fp8KVCacheDataTypeE1ELb0EEEvPT_PKS2_PKT0_S8_ifPKiSA_iPKfiiiSC_SC_iiiii,comdat
.Lfunc_end175:
	.size	_ZN4vllm25paged_attention_v1_kernelIfhLi112ELi8ELi128ELNS_18Fp8KVCacheDataTypeE1ELb0EEEvPT_PKS2_PKT0_S8_ifPKiSA_iPKfiiiSC_SC_iiiii, .Lfunc_end175-_ZN4vllm25paged_attention_v1_kernelIfhLi112ELi8ELi128ELNS_18Fp8KVCacheDataTypeE1ELb0EEEvPT_PKS2_PKT0_S8_ifPKiSA_iPKfiiiSC_SC_iiiii
                                        ; -- End function
	.set _ZN4vllm25paged_attention_v1_kernelIfhLi112ELi8ELi128ELNS_18Fp8KVCacheDataTypeE1ELb0EEEvPT_PKS2_PKT0_S8_ifPKiSA_iPKfiiiSC_SC_iiiii.num_vgpr, 49
	.set _ZN4vllm25paged_attention_v1_kernelIfhLi112ELi8ELi128ELNS_18Fp8KVCacheDataTypeE1ELb0EEEvPT_PKS2_PKT0_S8_ifPKiSA_iPKfiiiSC_SC_iiiii.num_agpr, 0
	.set _ZN4vllm25paged_attention_v1_kernelIfhLi112ELi8ELi128ELNS_18Fp8KVCacheDataTypeE1ELb0EEEvPT_PKS2_PKT0_S8_ifPKiSA_iPKfiiiSC_SC_iiiii.numbered_sgpr, 37
	.set _ZN4vllm25paged_attention_v1_kernelIfhLi112ELi8ELi128ELNS_18Fp8KVCacheDataTypeE1ELb0EEEvPT_PKS2_PKT0_S8_ifPKiSA_iPKfiiiSC_SC_iiiii.num_named_barrier, 0
	.set _ZN4vllm25paged_attention_v1_kernelIfhLi112ELi8ELi128ELNS_18Fp8KVCacheDataTypeE1ELb0EEEvPT_PKS2_PKT0_S8_ifPKiSA_iPKfiiiSC_SC_iiiii.private_seg_size, 0
	.set _ZN4vllm25paged_attention_v1_kernelIfhLi112ELi8ELi128ELNS_18Fp8KVCacheDataTypeE1ELb0EEEvPT_PKS2_PKT0_S8_ifPKiSA_iPKfiiiSC_SC_iiiii.uses_vcc, 1
	.set _ZN4vllm25paged_attention_v1_kernelIfhLi112ELi8ELi128ELNS_18Fp8KVCacheDataTypeE1ELb0EEEvPT_PKS2_PKT0_S8_ifPKiSA_iPKfiiiSC_SC_iiiii.uses_flat_scratch, 0
	.set _ZN4vllm25paged_attention_v1_kernelIfhLi112ELi8ELi128ELNS_18Fp8KVCacheDataTypeE1ELb0EEEvPT_PKS2_PKT0_S8_ifPKiSA_iPKfiiiSC_SC_iiiii.has_dyn_sized_stack, 0
	.set _ZN4vllm25paged_attention_v1_kernelIfhLi112ELi8ELi128ELNS_18Fp8KVCacheDataTypeE1ELb0EEEvPT_PKS2_PKT0_S8_ifPKiSA_iPKfiiiSC_SC_iiiii.has_recursion, 0
	.set _ZN4vllm25paged_attention_v1_kernelIfhLi112ELi8ELi128ELNS_18Fp8KVCacheDataTypeE1ELb0EEEvPT_PKS2_PKT0_S8_ifPKiSA_iPKfiiiSC_SC_iiiii.has_indirect_call, 0
	.section	.AMDGPU.csdata,"",@progbits
; Kernel info:
; codeLenInByte = 4412
; TotalNumSgprs: 43
; NumVgprs: 49
; NumAgprs: 0
; TotalNumVgprs: 49
; ScratchSize: 0
; MemoryBound: 0
; FloatMode: 240
; IeeeMode: 1
; LDSByteSize: 464 bytes/workgroup (compile time only)
; SGPRBlocks: 5
; VGPRBlocks: 6
; NumSGPRsForWavesPerEU: 43
; NumVGPRsForWavesPerEU: 49
; AccumOffset: 52
; Occupancy: 8
; WaveLimiterHint : 1
; COMPUTE_PGM_RSRC2:SCRATCH_EN: 0
; COMPUTE_PGM_RSRC2:USER_SGPR: 2
; COMPUTE_PGM_RSRC2:TRAP_HANDLER: 0
; COMPUTE_PGM_RSRC2:TGID_X_EN: 1
; COMPUTE_PGM_RSRC2:TGID_Y_EN: 1
; COMPUTE_PGM_RSRC2:TGID_Z_EN: 1
; COMPUTE_PGM_RSRC2:TIDIG_COMP_CNT: 0
; COMPUTE_PGM_RSRC3_GFX90A:ACCUM_OFFSET: 12
; COMPUTE_PGM_RSRC3_GFX90A:TG_SPLIT: 0
	.section	.text._ZN4vllm25paged_attention_v1_kernelIfhLi120ELi8ELi128ELNS_18Fp8KVCacheDataTypeE1ELb0EEEvPT_PKS2_PKT0_S8_ifPKiSA_iPKfiiiSC_SC_iiiii,"axG",@progbits,_ZN4vllm25paged_attention_v1_kernelIfhLi120ELi8ELi128ELNS_18Fp8KVCacheDataTypeE1ELb0EEEvPT_PKS2_PKT0_S8_ifPKiSA_iPKfiiiSC_SC_iiiii,comdat
	.protected	_ZN4vllm25paged_attention_v1_kernelIfhLi120ELi8ELi128ELNS_18Fp8KVCacheDataTypeE1ELb0EEEvPT_PKS2_PKT0_S8_ifPKiSA_iPKfiiiSC_SC_iiiii ; -- Begin function _ZN4vllm25paged_attention_v1_kernelIfhLi120ELi8ELi128ELNS_18Fp8KVCacheDataTypeE1ELb0EEEvPT_PKS2_PKT0_S8_ifPKiSA_iPKfiiiSC_SC_iiiii
	.globl	_ZN4vllm25paged_attention_v1_kernelIfhLi120ELi8ELi128ELNS_18Fp8KVCacheDataTypeE1ELb0EEEvPT_PKS2_PKT0_S8_ifPKiSA_iPKfiiiSC_SC_iiiii
	.p2align	8
	.type	_ZN4vllm25paged_attention_v1_kernelIfhLi120ELi8ELi128ELNS_18Fp8KVCacheDataTypeE1ELb0EEEvPT_PKS2_PKT0_S8_ifPKiSA_iPKfiiiSC_SC_iiiii,@function
_ZN4vllm25paged_attention_v1_kernelIfhLi120ELi8ELi128ELNS_18Fp8KVCacheDataTypeE1ELb0EEEvPT_PKS2_PKT0_S8_ifPKiSA_iPKfiiiSC_SC_iiiii: ; @_ZN4vllm25paged_attention_v1_kernelIfhLi120ELi8ELi128ELNS_18Fp8KVCacheDataTypeE1ELb0EEEvPT_PKS2_PKT0_S8_ifPKiSA_iPKfiiiSC_SC_iiiii
; %bb.0:
	s_load_dword s5, s[0:1], 0x80
	s_load_dwordx2 s[6:7], s[0:1], 0x30
	s_load_dwordx2 s[28:29], s[0:1], 0x20
	s_mov_b32 s16, s3
	s_ashr_i32 s17, s3, 31
	s_lshl_b64 s[8:9], s[16:17], 2
	s_waitcnt lgkmcnt(0)
	s_add_u32 s6, s6, s8
	s_addc_u32 s7, s7, s9
	s_abs_i32 s3, s28
	v_cvt_f32_u32_e32 v1, s3
	s_sub_i32 s10, 0, s3
	s_abs_i32 s9, s5
	s_xor_b32 s8, s5, s28
	v_rcp_iflag_f32_e32 v1, v1
	s_ashr_i32 s8, s8, 31
	s_mov_b32 s28, 0
	v_mul_f32_e32 v1, 0x4f7ffffe, v1
	v_cvt_u32_f32_e32 v1, v1
	s_nop 0
	v_readfirstlane_b32 s11, v1
	s_mul_i32 s10, s10, s11
	s_mul_hi_u32 s10, s11, s10
	s_add_i32 s11, s11, s10
	s_mul_hi_u32 s10, s9, s11
	s_mul_i32 s11, s10, s3
	s_sub_i32 s9, s9, s11
	s_add_i32 s11, s10, 1
	s_sub_i32 s12, s9, s3
	s_cmp_ge_u32 s9, s3
	s_cselect_b32 s10, s11, s10
	s_cselect_b32 s9, s12, s9
	s_add_i32 s11, s10, 1
	s_cmp_ge_u32 s9, s3
	s_cselect_b32 s3, s11, s10
	s_xor_b32 s3, s3, s8
	s_sub_i32 s12, s3, s8
	s_abs_i32 s10, s12
	v_cvt_f32_u32_e32 v1, s10
	s_load_dwordx2 s[8:9], s[0:1], 0x40
	s_sub_i32 s3, 0, s10
	s_abs_i32 s11, s2
	v_rcp_iflag_f32_e32 v1, v1
	s_nop 0
	v_mul_f32_e32 v1, 0x4f7ffffe, v1
	v_cvt_u32_f32_e32 v1, v1
	s_nop 0
	v_readfirstlane_b32 s13, v1
	s_mul_i32 s3, s3, s13
	s_mul_hi_u32 s3, s13, s3
	s_add_i32 s13, s13, s3
	s_waitcnt lgkmcnt(0)
	s_cmp_eq_u64 s[8:9], 0
	s_mul_hi_u32 s17, s11, s13
	s_cbranch_scc1 .LBB176_2
; %bb.1:
	s_ashr_i32 s3, s2, 31
	s_lshl_b64 s[14:15], s[2:3], 2
	s_add_u32 s8, s8, s14
	s_addc_u32 s9, s9, s15
	s_load_dword s28, s[8:9], 0x0
.LBB176_2:
	s_load_dword s33, s[6:7], 0x0
	s_ashr_i32 s7, s12, 31
	s_load_dwordx4 s[12:15], s[0:1], 0x48
	s_movk_i32 s3, 0x78
	s_ashr_i32 s6, s2, 31
	v_and_b32_e32 v16, 7, v0
	s_mul_i32 s18, s2, 0x78
	v_cmp_gt_u32_e32 vcc, s3, v0
	v_lshlrev_b32_e32 v20, 2, v0
	v_lshrrev_b32_e32 v1, 1, v0
	s_and_saveexec_b64 s[2:3], vcc
	s_cbranch_execz .LBB176_4
; %bb.3:
	s_load_dwordx2 s[8:9], s[0:1], 0x8
	s_waitcnt lgkmcnt(0)
	s_mul_i32 s20, s12, s16
	s_ashr_i32 s21, s20, 31
	s_lshl_b64 s[20:21], s[20:21], 2
	v_and_b32_e32 v3, 0x1fc, v1
	s_add_u32 s12, s8, s20
	s_addc_u32 s15, s9, s21
	s_ashr_i32 s19, s18, 31
	s_lshl_b64 s[8:9], s[18:19], 2
	s_add_u32 s8, s12, s8
	s_addc_u32 s9, s15, s9
	global_load_dword v2, v20, s[8:9]
	v_mad_u32_u24 v3, v16, 60, v3
	s_waitcnt vmcnt(0)
	ds_write_b32 v3, v2
.LBB176_4:
	s_or_b64 exec, exec, s[2:3]
	s_waitcnt lgkmcnt(0)
	s_add_i32 s3, s33, 7
	s_ashr_i32 s8, s3, 31
	s_lshr_b32 s8, s8, 29
	s_add_i32 s3, s3, s8
	s_ashr_i32 s19, s3, 3
	s_xor_b32 s3, s6, s7
	s_mul_i32 s6, s17, s10
	s_sub_i32 s6, s11, s6
	s_add_i32 s7, s17, 1
	s_sub_i32 s8, s6, s10
	s_load_dwordx2 s[22:23], s[0:1], 0x28
	s_load_dword s2, s[0:1], 0x38
	s_cmp_ge_u32 s6, s10
	s_cselect_b32 s7, s7, s17
	s_cselect_b32 s6, s8, s6
	s_add_i32 s8, s7, 1
	s_cmp_ge_u32 s6, s10
	s_cselect_b32 s6, s8, s7
	v_lshrrev_b32_e32 v34, 6, v0
	s_xor_b32 s6, s6, s3
	s_waitcnt lgkmcnt(0)
	s_mul_i32 s24, s2, s16
	s_sub_i32 s12, s6, s3
	s_ashr_i32 s25, s24, 31
	v_cmp_le_i32_e64 s[2:3], s19, v34
	v_mbcnt_lo_u32_b32 v17, -1, 0
	s_barrier
                                        ; implicit-def: $vgpr22
                                        ; implicit-def: $vgpr24
                                        ; implicit-def: $vgpr23
	s_and_saveexec_b64 s[6:7], s[2:3]
	s_xor_b64 s[6:7], exec, s[6:7]
; %bb.5:
	v_mbcnt_hi_u32_b32 v22, -1, v17
	v_and_b32_e32 v24, 64, v22
	v_add_u32_e32 v23, 64, v24
                                        ; implicit-def: $vgpr16
                                        ; implicit-def: $vgpr17
; %bb.6:
	s_or_saveexec_b64 s[30:31], s[6:7]
	s_load_dwordx2 s[20:21], s[0:1], 0x0
	s_load_dwordx2 s[26:27], s[0:1], 0x18
	s_load_dword s17, s[0:1], 0x88
	s_load_dwordx4 s[8:11], s[0:1], 0x58
	v_mov_b32_e32 v26, 0xff7fffff
	s_mul_i32 s12, s12, s14
	v_lshrrev_b32_e32 v21, 4, v0
	s_xor_b64 exec, exec, s[30:31]
	s_cbranch_execz .LBB176_12
; %bb.7:
	s_load_dwordx2 s[0:1], s[0:1], 0x10
	s_ashr_i32 s6, s12, 31
	v_bfe_u32 v26, v0, 3, 3
	v_mbcnt_hi_u32_b32 v22, -1, v17
	v_lshlrev_b32_e32 v18, 4, v26
	s_waitcnt lgkmcnt(0)
	s_add_u32 s0, s0, s12
	s_addc_u32 s1, s1, s6
	v_mov_b32_e32 v19, 0
	v_and_b32_e32 v24, 64, v22
	v_lshl_add_u64 v[30:31], s[0:1], 0, v[18:19]
	v_mul_u32_u24_e32 v18, 60, v16
	v_add_u32_e32 v23, 64, v24
	v_xor_b32_e32 v17, 4, v22
	ds_read2_b32 v[2:3], v18 offset1:1
	ds_read2_b32 v[4:5], v18 offset0:2 offset1:3
	ds_read2_b32 v[6:7], v18 offset0:4 offset1:5
	;; [unrolled: 1-line block ×6, first 2 shown]
	ds_read_b32 v25, v18 offset:56
	v_cmp_lt_i32_e32 vcc, v17, v23
	s_load_dword s35, s[8:9], 0x0
	s_sub_i32 s36, 1, s33
	v_cndmask_b32_e32 v17, v22, v17, vcc
	v_lshlrev_b32_e32 v27, 2, v17
	v_xor_b32_e32 v17, 2, v22
	v_cmp_lt_i32_e32 vcc, v17, v23
	v_lshlrev_b32_e32 v18, 2, v26
	s_lshl_b64 s[6:7], s[24:25], 2
	v_cndmask_b32_e32 v17, v22, v17, vcc
	v_lshlrev_b32_e32 v28, 2, v17
	v_xor_b32_e32 v17, 1, v22
	v_cmp_lt_i32_e32 vcc, v17, v23
	v_lshl_or_b32 v18, v34, 5, v18
	s_add_u32 s6, s22, s6
	v_cndmask_b32_e32 v17, v22, v17, vcc
	v_lshlrev_b32_e32 v29, 2, v17
	v_mov_b32_e32 v17, v19
	v_cmp_eq_u32_e32 vcc, 0, v16
	v_lshl_add_u64 v[16:17], v[30:31], 0, v[16:17]
	v_add_u32_e32 v31, 0x1f0, v18
	v_and_b32_e32 v18, 60, v21
	s_addc_u32 s7, s23, s7
	s_mov_b32 s34, s13
	v_cmp_neq_f32_e64 s[0:1], s28, 0
	v_lshl_or_b32 v30, v34, 3, v26
	v_lshl_add_u64 v[18:19], s[6:7], 0, v[18:19]
	v_mov_b32_e32 v26, 0xff7fffff
	s_mov_b64 s[8:9], 0
	v_mov_b32_e32 v32, v34
	s_branch .LBB176_9
.LBB176_8:                              ;   in Loop: Header=BB176_9 Depth=1
	s_or_b64 exec, exec, s[14:15]
	v_add_u32_e32 v32, 2, v32
	v_cmp_le_i32_e64 s[6:7], s19, v32
	v_add_u32_e32 v30, 16, v30
	v_add_u32_e32 v31, 64, v31
	s_or_b64 s[8:9], s[6:7], s[8:9]
	v_lshl_add_u64 v[18:19], v[18:19], 0, 8
	s_andn2_b64 exec, exec, s[8:9]
	s_cbranch_execz .LBB176_11
.LBB176_9:                              ; =>This Inner Loop Header: Depth=1
	global_load_dword v33, v[18:19], off
	s_waitcnt vmcnt(0)
	v_mad_i64_i32 v[36:37], s[6:7], v33, s34, v[16:17]
	global_load_ubyte v33, v[36:37], off
	s_waitcnt lgkmcnt(0)
	global_load_ubyte v35, v[36:37], off offset:8
	global_load_ubyte v38, v[36:37], off offset:128
	;; [unrolled: 1-line block ×14, first 2 shown]
	s_waitcnt vmcnt(14)
	v_cvt_f32_fp8_e32 v33, v33
	s_waitcnt vmcnt(13)
	v_cvt_f32_fp8_e32 v35, v35
	;; [unrolled: 2-line block ×5, first 2 shown]
	s_waitcnt lgkmcnt(0)
	v_mul_f32_e32 v35, s35, v35
	s_waitcnt vmcnt(9)
	v_cvt_f32_fp8_e32 v39, v41
	v_mul_f32_e32 v33, s35, v33
	v_mul_f32_e32 v35, v3, v35
	s_waitcnt vmcnt(8)
	v_cvt_f32_fp8_e32 v40, v42
	v_mul_f32_e32 v36, s35, v36
	v_fmac_f32_e32 v35, v2, v33
	s_waitcnt vmcnt(7)
	v_cvt_f32_fp8_e32 v41, v43
	v_mul_f32_e32 v37, s35, v37
	v_fmac_f32_e32 v35, v4, v36
	;; [unrolled: 4-line block ×9, first 2 shown]
	v_mul_f32_e32 v45, s35, v45
	v_fmac_f32_e32 v35, v12, v44
	v_mul_f32_e32 v46, s35, v46
	v_fmac_f32_e32 v35, v13, v45
	;; [unrolled: 2-line block ×4, first 2 shown]
	v_fmac_f32_e32 v35, v25, v48
	ds_bpermute_b32 v33, v27, v35
	s_waitcnt lgkmcnt(0)
	v_add_f32_e32 v33, v35, v33
	ds_bpermute_b32 v35, v28, v33
	s_waitcnt lgkmcnt(0)
	v_add_f32_e32 v33, v33, v35
	ds_bpermute_b32 v35, v29, v33
	s_and_saveexec_b64 s[14:15], vcc
	s_cbranch_execz .LBB176_8
; %bb.10:                               ;   in Loop: Header=BB176_9 Depth=1
	v_add_u32_e32 v36, s36, v30
	v_cvt_f32_i32_e32 v36, v36
	s_waitcnt lgkmcnt(0)
	v_add_f32_e32 v33, v33, v35
	v_cmp_gt_i32_e64 s[6:7], s33, v30
	v_max_f32_e32 v35, v26, v26
	v_mul_f32_e32 v36, s28, v36
	v_cndmask_b32_e64 v36, 0, v36, s[0:1]
	v_fmac_f32_e32 v36, s29, v33
	v_cndmask_b32_e64 v33, 0, v36, s[6:7]
	ds_write_b32 v31, v33
	v_max_f32_e32 v33, v35, v36
	v_cndmask_b32_e64 v26, v26, v33, s[6:7]
	s_branch .LBB176_8
.LBB176_11:
	s_or_b64 exec, exec, s[8:9]
.LBB176_12:
	s_or_b64 exec, exec, s[30:31]
	v_xor_b32_e32 v2, 32, v22
	v_cmp_lt_i32_e32 vcc, v2, v23
	v_xor_b32_e32 v5, 16, v22
	v_max_f32_e32 v4, v26, v26
	v_cndmask_b32_e32 v2, v22, v2, vcc
	v_lshlrev_b32_e32 v3, 2, v2
	ds_bpermute_b32 v2, v3, v26
	v_cmp_lt_i32_e32 vcc, v5, v23
	v_xor_b32_e32 v7, 8, v22
	s_waitcnt lgkmcnt(0)
	v_max_f32_e32 v2, v2, v2
	v_max_f32_e32 v2, v4, v2
	v_cndmask_b32_e32 v4, v22, v5, vcc
	v_lshlrev_b32_e32 v6, 2, v4
	ds_bpermute_b32 v4, v6, v2
	v_cmp_lt_i32_e32 vcc, v7, v23
	s_waitcnt lgkmcnt(0)
	v_max_f32_e32 v4, v4, v4
	v_max_f32_e32 v5, v2, v4
	v_cndmask_b32_e32 v2, v22, v7, vcc
	v_lshlrev_b32_e32 v7, 2, v2
	ds_bpermute_b32 v8, v7, v5
	v_and_b32_e32 v4, 63, v0
	v_cmp_eq_u32_e32 vcc, 0, v4
	v_lshlrev_b32_e32 v2, 2, v34
	s_and_saveexec_b64 s[0:1], vcc
	s_cbranch_execz .LBB176_14
; %bb.13:
	s_waitcnt lgkmcnt(0)
	v_max_f32_e32 v8, v8, v8
	v_max_f32_e32 v5, v5, v5
	;; [unrolled: 1-line block ×3, first 2 shown]
	ds_write_b32 v2, v5 offset:480
.LBB176_14:
	s_or_b64 exec, exec, s[0:1]
	v_cmp_gt_u32_e64 s[0:1], 2, v4
	s_waitcnt lgkmcnt(0)
	v_mov_b32_e32 v8, 0xff7fffff
	v_lshlrev_b32_e32 v5, 2, v4
	s_barrier
	s_and_saveexec_b64 s[6:7], s[0:1]
; %bb.15:
	ds_read_b32 v8, v5 offset:480
; %bb.16:
	s_or_b64 exec, exec, s[6:7]
	v_xor_b32_e32 v9, 1, v22
	v_cmp_lt_i32_e64 s[6:7], v9, v23
	s_nop 1
	v_cndmask_b32_e64 v9, v22, v9, s[6:7]
	v_lshlrev_b32_e32 v35, 2, v9
	s_waitcnt lgkmcnt(0)
	ds_bpermute_b32 v9, v35, v8
	v_max_f32_e32 v8, v8, v8
	s_lshl_b32 s6, s19, 3
	s_min_i32 s30, s6, s33
	v_cmp_gt_i32_e64 s[6:7], s30, v0
	s_waitcnt lgkmcnt(0)
	v_max_f32_e32 v9, v9, v9
	v_max_f32_e32 v8, v8, v9
	v_lshlrev_b32_e32 v9, 2, v24
	ds_bpermute_b32 v9, v9, v8
	v_mov_b32_e32 v8, 0
	s_and_saveexec_b64 s[14:15], s[6:7]
	s_cbranch_execz .LBB176_20
; %bb.17:
	v_mov_b32_e32 v8, 0x1f0
	v_lshl_add_u32 v10, v0, 2, v8
	v_mov_b32_e32 v8, 0
	s_mov_b64 s[28:29], 0
	v_mov_b32_e32 v11, v0
.LBB176_18:                             ; =>This Inner Loop Header: Depth=1
	ds_read_b32 v12, v10
	v_add_u32_e32 v11, 0x80, v11
	v_cmp_le_i32_e64 s[8:9], s30, v11
	s_or_b64 s[28:29], s[8:9], s[28:29]
	s_waitcnt lgkmcnt(0)
	v_sub_f32_e32 v12, v12, v9
	v_mul_f32_e32 v12, 0x3fb8aa3b, v12
	v_exp_f32_e32 v12, v12
	ds_write_b32 v10, v12
	v_add_f32_e32 v8, v8, v12
	v_add_u32_e32 v10, 0x200, v10
	s_andn2_b64 exec, exec, s[28:29]
	s_cbranch_execnz .LBB176_18
; %bb.19:
	s_or_b64 exec, exec, s[28:29]
.LBB176_20:
	s_or_b64 exec, exec, s[14:15]
	ds_bpermute_b32 v3, v3, v8
	s_waitcnt lgkmcnt(0)
	v_add_f32_e32 v3, v8, v3
	ds_bpermute_b32 v6, v6, v3
	s_waitcnt lgkmcnt(0)
	v_add_f32_e32 v3, v3, v6
	ds_bpermute_b32 v6, v7, v3
	v_xor_b32_e32 v7, 4, v22
	v_cmp_lt_i32_e64 s[8:9], v7, v23
	s_waitcnt lgkmcnt(0)
	v_add_f32_e32 v3, v3, v6
	v_cndmask_b32_e64 v7, v22, v7, s[8:9]
	v_lshlrev_b32_e32 v7, 2, v7
	ds_bpermute_b32 v6, v7, v3
	v_xor_b32_e32 v7, 2, v22
	v_cmp_lt_i32_e64 s[8:9], v7, v23
	s_waitcnt lgkmcnt(0)
	v_add_f32_e32 v3, v3, v6
	v_cndmask_b32_e64 v7, v22, v7, s[8:9]
	v_lshlrev_b32_e32 v6, 2, v7
	ds_bpermute_b32 v6, v6, v3
	s_waitcnt lgkmcnt(0)
	v_add_f32_e32 v3, v3, v6
	ds_bpermute_b32 v6, v35, v3
	s_waitcnt lgkmcnt(0)
	v_add_f32_e32 v3, v3, v6
	s_and_saveexec_b64 s[8:9], vcc
; %bb.21:
	ds_write_b32 v2, v3 offset:488
; %bb.22:
	s_or_b64 exec, exec, s[8:9]
	s_waitcnt lgkmcnt(0)
	s_barrier
	s_and_saveexec_b64 s[8:9], s[0:1]
; %bb.23:
	ds_read_b32 v3, v5 offset:488
; %bb.24:
	s_or_b64 exec, exec, s[8:9]
	s_waitcnt lgkmcnt(0)
	ds_bpermute_b32 v2, v35, v3
	v_lshlrev_b32_e32 v5, 2, v22
	s_waitcnt lgkmcnt(0)
	v_add_f32_e32 v2, v3, v2
	v_and_b32_e32 v3, 0xffffff00, v5
	ds_bpermute_b32 v2, v3, v2
	s_and_saveexec_b64 s[0:1], s[6:7]
	s_cbranch_execz .LBB176_37
; %bb.25:
	s_waitcnt lgkmcnt(0)
	v_add_f32_e32 v2, 0x358637bd, v2
	v_div_scale_f32 v3, s[6:7], v2, v2, 1.0
	v_rcp_f32_e32 v5, v3
	v_div_scale_f32 v6, vcc, 1.0, v2, 1.0
	s_movk_i32 s6, 0x7f
	v_fma_f32 v7, -v3, v5, 1.0
	v_fmac_f32_e32 v5, v7, v5
	v_mul_f32_e32 v7, v6, v5
	v_fma_f32 v8, -v3, v7, v6
	v_fmac_f32_e32 v7, v8, v5
	v_fma_f32 v3, -v3, v7, v6
	v_div_fmas_f32 v3, v3, v5, v7
	v_xad_u32 v5, v0, -1, s30
	v_div_fixup_f32 v2, v3, v2, 1.0
	v_cmp_lt_u32_e32 vcc, s6, v5
	s_mov_b64 s[8:9], -1
	v_mov_b32_e32 v3, v0
	s_and_saveexec_b64 s[6:7], vcc
	s_cbranch_execz .LBB176_34
; %bb.26:
	v_lshrrev_b32_e32 v5, 7, v5
	v_add_u32_e32 v7, -1, v5
	v_lshrrev_b32_e32 v6, 1, v7
	v_mov_b32_e32 v3, v2
	v_add_u32_e32 v6, 1, v6
	v_cmp_lt_u32_e32 vcc, 13, v7
	v_mov_b32_e32 v9, 0
	s_and_saveexec_b64 s[8:9], vcc
	s_cbranch_execz .LBB176_30
; %bb.27:
	v_mov_b32_e32 v8, 0x1f0
	v_and_b32_e32 v7, -8, v6
	v_lshl_add_u32 v8, v0, 2, v8
	s_mov_b32 s28, 0
	s_mov_b64 s[14:15], 0
.LBB176_28:                             ; =>This Inner Loop Header: Depth=1
	ds_read2st64_b32 v[10:11], v8 offset1:2
	ds_read2st64_b32 v[12:13], v8 offset0:4 offset1:6
	ds_read2st64_b32 v[14:15], v8 offset0:8 offset1:10
	ds_read2st64_b32 v[16:17], v8 offset0:12 offset1:14
	v_add_u32_e32 v7, -8, v7
	s_waitcnt lgkmcnt(3)
	v_pk_mul_f32 v[10:11], v[2:3], v[10:11]
	s_waitcnt lgkmcnt(2)
	v_pk_mul_f32 v[12:13], v[2:3], v[12:13]
	ds_write2st64_b32 v8, v10, v11 offset1:2
	ds_write2st64_b32 v8, v12, v13 offset0:4 offset1:6
	ds_read2st64_b32 v[12:13], v8 offset0:16 offset1:18
	s_waitcnt lgkmcnt(4)
	v_pk_mul_f32 v[10:11], v[2:3], v[14:15]
	ds_write2st64_b32 v8, v10, v11 offset0:8 offset1:10
	s_waitcnt lgkmcnt(4)
	v_pk_mul_f32 v[10:11], v[2:3], v[16:17]
	ds_write2st64_b32 v8, v10, v11 offset0:12 offset1:14
	ds_read2st64_b32 v[10:11], v8 offset0:20 offset1:22
	s_waitcnt lgkmcnt(3)
	v_pk_mul_f32 v[12:13], v[2:3], v[12:13]
	ds_read2st64_b32 v[14:15], v8 offset0:24 offset1:26
	ds_write2st64_b32 v8, v12, v13 offset0:16 offset1:18
	ds_read2st64_b32 v[12:13], v8 offset0:28 offset1:30
	s_waitcnt lgkmcnt(3)
	v_pk_mul_f32 v[10:11], v[2:3], v[10:11]
	ds_write2st64_b32 v8, v10, v11 offset0:20 offset1:22
	s_waitcnt lgkmcnt(3)
	v_pk_mul_f32 v[10:11], v[2:3], v[14:15]
	ds_write2st64_b32 v8, v10, v11 offset0:24 offset1:26
	s_waitcnt lgkmcnt(2)
	v_pk_mul_f32 v[10:11], v[2:3], v[12:13]
	s_add_i32 s28, s28, 16
	v_cmp_eq_u32_e32 vcc, 0, v7
	ds_write2st64_b32 v8, v10, v11 offset0:28 offset1:30
	v_add_u32_e32 v8, 0x2000, v8
	s_or_b64 s[14:15], vcc, s[14:15]
	v_mov_b32_e32 v9, s28
	s_andn2_b64 exec, exec, s[14:15]
	s_cbranch_execnz .LBB176_28
; %bb.29:
	s_or_b64 exec, exec, s[14:15]
.LBB176_30:
	s_or_b64 exec, exec, s[8:9]
	v_and_b32_e32 v6, 7, v6
	v_cmp_ne_u32_e32 vcc, 0, v6
	s_and_saveexec_b64 s[8:9], vcc
	s_cbranch_execz .LBB176_33
; %bb.31:
	v_lshlrev_b32_e32 v7, 9, v9
	s_movk_i32 s14, 0x1f0
	v_add3_u32 v7, v7, v20, s14
	s_mov_b64 s[14:15], 0
.LBB176_32:                             ; =>This Inner Loop Header: Depth=1
	ds_read2st64_b32 v[8:9], v7 offset1:2
	v_add_u32_e32 v6, -1, v6
	v_cmp_eq_u32_e32 vcc, 0, v6
	s_or_b64 s[14:15], vcc, s[14:15]
	s_waitcnt lgkmcnt(0)
	v_pk_mul_f32 v[8:9], v[2:3], v[8:9]
	ds_write2st64_b32 v7, v8, v9 offset1:2
	v_add_u32_e32 v7, 0x400, v7
	s_andn2_b64 exec, exec, s[14:15]
	s_cbranch_execnz .LBB176_32
.LBB176_33:
	s_or_b64 exec, exec, s[8:9]
	v_add_u32_e32 v5, 1, v5
	v_and_b32_e32 v6, 0x3fffffe, v5
	v_cmp_ne_u32_e32 vcc, v5, v6
	v_lshl_add_u32 v3, v6, 7, v0
	s_orn2_b64 s[8:9], vcc, exec
.LBB176_34:
	s_or_b64 exec, exec, s[6:7]
	s_and_b64 exec, exec, s[8:9]
	s_cbranch_execz .LBB176_37
; %bb.35:
	v_mov_b32_e32 v5, 0x1f0
	v_lshl_add_u32 v5, v3, 2, v5
	s_mov_b64 s[6:7], 0
.LBB176_36:                             ; =>This Inner Loop Header: Depth=1
	ds_read_b32 v6, v5
	v_add_u32_e32 v3, 0x80, v3
	v_cmp_le_i32_e32 vcc, s30, v3
	s_or_b64 s[6:7], vcc, s[6:7]
	s_waitcnt lgkmcnt(0)
	v_mul_f32_e32 v6, v2, v6
	ds_write_b32 v5, v6
	v_add_u32_e32 v5, 0x200, v5
	s_andn2_b64 exec, exec, s[6:7]
	s_cbranch_execnz .LBB176_36
.LBB176_37:
	s_or_b64 exec, exec, s[0:1]
	v_lshrrev_b32_e32 v36, 1, v4
	s_waitcnt lgkmcnt(0)
	s_barrier
	s_and_saveexec_b64 s[0:1], s[2:3]
	s_xor_b64 s[0:1], exec, s[0:1]
; %bb.38:
	v_lshrrev_b32_e32 v36, 1, v4
                                        ; implicit-def: $vgpr34
                                        ; implicit-def: $vgpr20
                                        ; implicit-def: $vgpr21
; %bb.39:
	s_or_saveexec_b64 s[6:7], s[0:1]
	v_mov_b32_e32 v7, 0
	v_and_b32_e32 v37, 1, v0
	v_mov_b32_e32 v6, 0
	v_mov_b32_e32 v9, 0
	;; [unrolled: 1-line block ×3, first 2 shown]
	s_xor_b64 exec, exec, s[6:7]
	s_cbranch_execz .LBB176_53
; %bb.40:
	s_ashr_i32 s1, s12, 31
	s_load_dword s8, s[10:11], 0x0
	v_and_b32_e32 v2, 4, v20
	s_add_u32 s0, s26, s12
	v_or_b32_e32 v3, 0x60, v36
	s_movk_i32 s2, 0x78
	s_addc_u32 s1, s27, s1
	s_add_i32 s15, s19, -1
	v_lshl_or_b32 v10, v36, 3, v2
	v_cmp_gt_u32_e32 vcc, s2, v3
	v_lshl_or_b32 v12, v3, 3, v2
	v_lshl_or_b32 v38, v34, 3, v2
	v_lshlrev_b32_e32 v2, 4, v37
	s_lshl_b64 s[2:3], s[24:25], 2
	v_mov_b32_e32 v11, 0
	v_lshl_or_b32 v2, v34, 5, v2
	s_add_u32 s2, s22, s2
	v_add_u32_e32 v39, 0x1f0, v2
	v_and_b32_e32 v2, 60, v21
	v_mov_b32_e32 v3, v11
	s_addc_u32 s3, s23, s3
	s_mov_b32 s14, s13
	s_waitcnt lgkmcnt(0)
	s_mov_b32 s9, s8
	v_mov_b32_e32 v13, v11
	s_mov_b32 s26, s33
	v_lshl_add_u64 v[14:15], s[2:3], 0, v[2:3]
	s_mov_b64 s[10:11], 0
	v_mov_b64_e32 v[16:17], s[0:1]
	v_mov_b32_e32 v7, v11
	v_mov_b32_e32 v6, v11
	;; [unrolled: 1-line block ×4, first 2 shown]
	s_branch .LBB176_43
.LBB176_41:                             ;   in Loop: Header=BB176_43 Depth=1
	s_or_b64 exec, exec, s[12:13]
	s_waitcnt lgkmcnt(0)
	v_pk_mul_f32 v[32:33], v[2:3], v[32:33]
	v_pk_mul_f32 v[26:27], v[4:5], v[26:27]
	v_add_f32_e32 v32, v33, v32
	v_add_f32_e32 v26, v26, v32
	;; [unrolled: 1-line block ×4, first 2 shown]
.LBB176_42:                             ;   in Loop: Header=BB176_43 Depth=1
	s_or_b64 exec, exec, s[2:3]
	s_waitcnt lgkmcnt(0)
	v_mul_f32_e32 v26, v2, v30
	v_mul_f32_e32 v24, v2, v24
	;; [unrolled: 1-line block ×3, first 2 shown]
	v_fmac_f32_e32 v26, v3, v31
	v_fmac_f32_e32 v24, v3, v25
	v_fmac_f32_e32 v2, v3, v21
	v_fmac_f32_e32 v26, v4, v28
	v_fmac_f32_e32 v24, v4, v22
	v_fmac_f32_e32 v2, v4, v18
	v_add_u32_e32 v34, 2, v34
	v_fmac_f32_e32 v26, v5, v29
	v_fmac_f32_e32 v24, v5, v23
	;; [unrolled: 1-line block ×3, first 2 shown]
	v_cmp_le_i32_e64 s[0:1], s19, v34
	v_add_f32_e32 v6, v6, v26
	v_add_f32_e32 v9, v9, v24
	;; [unrolled: 1-line block ×3, first 2 shown]
	v_add_u32_e32 v38, 16, v38
	v_add_u32_e32 v39, 64, v39
	s_or_b64 s[10:11], s[0:1], s[10:11]
	v_lshl_add_u64 v[14:15], v[14:15], 0, 8
	s_andn2_b64 exec, exec, s[10:11]
	s_cbranch_execz .LBB176_52
.LBB176_43:                             ; =>This Inner Loop Header: Depth=1
	global_load_dword v2, v[14:15], off
	v_add_u32_e32 v32, 2, v38
	v_add_u32_e32 v33, 3, v38
	s_waitcnt vmcnt(0)
	v_mad_i64_i32 v[26:27], s[0:1], v2, s14, v[16:17]
	v_lshl_add_u64 v[28:29], v[26:27], 0, v[10:11]
	global_load_dword v18, v[28:29], off
	ds_read_b128 v[2:5], v39
	v_cmp_eq_u32_e64 s[0:1], s15, v34
	s_waitcnt vmcnt(0)
	v_and_b32_e32 v19, 0xffff, v18
	v_lshrrev_b32_e32 v20, 16, v18
	v_cvt_pk_f32_fp8_e32 v[18:19], v19
	v_cvt_pk_f32_fp8_e32 v[22:23], v20
	v_pk_mul_f32 v[20:21], s[8:9], v[18:19]
	v_pk_mul_f32 v[18:19], s[8:9], v[22:23]
	s_and_saveexec_b64 s[12:13], s[0:1]
; %bb.44:                               ;   in Loop: Header=BB176_43 Depth=1
	v_cmp_gt_i32_e64 s[2:3], s33, v38
	v_add_u32_e32 v22, 1, v38
	s_nop 0
	v_cndmask_b32_e64 v20, 0, v20, s[2:3]
	v_cmp_gt_i32_e64 s[2:3], s33, v22
	s_nop 1
	v_cndmask_b32_e64 v21, 0, v21, s[2:3]
	v_cmp_gt_i32_e64 s[2:3], s33, v32
	;; [unrolled: 3-line block ×3, first 2 shown]
	s_nop 1
	v_cndmask_b32_e64 v19, 0, v19, s[2:3]
; %bb.45:                               ;   in Loop: Header=BB176_43 Depth=1
	s_or_b64 exec, exec, s[12:13]
	global_load_dword v22, v[28:29], off offset:256
	s_waitcnt vmcnt(0)
	v_and_b32_e32 v23, 0xffff, v22
	v_lshrrev_b32_e32 v24, 16, v22
	v_cvt_pk_f32_fp8_e32 v[22:23], v23
	v_cvt_pk_f32_fp8_e32 v[30:31], v24
	v_pk_mul_f32 v[24:25], s[8:9], v[22:23]
	v_pk_mul_f32 v[22:23], s[8:9], v[30:31]
	s_and_saveexec_b64 s[12:13], s[0:1]
; %bb.46:                               ;   in Loop: Header=BB176_43 Depth=1
	v_cmp_gt_i32_e64 s[2:3], s33, v38
	v_add_u32_e32 v30, 1, v38
	s_nop 0
	v_cndmask_b32_e64 v24, 0, v24, s[2:3]
	v_cmp_gt_i32_e64 s[2:3], s33, v30
	s_nop 1
	v_cndmask_b32_e64 v25, 0, v25, s[2:3]
	v_cmp_gt_i32_e64 s[2:3], s33, v32
	;; [unrolled: 3-line block ×3, first 2 shown]
	s_nop 1
	v_cndmask_b32_e64 v23, 0, v23, s[2:3]
; %bb.47:                               ;   in Loop: Header=BB176_43 Depth=1
	s_or_b64 exec, exec, s[12:13]
	global_load_dword v28, v[28:29], off offset:512
	s_waitcnt vmcnt(0)
	v_and_b32_e32 v29, 0xffff, v28
	v_lshrrev_b32_e32 v30, 16, v28
	v_cvt_pk_f32_fp8_e32 v[28:29], v29
	v_cvt_pk_f32_fp8_e32 v[40:41], v30
	v_pk_mul_f32 v[30:31], s[8:9], v[28:29]
	v_pk_mul_f32 v[28:29], s[8:9], v[40:41]
	s_and_saveexec_b64 s[12:13], s[0:1]
; %bb.48:                               ;   in Loop: Header=BB176_43 Depth=1
	v_cmp_gt_i32_e64 s[2:3], s33, v38
	v_add_u32_e32 v40, 1, v38
	s_nop 0
	v_cndmask_b32_e64 v30, 0, v30, s[2:3]
	v_cmp_gt_i32_e64 s[2:3], s33, v40
	s_nop 1
	v_cndmask_b32_e64 v31, 0, v31, s[2:3]
	v_cmp_gt_i32_e64 s[2:3], s33, v32
	;; [unrolled: 3-line block ×3, first 2 shown]
	s_nop 1
	v_cndmask_b32_e64 v29, 0, v29, s[2:3]
; %bb.49:                               ;   in Loop: Header=BB176_43 Depth=1
	s_or_b64 exec, exec, s[12:13]
	s_and_saveexec_b64 s[2:3], vcc
	s_cbranch_execz .LBB176_42
; %bb.50:                               ;   in Loop: Header=BB176_43 Depth=1
	v_lshl_add_u64 v[26:27], v[26:27], 0, v[12:13]
	global_load_dword v26, v[26:27], off
	s_waitcnt vmcnt(0)
	v_and_b32_e32 v27, 0xffff, v26
	v_lshrrev_b32_e32 v32, 16, v26
	v_cvt_pk_f32_fp8_e32 v[26:27], v27
	v_cvt_pk_f32_fp8_e32 v[40:41], v32
	v_pk_mul_f32 v[32:33], s[8:9], v[26:27]
	v_pk_mul_f32 v[26:27], s[8:9], v[40:41]
	s_and_saveexec_b64 s[12:13], s[0:1]
	s_cbranch_execz .LBB176_41
; %bb.51:                               ;   in Loop: Header=BB176_43 Depth=1
	v_add_u32_e32 v40, 1, v38
	v_cmp_gt_i32_e64 s[0:1], s26, v40
	v_or_b32_e32 v40, 3, v38
	v_or_b32_e32 v41, 2, v38
	v_cndmask_b32_e64 v33, 0, v33, s[0:1]
	v_cmp_gt_i32_e64 s[0:1], s33, v38
	s_nop 1
	v_cndmask_b32_e64 v32, 0, v32, s[0:1]
	v_cmp_gt_i32_e64 s[0:1], s26, v40
	s_nop 1
	;; [unrolled: 3-line block ×3, first 2 shown]
	v_cndmask_b32_e64 v26, 0, v26, s[0:1]
	s_branch .LBB176_41
.LBB176_52:
	s_or_b64 exec, exec, s[10:11]
.LBB176_53:
	s_or_b64 exec, exec, s[6:7]
	ds_bpermute_b32 v2, v35, v8
	ds_bpermute_b32 v3, v35, v9
	;; [unrolled: 1-line block ×4, first 2 shown]
	v_cmp_eq_u32_e32 vcc, 0, v37
	s_waitcnt lgkmcnt(0)
	v_pk_add_f32 v[4:5], v[8:9], v[2:3]
	s_barrier
	v_pk_add_f32 v[2:3], v[6:7], v[10:11]
	v_and_b32_e32 v6, 0x3c0, v0
	v_cmp_eq_u32_e64 s[0:1], 64, v6
	s_and_saveexec_b64 s[2:3], s[0:1]
	s_cbranch_execz .LBB176_58
; %bb.54:
	s_and_saveexec_b64 s[0:1], vcc
	s_cbranch_execz .LBB176_56
; %bb.55:
	v_mov_b32_e32 v6, 0x1f0
	v_lshl_add_u32 v6, v36, 2, v6
	ds_write2_b32 v6, v4, v5 offset1:32
	ds_write_b32 v6, v2 offset:256
.LBB176_56:
	s_or_b64 exec, exec, s[0:1]
	v_or_b32_e32 v6, 0x60, v36
	s_movk_i32 s0, 0x78
	v_cmp_gt_u32_e64 s[0:1], s0, v6
	s_and_b64 s[0:1], vcc, s[0:1]
	s_and_b64 exec, exec, s[0:1]
; %bb.57:
	v_mov_b32_e32 v6, 0x1f0
	v_lshl_add_u32 v6, v36, 2, v6
	ds_write_b32 v6, v3 offset:384
.LBB176_58:
	s_or_b64 exec, exec, s[2:3]
	v_cmp_gt_u32_e64 s[0:1], 64, v0
	s_waitcnt lgkmcnt(0)
	s_barrier
	s_and_saveexec_b64 s[6:7], s[0:1]
	s_cbranch_execz .LBB176_68
; %bb.59:
	s_and_saveexec_b64 s[2:3], vcc
	s_cbranch_execz .LBB176_61
; %bb.60:
	v_mov_b32_e32 v0, 0x1f0
	v_lshl_add_u32 v0, v1, 2, v0
	ds_read_b32 v0, v0
	s_waitcnt lgkmcnt(0)
	v_add_f32_e32 v4, v4, v0
.LBB176_61:
	s_or_b64 exec, exec, s[2:3]
	v_or_b32_e32 v0, 32, v1
	s_movk_i32 s8, 0x78
	v_cmp_gt_u32_e64 s[2:3], s8, v0
	s_and_b64 s[10:11], vcc, s[2:3]
	s_and_saveexec_b64 s[2:3], s[10:11]
	s_cbranch_execz .LBB176_63
; %bb.62:
	v_mov_b32_e32 v0, 0x1f0
	v_lshl_add_u32 v0, v1, 2, v0
	ds_read_b32 v0, v0 offset:128
	s_waitcnt lgkmcnt(0)
	v_add_f32_e32 v5, v5, v0
.LBB176_63:
	s_or_b64 exec, exec, s[2:3]
	v_or_b32_e32 v0, 64, v1
	v_cmp_gt_u32_e64 s[2:3], s8, v0
	s_and_b64 s[8:9], vcc, s[2:3]
	s_and_saveexec_b64 s[2:3], s[8:9]
	s_cbranch_execz .LBB176_65
; %bb.64:
	v_mov_b32_e32 v0, 0x1f0
	v_lshl_add_u32 v0, v1, 2, v0
	ds_read_b32 v0, v0 offset:256
	s_waitcnt lgkmcnt(0)
	v_add_f32_e32 v2, v2, v0
.LBB176_65:
	s_or_b64 exec, exec, s[2:3]
	v_or_b32_e32 v0, 0x60, v1
	s_movk_i32 s2, 0x78
	v_cmp_gt_u32_e64 s[2:3], s2, v0
	s_and_b64 s[8:9], vcc, s[2:3]
	s_and_saveexec_b64 s[2:3], s[8:9]
	s_cbranch_execz .LBB176_67
; %bb.66:
	v_mov_b32_e32 v0, 0x1f0
	v_lshl_add_u32 v0, v1, 2, v0
	ds_read_b32 v0, v0 offset:384
	s_waitcnt lgkmcnt(0)
	v_add_f32_e32 v3, v3, v0
.LBB176_67:
	s_or_b64 exec, exec, s[2:3]
.LBB176_68:
	s_or_b64 exec, exec, s[6:7]
	s_barrier
	s_and_saveexec_b64 s[2:3], s[0:1]
	s_cbranch_execz .LBB176_77
; %bb.69:
	s_mul_i32 s0, s16, s17
	s_mul_i32 s0, s0, s5
	s_mulk_i32 s0, 0x78
	s_ashr_i32 s1, s0, 31
	s_lshl_b64 s[0:1], s[0:1], 2
	s_add_u32 s2, s20, s0
	s_mul_i32 s0, s17, s18
	s_addc_u32 s3, s21, s1
	s_ashr_i32 s1, s0, 31
	s_lshl_b64 s[0:1], s[0:1], 2
	s_add_u32 s2, s2, s0
	s_mul_i32 s0, s4, 0x78
	s_addc_u32 s3, s3, s1
	s_ashr_i32 s1, s0, 31
	s_lshl_b64 s[0:1], s[0:1], 2
	s_add_u32 s2, s2, s0
	s_movk_i32 s5, 0x78
	s_addc_u32 s3, s3, s1
	v_lshlrev_b32_e32 v0, 2, v1
	s_and_saveexec_b64 s[0:1], vcc
	s_cbranch_execz .LBB176_71
; %bb.70:
	global_store_dword v0, v4, s[2:3]
.LBB176_71:
	s_or_b64 exec, exec, s[0:1]
	v_or_b32_e32 v4, 32, v1
	v_cmp_gt_u32_e64 s[0:1], s5, v4
	s_and_b64 s[4:5], vcc, s[0:1]
	s_and_saveexec_b64 s[0:1], s[4:5]
	s_cbranch_execz .LBB176_73
; %bb.72:
	global_store_dword v0, v5, s[2:3] offset:128
.LBB176_73:
	s_or_b64 exec, exec, s[0:1]
	v_or_b32_e32 v4, 64, v1
	s_movk_i32 s4, 0x78
	v_cmp_gt_u32_e64 s[0:1], s4, v4
	s_and_b64 s[6:7], vcc, s[0:1]
	s_and_saveexec_b64 s[0:1], s[6:7]
	s_cbranch_execz .LBB176_75
; %bb.74:
	global_store_dword v0, v2, s[2:3] offset:256
.LBB176_75:
	s_or_b64 exec, exec, s[0:1]
	v_or_b32_e32 v1, 0x60, v1
	v_cmp_gt_u32_e64 s[0:1], s4, v1
	s_and_b64 s[0:1], vcc, s[0:1]
	s_and_b64 exec, exec, s[0:1]
	s_cbranch_execz .LBB176_77
; %bb.76:
	global_store_dword v0, v3, s[2:3] offset:384
.LBB176_77:
	s_endpgm
	.section	.rodata,"a",@progbits
	.p2align	6, 0x0
	.amdhsa_kernel _ZN4vllm25paged_attention_v1_kernelIfhLi120ELi8ELi128ELNS_18Fp8KVCacheDataTypeE1ELb0EEEvPT_PKS2_PKT0_S8_ifPKiSA_iPKfiiiSC_SC_iiiii
		.amdhsa_group_segment_fixed_size 496
		.amdhsa_private_segment_fixed_size 0
		.amdhsa_kernarg_size 384
		.amdhsa_user_sgpr_count 2
		.amdhsa_user_sgpr_dispatch_ptr 0
		.amdhsa_user_sgpr_queue_ptr 0
		.amdhsa_user_sgpr_kernarg_segment_ptr 1
		.amdhsa_user_sgpr_dispatch_id 0
		.amdhsa_user_sgpr_kernarg_preload_length 0
		.amdhsa_user_sgpr_kernarg_preload_offset 0
		.amdhsa_user_sgpr_private_segment_size 0
		.amdhsa_uses_dynamic_stack 0
		.amdhsa_enable_private_segment 0
		.amdhsa_system_sgpr_workgroup_id_x 1
		.amdhsa_system_sgpr_workgroup_id_y 1
		.amdhsa_system_sgpr_workgroup_id_z 1
		.amdhsa_system_sgpr_workgroup_info 0
		.amdhsa_system_vgpr_workitem_id 0
		.amdhsa_next_free_vgpr 51
		.amdhsa_next_free_sgpr 37
		.amdhsa_accum_offset 52
		.amdhsa_reserve_vcc 1
		.amdhsa_float_round_mode_32 0
		.amdhsa_float_round_mode_16_64 0
		.amdhsa_float_denorm_mode_32 3
		.amdhsa_float_denorm_mode_16_64 3
		.amdhsa_dx10_clamp 1
		.amdhsa_ieee_mode 1
		.amdhsa_fp16_overflow 0
		.amdhsa_tg_split 0
		.amdhsa_exception_fp_ieee_invalid_op 0
		.amdhsa_exception_fp_denorm_src 0
		.amdhsa_exception_fp_ieee_div_zero 0
		.amdhsa_exception_fp_ieee_overflow 0
		.amdhsa_exception_fp_ieee_underflow 0
		.amdhsa_exception_fp_ieee_inexact 0
		.amdhsa_exception_int_div_zero 0
	.end_amdhsa_kernel
	.section	.text._ZN4vllm25paged_attention_v1_kernelIfhLi120ELi8ELi128ELNS_18Fp8KVCacheDataTypeE1ELb0EEEvPT_PKS2_PKT0_S8_ifPKiSA_iPKfiiiSC_SC_iiiii,"axG",@progbits,_ZN4vllm25paged_attention_v1_kernelIfhLi120ELi8ELi128ELNS_18Fp8KVCacheDataTypeE1ELb0EEEvPT_PKS2_PKT0_S8_ifPKiSA_iPKfiiiSC_SC_iiiii,comdat
.Lfunc_end176:
	.size	_ZN4vllm25paged_attention_v1_kernelIfhLi120ELi8ELi128ELNS_18Fp8KVCacheDataTypeE1ELb0EEEvPT_PKS2_PKT0_S8_ifPKiSA_iPKfiiiSC_SC_iiiii, .Lfunc_end176-_ZN4vllm25paged_attention_v1_kernelIfhLi120ELi8ELi128ELNS_18Fp8KVCacheDataTypeE1ELb0EEEvPT_PKS2_PKT0_S8_ifPKiSA_iPKfiiiSC_SC_iiiii
                                        ; -- End function
	.set _ZN4vllm25paged_attention_v1_kernelIfhLi120ELi8ELi128ELNS_18Fp8KVCacheDataTypeE1ELb0EEEvPT_PKS2_PKT0_S8_ifPKiSA_iPKfiiiSC_SC_iiiii.num_vgpr, 51
	.set _ZN4vllm25paged_attention_v1_kernelIfhLi120ELi8ELi128ELNS_18Fp8KVCacheDataTypeE1ELb0EEEvPT_PKS2_PKT0_S8_ifPKiSA_iPKfiiiSC_SC_iiiii.num_agpr, 0
	.set _ZN4vllm25paged_attention_v1_kernelIfhLi120ELi8ELi128ELNS_18Fp8KVCacheDataTypeE1ELb0EEEvPT_PKS2_PKT0_S8_ifPKiSA_iPKfiiiSC_SC_iiiii.numbered_sgpr, 37
	.set _ZN4vllm25paged_attention_v1_kernelIfhLi120ELi8ELi128ELNS_18Fp8KVCacheDataTypeE1ELb0EEEvPT_PKS2_PKT0_S8_ifPKiSA_iPKfiiiSC_SC_iiiii.num_named_barrier, 0
	.set _ZN4vllm25paged_attention_v1_kernelIfhLi120ELi8ELi128ELNS_18Fp8KVCacheDataTypeE1ELb0EEEvPT_PKS2_PKT0_S8_ifPKiSA_iPKfiiiSC_SC_iiiii.private_seg_size, 0
	.set _ZN4vllm25paged_attention_v1_kernelIfhLi120ELi8ELi128ELNS_18Fp8KVCacheDataTypeE1ELb0EEEvPT_PKS2_PKT0_S8_ifPKiSA_iPKfiiiSC_SC_iiiii.uses_vcc, 1
	.set _ZN4vllm25paged_attention_v1_kernelIfhLi120ELi8ELi128ELNS_18Fp8KVCacheDataTypeE1ELb0EEEvPT_PKS2_PKT0_S8_ifPKiSA_iPKfiiiSC_SC_iiiii.uses_flat_scratch, 0
	.set _ZN4vllm25paged_attention_v1_kernelIfhLi120ELi8ELi128ELNS_18Fp8KVCacheDataTypeE1ELb0EEEvPT_PKS2_PKT0_S8_ifPKiSA_iPKfiiiSC_SC_iiiii.has_dyn_sized_stack, 0
	.set _ZN4vllm25paged_attention_v1_kernelIfhLi120ELi8ELi128ELNS_18Fp8KVCacheDataTypeE1ELb0EEEvPT_PKS2_PKT0_S8_ifPKiSA_iPKfiiiSC_SC_iiiii.has_recursion, 0
	.set _ZN4vllm25paged_attention_v1_kernelIfhLi120ELi8ELi128ELNS_18Fp8KVCacheDataTypeE1ELb0EEEvPT_PKS2_PKT0_S8_ifPKiSA_iPKfiiiSC_SC_iiiii.has_indirect_call, 0
	.section	.AMDGPU.csdata,"",@progbits
; Kernel info:
; codeLenInByte = 4472
; TotalNumSgprs: 43
; NumVgprs: 51
; NumAgprs: 0
; TotalNumVgprs: 51
; ScratchSize: 0
; MemoryBound: 0
; FloatMode: 240
; IeeeMode: 1
; LDSByteSize: 496 bytes/workgroup (compile time only)
; SGPRBlocks: 5
; VGPRBlocks: 6
; NumSGPRsForWavesPerEU: 43
; NumVGPRsForWavesPerEU: 51
; AccumOffset: 52
; Occupancy: 8
; WaveLimiterHint : 1
; COMPUTE_PGM_RSRC2:SCRATCH_EN: 0
; COMPUTE_PGM_RSRC2:USER_SGPR: 2
; COMPUTE_PGM_RSRC2:TRAP_HANDLER: 0
; COMPUTE_PGM_RSRC2:TGID_X_EN: 1
; COMPUTE_PGM_RSRC2:TGID_Y_EN: 1
; COMPUTE_PGM_RSRC2:TGID_Z_EN: 1
; COMPUTE_PGM_RSRC2:TIDIG_COMP_CNT: 0
; COMPUTE_PGM_RSRC3_GFX90A:ACCUM_OFFSET: 12
; COMPUTE_PGM_RSRC3_GFX90A:TG_SPLIT: 0
	.section	.text._ZN4vllm25paged_attention_v1_kernelIfhLi128ELi8ELi128ELNS_18Fp8KVCacheDataTypeE1ELb0EEEvPT_PKS2_PKT0_S8_ifPKiSA_iPKfiiiSC_SC_iiiii,"axG",@progbits,_ZN4vllm25paged_attention_v1_kernelIfhLi128ELi8ELi128ELNS_18Fp8KVCacheDataTypeE1ELb0EEEvPT_PKS2_PKT0_S8_ifPKiSA_iPKfiiiSC_SC_iiiii,comdat
	.protected	_ZN4vllm25paged_attention_v1_kernelIfhLi128ELi8ELi128ELNS_18Fp8KVCacheDataTypeE1ELb0EEEvPT_PKS2_PKT0_S8_ifPKiSA_iPKfiiiSC_SC_iiiii ; -- Begin function _ZN4vllm25paged_attention_v1_kernelIfhLi128ELi8ELi128ELNS_18Fp8KVCacheDataTypeE1ELb0EEEvPT_PKS2_PKT0_S8_ifPKiSA_iPKfiiiSC_SC_iiiii
	.globl	_ZN4vllm25paged_attention_v1_kernelIfhLi128ELi8ELi128ELNS_18Fp8KVCacheDataTypeE1ELb0EEEvPT_PKS2_PKT0_S8_ifPKiSA_iPKfiiiSC_SC_iiiii
	.p2align	8
	.type	_ZN4vllm25paged_attention_v1_kernelIfhLi128ELi8ELi128ELNS_18Fp8KVCacheDataTypeE1ELb0EEEvPT_PKS2_PKT0_S8_ifPKiSA_iPKfiiiSC_SC_iiiii,@function
_ZN4vllm25paged_attention_v1_kernelIfhLi128ELi8ELi128ELNS_18Fp8KVCacheDataTypeE1ELb0EEEvPT_PKS2_PKT0_S8_ifPKiSA_iPKfiiiSC_SC_iiiii: ; @_ZN4vllm25paged_attention_v1_kernelIfhLi128ELi8ELi128ELNS_18Fp8KVCacheDataTypeE1ELb0EEEvPT_PKS2_PKT0_S8_ifPKiSA_iPKfiiiSC_SC_iiiii
; %bb.0:
	s_load_dword s5, s[0:1], 0x80
	s_load_dwordx2 s[6:7], s[0:1], 0x30
	s_load_dwordx2 s[28:29], s[0:1], 0x20
	s_mov_b32 s16, s3
	s_ashr_i32 s17, s3, 31
	s_lshl_b64 s[8:9], s[16:17], 2
	s_waitcnt lgkmcnt(0)
	s_add_u32 s6, s6, s8
	s_addc_u32 s7, s7, s9
	s_abs_i32 s3, s28
	v_cvt_f32_u32_e32 v1, s3
	s_sub_i32 s10, 0, s3
	s_abs_i32 s9, s5
	s_xor_b32 s8, s5, s28
	v_rcp_iflag_f32_e32 v1, v1
	s_ashr_i32 s8, s8, 31
	s_mov_b32 s28, 0
	v_mul_f32_e32 v1, 0x4f7ffffe, v1
	v_cvt_u32_f32_e32 v1, v1
	s_nop 0
	v_readfirstlane_b32 s11, v1
	s_mul_i32 s10, s10, s11
	s_mul_hi_u32 s10, s11, s10
	s_add_i32 s11, s11, s10
	s_mul_hi_u32 s10, s9, s11
	s_mul_i32 s11, s10, s3
	s_sub_i32 s9, s9, s11
	s_add_i32 s11, s10, 1
	s_sub_i32 s12, s9, s3
	s_cmp_ge_u32 s9, s3
	s_cselect_b32 s10, s11, s10
	s_cselect_b32 s9, s12, s9
	s_add_i32 s11, s10, 1
	s_cmp_ge_u32 s9, s3
	s_cselect_b32 s3, s11, s10
	s_xor_b32 s3, s3, s8
	s_sub_i32 s12, s3, s8
	s_abs_i32 s10, s12
	v_cvt_f32_u32_e32 v1, s10
	s_load_dwordx2 s[8:9], s[0:1], 0x40
	s_sub_i32 s3, 0, s10
	s_abs_i32 s11, s2
	v_rcp_iflag_f32_e32 v1, v1
	s_nop 0
	v_mul_f32_e32 v1, 0x4f7ffffe, v1
	v_cvt_u32_f32_e32 v1, v1
	s_nop 0
	v_readfirstlane_b32 s13, v1
	s_mul_i32 s3, s3, s13
	s_mul_hi_u32 s3, s13, s3
	s_add_i32 s13, s13, s3
	s_waitcnt lgkmcnt(0)
	s_cmp_eq_u64 s[8:9], 0
	s_mul_hi_u32 s20, s11, s13
	s_cbranch_scc1 .LBB177_2
; %bb.1:
	s_ashr_i32 s3, s2, 31
	s_lshl_b64 s[14:15], s[2:3], 2
	s_add_u32 s8, s8, s14
	s_addc_u32 s9, s9, s15
	s_load_dword s28, s[8:9], 0x0
.LBB177_2:
	s_load_dword s17, s[6:7], 0x0
	s_ashr_i32 s7, s12, 31
	s_load_dwordx4 s[12:15], s[0:1], 0x48
	s_ashr_i32 s6, s2, 31
	s_lshl_b32 s18, s2, 7
	s_movk_i32 s2, 0x80
	v_and_b32_e32 v18, 7, v0
	v_cmp_gt_u32_e32 vcc, s2, v0
	v_lshlrev_b32_e32 v22, 2, v0
	v_lshrrev_b32_e32 v1, 1, v0
	s_and_saveexec_b64 s[2:3], vcc
	s_cbranch_execz .LBB177_4
; %bb.3:
	s_load_dwordx2 s[8:9], s[0:1], 0x8
	s_waitcnt lgkmcnt(0)
	s_mul_i32 s22, s12, s16
	s_ashr_i32 s23, s22, 31
	s_lshl_b64 s[22:23], s[22:23], 2
	v_and_b32_e32 v3, 0x1fc, v1
	s_add_u32 s12, s8, s22
	s_addc_u32 s15, s9, s23
	s_ashr_i32 s19, s18, 31
	s_lshl_b64 s[8:9], s[18:19], 2
	s_add_u32 s8, s12, s8
	s_addc_u32 s9, s15, s9
	global_load_dword v2, v22, s[8:9]
	v_lshl_add_u32 v3, v18, 6, v3
	s_waitcnt vmcnt(0)
	ds_write_b32 v3, v2
.LBB177_4:
	s_or_b64 exec, exec, s[2:3]
	s_waitcnt lgkmcnt(0)
	s_add_i32 s3, s17, 7
	s_ashr_i32 s8, s3, 31
	s_lshr_b32 s8, s8, 29
	s_add_i32 s3, s3, s8
	s_ashr_i32 s19, s3, 3
	s_xor_b32 s3, s6, s7
	s_mul_i32 s6, s20, s10
	s_sub_i32 s6, s11, s6
	s_add_i32 s7, s20, 1
	s_sub_i32 s8, s6, s10
	s_load_dwordx2 s[22:23], s[0:1], 0x28
	s_load_dword s2, s[0:1], 0x38
	s_cmp_ge_u32 s6, s10
	s_cselect_b32 s7, s7, s20
	s_cselect_b32 s6, s8, s6
	s_add_i32 s8, s7, 1
	s_cmp_ge_u32 s6, s10
	s_cselect_b32 s6, s8, s7
	v_lshrrev_b32_e32 v30, 6, v0
	s_xor_b32 s6, s6, s3
	s_waitcnt lgkmcnt(0)
	s_mul_i32 s24, s2, s16
	s_sub_i32 s33, s6, s3
	s_ashr_i32 s25, s24, 31
	v_cmp_gt_i32_e64 s[2:3], s19, v30
	v_cmp_le_i32_e32 vcc, s19, v30
	v_mbcnt_lo_u32_b32 v19, -1, 0
	s_barrier
                                        ; implicit-def: $vgpr24
                                        ; implicit-def: $vgpr26
                                        ; implicit-def: $vgpr25
	s_and_saveexec_b64 s[6:7], vcc
	s_xor_b64 s[6:7], exec, s[6:7]
; %bb.5:
	v_mbcnt_hi_u32_b32 v24, -1, v19
	v_and_b32_e32 v26, 64, v24
	v_add_u32_e32 v25, 64, v26
                                        ; implicit-def: $vgpr18
                                        ; implicit-def: $vgpr19
; %bb.6:
	s_or_saveexec_b64 s[30:31], s[6:7]
	s_load_dwordx2 s[20:21], s[0:1], 0x0
	s_load_dwordx2 s[26:27], s[0:1], 0x18
	s_load_dword s12, s[0:1], 0x88
	s_load_dwordx4 s[8:11], s[0:1], 0x58
	v_mov_b32_e32 v27, 0xff7fffff
	s_mul_i32 s33, s33, s14
	v_lshrrev_b32_e32 v23, 4, v0
	s_xor_b64 exec, exec, s[30:31]
	s_cbranch_execz .LBB177_12
; %bb.7:
	v_mbcnt_hi_u32_b32 v24, -1, v19
	v_and_b32_e32 v26, 64, v24
	v_add_u32_e32 v25, 64, v26
	v_xor_b32_e32 v19, 4, v24
	s_load_dwordx2 s[0:1], s[0:1], 0x10
	v_cmp_lt_i32_e32 vcc, v19, v25
	v_lshlrev_b32_e32 v14, 6, v18
	s_ashr_i32 s6, s33, 31
	v_cndmask_b32_e32 v19, v24, v19, vcc
	v_lshlrev_b32_e32 v28, 2, v19
	v_xor_b32_e32 v19, 2, v24
	v_cmp_lt_i32_e32 vcc, v19, v25
	ds_read_b128 v[2:5], v14
	ds_read_b128 v[6:9], v14 offset:16
	ds_read_b128 v[10:13], v14 offset:32
	;; [unrolled: 1-line block ×3, first 2 shown]
	v_cndmask_b32_e32 v19, v24, v19, vcc
	v_bfe_u32 v27, v0, 3, 3
	s_waitcnt lgkmcnt(0)
	s_add_u32 s0, s0, s33
	v_lshlrev_b32_e32 v29, 2, v19
	v_xor_b32_e32 v19, 1, v24
	v_lshlrev_b32_e32 v20, 4, v27
	s_addc_u32 s1, s1, s6
	v_mov_b32_e32 v21, 0
	v_cmp_lt_i32_e32 vcc, v19, v25
	s_load_dword s35, s[8:9], 0x0
	v_lshl_add_u64 v[32:33], s[0:1], 0, v[20:21]
	v_cndmask_b32_e32 v19, v24, v19, vcc
	s_sub_i32 s36, 1, s17
	v_lshlrev_b32_e32 v20, 2, v27
	s_lshl_b64 s[6:7], s[24:25], 2
	v_lshlrev_b32_e32 v31, 2, v19
	v_mov_b32_e32 v19, v21
	v_lshl_or_b32 v20, v30, 5, v20
	s_add_u32 s6, s22, s6
	v_cmp_eq_u32_e32 vcc, 0, v18
	v_lshl_add_u64 v[18:19], v[32:33], 0, v[18:19]
	v_add_u32_e32 v33, 0x210, v20
	v_and_b32_e32 v20, 60, v23
	s_addc_u32 s7, s23, s7
	s_mov_b32 s34, s13
	v_cmp_neq_f32_e64 s[0:1], s28, 0
	v_lshl_or_b32 v32, v30, 3, v27
	v_lshl_add_u64 v[20:21], s[6:7], 0, v[20:21]
	v_mov_b32_e32 v27, 0xff7fffff
	s_mov_b64 s[8:9], 0
	v_mov_b32_e32 v34, v30
	s_branch .LBB177_9
.LBB177_8:                              ;   in Loop: Header=BB177_9 Depth=1
	s_or_b64 exec, exec, s[14:15]
	v_add_u32_e32 v34, 2, v34
	v_cmp_le_i32_e64 s[6:7], s19, v34
	v_add_u32_e32 v32, 16, v32
	v_add_u32_e32 v33, 64, v33
	s_or_b64 s[8:9], s[6:7], s[8:9]
	v_lshl_add_u64 v[20:21], v[20:21], 0, 8
	s_andn2_b64 exec, exec, s[8:9]
	s_cbranch_execz .LBB177_11
.LBB177_9:                              ; =>This Inner Loop Header: Depth=1
	global_load_dword v35, v[20:21], off
	s_waitcnt vmcnt(0) lgkmcnt(0)
	v_mad_i64_i32 v[36:37], s[6:7], v35, s34, v[18:19]
	global_load_ubyte v35, v[36:37], off
	global_load_ubyte v38, v[36:37], off offset:8
	global_load_ubyte v39, v[36:37], off offset:128
	;; [unrolled: 1-line block ×14, first 2 shown]
	s_nop 0
	global_load_ubyte v36, v[36:37], off offset:904
	s_waitcnt vmcnt(15)
	v_cvt_f32_fp8_e32 v35, v35
	s_waitcnt vmcnt(14)
	v_cvt_f32_fp8_e32 v37, v38
	;; [unrolled: 2-line block ×5, first 2 shown]
	s_waitcnt lgkmcnt(0)
	v_mul_f32_e32 v37, s35, v37
	s_waitcnt vmcnt(10)
	v_cvt_f32_fp8_e32 v41, v42
	v_mul_f32_e32 v35, s35, v35
	v_mul_f32_e32 v37, v3, v37
	s_waitcnt vmcnt(9)
	v_cvt_f32_fp8_e32 v42, v43
	v_mul_f32_e32 v38, s35, v38
	v_fmac_f32_e32 v37, v2, v35
	s_waitcnt vmcnt(8)
	v_cvt_f32_fp8_e32 v43, v44
	v_mul_f32_e32 v39, s35, v39
	v_fmac_f32_e32 v37, v4, v38
	;; [unrolled: 4-line block ×10, first 2 shown]
	v_mul_f32_e32 v48, s35, v48
	v_fmac_f32_e32 v37, v13, v47
	v_mul_f32_e32 v49, s35, v49
	v_fmac_f32_e32 v37, v14, v48
	;; [unrolled: 2-line block ×4, first 2 shown]
	v_fmac_f32_e32 v37, v17, v36
	ds_bpermute_b32 v35, v28, v37
	s_waitcnt lgkmcnt(0)
	v_add_f32_e32 v35, v37, v35
	ds_bpermute_b32 v36, v29, v35
	s_waitcnt lgkmcnt(0)
	v_add_f32_e32 v35, v35, v36
	ds_bpermute_b32 v36, v31, v35
	s_and_saveexec_b64 s[14:15], vcc
	s_cbranch_execz .LBB177_8
; %bb.10:                               ;   in Loop: Header=BB177_9 Depth=1
	v_add_u32_e32 v37, s36, v32
	v_cvt_f32_i32_e32 v37, v37
	s_waitcnt lgkmcnt(0)
	v_add_f32_e32 v35, v35, v36
	v_cmp_gt_i32_e64 s[6:7], s17, v32
	v_max_f32_e32 v36, v27, v27
	v_mul_f32_e32 v37, s28, v37
	v_cndmask_b32_e64 v37, 0, v37, s[0:1]
	v_fmac_f32_e32 v37, s29, v35
	v_cndmask_b32_e64 v35, 0, v37, s[6:7]
	ds_write_b32 v33, v35
	v_max_f32_e32 v35, v36, v37
	v_cndmask_b32_e64 v27, v27, v35, s[6:7]
	s_branch .LBB177_8
.LBB177_11:
	s_or_b64 exec, exec, s[8:9]
.LBB177_12:
	s_or_b64 exec, exec, s[30:31]
	v_xor_b32_e32 v2, 32, v24
	v_cmp_lt_i32_e32 vcc, v2, v25
	v_xor_b32_e32 v5, 16, v24
	v_max_f32_e32 v4, v27, v27
	v_cndmask_b32_e32 v2, v24, v2, vcc
	v_lshlrev_b32_e32 v3, 2, v2
	ds_bpermute_b32 v2, v3, v27
	v_cmp_lt_i32_e32 vcc, v5, v25
	v_xor_b32_e32 v6, 8, v24
	v_and_b32_e32 v31, 63, v0
	s_waitcnt lgkmcnt(0)
	v_max_f32_e32 v2, v2, v2
	v_max_f32_e32 v2, v4, v2
	v_cndmask_b32_e32 v4, v24, v5, vcc
	v_lshlrev_b32_e32 v5, 2, v4
	ds_bpermute_b32 v4, v5, v2
	v_cmp_lt_i32_e32 vcc, v6, v25
	s_waitcnt lgkmcnt(0)
	v_max_f32_e32 v4, v4, v4
	v_max_f32_e32 v4, v2, v4
	v_cndmask_b32_e32 v2, v24, v6, vcc
	v_lshlrev_b32_e32 v6, 2, v2
	ds_bpermute_b32 v7, v6, v4
	v_cmp_eq_u32_e32 vcc, 0, v31
	v_lshlrev_b32_e32 v2, 2, v30
	s_and_saveexec_b64 s[0:1], vcc
	s_cbranch_execz .LBB177_14
; %bb.13:
	s_waitcnt lgkmcnt(0)
	v_max_f32_e32 v7, v7, v7
	v_max_f32_e32 v4, v4, v4
	;; [unrolled: 1-line block ×3, first 2 shown]
	ds_write_b32 v2, v4 offset:512
.LBB177_14:
	s_or_b64 exec, exec, s[0:1]
	v_cmp_gt_u32_e64 s[0:1], 2, v31
	s_waitcnt lgkmcnt(0)
	v_mov_b32_e32 v7, 0xff7fffff
	v_lshlrev_b32_e32 v4, 2, v31
	s_barrier
	s_and_saveexec_b64 s[6:7], s[0:1]
; %bb.15:
	ds_read_b32 v7, v4 offset:512
; %bb.16:
	s_or_b64 exec, exec, s[6:7]
	v_xor_b32_e32 v8, 1, v24
	v_cmp_lt_i32_e64 s[6:7], v8, v25
	s_nop 1
	v_cndmask_b32_e64 v8, v24, v8, s[6:7]
	v_lshlrev_b32_e32 v32, 2, v8
	s_waitcnt lgkmcnt(0)
	ds_bpermute_b32 v8, v32, v7
	v_max_f32_e32 v7, v7, v7
	s_lshl_b32 s6, s19, 3
	s_min_i32 s30, s6, s17
	v_cmp_gt_i32_e64 s[6:7], s30, v0
	s_waitcnt lgkmcnt(0)
	v_max_f32_e32 v8, v8, v8
	v_max_f32_e32 v7, v7, v8
	v_lshlrev_b32_e32 v8, 2, v26
	ds_bpermute_b32 v8, v8, v7
	v_mov_b32_e32 v7, 0
	s_and_saveexec_b64 s[14:15], s[6:7]
	s_cbranch_execz .LBB177_20
; %bb.17:
	v_mov_b32_e32 v7, 0x210
	v_lshl_add_u32 v9, v0, 2, v7
	v_mov_b32_e32 v7, 0
	s_mov_b64 s[28:29], 0
	v_mov_b32_e32 v10, v0
.LBB177_18:                             ; =>This Inner Loop Header: Depth=1
	ds_read_b32 v11, v9
	v_add_u32_e32 v10, 0x80, v10
	v_cmp_le_i32_e64 s[8:9], s30, v10
	s_or_b64 s[28:29], s[8:9], s[28:29]
	s_waitcnt lgkmcnt(0)
	v_sub_f32_e32 v11, v11, v8
	v_mul_f32_e32 v11, 0x3fb8aa3b, v11
	v_exp_f32_e32 v11, v11
	ds_write_b32 v9, v11
	v_add_f32_e32 v7, v7, v11
	v_add_u32_e32 v9, 0x200, v9
	s_andn2_b64 exec, exec, s[28:29]
	s_cbranch_execnz .LBB177_18
; %bb.19:
	s_or_b64 exec, exec, s[28:29]
.LBB177_20:
	s_or_b64 exec, exec, s[14:15]
	ds_bpermute_b32 v3, v3, v7
	s_waitcnt lgkmcnt(0)
	v_add_f32_e32 v3, v7, v3
	ds_bpermute_b32 v5, v5, v3
	s_waitcnt lgkmcnt(0)
	v_add_f32_e32 v3, v3, v5
	ds_bpermute_b32 v5, v6, v3
	v_xor_b32_e32 v6, 4, v24
	v_cmp_lt_i32_e64 s[8:9], v6, v25
	s_waitcnt lgkmcnt(0)
	v_add_f32_e32 v3, v3, v5
	v_cndmask_b32_e64 v6, v24, v6, s[8:9]
	v_lshlrev_b32_e32 v6, 2, v6
	ds_bpermute_b32 v5, v6, v3
	v_xor_b32_e32 v6, 2, v24
	v_cmp_lt_i32_e64 s[8:9], v6, v25
	s_waitcnt lgkmcnt(0)
	v_add_f32_e32 v3, v3, v5
	v_cndmask_b32_e64 v6, v24, v6, s[8:9]
	v_lshlrev_b32_e32 v5, 2, v6
	ds_bpermute_b32 v5, v5, v3
	s_waitcnt lgkmcnt(0)
	v_add_f32_e32 v3, v3, v5
	ds_bpermute_b32 v5, v32, v3
	s_waitcnt lgkmcnt(0)
	v_add_f32_e32 v3, v3, v5
	s_and_saveexec_b64 s[8:9], vcc
; %bb.21:
	ds_write_b32 v2, v3 offset:520
; %bb.22:
	s_or_b64 exec, exec, s[8:9]
	s_waitcnt lgkmcnt(0)
	s_barrier
	s_and_saveexec_b64 s[8:9], s[0:1]
; %bb.23:
	ds_read_b32 v3, v4 offset:520
; %bb.24:
	s_or_b64 exec, exec, s[8:9]
	s_waitcnt lgkmcnt(0)
	ds_bpermute_b32 v2, v32, v3
	v_lshlrev_b32_e32 v4, 2, v24
	s_waitcnt lgkmcnt(0)
	v_add_f32_e32 v2, v3, v2
	v_and_b32_e32 v3, 0xffffff00, v4
	ds_bpermute_b32 v2, v3, v2
	s_and_saveexec_b64 s[0:1], s[6:7]
	s_cbranch_execz .LBB177_37
; %bb.25:
	s_waitcnt lgkmcnt(0)
	v_add_f32_e32 v2, 0x358637bd, v2
	v_div_scale_f32 v3, s[6:7], v2, v2, 1.0
	v_rcp_f32_e32 v4, v3
	v_div_scale_f32 v5, vcc, 1.0, v2, 1.0
	s_movk_i32 s6, 0x7f
	v_fma_f32 v6, -v3, v4, 1.0
	v_fmac_f32_e32 v4, v6, v4
	v_mul_f32_e32 v6, v5, v4
	v_fma_f32 v7, -v3, v6, v5
	v_fmac_f32_e32 v6, v7, v4
	v_fma_f32 v3, -v3, v6, v5
	v_div_fmas_f32 v3, v3, v4, v6
	v_xad_u32 v4, v0, -1, s30
	v_div_fixup_f32 v2, v3, v2, 1.0
	v_cmp_lt_u32_e32 vcc, s6, v4
	s_mov_b64 s[8:9], -1
	v_mov_b32_e32 v3, v0
	s_and_saveexec_b64 s[6:7], vcc
	s_cbranch_execz .LBB177_34
; %bb.26:
	v_lshrrev_b32_e32 v4, 7, v4
	v_add_u32_e32 v6, -1, v4
	v_lshrrev_b32_e32 v5, 1, v6
	v_mov_b32_e32 v3, v2
	v_add_u32_e32 v5, 1, v5
	v_cmp_lt_u32_e32 vcc, 13, v6
	v_mov_b32_e32 v8, 0
	s_and_saveexec_b64 s[8:9], vcc
	s_cbranch_execz .LBB177_30
; %bb.27:
	v_mov_b32_e32 v7, 0x210
	v_and_b32_e32 v6, -8, v5
	v_lshl_add_u32 v7, v0, 2, v7
	s_mov_b32 s28, 0
	s_mov_b64 s[14:15], 0
.LBB177_28:                             ; =>This Inner Loop Header: Depth=1
	ds_read2st64_b32 v[8:9], v7 offset1:2
	ds_read2st64_b32 v[10:11], v7 offset0:4 offset1:6
	ds_read2st64_b32 v[12:13], v7 offset0:8 offset1:10
	;; [unrolled: 1-line block ×3, first 2 shown]
	v_add_u32_e32 v6, -8, v6
	s_waitcnt lgkmcnt(3)
	v_pk_mul_f32 v[8:9], v[2:3], v[8:9]
	s_waitcnt lgkmcnt(2)
	v_pk_mul_f32 v[10:11], v[2:3], v[10:11]
	ds_write2st64_b32 v7, v8, v9 offset1:2
	ds_write2st64_b32 v7, v10, v11 offset0:4 offset1:6
	ds_read2st64_b32 v[10:11], v7 offset0:16 offset1:18
	s_waitcnt lgkmcnt(4)
	v_pk_mul_f32 v[8:9], v[2:3], v[12:13]
	ds_write2st64_b32 v7, v8, v9 offset0:8 offset1:10
	s_waitcnt lgkmcnt(4)
	v_pk_mul_f32 v[8:9], v[2:3], v[14:15]
	ds_write2st64_b32 v7, v8, v9 offset0:12 offset1:14
	ds_read2st64_b32 v[8:9], v7 offset0:20 offset1:22
	s_waitcnt lgkmcnt(3)
	v_pk_mul_f32 v[10:11], v[2:3], v[10:11]
	ds_read2st64_b32 v[12:13], v7 offset0:24 offset1:26
	ds_write2st64_b32 v7, v10, v11 offset0:16 offset1:18
	ds_read2st64_b32 v[10:11], v7 offset0:28 offset1:30
	s_waitcnt lgkmcnt(3)
	v_pk_mul_f32 v[8:9], v[2:3], v[8:9]
	ds_write2st64_b32 v7, v8, v9 offset0:20 offset1:22
	s_waitcnt lgkmcnt(3)
	v_pk_mul_f32 v[8:9], v[2:3], v[12:13]
	ds_write2st64_b32 v7, v8, v9 offset0:24 offset1:26
	s_waitcnt lgkmcnt(2)
	v_pk_mul_f32 v[8:9], v[2:3], v[10:11]
	s_add_i32 s28, s28, 16
	v_cmp_eq_u32_e32 vcc, 0, v6
	ds_write2st64_b32 v7, v8, v9 offset0:28 offset1:30
	v_add_u32_e32 v7, 0x2000, v7
	s_or_b64 s[14:15], vcc, s[14:15]
	v_mov_b32_e32 v8, s28
	s_andn2_b64 exec, exec, s[14:15]
	s_cbranch_execnz .LBB177_28
; %bb.29:
	s_or_b64 exec, exec, s[14:15]
.LBB177_30:
	s_or_b64 exec, exec, s[8:9]
	v_and_b32_e32 v5, 7, v5
	v_cmp_ne_u32_e32 vcc, 0, v5
	s_and_saveexec_b64 s[8:9], vcc
	s_cbranch_execz .LBB177_33
; %bb.31:
	v_lshlrev_b32_e32 v6, 9, v8
	s_movk_i32 s14, 0x210
	v_add3_u32 v6, v6, v22, s14
	s_mov_b64 s[14:15], 0
.LBB177_32:                             ; =>This Inner Loop Header: Depth=1
	ds_read2st64_b32 v[8:9], v6 offset1:2
	v_add_u32_e32 v5, -1, v5
	v_cmp_eq_u32_e32 vcc, 0, v5
	s_or_b64 s[14:15], vcc, s[14:15]
	s_waitcnt lgkmcnt(0)
	v_pk_mul_f32 v[8:9], v[2:3], v[8:9]
	ds_write2st64_b32 v6, v8, v9 offset1:2
	v_add_u32_e32 v6, 0x400, v6
	s_andn2_b64 exec, exec, s[14:15]
	s_cbranch_execnz .LBB177_32
.LBB177_33:
	s_or_b64 exec, exec, s[8:9]
	v_add_u32_e32 v4, 1, v4
	v_and_b32_e32 v5, 0x3fffffe, v4
	v_cmp_ne_u32_e32 vcc, v4, v5
	v_lshl_add_u32 v3, v5, 7, v0
	s_orn2_b64 s[8:9], vcc, exec
.LBB177_34:
	s_or_b64 exec, exec, s[6:7]
	s_and_b64 exec, exec, s[8:9]
	s_cbranch_execz .LBB177_37
; %bb.35:
	v_mov_b32_e32 v4, 0x210
	v_lshl_add_u32 v4, v3, 2, v4
	s_mov_b64 s[6:7], 0
.LBB177_36:                             ; =>This Inner Loop Header: Depth=1
	ds_read_b32 v5, v4
	v_add_u32_e32 v3, 0x80, v3
	v_cmp_le_i32_e32 vcc, s30, v3
	s_or_b64 s[6:7], vcc, s[6:7]
	s_waitcnt lgkmcnt(0)
	v_mul_f32_e32 v5, v2, v5
	ds_write_b32 v4, v5
	v_add_u32_e32 v4, 0x200, v4
	s_andn2_b64 exec, exec, s[6:7]
	s_cbranch_execnz .LBB177_36
.LBB177_37:
	s_or_b64 exec, exec, s[0:1]
	v_mov_b32_e32 v7, 0
	v_and_b32_e32 v33, 1, v0
	v_mov_b32_e32 v6, v7
	v_mov_b32_e32 v9, v7
	;; [unrolled: 1-line block ×3, first 2 shown]
	s_waitcnt lgkmcnt(0)
	s_barrier
	s_and_saveexec_b64 s[6:7], s[2:3]
	s_cbranch_execz .LBB177_49
; %bb.38:
	s_ashr_i32 s1, s33, 31
	s_load_dword s2, s[10:11], 0x0
	s_add_u32 s0, s26, s33
	s_addc_u32 s1, s27, s1
	v_and_b32_e32 v6, 0xfc, v22
	v_mov_b32_e32 v7, 0
	v_and_b32_e32 v2, 4, v22
	s_add_i32 s14, s19, -1
	v_lshl_add_u64 v[10:11], s[0:1], 0, v[6:7]
	s_lshl_b64 s[0:1], s[24:25], 2
	v_lshl_or_b32 v34, v30, 3, v2
	v_lshlrev_b32_e32 v2, 4, v33
	s_add_u32 s0, s22, s0
	v_lshl_or_b32 v2, v30, 5, v2
	v_and_b32_e32 v6, 60, v23
	s_addc_u32 s1, s23, s1
	s_waitcnt lgkmcnt(0)
	s_mov_b32 s3, s2
	s_mov_b32 s15, s17
	v_add_u32_e32 v35, 0x210, v2
	v_lshl_add_u64 v[12:13], s[0:1], 0, v[6:7]
	s_mov_b64 s[8:9], 0
	v_mov_b32_e32 v6, v7
	v_mov_b32_e32 v9, v7
	;; [unrolled: 1-line block ×3, first 2 shown]
	s_branch .LBB177_40
.LBB177_39:                             ;   in Loop: Header=BB177_40 Depth=1
	s_or_b64 exec, exec, s[0:1]
	s_waitcnt lgkmcnt(0)
	v_mul_f32_e32 v26, v2, v26
	v_mul_f32_e32 v22, v2, v22
	;; [unrolled: 1-line block ×3, first 2 shown]
	v_fmac_f32_e32 v26, v3, v27
	v_fmac_f32_e32 v22, v3, v23
	;; [unrolled: 1-line block ×6, first 2 shown]
	v_pk_mul_f32 v[2:3], v[2:3], v[28:29]
	v_fmac_f32_e32 v26, v5, v25
	v_fmac_f32_e32 v22, v5, v21
	;; [unrolled: 1-line block ×3, first 2 shown]
	v_pk_mul_f32 v[4:5], v[4:5], v[18:19]
	v_add_f32_e32 v2, v3, v2
	v_add_f32_e32 v2, v4, v2
	v_add_u32_e32 v30, 2, v30
	v_add_f32_e32 v2, v5, v2
	v_cmp_le_i32_e32 vcc, s19, v30
	v_add_f32_e32 v6, v6, v26
	v_add_f32_e32 v9, v9, v22
	;; [unrolled: 1-line block ×4, first 2 shown]
	v_add_u32_e32 v34, 16, v34
	v_add_u32_e32 v35, 64, v35
	s_or_b64 s[8:9], vcc, s[8:9]
	v_lshl_add_u64 v[12:13], v[12:13], 0, 8
	s_andn2_b64 exec, exec, s[8:9]
	s_cbranch_execz .LBB177_48
.LBB177_40:                             ; =>This Inner Loop Header: Depth=1
	global_load_dword v2, v[12:13], off
	v_cmp_eq_u32_e32 vcc, s14, v30
	v_add_u32_e32 v36, 1, v34
	v_add_u32_e32 v28, 2, v34
	;; [unrolled: 1-line block ×3, first 2 shown]
	s_waitcnt vmcnt(0)
	v_mad_i64_i32 v[18:19], s[0:1], v2, s13, v[10:11]
	global_load_dword v14, v[18:19], off
	ds_read_b128 v[2:5], v35
	s_waitcnt vmcnt(0)
	v_and_b32_e32 v15, 0xffff, v14
	v_lshrrev_b32_e32 v16, 16, v14
	v_cvt_pk_f32_fp8_e32 v[14:15], v15
	v_cvt_pk_f32_fp8_e32 v[20:21], v16
	v_pk_mul_f32 v[16:17], s[2:3], v[14:15]
	v_pk_mul_f32 v[14:15], s[2:3], v[20:21]
	s_and_saveexec_b64 s[10:11], vcc
; %bb.41:                               ;   in Loop: Header=BB177_40 Depth=1
	v_cmp_gt_i32_e64 s[0:1], s17, v34
	s_nop 1
	v_cndmask_b32_e64 v16, 0, v16, s[0:1]
	v_cmp_gt_i32_e64 s[0:1], s17, v36
	s_nop 1
	v_cndmask_b32_e64 v17, 0, v17, s[0:1]
	v_cmp_gt_i32_e64 s[0:1], s17, v28
	s_nop 1
	v_cndmask_b32_e64 v14, 0, v14, s[0:1]
	v_cmp_gt_i32_e64 s[0:1], s17, v29
	s_nop 1
	v_cndmask_b32_e64 v15, 0, v15, s[0:1]
; %bb.42:                               ;   in Loop: Header=BB177_40 Depth=1
	s_or_b64 exec, exec, s[10:11]
	global_load_dword v20, v[18:19], off offset:256
	s_waitcnt vmcnt(0)
	v_and_b32_e32 v21, 0xffff, v20
	v_lshrrev_b32_e32 v22, 16, v20
	v_cvt_pk_f32_fp8_e32 v[20:21], v21
	v_cvt_pk_f32_fp8_e32 v[24:25], v22
	v_pk_mul_f32 v[22:23], s[2:3], v[20:21]
	v_pk_mul_f32 v[20:21], s[2:3], v[24:25]
	s_and_saveexec_b64 s[10:11], vcc
; %bb.43:                               ;   in Loop: Header=BB177_40 Depth=1
	v_cmp_gt_i32_e64 s[0:1], s17, v34
	s_nop 1
	v_cndmask_b32_e64 v22, 0, v22, s[0:1]
	v_cmp_gt_i32_e64 s[0:1], s17, v36
	s_nop 1
	v_cndmask_b32_e64 v23, 0, v23, s[0:1]
	v_cmp_gt_i32_e64 s[0:1], s17, v28
	s_nop 1
	v_cndmask_b32_e64 v20, 0, v20, s[0:1]
	v_cmp_gt_i32_e64 s[0:1], s17, v29
	s_nop 1
	v_cndmask_b32_e64 v21, 0, v21, s[0:1]
; %bb.44:                               ;   in Loop: Header=BB177_40 Depth=1
	s_or_b64 exec, exec, s[10:11]
	global_load_dword v24, v[18:19], off offset:512
	s_waitcnt vmcnt(0)
	v_and_b32_e32 v25, 0xffff, v24
	v_lshrrev_b32_e32 v26, 16, v24
	v_cvt_pk_f32_fp8_e32 v[24:25], v25
	v_cvt_pk_f32_fp8_e32 v[38:39], v26
	v_pk_mul_f32 v[26:27], s[2:3], v[24:25]
	v_pk_mul_f32 v[24:25], s[2:3], v[38:39]
	s_and_saveexec_b64 s[10:11], vcc
; %bb.45:                               ;   in Loop: Header=BB177_40 Depth=1
	v_cmp_gt_i32_e64 s[0:1], s17, v34
	s_nop 1
	v_cndmask_b32_e64 v26, 0, v26, s[0:1]
	v_cmp_gt_i32_e64 s[0:1], s17, v36
	s_nop 1
	v_cndmask_b32_e64 v27, 0, v27, s[0:1]
	v_cmp_gt_i32_e64 s[0:1], s17, v28
	s_nop 1
	v_cndmask_b32_e64 v24, 0, v24, s[0:1]
	v_cmp_gt_i32_e64 s[0:1], s17, v29
	s_nop 1
	v_cndmask_b32_e64 v25, 0, v25, s[0:1]
; %bb.46:                               ;   in Loop: Header=BB177_40 Depth=1
	s_or_b64 exec, exec, s[10:11]
	global_load_dword v18, v[18:19], off offset:768
	s_waitcnt vmcnt(0)
	v_and_b32_e32 v19, 0xffff, v18
	v_lshrrev_b32_e32 v28, 16, v18
	v_cvt_pk_f32_fp8_e32 v[18:19], v19
	v_cvt_pk_f32_fp8_e32 v[38:39], v28
	v_pk_mul_f32 v[28:29], s[2:3], v[18:19]
	v_pk_mul_f32 v[18:19], s[2:3], v[38:39]
	s_and_saveexec_b64 s[0:1], vcc
	s_cbranch_execz .LBB177_39
; %bb.47:                               ;   in Loop: Header=BB177_40 Depth=1
	v_cmp_gt_i32_e32 vcc, s15, v36
	v_or_b32_e32 v36, 3, v34
	v_or_b32_e32 v37, 2, v34
	v_cndmask_b32_e32 v29, 0, v29, vcc
	v_cmp_gt_i32_e32 vcc, s17, v34
	s_nop 1
	v_cndmask_b32_e32 v28, 0, v28, vcc
	v_cmp_gt_i32_e32 vcc, s15, v36
	s_nop 1
	;; [unrolled: 3-line block ×3, first 2 shown]
	v_cndmask_b32_e32 v18, 0, v18, vcc
	s_branch .LBB177_39
.LBB177_48:
	s_or_b64 exec, exec, s[8:9]
.LBB177_49:
	s_or_b64 exec, exec, s[6:7]
	ds_bpermute_b32 v2, v32, v8
	ds_bpermute_b32 v3, v32, v9
	;; [unrolled: 1-line block ×4, first 2 shown]
	s_waitcnt lgkmcnt(0)
	s_barrier
	v_pk_add_f32 v[2:3], v[8:9], v[2:3]
	v_and_b32_e32 v8, 0x3c1, v0
	v_cmp_ne_u32_e32 vcc, 64, v8
	s_and_saveexec_b64 s[0:1], vcc
	s_xor_b64 s[0:1], exec, s[0:1]
; %bb.50:
                                        ; implicit-def: $vgpr31
; %bb.51:
	s_or_saveexec_b64 s[0:1], s[0:1]
	v_pk_add_f32 v[4:5], v[6:7], v[4:5]
	s_xor_b64 exec, exec, s[0:1]
	s_cbranch_execz .LBB177_53
; %bb.52:
	v_mov_b32_e32 v6, 0x210
	v_lshl_add_u32 v6, v31, 1, v6
	ds_write2_b32 v6, v2, v3 offset1:32
	ds_write2_b32 v6, v4, v5 offset0:64 offset1:96
.LBB177_53:
	s_or_b64 exec, exec, s[0:1]
	v_cmp_gt_u32_e32 vcc, 64, v0
	s_waitcnt lgkmcnt(0)
	s_barrier
	s_and_saveexec_b64 s[0:1], vcc
	s_cbranch_execz .LBB177_60
; %bb.54:
	v_mov_b32_e32 v0, 0x210
	v_cmp_eq_u32_e32 vcc, 0, v33
	v_lshl_add_u32 v0, v1, 2, v0
	s_and_saveexec_b64 s[2:3], vcc
	s_cbranch_execnz .LBB177_63
; %bb.55:
	s_or_b64 exec, exec, s[2:3]
	s_and_saveexec_b64 s[2:3], vcc
	s_cbranch_execnz .LBB177_64
.LBB177_56:
	s_or_b64 exec, exec, s[2:3]
	s_and_saveexec_b64 s[2:3], vcc
	s_cbranch_execnz .LBB177_65
.LBB177_57:
	s_or_b64 exec, exec, s[2:3]
	s_and_saveexec_b64 s[2:3], vcc
	s_cbranch_execz .LBB177_59
.LBB177_58:
	ds_read_b32 v0, v0 offset:384
	s_waitcnt lgkmcnt(0)
	v_add_f32_e32 v5, v5, v0
.LBB177_59:
	s_or_b64 exec, exec, s[2:3]
.LBB177_60:
	s_or_b64 exec, exec, s[0:1]
	v_cmp_eq_u32_e32 vcc, 0, v8
	s_barrier
	s_and_saveexec_b64 s[0:1], vcc
	s_cbranch_execz .LBB177_62
; %bb.61:
	s_mul_i32 s0, s16, s12
	s_mul_i32 s0, s0, s5
	s_lshl_b32 s0, s0, 7
	s_ashr_i32 s1, s0, 31
	s_lshl_b64 s[0:1], s[0:1], 2
	s_add_u32 s2, s20, s0
	s_mul_i32 s0, s12, s18
	s_addc_u32 s3, s21, s1
	s_ashr_i32 s1, s0, 31
	s_lshl_b64 s[0:1], s[0:1], 2
	s_add_u32 s2, s2, s0
	s_addc_u32 s3, s3, s1
	s_lshl_b32 s0, s4, 7
	s_ashr_i32 s1, s0, 31
	s_lshl_b64 s[0:1], s[0:1], 2
	s_add_u32 s0, s2, s0
	s_addc_u32 s1, s3, s1
	v_lshlrev_b32_e32 v0, 2, v1
	global_store_dword v0, v2, s[0:1]
	global_store_dword v0, v3, s[0:1] offset:128
	global_store_dword v0, v4, s[0:1] offset:256
	;; [unrolled: 1-line block ×3, first 2 shown]
.LBB177_62:
	s_endpgm
.LBB177_63:
	ds_read_b32 v6, v0
	s_waitcnt lgkmcnt(0)
	v_add_f32_e32 v2, v2, v6
	s_or_b64 exec, exec, s[2:3]
	s_and_saveexec_b64 s[2:3], vcc
	s_cbranch_execz .LBB177_56
.LBB177_64:
	ds_read_b32 v6, v0 offset:128
	s_waitcnt lgkmcnt(0)
	v_add_f32_e32 v3, v3, v6
	s_or_b64 exec, exec, s[2:3]
	s_and_saveexec_b64 s[2:3], vcc
	s_cbranch_execz .LBB177_57
.LBB177_65:
	ds_read_b32 v6, v0 offset:256
	s_waitcnt lgkmcnt(0)
	v_add_f32_e32 v4, v4, v6
	s_or_b64 exec, exec, s[2:3]
	s_and_saveexec_b64 s[2:3], vcc
	s_cbranch_execnz .LBB177_58
	s_branch .LBB177_59
	.section	.rodata,"a",@progbits
	.p2align	6, 0x0
	.amdhsa_kernel _ZN4vllm25paged_attention_v1_kernelIfhLi128ELi8ELi128ELNS_18Fp8KVCacheDataTypeE1ELb0EEEvPT_PKS2_PKT0_S8_ifPKiSA_iPKfiiiSC_SC_iiiii
		.amdhsa_group_segment_fixed_size 528
		.amdhsa_private_segment_fixed_size 0
		.amdhsa_kernarg_size 384
		.amdhsa_user_sgpr_count 2
		.amdhsa_user_sgpr_dispatch_ptr 0
		.amdhsa_user_sgpr_queue_ptr 0
		.amdhsa_user_sgpr_kernarg_segment_ptr 1
		.amdhsa_user_sgpr_dispatch_id 0
		.amdhsa_user_sgpr_kernarg_preload_length 0
		.amdhsa_user_sgpr_kernarg_preload_offset 0
		.amdhsa_user_sgpr_private_segment_size 0
		.amdhsa_uses_dynamic_stack 0
		.amdhsa_enable_private_segment 0
		.amdhsa_system_sgpr_workgroup_id_x 1
		.amdhsa_system_sgpr_workgroup_id_y 1
		.amdhsa_system_sgpr_workgroup_id_z 1
		.amdhsa_system_sgpr_workgroup_info 0
		.amdhsa_system_vgpr_workitem_id 0
		.amdhsa_next_free_vgpr 52
		.amdhsa_next_free_sgpr 37
		.amdhsa_accum_offset 52
		.amdhsa_reserve_vcc 1
		.amdhsa_float_round_mode_32 0
		.amdhsa_float_round_mode_16_64 0
		.amdhsa_float_denorm_mode_32 3
		.amdhsa_float_denorm_mode_16_64 3
		.amdhsa_dx10_clamp 1
		.amdhsa_ieee_mode 1
		.amdhsa_fp16_overflow 0
		.amdhsa_tg_split 0
		.amdhsa_exception_fp_ieee_invalid_op 0
		.amdhsa_exception_fp_denorm_src 0
		.amdhsa_exception_fp_ieee_div_zero 0
		.amdhsa_exception_fp_ieee_overflow 0
		.amdhsa_exception_fp_ieee_underflow 0
		.amdhsa_exception_fp_ieee_inexact 0
		.amdhsa_exception_int_div_zero 0
	.end_amdhsa_kernel
	.section	.text._ZN4vllm25paged_attention_v1_kernelIfhLi128ELi8ELi128ELNS_18Fp8KVCacheDataTypeE1ELb0EEEvPT_PKS2_PKT0_S8_ifPKiSA_iPKfiiiSC_SC_iiiii,"axG",@progbits,_ZN4vllm25paged_attention_v1_kernelIfhLi128ELi8ELi128ELNS_18Fp8KVCacheDataTypeE1ELb0EEEvPT_PKS2_PKT0_S8_ifPKiSA_iPKfiiiSC_SC_iiiii,comdat
.Lfunc_end177:
	.size	_ZN4vllm25paged_attention_v1_kernelIfhLi128ELi8ELi128ELNS_18Fp8KVCacheDataTypeE1ELb0EEEvPT_PKS2_PKT0_S8_ifPKiSA_iPKfiiiSC_SC_iiiii, .Lfunc_end177-_ZN4vllm25paged_attention_v1_kernelIfhLi128ELi8ELi128ELNS_18Fp8KVCacheDataTypeE1ELb0EEEvPT_PKS2_PKT0_S8_ifPKiSA_iPKfiiiSC_SC_iiiii
                                        ; -- End function
	.set _ZN4vllm25paged_attention_v1_kernelIfhLi128ELi8ELi128ELNS_18Fp8KVCacheDataTypeE1ELb0EEEvPT_PKS2_PKT0_S8_ifPKiSA_iPKfiiiSC_SC_iiiii.num_vgpr, 52
	.set _ZN4vllm25paged_attention_v1_kernelIfhLi128ELi8ELi128ELNS_18Fp8KVCacheDataTypeE1ELb0EEEvPT_PKS2_PKT0_S8_ifPKiSA_iPKfiiiSC_SC_iiiii.num_agpr, 0
	.set _ZN4vllm25paged_attention_v1_kernelIfhLi128ELi8ELi128ELNS_18Fp8KVCacheDataTypeE1ELb0EEEvPT_PKS2_PKT0_S8_ifPKiSA_iPKfiiiSC_SC_iiiii.numbered_sgpr, 37
	.set _ZN4vllm25paged_attention_v1_kernelIfhLi128ELi8ELi128ELNS_18Fp8KVCacheDataTypeE1ELb0EEEvPT_PKS2_PKT0_S8_ifPKiSA_iPKfiiiSC_SC_iiiii.num_named_barrier, 0
	.set _ZN4vllm25paged_attention_v1_kernelIfhLi128ELi8ELi128ELNS_18Fp8KVCacheDataTypeE1ELb0EEEvPT_PKS2_PKT0_S8_ifPKiSA_iPKfiiiSC_SC_iiiii.private_seg_size, 0
	.set _ZN4vllm25paged_attention_v1_kernelIfhLi128ELi8ELi128ELNS_18Fp8KVCacheDataTypeE1ELb0EEEvPT_PKS2_PKT0_S8_ifPKiSA_iPKfiiiSC_SC_iiiii.uses_vcc, 1
	.set _ZN4vllm25paged_attention_v1_kernelIfhLi128ELi8ELi128ELNS_18Fp8KVCacheDataTypeE1ELb0EEEvPT_PKS2_PKT0_S8_ifPKiSA_iPKfiiiSC_SC_iiiii.uses_flat_scratch, 0
	.set _ZN4vllm25paged_attention_v1_kernelIfhLi128ELi8ELi128ELNS_18Fp8KVCacheDataTypeE1ELb0EEEvPT_PKS2_PKT0_S8_ifPKiSA_iPKfiiiSC_SC_iiiii.has_dyn_sized_stack, 0
	.set _ZN4vllm25paged_attention_v1_kernelIfhLi128ELi8ELi128ELNS_18Fp8KVCacheDataTypeE1ELb0EEEvPT_PKS2_PKT0_S8_ifPKiSA_iPKfiiiSC_SC_iiiii.has_recursion, 0
	.set _ZN4vllm25paged_attention_v1_kernelIfhLi128ELi8ELi128ELNS_18Fp8KVCacheDataTypeE1ELb0EEEvPT_PKS2_PKT0_S8_ifPKiSA_iPKfiiiSC_SC_iiiii.has_indirect_call, 0
	.section	.AMDGPU.csdata,"",@progbits
; Kernel info:
; codeLenInByte = 4092
; TotalNumSgprs: 43
; NumVgprs: 52
; NumAgprs: 0
; TotalNumVgprs: 52
; ScratchSize: 0
; MemoryBound: 0
; FloatMode: 240
; IeeeMode: 1
; LDSByteSize: 528 bytes/workgroup (compile time only)
; SGPRBlocks: 5
; VGPRBlocks: 6
; NumSGPRsForWavesPerEU: 43
; NumVGPRsForWavesPerEU: 52
; AccumOffset: 52
; Occupancy: 8
; WaveLimiterHint : 1
; COMPUTE_PGM_RSRC2:SCRATCH_EN: 0
; COMPUTE_PGM_RSRC2:USER_SGPR: 2
; COMPUTE_PGM_RSRC2:TRAP_HANDLER: 0
; COMPUTE_PGM_RSRC2:TGID_X_EN: 1
; COMPUTE_PGM_RSRC2:TGID_Y_EN: 1
; COMPUTE_PGM_RSRC2:TGID_Z_EN: 1
; COMPUTE_PGM_RSRC2:TIDIG_COMP_CNT: 0
; COMPUTE_PGM_RSRC3_GFX90A:ACCUM_OFFSET: 12
; COMPUTE_PGM_RSRC3_GFX90A:TG_SPLIT: 0
	.section	.text._ZN4vllm25paged_attention_v1_kernelIfhLi192ELi8ELi128ELNS_18Fp8KVCacheDataTypeE1ELb0EEEvPT_PKS2_PKT0_S8_ifPKiSA_iPKfiiiSC_SC_iiiii,"axG",@progbits,_ZN4vllm25paged_attention_v1_kernelIfhLi192ELi8ELi128ELNS_18Fp8KVCacheDataTypeE1ELb0EEEvPT_PKS2_PKT0_S8_ifPKiSA_iPKfiiiSC_SC_iiiii,comdat
	.protected	_ZN4vllm25paged_attention_v1_kernelIfhLi192ELi8ELi128ELNS_18Fp8KVCacheDataTypeE1ELb0EEEvPT_PKS2_PKT0_S8_ifPKiSA_iPKfiiiSC_SC_iiiii ; -- Begin function _ZN4vllm25paged_attention_v1_kernelIfhLi192ELi8ELi128ELNS_18Fp8KVCacheDataTypeE1ELb0EEEvPT_PKS2_PKT0_S8_ifPKiSA_iPKfiiiSC_SC_iiiii
	.globl	_ZN4vllm25paged_attention_v1_kernelIfhLi192ELi8ELi128ELNS_18Fp8KVCacheDataTypeE1ELb0EEEvPT_PKS2_PKT0_S8_ifPKiSA_iPKfiiiSC_SC_iiiii
	.p2align	8
	.type	_ZN4vllm25paged_attention_v1_kernelIfhLi192ELi8ELi128ELNS_18Fp8KVCacheDataTypeE1ELb0EEEvPT_PKS2_PKT0_S8_ifPKiSA_iPKfiiiSC_SC_iiiii,@function
_ZN4vllm25paged_attention_v1_kernelIfhLi192ELi8ELi128ELNS_18Fp8KVCacheDataTypeE1ELb0EEEvPT_PKS2_PKT0_S8_ifPKiSA_iPKfiiiSC_SC_iiiii: ; @_ZN4vllm25paged_attention_v1_kernelIfhLi192ELi8ELi128ELNS_18Fp8KVCacheDataTypeE1ELb0EEEvPT_PKS2_PKT0_S8_ifPKiSA_iPKfiiiSC_SC_iiiii
; %bb.0:
	s_load_dword s5, s[0:1], 0x80
	s_load_dwordx2 s[6:7], s[0:1], 0x30
	s_load_dwordx2 s[28:29], s[0:1], 0x20
	s_mov_b32 s16, s3
	s_ashr_i32 s17, s3, 31
	s_lshl_b64 s[8:9], s[16:17], 2
	s_waitcnt lgkmcnt(0)
	s_add_u32 s6, s6, s8
	s_addc_u32 s7, s7, s9
	s_abs_i32 s3, s28
	v_cvt_f32_u32_e32 v1, s3
	s_sub_i32 s10, 0, s3
	s_abs_i32 s9, s5
	s_xor_b32 s8, s5, s28
	v_rcp_iflag_f32_e32 v1, v1
	s_ashr_i32 s8, s8, 31
	s_mov_b32 s28, 0
	v_mul_f32_e32 v1, 0x4f7ffffe, v1
	v_cvt_u32_f32_e32 v1, v1
	s_nop 0
	v_readfirstlane_b32 s11, v1
	s_mul_i32 s10, s10, s11
	s_mul_hi_u32 s10, s11, s10
	s_add_i32 s11, s11, s10
	s_mul_hi_u32 s10, s9, s11
	s_mul_i32 s11, s10, s3
	s_sub_i32 s9, s9, s11
	s_add_i32 s11, s10, 1
	s_sub_i32 s12, s9, s3
	s_cmp_ge_u32 s9, s3
	s_cselect_b32 s10, s11, s10
	s_cselect_b32 s9, s12, s9
	s_add_i32 s11, s10, 1
	s_cmp_ge_u32 s9, s3
	s_cselect_b32 s3, s11, s10
	s_xor_b32 s3, s3, s8
	s_sub_i32 s12, s3, s8
	s_abs_i32 s10, s12
	v_cvt_f32_u32_e32 v1, s10
	s_load_dwordx2 s[8:9], s[0:1], 0x40
	s_sub_i32 s3, 0, s10
	s_abs_i32 s11, s2
	v_rcp_iflag_f32_e32 v1, v1
	s_nop 0
	v_mul_f32_e32 v1, 0x4f7ffffe, v1
	v_cvt_u32_f32_e32 v1, v1
	s_nop 0
	v_readfirstlane_b32 s13, v1
	s_mul_i32 s3, s3, s13
	s_mul_hi_u32 s3, s13, s3
	s_add_i32 s13, s13, s3
	s_waitcnt lgkmcnt(0)
	s_cmp_eq_u64 s[8:9], 0
	s_mul_hi_u32 s20, s11, s13
	s_cbranch_scc1 .LBB178_2
; %bb.1:
	s_ashr_i32 s3, s2, 31
	s_lshl_b64 s[14:15], s[2:3], 2
	s_add_u32 s8, s8, s14
	s_addc_u32 s9, s9, s15
	s_load_dword s28, s[8:9], 0x0
.LBB178_2:
	s_load_dword s33, s[6:7], 0x0
	s_ashr_i32 s9, s12, 31
	s_load_dword s17, s[0:1], 0x88
	s_load_dwordx4 s[12:15], s[0:1], 0x48
	s_movk_i32 s3, 0xc0
	s_ashr_i32 s8, s2, 31
	v_and_b32_e32 v26, 7, v0
	s_mul_i32 s18, s2, 0xc0
	v_cmp_gt_u32_e32 vcc, s3, v0
	v_lshlrev_b32_e32 v30, 2, v0
	s_and_saveexec_b64 s[2:3], vcc
	s_cbranch_execz .LBB178_5
; %bb.3:
	s_load_dwordx2 s[6:7], s[0:1], 0x8
	s_waitcnt lgkmcnt(0)
	s_mul_i32 s22, s12, s16
	s_ashr_i32 s23, s22, 31
	s_lshl_b64 s[22:23], s[22:23], 2
	v_lshrrev_b32_e32 v2, 3, v0
	s_add_u32 s12, s6, s22
	s_addc_u32 s15, s7, s23
	s_ashr_i32 s19, s18, 31
	s_lshl_b64 s[6:7], s[18:19], 2
	s_add_u32 s6, s12, s6
	s_addc_u32 s7, s15, s7
	global_load_dword v3, v30, s[6:7]
	s_movk_i32 s12, 0x60
	v_lshlrev_b32_e32 v1, 2, v2
	v_mad_u32_u24 v1, v26, s12, v1
	v_cmp_gt_u32_e32 vcc, 64, v0
	s_waitcnt vmcnt(0)
	ds_write_b32 v1, v3
	s_and_b64 exec, exec, vcc
	s_cbranch_execz .LBB178_5
; %bb.4:
	v_lshlrev_b32_e32 v2, 5, v2
	v_lshlrev_b32_e32 v3, 2, v26
	s_movk_i32 s12, 0x200
	v_or3_b32 v2, v2, v3, s12
	global_load_dword v2, v2, s[6:7]
	s_waitcnt vmcnt(0)
	ds_write_b32 v1, v2 offset:64
.LBB178_5:
	s_or_b64 exec, exec, s[2:3]
	s_waitcnt lgkmcnt(0)
	s_add_i32 s3, s33, 7
	s_ashr_i32 s6, s3, 31
	s_lshr_b32 s6, s6, 29
	s_add_i32 s3, s3, s6
	s_mul_i32 s6, s20, s10
	s_sub_i32 s6, s11, s6
	s_ashr_i32 s12, s3, 3
	s_xor_b32 s3, s8, s9
	s_add_i32 s7, s20, 1
	s_sub_i32 s8, s6, s10
	s_load_dwordx2 s[22:23], s[0:1], 0x28
	s_load_dword s2, s[0:1], 0x38
	s_cmp_ge_u32 s6, s10
	s_cselect_b32 s7, s7, s20
	s_cselect_b32 s6, s8, s6
	s_add_i32 s8, s7, 1
	s_cmp_ge_u32 s6, s10
	s_cselect_b32 s6, s8, s7
	v_lshrrev_b32_e32 v1, 6, v0
	s_xor_b32 s6, s6, s3
	s_waitcnt lgkmcnt(0)
	s_mul_i32 s24, s2, s16
	s_sub_i32 s19, s6, s3
	s_ashr_i32 s25, s24, 31
	v_cmp_gt_i32_e64 s[6:7], s12, v1
	v_cmp_le_i32_e32 vcc, s12, v1
	v_mbcnt_lo_u32_b32 v27, -1, 0
	s_barrier
                                        ; implicit-def: $vgpr32
                                        ; implicit-def: $vgpr34
                                        ; implicit-def: $vgpr33
	s_and_saveexec_b64 s[2:3], vcc
	s_xor_b64 s[2:3], exec, s[2:3]
; %bb.6:
	v_mbcnt_hi_u32_b32 v32, -1, v27
	v_and_b32_e32 v34, 64, v32
	v_add_u32_e32 v33, 64, v34
                                        ; implicit-def: $vgpr26
                                        ; implicit-def: $vgpr27
; %bb.7:
	s_or_saveexec_b64 s[30:31], s[2:3]
	s_load_dwordx2 s[20:21], s[0:1], 0x0
	s_load_dwordx2 s[26:27], s[0:1], 0x18
	s_load_dwordx4 s[8:11], s[0:1], 0x58
	v_mov_b32_e32 v35, 0xff7fffff
	s_mul_i32 s19, s19, s14
	v_lshrrev_b32_e32 v31, 4, v0
	s_xor_b64 exec, exec, s[30:31]
	s_cbranch_execz .LBB178_13
; %bb.8:
	v_mbcnt_hi_u32_b32 v32, -1, v27
	v_and_b32_e32 v34, 64, v32
	v_add_u32_e32 v33, 64, v34
	v_xor_b32_e32 v27, 4, v32
	s_load_dwordx2 s[0:1], s[0:1], 0x10
	v_cmp_lt_i32_e32 vcc, v27, v33
	v_mul_u32_u24_e32 v22, 0x60, v26
	ds_read_b128 v[2:5], v22
	ds_read_b128 v[6:9], v22 offset:16
	ds_read_b128 v[10:13], v22 offset:32
	;; [unrolled: 1-line block ×5, first 2 shown]
	v_cndmask_b32_e32 v27, v32, v27, vcc
	v_lshlrev_b32_e32 v36, 2, v27
	v_xor_b32_e32 v27, 2, v32
	v_cmp_lt_i32_e32 vcc, v27, v33
	s_ashr_i32 s2, s19, 31
	v_bfe_u32 v35, v0, 3, 3
	v_cndmask_b32_e32 v27, v32, v27, vcc
	s_waitcnt lgkmcnt(0)
	s_add_u32 s0, s0, s19
	v_lshlrev_b32_e32 v37, 2, v27
	v_xor_b32_e32 v27, 1, v32
	v_lshlrev_b32_e32 v28, 4, v35
	s_addc_u32 s1, s1, s2
	v_mov_b32_e32 v29, 0
	v_cmp_lt_i32_e32 vcc, v27, v33
	s_load_dword s35, s[8:9], 0x0
	v_lshl_add_u64 v[40:41], s[0:1], 0, v[28:29]
	v_cndmask_b32_e32 v27, v32, v27, vcc
	s_sub_i32 s36, 1, s33
	v_lshlrev_b32_e32 v28, 2, v35
	s_lshl_b64 s[0:1], s[24:25], 2
	v_lshlrev_b32_e32 v38, 2, v27
	v_mov_b32_e32 v27, v29
	v_lshl_or_b32 v28, v1, 5, v28
	s_add_u32 s0, s22, s0
	v_cmp_eq_u32_e32 vcc, 0, v26
	v_lshl_add_u64 v[26:27], v[40:41], 0, v[26:27]
	v_add_u32_e32 v40, 0x310, v28
	v_and_b32_e32 v28, 60, v31
	s_addc_u32 s1, s23, s1
	s_mov_b32 s34, s13
	v_cmp_neq_f32_e64 s[2:3], s28, 0
	v_lshl_or_b32 v39, v1, 3, v35
	v_lshl_add_u64 v[28:29], s[0:1], 0, v[28:29]
	v_mov_b32_e32 v35, 0xff7fffff
	s_mov_b64 s[8:9], 0
	v_mov_b32_e32 v41, v1
	s_branch .LBB178_10
.LBB178_9:                              ;   in Loop: Header=BB178_10 Depth=1
	s_or_b64 exec, exec, s[14:15]
	v_add_u32_e32 v41, 2, v41
	v_cmp_le_i32_e64 s[0:1], s12, v41
	v_add_u32_e32 v39, 16, v39
	v_add_u32_e32 v40, 64, v40
	s_or_b64 s[8:9], s[0:1], s[8:9]
	v_lshl_add_u64 v[28:29], v[28:29], 0, 8
	s_andn2_b64 exec, exec, s[8:9]
	s_cbranch_execz .LBB178_12
.LBB178_10:                             ; =>This Inner Loop Header: Depth=1
	global_load_dword v42, v[28:29], off
	s_waitcnt vmcnt(0) lgkmcnt(0)
	v_mad_i64_i32 v[42:43], s[0:1], v42, s34, v[26:27]
	global_load_ubyte v44, v[42:43], off
	global_load_ubyte v45, v[42:43], off offset:8
	global_load_ubyte v46, v[42:43], off offset:128
	;; [unrolled: 1-line block ×22, first 2 shown]
	s_nop 0
	global_load_ubyte v42, v[42:43], off offset:1416
	s_waitcnt vmcnt(23)
	v_cvt_f32_fp8_e32 v43, v44
	s_waitcnt vmcnt(22)
	v_cvt_f32_fp8_e32 v44, v45
	;; [unrolled: 2-line block ×5, first 2 shown]
	s_waitcnt lgkmcnt(0)
	v_mul_f32_e32 v44, s35, v44
	s_waitcnt vmcnt(18)
	v_cvt_f32_fp8_e32 v48, v49
	v_mul_f32_e32 v43, s35, v43
	v_mul_f32_e32 v44, v3, v44
	s_waitcnt vmcnt(17)
	v_cvt_f32_fp8_e32 v49, v50
	v_mul_f32_e32 v45, s35, v45
	v_fmac_f32_e32 v44, v2, v43
	s_waitcnt vmcnt(16)
	v_cvt_f32_fp8_e32 v50, v51
	v_mul_f32_e32 v46, s35, v46
	v_fmac_f32_e32 v44, v4, v45
	;; [unrolled: 4-line block ×18, first 2 shown]
	v_mul_f32_e32 v63, s35, v63
	v_fmac_f32_e32 v44, v21, v62
	v_mul_f32_e32 v64, s35, v64
	v_fmac_f32_e32 v44, v22, v63
	;; [unrolled: 2-line block ×4, first 2 shown]
	v_fmac_f32_e32 v44, v25, v42
	ds_bpermute_b32 v42, v36, v44
	s_waitcnt lgkmcnt(0)
	v_add_f32_e32 v42, v44, v42
	ds_bpermute_b32 v43, v37, v42
	s_waitcnt lgkmcnt(0)
	v_add_f32_e32 v42, v42, v43
	ds_bpermute_b32 v43, v38, v42
	s_and_saveexec_b64 s[14:15], vcc
	s_cbranch_execz .LBB178_9
; %bb.11:                               ;   in Loop: Header=BB178_10 Depth=1
	v_add_u32_e32 v44, s36, v39
	v_cvt_f32_i32_e32 v44, v44
	s_waitcnt lgkmcnt(0)
	v_add_f32_e32 v42, v42, v43
	v_cmp_gt_i32_e64 s[0:1], s33, v39
	v_max_f32_e32 v43, v35, v35
	v_mul_f32_e32 v44, s28, v44
	v_cndmask_b32_e64 v44, 0, v44, s[2:3]
	v_fmac_f32_e32 v44, s29, v42
	v_cndmask_b32_e64 v42, 0, v44, s[0:1]
	ds_write_b32 v40, v42
	v_max_f32_e32 v42, v43, v44
	v_cndmask_b32_e64 v35, v35, v42, s[0:1]
	s_branch .LBB178_9
.LBB178_12:
	s_or_b64 exec, exec, s[8:9]
.LBB178_13:
	s_or_b64 exec, exec, s[30:31]
	v_xor_b32_e32 v2, 32, v32
	v_cmp_lt_i32_e32 vcc, v2, v33
	v_xor_b32_e32 v5, 16, v32
	v_max_f32_e32 v4, v35, v35
	v_cndmask_b32_e32 v2, v32, v2, vcc
	v_lshlrev_b32_e32 v3, 2, v2
	ds_bpermute_b32 v2, v3, v35
	v_cmp_lt_i32_e32 vcc, v5, v33
	v_xor_b32_e32 v6, 8, v32
	v_and_b32_e32 v40, 63, v0
	s_waitcnt lgkmcnt(0)
	v_max_f32_e32 v2, v2, v2
	v_max_f32_e32 v2, v4, v2
	v_cndmask_b32_e32 v4, v32, v5, vcc
	v_lshlrev_b32_e32 v5, 2, v4
	ds_bpermute_b32 v4, v5, v2
	v_cmp_lt_i32_e32 vcc, v6, v33
	s_waitcnt lgkmcnt(0)
	v_max_f32_e32 v4, v4, v4
	v_max_f32_e32 v4, v2, v4
	v_cndmask_b32_e32 v2, v32, v6, vcc
	v_lshlrev_b32_e32 v6, 2, v2
	ds_bpermute_b32 v7, v6, v4
	v_cmp_eq_u32_e32 vcc, 0, v40
	v_lshlrev_b32_e32 v2, 2, v1
	s_and_saveexec_b64 s[0:1], vcc
	s_cbranch_execz .LBB178_15
; %bb.14:
	s_waitcnt lgkmcnt(0)
	v_max_f32_e32 v7, v7, v7
	v_max_f32_e32 v4, v4, v4
	;; [unrolled: 1-line block ×3, first 2 shown]
	ds_write_b32 v2, v4 offset:768
.LBB178_15:
	s_or_b64 exec, exec, s[0:1]
	v_cmp_gt_u32_e64 s[0:1], 2, v40
	s_waitcnt lgkmcnt(0)
	v_mov_b32_e32 v7, 0xff7fffff
	v_lshlrev_b32_e32 v4, 2, v40
	s_barrier
	s_and_saveexec_b64 s[2:3], s[0:1]
; %bb.16:
	ds_read_b32 v7, v4 offset:768
; %bb.17:
	s_or_b64 exec, exec, s[2:3]
	v_xor_b32_e32 v8, 1, v32
	v_cmp_lt_i32_e64 s[2:3], v8, v33
	s_nop 1
	v_cndmask_b32_e64 v8, v32, v8, s[2:3]
	v_lshlrev_b32_e32 v41, 2, v8
	s_waitcnt lgkmcnt(0)
	ds_bpermute_b32 v8, v41, v7
	v_max_f32_e32 v7, v7, v7
	s_lshl_b32 s2, s12, 3
	s_min_i32 s30, s2, s33
	v_cmp_gt_i32_e64 s[2:3], s30, v0
	s_waitcnt lgkmcnt(0)
	v_max_f32_e32 v8, v8, v8
	v_max_f32_e32 v7, v7, v8
	v_lshlrev_b32_e32 v8, 2, v34
	ds_bpermute_b32 v8, v8, v7
	v_mov_b32_e32 v7, 0
	s_and_saveexec_b64 s[14:15], s[2:3]
	s_cbranch_execz .LBB178_21
; %bb.18:
	v_mov_b32_e32 v7, 0x310
	v_lshl_add_u32 v9, v0, 2, v7
	v_mov_b32_e32 v7, 0
	s_mov_b64 s[28:29], 0
	v_mov_b32_e32 v10, v0
.LBB178_19:                             ; =>This Inner Loop Header: Depth=1
	ds_read_b32 v11, v9
	v_add_u32_e32 v10, 0x80, v10
	v_cmp_le_i32_e64 s[8:9], s30, v10
	s_or_b64 s[28:29], s[8:9], s[28:29]
	s_waitcnt lgkmcnt(0)
	v_sub_f32_e32 v11, v11, v8
	v_mul_f32_e32 v11, 0x3fb8aa3b, v11
	v_exp_f32_e32 v11, v11
	ds_write_b32 v9, v11
	v_add_f32_e32 v7, v7, v11
	v_add_u32_e32 v9, 0x200, v9
	s_andn2_b64 exec, exec, s[28:29]
	s_cbranch_execnz .LBB178_19
; %bb.20:
	s_or_b64 exec, exec, s[28:29]
.LBB178_21:
	s_or_b64 exec, exec, s[14:15]
	ds_bpermute_b32 v3, v3, v7
	s_waitcnt lgkmcnt(0)
	v_add_f32_e32 v3, v7, v3
	ds_bpermute_b32 v5, v5, v3
	s_waitcnt lgkmcnt(0)
	v_add_f32_e32 v3, v3, v5
	ds_bpermute_b32 v5, v6, v3
	v_xor_b32_e32 v6, 4, v32
	v_cmp_lt_i32_e64 s[8:9], v6, v33
	s_waitcnt lgkmcnt(0)
	v_add_f32_e32 v3, v3, v5
	v_cndmask_b32_e64 v6, v32, v6, s[8:9]
	v_lshlrev_b32_e32 v6, 2, v6
	ds_bpermute_b32 v5, v6, v3
	v_xor_b32_e32 v6, 2, v32
	v_cmp_lt_i32_e64 s[8:9], v6, v33
	s_waitcnt lgkmcnt(0)
	v_add_f32_e32 v3, v3, v5
	v_cndmask_b32_e64 v6, v32, v6, s[8:9]
	v_lshlrev_b32_e32 v5, 2, v6
	ds_bpermute_b32 v5, v5, v3
	s_waitcnt lgkmcnt(0)
	v_add_f32_e32 v3, v3, v5
	ds_bpermute_b32 v5, v41, v3
	s_waitcnt lgkmcnt(0)
	v_add_f32_e32 v3, v3, v5
	s_and_saveexec_b64 s[8:9], vcc
; %bb.22:
	ds_write_b32 v2, v3 offset:776
; %bb.23:
	s_or_b64 exec, exec, s[8:9]
	s_waitcnt lgkmcnt(0)
	s_barrier
	s_and_saveexec_b64 s[8:9], s[0:1]
; %bb.24:
	ds_read_b32 v3, v4 offset:776
; %bb.25:
	s_or_b64 exec, exec, s[8:9]
	s_waitcnt lgkmcnt(0)
	ds_bpermute_b32 v2, v41, v3
	v_lshlrev_b32_e32 v4, 2, v32
	s_waitcnt lgkmcnt(0)
	v_add_f32_e32 v2, v3, v2
	v_and_b32_e32 v3, 0xffffff00, v4
	ds_bpermute_b32 v2, v3, v2
	s_and_saveexec_b64 s[0:1], s[2:3]
	s_cbranch_execz .LBB178_38
; %bb.26:
	s_waitcnt lgkmcnt(0)
	v_add_f32_e32 v2, 0x358637bd, v2
	v_div_scale_f32 v3, s[2:3], v2, v2, 1.0
	v_rcp_f32_e32 v4, v3
	v_div_scale_f32 v5, vcc, 1.0, v2, 1.0
	s_movk_i32 s2, 0x7f
	v_fma_f32 v6, -v3, v4, 1.0
	v_fmac_f32_e32 v4, v6, v4
	v_mul_f32_e32 v6, v5, v4
	v_fma_f32 v7, -v3, v6, v5
	v_fmac_f32_e32 v6, v7, v4
	v_fma_f32 v3, -v3, v6, v5
	v_div_fmas_f32 v3, v3, v4, v6
	v_xad_u32 v4, v0, -1, s30
	v_div_fixup_f32 v2, v3, v2, 1.0
	v_cmp_lt_u32_e32 vcc, s2, v4
	s_mov_b64 s[8:9], -1
	v_mov_b32_e32 v3, v0
	s_and_saveexec_b64 s[2:3], vcc
	s_cbranch_execz .LBB178_35
; %bb.27:
	v_lshrrev_b32_e32 v4, 7, v4
	v_add_u32_e32 v6, -1, v4
	v_lshrrev_b32_e32 v5, 1, v6
	v_mov_b32_e32 v3, v2
	v_add_u32_e32 v5, 1, v5
	v_cmp_lt_u32_e32 vcc, 13, v6
	v_mov_b32_e32 v8, 0
	s_and_saveexec_b64 s[8:9], vcc
	s_cbranch_execz .LBB178_31
; %bb.28:
	v_mov_b32_e32 v7, 0x310
	v_and_b32_e32 v6, -8, v5
	v_lshl_add_u32 v7, v0, 2, v7
	s_mov_b32 s28, 0
	s_mov_b64 s[14:15], 0
.LBB178_29:                             ; =>This Inner Loop Header: Depth=1
	ds_read2st64_b32 v[8:9], v7 offset1:2
	ds_read2st64_b32 v[10:11], v7 offset0:4 offset1:6
	ds_read2st64_b32 v[12:13], v7 offset0:8 offset1:10
	;; [unrolled: 1-line block ×3, first 2 shown]
	v_add_u32_e32 v6, -8, v6
	s_waitcnt lgkmcnt(3)
	v_pk_mul_f32 v[8:9], v[2:3], v[8:9]
	s_waitcnt lgkmcnt(2)
	v_pk_mul_f32 v[10:11], v[2:3], v[10:11]
	ds_write2st64_b32 v7, v8, v9 offset1:2
	ds_write2st64_b32 v7, v10, v11 offset0:4 offset1:6
	ds_read2st64_b32 v[10:11], v7 offset0:16 offset1:18
	s_waitcnt lgkmcnt(4)
	v_pk_mul_f32 v[8:9], v[2:3], v[12:13]
	ds_write2st64_b32 v7, v8, v9 offset0:8 offset1:10
	s_waitcnt lgkmcnt(4)
	v_pk_mul_f32 v[8:9], v[2:3], v[14:15]
	ds_write2st64_b32 v7, v8, v9 offset0:12 offset1:14
	ds_read2st64_b32 v[8:9], v7 offset0:20 offset1:22
	s_waitcnt lgkmcnt(3)
	v_pk_mul_f32 v[10:11], v[2:3], v[10:11]
	ds_read2st64_b32 v[12:13], v7 offset0:24 offset1:26
	ds_write2st64_b32 v7, v10, v11 offset0:16 offset1:18
	ds_read2st64_b32 v[10:11], v7 offset0:28 offset1:30
	s_waitcnt lgkmcnt(3)
	v_pk_mul_f32 v[8:9], v[2:3], v[8:9]
	ds_write2st64_b32 v7, v8, v9 offset0:20 offset1:22
	s_waitcnt lgkmcnt(3)
	v_pk_mul_f32 v[8:9], v[2:3], v[12:13]
	ds_write2st64_b32 v7, v8, v9 offset0:24 offset1:26
	s_waitcnt lgkmcnt(2)
	v_pk_mul_f32 v[8:9], v[2:3], v[10:11]
	s_add_i32 s28, s28, 16
	v_cmp_eq_u32_e32 vcc, 0, v6
	ds_write2st64_b32 v7, v8, v9 offset0:28 offset1:30
	v_add_u32_e32 v7, 0x2000, v7
	s_or_b64 s[14:15], vcc, s[14:15]
	v_mov_b32_e32 v8, s28
	s_andn2_b64 exec, exec, s[14:15]
	s_cbranch_execnz .LBB178_29
; %bb.30:
	s_or_b64 exec, exec, s[14:15]
.LBB178_31:
	s_or_b64 exec, exec, s[8:9]
	v_and_b32_e32 v5, 7, v5
	v_cmp_ne_u32_e32 vcc, 0, v5
	s_and_saveexec_b64 s[8:9], vcc
	s_cbranch_execz .LBB178_34
; %bb.32:
	v_lshlrev_b32_e32 v6, 9, v8
	s_movk_i32 s14, 0x310
	v_add3_u32 v6, v6, v30, s14
	s_mov_b64 s[14:15], 0
.LBB178_33:                             ; =>This Inner Loop Header: Depth=1
	ds_read2st64_b32 v[8:9], v6 offset1:2
	v_add_u32_e32 v5, -1, v5
	v_cmp_eq_u32_e32 vcc, 0, v5
	s_or_b64 s[14:15], vcc, s[14:15]
	s_waitcnt lgkmcnt(0)
	v_pk_mul_f32 v[8:9], v[2:3], v[8:9]
	ds_write2st64_b32 v6, v8, v9 offset1:2
	v_add_u32_e32 v6, 0x400, v6
	s_andn2_b64 exec, exec, s[14:15]
	s_cbranch_execnz .LBB178_33
.LBB178_34:
	s_or_b64 exec, exec, s[8:9]
	v_add_u32_e32 v4, 1, v4
	v_and_b32_e32 v5, 0x3fffffe, v4
	v_cmp_ne_u32_e32 vcc, v4, v5
	v_lshl_add_u32 v3, v5, 7, v0
	s_orn2_b64 s[8:9], vcc, exec
.LBB178_35:
	s_or_b64 exec, exec, s[2:3]
	s_and_b64 exec, exec, s[8:9]
	s_cbranch_execz .LBB178_38
; %bb.36:
	v_mov_b32_e32 v4, 0x310
	v_lshl_add_u32 v4, v3, 2, v4
	s_mov_b64 s[2:3], 0
.LBB178_37:                             ; =>This Inner Loop Header: Depth=1
	ds_read_b32 v5, v4
	v_add_u32_e32 v3, 0x80, v3
	v_cmp_le_i32_e32 vcc, s30, v3
	s_or_b64 s[2:3], vcc, s[2:3]
	s_waitcnt lgkmcnt(0)
	v_mul_f32_e32 v5, v2, v5
	ds_write_b32 v4, v5
	v_add_u32_e32 v4, 0x200, v4
	s_andn2_b64 exec, exec, s[2:3]
	s_cbranch_execnz .LBB178_37
.LBB178_38:
	s_or_b64 exec, exec, s[0:1]
	v_mov_b32_e32 v7, 0
	v_and_b32_e32 v42, 1, v0
	v_mov_b32_e32 v6, v7
	v_mov_b32_e32 v9, v7
	;; [unrolled: 1-line block ×5, first 2 shown]
	s_waitcnt lgkmcnt(0)
	s_barrier
	s_and_saveexec_b64 s[2:3], s[6:7]
	s_cbranch_execz .LBB178_54
; %bb.39:
	s_ashr_i32 s1, s19, 31
	s_load_dword s6, s[10:11], 0x0
	s_add_u32 s0, s26, s19
	s_addc_u32 s1, s27, s1
	v_and_b32_e32 v6, 0xfc, v30
	v_mov_b32_e32 v7, 0
	v_and_b32_e32 v2, 4, v30
	s_add_i32 s14, s12, -1
	v_lshl_add_u64 v[12:13], s[0:1], 0, v[6:7]
	s_lshl_b64 s[0:1], s[24:25], 2
	v_lshl_or_b32 v43, v1, 3, v2
	v_lshlrev_b32_e32 v2, 4, v42
	s_add_u32 s0, s22, s0
	v_lshl_or_b32 v2, v1, 5, v2
	v_and_b32_e32 v6, 60, v31
	s_addc_u32 s1, s23, s1
	s_waitcnt lgkmcnt(0)
	s_mov_b32 s7, s6
	s_mov_b32 s15, s33
	v_add_u32_e32 v44, 0x310, v2
	v_lshl_add_u64 v[14:15], s[0:1], 0, v[6:7]
	s_mov_b64 s[8:9], 0
	v_mov_b32_e32 v6, v7
	v_mov_b32_e32 v9, v7
	;; [unrolled: 1-line block ×5, first 2 shown]
	s_branch .LBB178_41
.LBB178_40:                             ;   in Loop: Header=BB178_41 Depth=1
	s_or_b64 exec, exec, s[0:1]
	s_waitcnt lgkmcnt(0)
	v_mul_f32_e32 v36, v2, v36
	v_mul_f32_e32 v32, v2, v32
	;; [unrolled: 1-line block ×5, first 2 shown]
	v_fmac_f32_e32 v36, v3, v37
	v_fmac_f32_e32 v32, v3, v33
	;; [unrolled: 1-line block ×10, first 2 shown]
	v_pk_mul_f32 v[2:3], v[2:3], v[38:39]
	v_fmac_f32_e32 v36, v5, v35
	v_fmac_f32_e32 v32, v5, v31
	;; [unrolled: 1-line block ×5, first 2 shown]
	v_pk_mul_f32 v[4:5], v[4:5], v[24:25]
	v_add_f32_e32 v2, v3, v2
	v_add_f32_e32 v2, v4, v2
	v_add_u32_e32 v1, 2, v1
	v_add_f32_e32 v2, v5, v2
	v_cmp_le_i32_e32 vcc, s12, v1
	v_add_f32_e32 v6, v6, v36
	v_add_f32_e32 v9, v9, v32
	;; [unrolled: 1-line block ×6, first 2 shown]
	v_add_u32_e32 v43, 16, v43
	v_add_u32_e32 v44, 64, v44
	s_or_b64 s[8:9], vcc, s[8:9]
	v_lshl_add_u64 v[14:15], v[14:15], 0, 8
	s_andn2_b64 exec, exec, s[8:9]
	s_cbranch_execz .LBB178_53
.LBB178_41:                             ; =>This Inner Loop Header: Depth=1
	global_load_dword v2, v[14:15], off
	v_cmp_eq_u32_e32 vcc, s14, v1
	v_add_u32_e32 v45, 1, v43
	v_add_u32_e32 v38, 2, v43
	;; [unrolled: 1-line block ×3, first 2 shown]
	s_waitcnt vmcnt(0)
	v_mad_i64_i32 v[24:25], s[0:1], v2, s13, v[12:13]
	global_load_dword v16, v[24:25], off
	ds_read_b128 v[2:5], v44
	s_waitcnt vmcnt(0)
	v_and_b32_e32 v17, 0xffff, v16
	v_lshrrev_b32_e32 v18, 16, v16
	v_cvt_pk_f32_fp8_e32 v[16:17], v17
	v_cvt_pk_f32_fp8_e32 v[20:21], v18
	v_pk_mul_f32 v[18:19], s[6:7], v[16:17]
	v_pk_mul_f32 v[16:17], s[6:7], v[20:21]
	s_and_saveexec_b64 s[10:11], vcc
; %bb.42:                               ;   in Loop: Header=BB178_41 Depth=1
	v_cmp_gt_i32_e64 s[0:1], s33, v43
	s_nop 1
	v_cndmask_b32_e64 v18, 0, v18, s[0:1]
	v_cmp_gt_i32_e64 s[0:1], s33, v45
	s_nop 1
	v_cndmask_b32_e64 v19, 0, v19, s[0:1]
	v_cmp_gt_i32_e64 s[0:1], s33, v38
	s_nop 1
	v_cndmask_b32_e64 v16, 0, v16, s[0:1]
	v_cmp_gt_i32_e64 s[0:1], s33, v39
	s_nop 1
	v_cndmask_b32_e64 v17, 0, v17, s[0:1]
; %bb.43:                               ;   in Loop: Header=BB178_41 Depth=1
	s_or_b64 exec, exec, s[10:11]
	global_load_dword v20, v[24:25], off offset:256
	s_waitcnt vmcnt(0)
	v_and_b32_e32 v21, 0xffff, v20
	v_lshrrev_b32_e32 v22, 16, v20
	v_cvt_pk_f32_fp8_e32 v[20:21], v21
	v_cvt_pk_f32_fp8_e32 v[26:27], v22
	v_pk_mul_f32 v[22:23], s[6:7], v[20:21]
	v_pk_mul_f32 v[20:21], s[6:7], v[26:27]
	s_and_saveexec_b64 s[10:11], vcc
; %bb.44:                               ;   in Loop: Header=BB178_41 Depth=1
	v_cmp_gt_i32_e64 s[0:1], s33, v43
	s_nop 1
	v_cndmask_b32_e64 v22, 0, v22, s[0:1]
	v_cmp_gt_i32_e64 s[0:1], s33, v45
	s_nop 1
	v_cndmask_b32_e64 v23, 0, v23, s[0:1]
	v_cmp_gt_i32_e64 s[0:1], s33, v38
	s_nop 1
	v_cndmask_b32_e64 v20, 0, v20, s[0:1]
	v_cmp_gt_i32_e64 s[0:1], s33, v39
	s_nop 1
	v_cndmask_b32_e64 v21, 0, v21, s[0:1]
; %bb.45:                               ;   in Loop: Header=BB178_41 Depth=1
	s_or_b64 exec, exec, s[10:11]
	global_load_dword v26, v[24:25], off offset:512
	;; [unrolled: 24-line block ×5, first 2 shown]
	s_waitcnt vmcnt(0)
	v_and_b32_e32 v25, 0xffff, v24
	v_lshrrev_b32_e32 v38, 16, v24
	v_cvt_pk_f32_fp8_e32 v[24:25], v25
	v_cvt_pk_f32_fp8_e32 v[46:47], v38
	v_pk_mul_f32 v[38:39], s[6:7], v[24:25]
	v_pk_mul_f32 v[24:25], s[6:7], v[46:47]
	s_and_saveexec_b64 s[0:1], vcc
	s_cbranch_execz .LBB178_40
; %bb.52:                               ;   in Loop: Header=BB178_41 Depth=1
	v_cmp_gt_i32_e32 vcc, s15, v45
	v_or_b32_e32 v45, 3, v43
	v_or_b32_e32 v46, 2, v43
	v_cndmask_b32_e32 v39, 0, v39, vcc
	v_cmp_gt_i32_e32 vcc, s33, v43
	s_nop 1
	v_cndmask_b32_e32 v38, 0, v38, vcc
	v_cmp_gt_i32_e32 vcc, s15, v45
	s_nop 1
	;; [unrolled: 3-line block ×3, first 2 shown]
	v_cndmask_b32_e32 v24, 0, v24, vcc
	s_branch .LBB178_40
.LBB178_53:
	s_or_b64 exec, exec, s[8:9]
.LBB178_54:
	s_or_b64 exec, exec, s[2:3]
	ds_bpermute_b32 v4, v41, v8
	ds_bpermute_b32 v5, v41, v9
	;; [unrolled: 1-line block ×4, first 2 shown]
	v_and_b32_e32 v1, 0x3c1, v0
	v_cmp_ne_u32_e32 vcc, 64, v1
	s_waitcnt lgkmcnt(2)
	v_pk_add_f32 v[4:5], v[8:9], v[4:5]
	ds_bpermute_b32 v8, v41, v6
	ds_bpermute_b32 v9, v41, v7
	s_waitcnt lgkmcnt(2)
	v_pk_add_f32 v[2:3], v[10:11], v[2:3]
	s_waitcnt lgkmcnt(0)
	s_barrier
	s_and_saveexec_b64 s[0:1], vcc
	s_xor_b64 s[0:1], exec, s[0:1]
; %bb.55:
                                        ; implicit-def: $vgpr40
; %bb.56:
	s_or_saveexec_b64 s[0:1], s[0:1]
	v_pk_add_f32 v[6:7], v[6:7], v[8:9]
	s_xor_b64 exec, exec, s[0:1]
	s_cbranch_execz .LBB178_58
; %bb.57:
	v_mov_b32_e32 v8, 0x310
	v_lshl_add_u32 v8, v40, 1, v8
	ds_write2_b32 v8, v2, v3 offset1:32
	ds_write2_b32 v8, v4, v5 offset0:64 offset1:96
	ds_write2_b32 v8, v6, v7 offset0:128 offset1:160
.LBB178_58:
	s_or_b64 exec, exec, s[0:1]
	v_cmp_gt_u32_e32 vcc, 64, v0
	v_lshrrev_b32_e32 v0, 1, v0
	s_waitcnt lgkmcnt(0)
	s_barrier
	s_and_saveexec_b64 s[0:1], vcc
	s_cbranch_execz .LBB178_67
; %bb.59:
	v_mov_b32_e32 v8, 0x310
	v_cmp_eq_u32_e32 vcc, 0, v42
	v_lshl_add_u32 v8, v0, 2, v8
	s_and_saveexec_b64 s[2:3], vcc
	s_cbranch_execnz .LBB178_70
; %bb.60:
	s_or_b64 exec, exec, s[2:3]
	s_and_saveexec_b64 s[2:3], vcc
	s_cbranch_execnz .LBB178_71
.LBB178_61:
	s_or_b64 exec, exec, s[2:3]
	s_and_saveexec_b64 s[2:3], vcc
	s_cbranch_execnz .LBB178_72
.LBB178_62:
	s_or_b64 exec, exec, s[2:3]
	s_and_saveexec_b64 s[2:3], vcc
	s_cbranch_execnz .LBB178_73
.LBB178_63:
	s_or_b64 exec, exec, s[2:3]
	s_and_saveexec_b64 s[2:3], vcc
	s_cbranch_execnz .LBB178_74
.LBB178_64:
	s_or_b64 exec, exec, s[2:3]
	s_and_saveexec_b64 s[2:3], vcc
	s_cbranch_execz .LBB178_66
.LBB178_65:
	ds_read_b32 v8, v8 offset:640
	s_waitcnt lgkmcnt(0)
	v_add_f32_e32 v7, v7, v8
.LBB178_66:
	s_or_b64 exec, exec, s[2:3]
.LBB178_67:
	s_or_b64 exec, exec, s[0:1]
	v_cmp_eq_u32_e32 vcc, 0, v1
	s_barrier
	s_and_saveexec_b64 s[0:1], vcc
	s_cbranch_execz .LBB178_69
; %bb.68:
	s_mul_i32 s0, s16, s17
	s_mul_i32 s0, s0, s5
	s_mulk_i32 s0, 0xc0
	s_ashr_i32 s1, s0, 31
	s_lshl_b64 s[0:1], s[0:1], 2
	s_add_u32 s2, s20, s0
	s_mul_i32 s0, s17, s18
	s_addc_u32 s3, s21, s1
	s_ashr_i32 s1, s0, 31
	s_lshl_b64 s[0:1], s[0:1], 2
	s_add_u32 s2, s2, s0
	s_mul_i32 s0, s4, 0xc0
	s_addc_u32 s3, s3, s1
	s_ashr_i32 s1, s0, 31
	s_lshl_b64 s[0:1], s[0:1], 2
	s_add_u32 s0, s2, s0
	s_addc_u32 s1, s3, s1
	v_lshlrev_b32_e32 v0, 2, v0
	global_store_dword v0, v2, s[0:1]
	global_store_dword v0, v3, s[0:1] offset:128
	global_store_dword v0, v4, s[0:1] offset:256
	;; [unrolled: 1-line block ×5, first 2 shown]
.LBB178_69:
	s_endpgm
.LBB178_70:
	ds_read_b32 v9, v8
	s_waitcnt lgkmcnt(0)
	v_add_f32_e32 v2, v2, v9
	s_or_b64 exec, exec, s[2:3]
	s_and_saveexec_b64 s[2:3], vcc
	s_cbranch_execz .LBB178_61
.LBB178_71:
	ds_read_b32 v9, v8 offset:128
	s_waitcnt lgkmcnt(0)
	v_add_f32_e32 v3, v3, v9
	s_or_b64 exec, exec, s[2:3]
	s_and_saveexec_b64 s[2:3], vcc
	s_cbranch_execz .LBB178_62
.LBB178_72:
	ds_read_b32 v9, v8 offset:256
	s_waitcnt lgkmcnt(0)
	v_add_f32_e32 v4, v4, v9
	s_or_b64 exec, exec, s[2:3]
	s_and_saveexec_b64 s[2:3], vcc
	s_cbranch_execz .LBB178_63
.LBB178_73:
	ds_read_b32 v9, v8 offset:384
	s_waitcnt lgkmcnt(0)
	v_add_f32_e32 v5, v5, v9
	s_or_b64 exec, exec, s[2:3]
	s_and_saveexec_b64 s[2:3], vcc
	s_cbranch_execz .LBB178_64
.LBB178_74:
	ds_read_b32 v9, v8 offset:512
	s_waitcnt lgkmcnt(0)
	v_add_f32_e32 v6, v6, v9
	s_or_b64 exec, exec, s[2:3]
	s_and_saveexec_b64 s[2:3], vcc
	s_cbranch_execnz .LBB178_65
	s_branch .LBB178_66
	.section	.rodata,"a",@progbits
	.p2align	6, 0x0
	.amdhsa_kernel _ZN4vllm25paged_attention_v1_kernelIfhLi192ELi8ELi128ELNS_18Fp8KVCacheDataTypeE1ELb0EEEvPT_PKS2_PKT0_S8_ifPKiSA_iPKfiiiSC_SC_iiiii
		.amdhsa_group_segment_fixed_size 784
		.amdhsa_private_segment_fixed_size 0
		.amdhsa_kernarg_size 384
		.amdhsa_user_sgpr_count 2
		.amdhsa_user_sgpr_dispatch_ptr 0
		.amdhsa_user_sgpr_queue_ptr 0
		.amdhsa_user_sgpr_kernarg_segment_ptr 1
		.amdhsa_user_sgpr_dispatch_id 0
		.amdhsa_user_sgpr_kernarg_preload_length 0
		.amdhsa_user_sgpr_kernarg_preload_offset 0
		.amdhsa_user_sgpr_private_segment_size 0
		.amdhsa_uses_dynamic_stack 0
		.amdhsa_enable_private_segment 0
		.amdhsa_system_sgpr_workgroup_id_x 1
		.amdhsa_system_sgpr_workgroup_id_y 1
		.amdhsa_system_sgpr_workgroup_id_z 1
		.amdhsa_system_sgpr_workgroup_info 0
		.amdhsa_system_vgpr_workitem_id 0
		.amdhsa_next_free_vgpr 67
		.amdhsa_next_free_sgpr 37
		.amdhsa_accum_offset 68
		.amdhsa_reserve_vcc 1
		.amdhsa_float_round_mode_32 0
		.amdhsa_float_round_mode_16_64 0
		.amdhsa_float_denorm_mode_32 3
		.amdhsa_float_denorm_mode_16_64 3
		.amdhsa_dx10_clamp 1
		.amdhsa_ieee_mode 1
		.amdhsa_fp16_overflow 0
		.amdhsa_tg_split 0
		.amdhsa_exception_fp_ieee_invalid_op 0
		.amdhsa_exception_fp_denorm_src 0
		.amdhsa_exception_fp_ieee_div_zero 0
		.amdhsa_exception_fp_ieee_overflow 0
		.amdhsa_exception_fp_ieee_underflow 0
		.amdhsa_exception_fp_ieee_inexact 0
		.amdhsa_exception_int_div_zero 0
	.end_amdhsa_kernel
	.section	.text._ZN4vllm25paged_attention_v1_kernelIfhLi192ELi8ELi128ELNS_18Fp8KVCacheDataTypeE1ELb0EEEvPT_PKS2_PKT0_S8_ifPKiSA_iPKfiiiSC_SC_iiiii,"axG",@progbits,_ZN4vllm25paged_attention_v1_kernelIfhLi192ELi8ELi128ELNS_18Fp8KVCacheDataTypeE1ELb0EEEvPT_PKS2_PKT0_S8_ifPKiSA_iPKfiiiSC_SC_iiiii,comdat
.Lfunc_end178:
	.size	_ZN4vllm25paged_attention_v1_kernelIfhLi192ELi8ELi128ELNS_18Fp8KVCacheDataTypeE1ELb0EEEvPT_PKS2_PKT0_S8_ifPKiSA_iPKfiiiSC_SC_iiiii, .Lfunc_end178-_ZN4vllm25paged_attention_v1_kernelIfhLi192ELi8ELi128ELNS_18Fp8KVCacheDataTypeE1ELb0EEEvPT_PKS2_PKT0_S8_ifPKiSA_iPKfiiiSC_SC_iiiii
                                        ; -- End function
	.set _ZN4vllm25paged_attention_v1_kernelIfhLi192ELi8ELi128ELNS_18Fp8KVCacheDataTypeE1ELb0EEEvPT_PKS2_PKT0_S8_ifPKiSA_iPKfiiiSC_SC_iiiii.num_vgpr, 67
	.set _ZN4vllm25paged_attention_v1_kernelIfhLi192ELi8ELi128ELNS_18Fp8KVCacheDataTypeE1ELb0EEEvPT_PKS2_PKT0_S8_ifPKiSA_iPKfiiiSC_SC_iiiii.num_agpr, 0
	.set _ZN4vllm25paged_attention_v1_kernelIfhLi192ELi8ELi128ELNS_18Fp8KVCacheDataTypeE1ELb0EEEvPT_PKS2_PKT0_S8_ifPKiSA_iPKfiiiSC_SC_iiiii.numbered_sgpr, 37
	.set _ZN4vllm25paged_attention_v1_kernelIfhLi192ELi8ELi128ELNS_18Fp8KVCacheDataTypeE1ELb0EEEvPT_PKS2_PKT0_S8_ifPKiSA_iPKfiiiSC_SC_iiiii.num_named_barrier, 0
	.set _ZN4vllm25paged_attention_v1_kernelIfhLi192ELi8ELi128ELNS_18Fp8KVCacheDataTypeE1ELb0EEEvPT_PKS2_PKT0_S8_ifPKiSA_iPKfiiiSC_SC_iiiii.private_seg_size, 0
	.set _ZN4vllm25paged_attention_v1_kernelIfhLi192ELi8ELi128ELNS_18Fp8KVCacheDataTypeE1ELb0EEEvPT_PKS2_PKT0_S8_ifPKiSA_iPKfiiiSC_SC_iiiii.uses_vcc, 1
	.set _ZN4vllm25paged_attention_v1_kernelIfhLi192ELi8ELi128ELNS_18Fp8KVCacheDataTypeE1ELb0EEEvPT_PKS2_PKT0_S8_ifPKiSA_iPKfiiiSC_SC_iiiii.uses_flat_scratch, 0
	.set _ZN4vllm25paged_attention_v1_kernelIfhLi192ELi8ELi128ELNS_18Fp8KVCacheDataTypeE1ELb0EEEvPT_PKS2_PKT0_S8_ifPKiSA_iPKfiiiSC_SC_iiiii.has_dyn_sized_stack, 0
	.set _ZN4vllm25paged_attention_v1_kernelIfhLi192ELi8ELi128ELNS_18Fp8KVCacheDataTypeE1ELb0EEEvPT_PKS2_PKT0_S8_ifPKiSA_iPKfiiiSC_SC_iiiii.has_recursion, 0
	.set _ZN4vllm25paged_attention_v1_kernelIfhLi192ELi8ELi128ELNS_18Fp8KVCacheDataTypeE1ELb0EEEvPT_PKS2_PKT0_S8_ifPKiSA_iPKfiiiSC_SC_iiiii.has_indirect_call, 0
	.section	.AMDGPU.csdata,"",@progbits
; Kernel info:
; codeLenInByte = 4832
; TotalNumSgprs: 43
; NumVgprs: 67
; NumAgprs: 0
; TotalNumVgprs: 67
; ScratchSize: 0
; MemoryBound: 0
; FloatMode: 240
; IeeeMode: 1
; LDSByteSize: 784 bytes/workgroup (compile time only)
; SGPRBlocks: 5
; VGPRBlocks: 8
; NumSGPRsForWavesPerEU: 43
; NumVGPRsForWavesPerEU: 67
; AccumOffset: 68
; Occupancy: 7
; WaveLimiterHint : 1
; COMPUTE_PGM_RSRC2:SCRATCH_EN: 0
; COMPUTE_PGM_RSRC2:USER_SGPR: 2
; COMPUTE_PGM_RSRC2:TRAP_HANDLER: 0
; COMPUTE_PGM_RSRC2:TGID_X_EN: 1
; COMPUTE_PGM_RSRC2:TGID_Y_EN: 1
; COMPUTE_PGM_RSRC2:TGID_Z_EN: 1
; COMPUTE_PGM_RSRC2:TIDIG_COMP_CNT: 0
; COMPUTE_PGM_RSRC3_GFX90A:ACCUM_OFFSET: 16
; COMPUTE_PGM_RSRC3_GFX90A:TG_SPLIT: 0
	.section	.text._ZN4vllm25paged_attention_v1_kernelIfhLi256ELi8ELi128ELNS_18Fp8KVCacheDataTypeE1ELb0EEEvPT_PKS2_PKT0_S8_ifPKiSA_iPKfiiiSC_SC_iiiii,"axG",@progbits,_ZN4vllm25paged_attention_v1_kernelIfhLi256ELi8ELi128ELNS_18Fp8KVCacheDataTypeE1ELb0EEEvPT_PKS2_PKT0_S8_ifPKiSA_iPKfiiiSC_SC_iiiii,comdat
	.protected	_ZN4vllm25paged_attention_v1_kernelIfhLi256ELi8ELi128ELNS_18Fp8KVCacheDataTypeE1ELb0EEEvPT_PKS2_PKT0_S8_ifPKiSA_iPKfiiiSC_SC_iiiii ; -- Begin function _ZN4vllm25paged_attention_v1_kernelIfhLi256ELi8ELi128ELNS_18Fp8KVCacheDataTypeE1ELb0EEEvPT_PKS2_PKT0_S8_ifPKiSA_iPKfiiiSC_SC_iiiii
	.globl	_ZN4vllm25paged_attention_v1_kernelIfhLi256ELi8ELi128ELNS_18Fp8KVCacheDataTypeE1ELb0EEEvPT_PKS2_PKT0_S8_ifPKiSA_iPKfiiiSC_SC_iiiii
	.p2align	8
	.type	_ZN4vllm25paged_attention_v1_kernelIfhLi256ELi8ELi128ELNS_18Fp8KVCacheDataTypeE1ELb0EEEvPT_PKS2_PKT0_S8_ifPKiSA_iPKfiiiSC_SC_iiiii,@function
_ZN4vllm25paged_attention_v1_kernelIfhLi256ELi8ELi128ELNS_18Fp8KVCacheDataTypeE1ELb0EEEvPT_PKS2_PKT0_S8_ifPKiSA_iPKfiiiSC_SC_iiiii: ; @_ZN4vllm25paged_attention_v1_kernelIfhLi256ELi8ELi128ELNS_18Fp8KVCacheDataTypeE1ELb0EEEvPT_PKS2_PKT0_S8_ifPKiSA_iPKfiiiSC_SC_iiiii
; %bb.0:
	s_load_dword s5, s[0:1], 0x80
	s_load_dwordx2 s[6:7], s[0:1], 0x30
	s_load_dwordx2 s[28:29], s[0:1], 0x20
	s_mov_b32 s16, s3
	s_ashr_i32 s17, s3, 31
	s_lshl_b64 s[8:9], s[16:17], 2
	s_waitcnt lgkmcnt(0)
	s_add_u32 s6, s6, s8
	s_addc_u32 s7, s7, s9
	s_abs_i32 s3, s28
	v_cvt_f32_u32_e32 v1, s3
	s_sub_i32 s10, 0, s3
	s_abs_i32 s9, s5
	s_xor_b32 s8, s5, s28
	v_rcp_iflag_f32_e32 v1, v1
	s_ashr_i32 s8, s8, 31
	s_mov_b32 s28, 0
	v_mul_f32_e32 v1, 0x4f7ffffe, v1
	v_cvt_u32_f32_e32 v1, v1
	s_nop 0
	v_readfirstlane_b32 s11, v1
	s_mul_i32 s10, s10, s11
	s_mul_hi_u32 s10, s11, s10
	s_add_i32 s11, s11, s10
	s_mul_hi_u32 s10, s9, s11
	s_mul_i32 s11, s10, s3
	s_sub_i32 s9, s9, s11
	s_add_i32 s11, s10, 1
	s_sub_i32 s12, s9, s3
	s_cmp_ge_u32 s9, s3
	s_cselect_b32 s10, s11, s10
	s_cselect_b32 s9, s12, s9
	s_add_i32 s11, s10, 1
	s_cmp_ge_u32 s9, s3
	s_cselect_b32 s3, s11, s10
	s_xor_b32 s3, s3, s8
	s_sub_i32 s12, s3, s8
	s_abs_i32 s10, s12
	v_cvt_f32_u32_e32 v1, s10
	s_load_dwordx2 s[8:9], s[0:1], 0x40
	s_sub_i32 s3, 0, s10
	s_abs_i32 s11, s2
	v_rcp_iflag_f32_e32 v1, v1
	s_nop 0
	v_mul_f32_e32 v1, 0x4f7ffffe, v1
	v_cvt_u32_f32_e32 v1, v1
	s_nop 0
	v_readfirstlane_b32 s13, v1
	s_mul_i32 s3, s3, s13
	s_mul_hi_u32 s3, s13, s3
	s_add_i32 s13, s13, s3
	s_waitcnt lgkmcnt(0)
	s_cmp_eq_u64 s[8:9], 0
	s_mul_hi_u32 s20, s11, s13
	s_cbranch_scc1 .LBB179_2
; %bb.1:
	s_ashr_i32 s3, s2, 31
	s_lshl_b64 s[14:15], s[2:3], 2
	s_add_u32 s8, s8, s14
	s_addc_u32 s9, s9, s15
	s_load_dword s28, s[8:9], 0x0
.LBB179_2:
	s_load_dword s33, s[6:7], 0x0
	s_ashr_i32 s9, s12, 31
	s_load_dword s17, s[0:1], 0x88
	s_load_dwordx4 s[12:15], s[0:1], 0x48
	s_ashr_i32 s8, s2, 31
	s_lshl_b32 s18, s2, 8
	s_movk_i32 s2, 0x100
	v_and_b32_e32 v34, 7, v0
	v_cmp_gt_u32_e32 vcc, s2, v0
	v_lshlrev_b32_e32 v38, 2, v0
	s_and_saveexec_b64 s[2:3], vcc
	s_cbranch_execz .LBB179_5
; %bb.3:
	s_load_dwordx2 s[6:7], s[0:1], 0x8
	s_waitcnt lgkmcnt(0)
	s_mul_i32 s22, s12, s16
	s_ashr_i32 s23, s22, 31
	s_lshl_b64 s[22:23], s[22:23], 2
	v_lshrrev_b32_e32 v1, 3, v0
	s_add_u32 s12, s6, s22
	s_addc_u32 s15, s7, s23
	s_ashr_i32 s19, s18, 31
	s_lshl_b64 s[6:7], s[18:19], 2
	s_add_u32 s6, s12, s6
	s_addc_u32 s7, s15, s7
	global_load_dword v3, v38, s[6:7]
	s_movk_i32 s12, 0x80
	v_lshlrev_b32_e32 v2, 2, v1
	v_lshl_add_u32 v2, v34, 7, v2
	v_cmp_gt_u32_e32 vcc, s12, v0
	s_waitcnt vmcnt(0)
	ds_write_b32 v2, v3
	s_and_b64 exec, exec, vcc
	s_cbranch_execz .LBB179_5
; %bb.4:
	v_lshlrev_b32_e32 v1, 5, v1
	v_lshlrev_b32_e32 v3, 2, v34
	s_movk_i32 s12, 0x200
	v_or3_b32 v1, v1, v3, s12
	global_load_dword v1, v1, s[6:7]
	s_waitcnt vmcnt(0)
	ds_write_b32 v2, v1 offset:64
.LBB179_5:
	s_or_b64 exec, exec, s[2:3]
	s_waitcnt lgkmcnt(0)
	s_add_i32 s3, s33, 7
	s_ashr_i32 s6, s3, 31
	s_lshr_b32 s6, s6, 29
	s_add_i32 s3, s3, s6
	s_mul_i32 s6, s20, s10
	s_sub_i32 s6, s11, s6
	s_ashr_i32 s12, s3, 3
	s_xor_b32 s3, s8, s9
	s_add_i32 s7, s20, 1
	s_sub_i32 s8, s6, s10
	s_load_dwordx2 s[22:23], s[0:1], 0x28
	s_load_dword s2, s[0:1], 0x38
	s_cmp_ge_u32 s6, s10
	s_cselect_b32 s7, s7, s20
	s_cselect_b32 s6, s8, s6
	s_add_i32 s8, s7, 1
	s_cmp_ge_u32 s6, s10
	s_cselect_b32 s6, s8, s7
	v_lshrrev_b32_e32 v1, 6, v0
	s_xor_b32 s6, s6, s3
	s_waitcnt lgkmcnt(0)
	s_mul_i32 s24, s2, s16
	s_sub_i32 s19, s6, s3
	s_ashr_i32 s25, s24, 31
	v_cmp_gt_i32_e64 s[6:7], s12, v1
	v_cmp_le_i32_e32 vcc, s12, v1
	v_mbcnt_lo_u32_b32 v35, -1, 0
	s_barrier
                                        ; implicit-def: $vgpr40
                                        ; implicit-def: $vgpr42
                                        ; implicit-def: $vgpr41
	s_and_saveexec_b64 s[2:3], vcc
	s_xor_b64 s[2:3], exec, s[2:3]
; %bb.6:
	v_mbcnt_hi_u32_b32 v40, -1, v35
	v_and_b32_e32 v42, 64, v40
	v_add_u32_e32 v41, 64, v42
                                        ; implicit-def: $vgpr34
                                        ; implicit-def: $vgpr35
; %bb.7:
	s_or_saveexec_b64 s[30:31], s[2:3]
	s_load_dwordx2 s[20:21], s[0:1], 0x0
	s_load_dwordx2 s[26:27], s[0:1], 0x18
	s_load_dwordx4 s[8:11], s[0:1], 0x58
	v_mov_b32_e32 v43, 0xff7fffff
	s_mul_i32 s19, s19, s14
	v_lshrrev_b32_e32 v39, 4, v0
	s_xor_b64 exec, exec, s[30:31]
	s_cbranch_execz .LBB179_13
; %bb.8:
	v_mbcnt_hi_u32_b32 v40, -1, v35
	v_and_b32_e32 v42, 64, v40
	v_lshlrev_b32_e32 v30, 7, v34
	v_add_u32_e32 v41, 64, v42
	v_xor_b32_e32 v35, 4, v40
	s_load_dwordx2 s[0:1], s[0:1], 0x10
	ds_read_b128 v[2:5], v30
	ds_read_b128 v[6:9], v30 offset:16
	ds_read_b128 v[10:13], v30 offset:32
	;; [unrolled: 1-line block ×7, first 2 shown]
	v_cmp_lt_i32_e32 vcc, v35, v41
	s_ashr_i32 s2, s19, 31
	v_bfe_u32 v43, v0, 3, 3
	v_cndmask_b32_e32 v35, v40, v35, vcc
	v_lshlrev_b32_e32 v44, 2, v35
	v_xor_b32_e32 v35, 2, v40
	v_cmp_lt_i32_e32 vcc, v35, v41
	s_waitcnt lgkmcnt(0)
	s_add_u32 s0, s0, s19
	v_lshlrev_b32_e32 v36, 4, v43
	v_cndmask_b32_e32 v35, v40, v35, vcc
	v_lshlrev_b32_e32 v45, 2, v35
	v_xor_b32_e32 v35, 1, v40
	s_addc_u32 s1, s1, s2
	v_mov_b32_e32 v37, 0
	v_cmp_lt_i32_e32 vcc, v35, v41
	s_load_dword s35, s[8:9], 0x0
	v_lshl_add_u64 v[48:49], s[0:1], 0, v[36:37]
	v_cndmask_b32_e32 v35, v40, v35, vcc
	s_sub_i32 s36, 1, s33
	v_lshlrev_b32_e32 v36, 2, v43
	s_lshl_b64 s[0:1], s[24:25], 2
	v_lshlrev_b32_e32 v46, 2, v35
	v_mov_b32_e32 v35, v37
	v_lshl_or_b32 v36, v1, 5, v36
	s_add_u32 s0, s22, s0
	v_cmp_eq_u32_e32 vcc, 0, v34
	v_lshl_add_u64 v[34:35], v[48:49], 0, v[34:35]
	v_add_u32_e32 v48, 0x410, v36
	v_and_b32_e32 v36, 60, v39
	s_addc_u32 s1, s23, s1
	s_mov_b32 s34, s13
	v_cmp_neq_f32_e64 s[2:3], s28, 0
	v_lshl_or_b32 v47, v1, 3, v43
	v_lshl_add_u64 v[36:37], s[0:1], 0, v[36:37]
	v_mov_b32_e32 v43, 0xff7fffff
	s_mov_b64 s[8:9], 0
	v_mov_b32_e32 v49, v1
	s_branch .LBB179_10
.LBB179_9:                              ;   in Loop: Header=BB179_10 Depth=1
	s_or_b64 exec, exec, s[14:15]
	v_add_u32_e32 v49, 2, v49
	v_cmp_le_i32_e64 s[0:1], s12, v49
	v_add_u32_e32 v47, 16, v47
	v_add_u32_e32 v48, 64, v48
	s_or_b64 s[8:9], s[0:1], s[8:9]
	v_lshl_add_u64 v[36:37], v[36:37], 0, 8
	s_andn2_b64 exec, exec, s[8:9]
	s_cbranch_execz .LBB179_12
.LBB179_10:                             ; =>This Inner Loop Header: Depth=1
	global_load_dword v50, v[36:37], off
	s_waitcnt vmcnt(0) lgkmcnt(0)
	v_mad_i64_i32 v[50:51], s[0:1], v50, s34, v[34:35]
	global_load_ubyte v52, v[50:51], off
	global_load_ubyte v53, v[50:51], off offset:8
	global_load_ubyte v54, v[50:51], off offset:128
	;; [unrolled: 1-line block ×30, first 2 shown]
	s_nop 0
	global_load_ubyte v50, v[50:51], off offset:1928
	s_waitcnt vmcnt(31)
	v_cvt_f32_fp8_e32 v51, v52
	s_waitcnt vmcnt(30)
	v_cvt_f32_fp8_e32 v52, v53
	;; [unrolled: 2-line block ×5, first 2 shown]
	s_waitcnt lgkmcnt(0)
	v_mul_f32_e32 v52, s35, v52
	s_waitcnt vmcnt(26)
	v_cvt_f32_fp8_e32 v56, v57
	v_mul_f32_e32 v51, s35, v51
	v_mul_f32_e32 v52, v3, v52
	s_waitcnt vmcnt(25)
	v_cvt_f32_fp8_e32 v57, v58
	v_mul_f32_e32 v53, s35, v53
	v_fmac_f32_e32 v52, v2, v51
	s_waitcnt vmcnt(24)
	v_cvt_f32_fp8_e32 v58, v59
	v_mul_f32_e32 v54, s35, v54
	v_fmac_f32_e32 v52, v4, v53
	s_waitcnt vmcnt(23)
	v_cvt_f32_fp8_e32 v59, v60
	v_mul_f32_e32 v55, s35, v55
	v_fmac_f32_e32 v52, v5, v54
	s_waitcnt vmcnt(22)
	v_cvt_f32_fp8_e32 v60, v61
	v_mul_f32_e32 v56, s35, v56
	v_fmac_f32_e32 v52, v6, v55
	s_waitcnt vmcnt(21)
	v_cvt_f32_fp8_e32 v61, v62
	v_mul_f32_e32 v57, s35, v57
	v_fmac_f32_e32 v52, v7, v56
	s_waitcnt vmcnt(20)
	v_cvt_f32_fp8_e32 v62, v63
	v_mul_f32_e32 v58, s35, v58
	v_fmac_f32_e32 v52, v8, v57
	s_waitcnt vmcnt(19)
	v_cvt_f32_fp8_e32 v63, v64
	v_mul_f32_e32 v59, s35, v59
	v_fmac_f32_e32 v52, v9, v58
	s_waitcnt vmcnt(18)
	v_cvt_f32_fp8_e32 v64, v65
	v_mul_f32_e32 v60, s35, v60
	v_fmac_f32_e32 v52, v10, v59
	s_waitcnt vmcnt(17)
	v_cvt_f32_fp8_e32 v65, v66
	v_mul_f32_e32 v61, s35, v61
	v_fmac_f32_e32 v52, v11, v60
	s_waitcnt vmcnt(16)
	v_cvt_f32_fp8_e32 v66, v67
	v_mul_f32_e32 v62, s35, v62
	v_fmac_f32_e32 v52, v12, v61
	s_waitcnt vmcnt(15)
	v_cvt_f32_fp8_e32 v67, v68
	v_mul_f32_e32 v63, s35, v63
	v_fmac_f32_e32 v52, v13, v62
	s_waitcnt vmcnt(14)
	v_cvt_f32_fp8_e32 v68, v69
	v_mul_f32_e32 v64, s35, v64
	v_fmac_f32_e32 v52, v14, v63
	s_waitcnt vmcnt(13)
	v_cvt_f32_fp8_e32 v69, v70
	v_mul_f32_e32 v65, s35, v65
	v_fmac_f32_e32 v52, v15, v64
	s_waitcnt vmcnt(12)
	v_cvt_f32_fp8_e32 v70, v71
	v_mul_f32_e32 v66, s35, v66
	v_fmac_f32_e32 v52, v16, v65
	s_waitcnt vmcnt(11)
	v_cvt_f32_fp8_e32 v71, v72
	v_mul_f32_e32 v67, s35, v67
	v_fmac_f32_e32 v52, v17, v66
	s_waitcnt vmcnt(10)
	v_cvt_f32_fp8_e32 v72, v73
	v_mul_f32_e32 v68, s35, v68
	v_fmac_f32_e32 v52, v18, v67
	s_waitcnt vmcnt(9)
	v_cvt_f32_fp8_e32 v73, v74
	v_mul_f32_e32 v69, s35, v69
	v_fmac_f32_e32 v52, v19, v68
	s_waitcnt vmcnt(8)
	v_cvt_f32_fp8_e32 v74, v75
	v_mul_f32_e32 v70, s35, v70
	v_fmac_f32_e32 v52, v20, v69
	s_waitcnt vmcnt(7)
	v_cvt_f32_fp8_e32 v75, v76
	v_mul_f32_e32 v71, s35, v71
	v_fmac_f32_e32 v52, v21, v70
	s_waitcnt vmcnt(6)
	v_cvt_f32_fp8_e32 v76, v77
	v_mul_f32_e32 v72, s35, v72
	v_fmac_f32_e32 v52, v22, v71
	s_waitcnt vmcnt(5)
	v_cvt_f32_fp8_e32 v77, v78
	v_mul_f32_e32 v73, s35, v73
	v_fmac_f32_e32 v52, v23, v72
	s_waitcnt vmcnt(4)
	v_cvt_f32_fp8_e32 v78, v79
	v_mul_f32_e32 v74, s35, v74
	v_fmac_f32_e32 v52, v24, v73
	s_waitcnt vmcnt(3)
	v_cvt_f32_fp8_e32 v79, v80
	v_mul_f32_e32 v75, s35, v75
	v_fmac_f32_e32 v52, v25, v74
	s_waitcnt vmcnt(2)
	v_cvt_f32_fp8_e32 v80, v81
	v_mul_f32_e32 v76, s35, v76
	v_fmac_f32_e32 v52, v26, v75
	s_waitcnt vmcnt(1)
	v_cvt_f32_fp8_e32 v81, v82
	v_mul_f32_e32 v77, s35, v77
	v_fmac_f32_e32 v52, v27, v76
	s_waitcnt vmcnt(0)
	v_cvt_f32_fp8_e32 v50, v50
	v_mul_f32_e32 v78, s35, v78
	v_fmac_f32_e32 v52, v28, v77
	v_mul_f32_e32 v79, s35, v79
	v_fmac_f32_e32 v52, v29, v78
	v_mul_f32_e32 v80, s35, v80
	v_fmac_f32_e32 v52, v30, v79
	v_mul_f32_e32 v81, s35, v81
	v_fmac_f32_e32 v52, v31, v80
	v_mul_f32_e32 v50, s35, v50
	v_fmac_f32_e32 v52, v32, v81
	v_fmac_f32_e32 v52, v33, v50
	ds_bpermute_b32 v50, v44, v52
	s_waitcnt lgkmcnt(0)
	v_add_f32_e32 v50, v52, v50
	ds_bpermute_b32 v51, v45, v50
	s_waitcnt lgkmcnt(0)
	v_add_f32_e32 v50, v50, v51
	ds_bpermute_b32 v51, v46, v50
	s_and_saveexec_b64 s[14:15], vcc
	s_cbranch_execz .LBB179_9
; %bb.11:                               ;   in Loop: Header=BB179_10 Depth=1
	v_add_u32_e32 v52, s36, v47
	v_cvt_f32_i32_e32 v52, v52
	s_waitcnt lgkmcnt(0)
	v_add_f32_e32 v50, v50, v51
	v_cmp_gt_i32_e64 s[0:1], s33, v47
	v_max_f32_e32 v51, v43, v43
	v_mul_f32_e32 v52, s28, v52
	v_cndmask_b32_e64 v52, 0, v52, s[2:3]
	v_fmac_f32_e32 v52, s29, v50
	v_cndmask_b32_e64 v50, 0, v52, s[0:1]
	ds_write_b32 v48, v50
	v_max_f32_e32 v50, v51, v52
	v_cndmask_b32_e64 v43, v43, v50, s[0:1]
	s_branch .LBB179_9
.LBB179_12:
	s_or_b64 exec, exec, s[8:9]
.LBB179_13:
	s_or_b64 exec, exec, s[30:31]
	v_xor_b32_e32 v2, 32, v40
	v_cmp_lt_i32_e32 vcc, v2, v41
	v_xor_b32_e32 v5, 16, v40
	v_max_f32_e32 v4, v43, v43
	v_cndmask_b32_e32 v2, v40, v2, vcc
	v_lshlrev_b32_e32 v3, 2, v2
	ds_bpermute_b32 v2, v3, v43
	v_cmp_lt_i32_e32 vcc, v5, v41
	v_xor_b32_e32 v6, 8, v40
	v_and_b32_e32 v50, 63, v0
	s_waitcnt lgkmcnt(0)
	v_max_f32_e32 v2, v2, v2
	v_max_f32_e32 v2, v4, v2
	v_cndmask_b32_e32 v4, v40, v5, vcc
	v_lshlrev_b32_e32 v5, 2, v4
	ds_bpermute_b32 v4, v5, v2
	v_cmp_lt_i32_e32 vcc, v6, v41
	s_waitcnt lgkmcnt(0)
	v_max_f32_e32 v4, v4, v4
	v_max_f32_e32 v4, v2, v4
	v_cndmask_b32_e32 v2, v40, v6, vcc
	v_lshlrev_b32_e32 v6, 2, v2
	ds_bpermute_b32 v7, v6, v4
	v_cmp_eq_u32_e32 vcc, 0, v50
	v_lshlrev_b32_e32 v2, 2, v1
	s_and_saveexec_b64 s[0:1], vcc
	s_cbranch_execz .LBB179_15
; %bb.14:
	s_waitcnt lgkmcnt(0)
	v_max_f32_e32 v7, v7, v7
	v_max_f32_e32 v4, v4, v4
	;; [unrolled: 1-line block ×3, first 2 shown]
	ds_write_b32 v2, v4 offset:1024
.LBB179_15:
	s_or_b64 exec, exec, s[0:1]
	v_cmp_gt_u32_e64 s[0:1], 2, v50
	s_waitcnt lgkmcnt(0)
	v_mov_b32_e32 v7, 0xff7fffff
	v_lshlrev_b32_e32 v4, 2, v50
	s_barrier
	s_and_saveexec_b64 s[2:3], s[0:1]
; %bb.16:
	ds_read_b32 v7, v4 offset:1024
; %bb.17:
	s_or_b64 exec, exec, s[2:3]
	v_xor_b32_e32 v8, 1, v40
	v_cmp_lt_i32_e64 s[2:3], v8, v41
	s_nop 1
	v_cndmask_b32_e64 v8, v40, v8, s[2:3]
	v_lshlrev_b32_e32 v51, 2, v8
	s_waitcnt lgkmcnt(0)
	ds_bpermute_b32 v8, v51, v7
	v_max_f32_e32 v7, v7, v7
	s_lshl_b32 s2, s12, 3
	s_min_i32 s30, s2, s33
	v_cmp_gt_i32_e64 s[2:3], s30, v0
	s_waitcnt lgkmcnt(0)
	v_max_f32_e32 v8, v8, v8
	v_max_f32_e32 v7, v7, v8
	v_lshlrev_b32_e32 v8, 2, v42
	ds_bpermute_b32 v8, v8, v7
	v_mov_b32_e32 v7, 0
	s_and_saveexec_b64 s[14:15], s[2:3]
	s_cbranch_execz .LBB179_21
; %bb.18:
	v_mov_b32_e32 v7, 0x410
	v_lshl_add_u32 v9, v0, 2, v7
	v_mov_b32_e32 v7, 0
	s_mov_b64 s[28:29], 0
	v_mov_b32_e32 v10, v0
.LBB179_19:                             ; =>This Inner Loop Header: Depth=1
	ds_read_b32 v11, v9
	v_add_u32_e32 v10, 0x80, v10
	v_cmp_le_i32_e64 s[8:9], s30, v10
	s_or_b64 s[28:29], s[8:9], s[28:29]
	s_waitcnt lgkmcnt(0)
	v_sub_f32_e32 v11, v11, v8
	v_mul_f32_e32 v11, 0x3fb8aa3b, v11
	v_exp_f32_e32 v11, v11
	ds_write_b32 v9, v11
	v_add_f32_e32 v7, v7, v11
	v_add_u32_e32 v9, 0x200, v9
	s_andn2_b64 exec, exec, s[28:29]
	s_cbranch_execnz .LBB179_19
; %bb.20:
	s_or_b64 exec, exec, s[28:29]
.LBB179_21:
	s_or_b64 exec, exec, s[14:15]
	ds_bpermute_b32 v3, v3, v7
	s_waitcnt lgkmcnt(0)
	v_add_f32_e32 v3, v7, v3
	ds_bpermute_b32 v5, v5, v3
	s_waitcnt lgkmcnt(0)
	v_add_f32_e32 v3, v3, v5
	ds_bpermute_b32 v5, v6, v3
	v_xor_b32_e32 v6, 4, v40
	v_cmp_lt_i32_e64 s[8:9], v6, v41
	s_waitcnt lgkmcnt(0)
	v_add_f32_e32 v3, v3, v5
	v_cndmask_b32_e64 v6, v40, v6, s[8:9]
	v_lshlrev_b32_e32 v6, 2, v6
	ds_bpermute_b32 v5, v6, v3
	v_xor_b32_e32 v6, 2, v40
	v_cmp_lt_i32_e64 s[8:9], v6, v41
	s_waitcnt lgkmcnt(0)
	v_add_f32_e32 v3, v3, v5
	v_cndmask_b32_e64 v6, v40, v6, s[8:9]
	v_lshlrev_b32_e32 v5, 2, v6
	ds_bpermute_b32 v5, v5, v3
	s_waitcnt lgkmcnt(0)
	v_add_f32_e32 v3, v3, v5
	ds_bpermute_b32 v5, v51, v3
	s_waitcnt lgkmcnt(0)
	v_add_f32_e32 v3, v3, v5
	s_and_saveexec_b64 s[8:9], vcc
; %bb.22:
	ds_write_b32 v2, v3 offset:1032
; %bb.23:
	s_or_b64 exec, exec, s[8:9]
	s_waitcnt lgkmcnt(0)
	s_barrier
	s_and_saveexec_b64 s[8:9], s[0:1]
; %bb.24:
	ds_read_b32 v3, v4 offset:1032
; %bb.25:
	s_or_b64 exec, exec, s[8:9]
	s_waitcnt lgkmcnt(0)
	ds_bpermute_b32 v2, v51, v3
	v_lshlrev_b32_e32 v4, 2, v40
	s_waitcnt lgkmcnt(0)
	v_add_f32_e32 v2, v3, v2
	v_and_b32_e32 v3, 0xffffff00, v4
	ds_bpermute_b32 v2, v3, v2
	s_and_saveexec_b64 s[0:1], s[2:3]
	s_cbranch_execz .LBB179_38
; %bb.26:
	s_waitcnt lgkmcnt(0)
	v_add_f32_e32 v2, 0x358637bd, v2
	v_div_scale_f32 v3, s[2:3], v2, v2, 1.0
	v_rcp_f32_e32 v4, v3
	v_div_scale_f32 v5, vcc, 1.0, v2, 1.0
	s_movk_i32 s2, 0x7f
	v_fma_f32 v6, -v3, v4, 1.0
	v_fmac_f32_e32 v4, v6, v4
	v_mul_f32_e32 v6, v5, v4
	v_fma_f32 v7, -v3, v6, v5
	v_fmac_f32_e32 v6, v7, v4
	v_fma_f32 v3, -v3, v6, v5
	v_div_fmas_f32 v3, v3, v4, v6
	v_xad_u32 v4, v0, -1, s30
	v_div_fixup_f32 v2, v3, v2, 1.0
	v_cmp_lt_u32_e32 vcc, s2, v4
	s_mov_b64 s[8:9], -1
	v_mov_b32_e32 v3, v0
	s_and_saveexec_b64 s[2:3], vcc
	s_cbranch_execz .LBB179_35
; %bb.27:
	v_lshrrev_b32_e32 v4, 7, v4
	v_add_u32_e32 v6, -1, v4
	v_lshrrev_b32_e32 v5, 1, v6
	v_mov_b32_e32 v3, v2
	v_add_u32_e32 v5, 1, v5
	v_cmp_lt_u32_e32 vcc, 13, v6
	v_mov_b32_e32 v8, 0
	s_and_saveexec_b64 s[8:9], vcc
	s_cbranch_execz .LBB179_31
; %bb.28:
	v_mov_b32_e32 v7, 0x410
	v_and_b32_e32 v6, -8, v5
	v_lshl_add_u32 v7, v0, 2, v7
	s_mov_b32 s28, 0
	s_mov_b64 s[14:15], 0
.LBB179_29:                             ; =>This Inner Loop Header: Depth=1
	ds_read2st64_b32 v[8:9], v7 offset1:2
	ds_read2st64_b32 v[10:11], v7 offset0:4 offset1:6
	ds_read2st64_b32 v[12:13], v7 offset0:8 offset1:10
	;; [unrolled: 1-line block ×3, first 2 shown]
	v_add_u32_e32 v6, -8, v6
	s_waitcnt lgkmcnt(3)
	v_pk_mul_f32 v[8:9], v[2:3], v[8:9]
	s_waitcnt lgkmcnt(2)
	v_pk_mul_f32 v[10:11], v[2:3], v[10:11]
	ds_write2st64_b32 v7, v8, v9 offset1:2
	ds_write2st64_b32 v7, v10, v11 offset0:4 offset1:6
	ds_read2st64_b32 v[10:11], v7 offset0:16 offset1:18
	s_waitcnt lgkmcnt(4)
	v_pk_mul_f32 v[8:9], v[2:3], v[12:13]
	ds_write2st64_b32 v7, v8, v9 offset0:8 offset1:10
	s_waitcnt lgkmcnt(4)
	v_pk_mul_f32 v[8:9], v[2:3], v[14:15]
	ds_write2st64_b32 v7, v8, v9 offset0:12 offset1:14
	ds_read2st64_b32 v[8:9], v7 offset0:20 offset1:22
	s_waitcnt lgkmcnt(3)
	v_pk_mul_f32 v[10:11], v[2:3], v[10:11]
	ds_read2st64_b32 v[12:13], v7 offset0:24 offset1:26
	ds_write2st64_b32 v7, v10, v11 offset0:16 offset1:18
	ds_read2st64_b32 v[10:11], v7 offset0:28 offset1:30
	s_waitcnt lgkmcnt(3)
	v_pk_mul_f32 v[8:9], v[2:3], v[8:9]
	ds_write2st64_b32 v7, v8, v9 offset0:20 offset1:22
	s_waitcnt lgkmcnt(3)
	v_pk_mul_f32 v[8:9], v[2:3], v[12:13]
	ds_write2st64_b32 v7, v8, v9 offset0:24 offset1:26
	s_waitcnt lgkmcnt(2)
	v_pk_mul_f32 v[8:9], v[2:3], v[10:11]
	s_add_i32 s28, s28, 16
	v_cmp_eq_u32_e32 vcc, 0, v6
	ds_write2st64_b32 v7, v8, v9 offset0:28 offset1:30
	v_add_u32_e32 v7, 0x2000, v7
	s_or_b64 s[14:15], vcc, s[14:15]
	v_mov_b32_e32 v8, s28
	s_andn2_b64 exec, exec, s[14:15]
	s_cbranch_execnz .LBB179_29
; %bb.30:
	s_or_b64 exec, exec, s[14:15]
.LBB179_31:
	s_or_b64 exec, exec, s[8:9]
	v_and_b32_e32 v5, 7, v5
	v_cmp_ne_u32_e32 vcc, 0, v5
	s_and_saveexec_b64 s[8:9], vcc
	s_cbranch_execz .LBB179_34
; %bb.32:
	v_lshlrev_b32_e32 v6, 9, v8
	s_movk_i32 s14, 0x410
	v_add3_u32 v6, v6, v38, s14
	s_mov_b64 s[14:15], 0
.LBB179_33:                             ; =>This Inner Loop Header: Depth=1
	ds_read2st64_b32 v[8:9], v6 offset1:2
	v_add_u32_e32 v5, -1, v5
	v_cmp_eq_u32_e32 vcc, 0, v5
	s_or_b64 s[14:15], vcc, s[14:15]
	s_waitcnt lgkmcnt(0)
	v_pk_mul_f32 v[8:9], v[2:3], v[8:9]
	ds_write2st64_b32 v6, v8, v9 offset1:2
	v_add_u32_e32 v6, 0x400, v6
	s_andn2_b64 exec, exec, s[14:15]
	s_cbranch_execnz .LBB179_33
.LBB179_34:
	s_or_b64 exec, exec, s[8:9]
	v_add_u32_e32 v4, 1, v4
	v_and_b32_e32 v5, 0x3fffffe, v4
	v_cmp_ne_u32_e32 vcc, v4, v5
	v_lshl_add_u32 v3, v5, 7, v0
	s_orn2_b64 s[8:9], vcc, exec
.LBB179_35:
	s_or_b64 exec, exec, s[2:3]
	s_and_b64 exec, exec, s[8:9]
	s_cbranch_execz .LBB179_38
; %bb.36:
	v_mov_b32_e32 v4, 0x410
	v_lshl_add_u32 v4, v3, 2, v4
	s_mov_b64 s[2:3], 0
.LBB179_37:                             ; =>This Inner Loop Header: Depth=1
	ds_read_b32 v5, v4
	v_add_u32_e32 v3, 0x80, v3
	v_cmp_le_i32_e32 vcc, s30, v3
	s_or_b64 s[2:3], vcc, s[2:3]
	s_waitcnt lgkmcnt(0)
	v_mul_f32_e32 v5, v2, v5
	ds_write_b32 v4, v5
	v_add_u32_e32 v4, 0x200, v4
	s_andn2_b64 exec, exec, s[2:3]
	s_cbranch_execnz .LBB179_37
.LBB179_38:
	s_or_b64 exec, exec, s[0:1]
	v_mov_b32_e32 v7, 0
	v_and_b32_e32 v52, 1, v0
	v_mov_b32_e32 v6, v7
	v_mov_b32_e32 v9, v7
	;; [unrolled: 1-line block ×7, first 2 shown]
	s_waitcnt lgkmcnt(0)
	s_barrier
	s_and_saveexec_b64 s[2:3], s[6:7]
	s_cbranch_execz .LBB179_58
; %bb.39:
	s_ashr_i32 s1, s19, 31
	s_load_dword s6, s[10:11], 0x0
	s_add_u32 s0, s26, s19
	s_addc_u32 s1, s27, s1
	v_and_b32_e32 v6, 0xfc, v38
	v_mov_b32_e32 v7, 0
	v_and_b32_e32 v2, 4, v38
	s_add_i32 s14, s12, -1
	v_lshl_add_u64 v[14:15], s[0:1], 0, v[6:7]
	s_lshl_b64 s[0:1], s[24:25], 2
	v_lshl_or_b32 v53, v1, 3, v2
	v_lshlrev_b32_e32 v2, 4, v52
	s_add_u32 s0, s22, s0
	v_lshl_or_b32 v2, v1, 5, v2
	v_and_b32_e32 v6, 60, v39
	s_addc_u32 s1, s23, s1
	s_waitcnt lgkmcnt(0)
	s_mov_b32 s7, s6
	s_mov_b32 s15, s33
	v_add_u32_e32 v54, 0x410, v2
	v_lshl_add_u64 v[16:17], s[0:1], 0, v[6:7]
	s_mov_b64 s[8:9], 0
	v_mov_b32_e32 v6, v7
	v_mov_b32_e32 v9, v7
	;; [unrolled: 1-line block ×7, first 2 shown]
	s_branch .LBB179_41
.LBB179_40:                             ;   in Loop: Header=BB179_41 Depth=1
	s_or_b64 exec, exec, s[0:1]
	s_waitcnt lgkmcnt(0)
	v_mul_f32_e32 v48, v2, v48
	v_mul_f32_e32 v42, v2, v42
	;; [unrolled: 1-line block ×7, first 2 shown]
	v_fmac_f32_e32 v48, v3, v49
	v_fmac_f32_e32 v42, v3, v43
	;; [unrolled: 1-line block ×14, first 2 shown]
	v_pk_mul_f32 v[2:3], v[2:3], v[44:45]
	v_fmac_f32_e32 v48, v5, v47
	v_fmac_f32_e32 v42, v5, v41
	;; [unrolled: 1-line block ×7, first 2 shown]
	v_pk_mul_f32 v[4:5], v[4:5], v[26:27]
	v_add_f32_e32 v2, v3, v2
	v_add_f32_e32 v2, v4, v2
	v_add_u32_e32 v1, 2, v1
	v_add_f32_e32 v2, v5, v2
	v_cmp_le_i32_e32 vcc, s12, v1
	v_add_f32_e32 v6, v6, v48
	v_add_f32_e32 v9, v9, v42
	;; [unrolled: 1-line block ×8, first 2 shown]
	v_add_u32_e32 v53, 16, v53
	v_add_u32_e32 v54, 64, v54
	s_or_b64 s[8:9], vcc, s[8:9]
	v_lshl_add_u64 v[16:17], v[16:17], 0, 8
	s_andn2_b64 exec, exec, s[8:9]
	s_cbranch_execz .LBB179_57
.LBB179_41:                             ; =>This Inner Loop Header: Depth=1
	global_load_dword v2, v[16:17], off
	v_cmp_eq_u32_e32 vcc, s14, v1
	v_add_u32_e32 v55, 1, v53
	v_add_u32_e32 v44, 2, v53
	;; [unrolled: 1-line block ×3, first 2 shown]
	s_waitcnt vmcnt(0)
	v_mad_i64_i32 v[26:27], s[0:1], v2, s13, v[14:15]
	global_load_dword v18, v[26:27], off
	ds_read_b128 v[2:5], v54
	s_waitcnt vmcnt(0)
	v_and_b32_e32 v19, 0xffff, v18
	v_lshrrev_b32_e32 v20, 16, v18
	v_cvt_pk_f32_fp8_e32 v[18:19], v19
	v_cvt_pk_f32_fp8_e32 v[22:23], v20
	v_pk_mul_f32 v[20:21], s[6:7], v[18:19]
	v_pk_mul_f32 v[18:19], s[6:7], v[22:23]
	s_and_saveexec_b64 s[10:11], vcc
; %bb.42:                               ;   in Loop: Header=BB179_41 Depth=1
	v_cmp_gt_i32_e64 s[0:1], s33, v53
	s_nop 1
	v_cndmask_b32_e64 v20, 0, v20, s[0:1]
	v_cmp_gt_i32_e64 s[0:1], s33, v55
	s_nop 1
	v_cndmask_b32_e64 v21, 0, v21, s[0:1]
	v_cmp_gt_i32_e64 s[0:1], s33, v44
	s_nop 1
	v_cndmask_b32_e64 v18, 0, v18, s[0:1]
	v_cmp_gt_i32_e64 s[0:1], s33, v45
	s_nop 1
	v_cndmask_b32_e64 v19, 0, v19, s[0:1]
; %bb.43:                               ;   in Loop: Header=BB179_41 Depth=1
	s_or_b64 exec, exec, s[10:11]
	global_load_dword v22, v[26:27], off offset:256
	s_waitcnt vmcnt(0)
	v_and_b32_e32 v23, 0xffff, v22
	v_lshrrev_b32_e32 v24, 16, v22
	v_cvt_pk_f32_fp8_e32 v[22:23], v23
	v_cvt_pk_f32_fp8_e32 v[28:29], v24
	v_pk_mul_f32 v[24:25], s[6:7], v[22:23]
	v_pk_mul_f32 v[22:23], s[6:7], v[28:29]
	s_and_saveexec_b64 s[10:11], vcc
; %bb.44:                               ;   in Loop: Header=BB179_41 Depth=1
	v_cmp_gt_i32_e64 s[0:1], s33, v53
	s_nop 1
	v_cndmask_b32_e64 v24, 0, v24, s[0:1]
	v_cmp_gt_i32_e64 s[0:1], s33, v55
	s_nop 1
	v_cndmask_b32_e64 v25, 0, v25, s[0:1]
	v_cmp_gt_i32_e64 s[0:1], s33, v44
	s_nop 1
	v_cndmask_b32_e64 v22, 0, v22, s[0:1]
	v_cmp_gt_i32_e64 s[0:1], s33, v45
	s_nop 1
	v_cndmask_b32_e64 v23, 0, v23, s[0:1]
; %bb.45:                               ;   in Loop: Header=BB179_41 Depth=1
	s_or_b64 exec, exec, s[10:11]
	global_load_dword v28, v[26:27], off offset:512
	;; [unrolled: 24-line block ×7, first 2 shown]
	s_waitcnt vmcnt(0)
	v_and_b32_e32 v27, 0xffff, v26
	v_lshrrev_b32_e32 v44, 16, v26
	v_cvt_pk_f32_fp8_e32 v[26:27], v27
	v_cvt_pk_f32_fp8_e32 v[56:57], v44
	v_pk_mul_f32 v[44:45], s[6:7], v[26:27]
	v_pk_mul_f32 v[26:27], s[6:7], v[56:57]
	s_and_saveexec_b64 s[0:1], vcc
	s_cbranch_execz .LBB179_40
; %bb.56:                               ;   in Loop: Header=BB179_41 Depth=1
	v_cmp_gt_i32_e32 vcc, s15, v55
	v_or_b32_e32 v55, 3, v53
	v_or_b32_e32 v56, 2, v53
	v_cndmask_b32_e32 v45, 0, v45, vcc
	v_cmp_gt_i32_e32 vcc, s33, v53
	s_nop 1
	v_cndmask_b32_e32 v44, 0, v44, vcc
	v_cmp_gt_i32_e32 vcc, s15, v55
	s_nop 1
	v_cndmask_b32_e32 v27, 0, v27, vcc
	v_cmp_gt_i32_e32 vcc, s33, v56
	s_nop 1
	v_cndmask_b32_e32 v26, 0, v26, vcc
	s_branch .LBB179_40
.LBB179_57:
	s_or_b64 exec, exec, s[8:9]
.LBB179_58:
	s_or_b64 exec, exec, s[2:3]
	ds_bpermute_b32 v2, v51, v12
	ds_bpermute_b32 v3, v51, v13
	;; [unrolled: 1-line block ×6, first 2 shown]
	s_waitcnt lgkmcnt(4)
	v_pk_add_f32 v[4:5], v[12:13], v[2:3]
	v_and_b32_e32 v1, 0x3c1, v0
	s_waitcnt lgkmcnt(2)
	v_pk_add_f32 v[2:3], v[10:11], v[14:15]
	ds_bpermute_b32 v10, v51, v6
	ds_bpermute_b32 v11, v51, v7
	s_waitcnt lgkmcnt(2)
	v_pk_add_f32 v[8:9], v[8:9], v[16:17]
	v_cmp_ne_u32_e32 vcc, 64, v1
	s_waitcnt lgkmcnt(0)
	s_barrier
	s_and_saveexec_b64 s[0:1], vcc
	s_xor_b64 s[0:1], exec, s[0:1]
; %bb.59:
                                        ; implicit-def: $vgpr50
; %bb.60:
	s_or_saveexec_b64 s[0:1], s[0:1]
	v_pk_add_f32 v[6:7], v[6:7], v[10:11]
	s_xor_b64 exec, exec, s[0:1]
	s_cbranch_execz .LBB179_62
; %bb.61:
	v_mov_b32_e32 v10, 0x410
	v_lshl_add_u32 v10, v50, 1, v10
	ds_write2_b32 v10, v4, v5 offset1:32
	ds_write2_b32 v10, v2, v3 offset0:64 offset1:96
	ds_write2_b32 v10, v8, v9 offset0:128 offset1:160
	ds_write2_b32 v10, v6, v7 offset0:192 offset1:224
.LBB179_62:
	s_or_b64 exec, exec, s[0:1]
	v_cmp_gt_u32_e32 vcc, 64, v0
	v_lshrrev_b32_e32 v0, 1, v0
	s_waitcnt lgkmcnt(0)
	s_barrier
	s_and_saveexec_b64 s[0:1], vcc
	s_cbranch_execz .LBB179_73
; %bb.63:
	v_mov_b32_e32 v10, 0x410
	v_cmp_eq_u32_e32 vcc, 0, v52
	v_lshl_add_u32 v10, v0, 2, v10
	s_and_saveexec_b64 s[2:3], vcc
	s_cbranch_execnz .LBB179_76
; %bb.64:
	s_or_b64 exec, exec, s[2:3]
	s_and_saveexec_b64 s[2:3], vcc
	s_cbranch_execnz .LBB179_77
.LBB179_65:
	s_or_b64 exec, exec, s[2:3]
	s_and_saveexec_b64 s[2:3], vcc
	s_cbranch_execnz .LBB179_78
.LBB179_66:
	s_or_b64 exec, exec, s[2:3]
	s_and_saveexec_b64 s[2:3], vcc
	s_cbranch_execnz .LBB179_79
.LBB179_67:
	s_or_b64 exec, exec, s[2:3]
	s_and_saveexec_b64 s[2:3], vcc
	s_cbranch_execnz .LBB179_80
.LBB179_68:
	s_or_b64 exec, exec, s[2:3]
	s_and_saveexec_b64 s[2:3], vcc
	s_cbranch_execnz .LBB179_81
.LBB179_69:
	s_or_b64 exec, exec, s[2:3]
	s_and_saveexec_b64 s[2:3], vcc
	s_cbranch_execnz .LBB179_82
.LBB179_70:
	s_or_b64 exec, exec, s[2:3]
	s_and_saveexec_b64 s[2:3], vcc
	s_cbranch_execz .LBB179_72
.LBB179_71:
	ds_read_b32 v10, v10 offset:896
	s_waitcnt lgkmcnt(0)
	v_add_f32_e32 v7, v7, v10
.LBB179_72:
	s_or_b64 exec, exec, s[2:3]
.LBB179_73:
	s_or_b64 exec, exec, s[0:1]
	v_cmp_eq_u32_e32 vcc, 0, v1
	s_barrier
	s_and_saveexec_b64 s[0:1], vcc
	s_cbranch_execz .LBB179_75
; %bb.74:
	s_mul_i32 s0, s16, s17
	s_mul_i32 s0, s0, s5
	s_lshl_b32 s0, s0, 8
	s_ashr_i32 s1, s0, 31
	s_lshl_b64 s[0:1], s[0:1], 2
	s_add_u32 s2, s20, s0
	s_mul_i32 s0, s17, s18
	s_addc_u32 s3, s21, s1
	s_ashr_i32 s1, s0, 31
	s_lshl_b64 s[0:1], s[0:1], 2
	s_add_u32 s2, s2, s0
	s_addc_u32 s3, s3, s1
	s_lshl_b32 s0, s4, 8
	s_ashr_i32 s1, s0, 31
	s_lshl_b64 s[0:1], s[0:1], 2
	s_add_u32 s0, s2, s0
	s_addc_u32 s1, s3, s1
	v_lshlrev_b32_e32 v0, 2, v0
	global_store_dword v0, v4, s[0:1]
	global_store_dword v0, v5, s[0:1] offset:128
	global_store_dword v0, v2, s[0:1] offset:256
	;; [unrolled: 1-line block ×7, first 2 shown]
.LBB179_75:
	s_endpgm
.LBB179_76:
	ds_read_b32 v11, v10
	s_waitcnt lgkmcnt(0)
	v_add_f32_e32 v4, v4, v11
	s_or_b64 exec, exec, s[2:3]
	s_and_saveexec_b64 s[2:3], vcc
	s_cbranch_execz .LBB179_65
.LBB179_77:
	ds_read_b32 v11, v10 offset:128
	s_waitcnt lgkmcnt(0)
	v_add_f32_e32 v5, v5, v11
	s_or_b64 exec, exec, s[2:3]
	s_and_saveexec_b64 s[2:3], vcc
	s_cbranch_execz .LBB179_66
.LBB179_78:
	ds_read_b32 v11, v10 offset:256
	s_waitcnt lgkmcnt(0)
	v_add_f32_e32 v2, v2, v11
	s_or_b64 exec, exec, s[2:3]
	s_and_saveexec_b64 s[2:3], vcc
	s_cbranch_execz .LBB179_67
.LBB179_79:
	ds_read_b32 v11, v10 offset:384
	s_waitcnt lgkmcnt(0)
	v_add_f32_e32 v3, v3, v11
	s_or_b64 exec, exec, s[2:3]
	s_and_saveexec_b64 s[2:3], vcc
	s_cbranch_execz .LBB179_68
.LBB179_80:
	ds_read_b32 v11, v10 offset:512
	s_waitcnt lgkmcnt(0)
	v_add_f32_e32 v8, v8, v11
	s_or_b64 exec, exec, s[2:3]
	s_and_saveexec_b64 s[2:3], vcc
	s_cbranch_execz .LBB179_69
.LBB179_81:
	ds_read_b32 v11, v10 offset:640
	s_waitcnt lgkmcnt(0)
	v_add_f32_e32 v9, v9, v11
	s_or_b64 exec, exec, s[2:3]
	s_and_saveexec_b64 s[2:3], vcc
	s_cbranch_execz .LBB179_70
.LBB179_82:
	ds_read_b32 v11, v10 offset:768
	s_waitcnt lgkmcnt(0)
	v_add_f32_e32 v6, v6, v11
	s_or_b64 exec, exec, s[2:3]
	s_and_saveexec_b64 s[2:3], vcc
	s_cbranch_execnz .LBB179_71
	s_branch .LBB179_72
	.section	.rodata,"a",@progbits
	.p2align	6, 0x0
	.amdhsa_kernel _ZN4vllm25paged_attention_v1_kernelIfhLi256ELi8ELi128ELNS_18Fp8KVCacheDataTypeE1ELb0EEEvPT_PKS2_PKT0_S8_ifPKiSA_iPKfiiiSC_SC_iiiii
		.amdhsa_group_segment_fixed_size 1040
		.amdhsa_private_segment_fixed_size 0
		.amdhsa_kernarg_size 384
		.amdhsa_user_sgpr_count 2
		.amdhsa_user_sgpr_dispatch_ptr 0
		.amdhsa_user_sgpr_queue_ptr 0
		.amdhsa_user_sgpr_kernarg_segment_ptr 1
		.amdhsa_user_sgpr_dispatch_id 0
		.amdhsa_user_sgpr_kernarg_preload_length 0
		.amdhsa_user_sgpr_kernarg_preload_offset 0
		.amdhsa_user_sgpr_private_segment_size 0
		.amdhsa_uses_dynamic_stack 0
		.amdhsa_enable_private_segment 0
		.amdhsa_system_sgpr_workgroup_id_x 1
		.amdhsa_system_sgpr_workgroup_id_y 1
		.amdhsa_system_sgpr_workgroup_id_z 1
		.amdhsa_system_sgpr_workgroup_info 0
		.amdhsa_system_vgpr_workitem_id 0
		.amdhsa_next_free_vgpr 83
		.amdhsa_next_free_sgpr 37
		.amdhsa_accum_offset 84
		.amdhsa_reserve_vcc 1
		.amdhsa_float_round_mode_32 0
		.amdhsa_float_round_mode_16_64 0
		.amdhsa_float_denorm_mode_32 3
		.amdhsa_float_denorm_mode_16_64 3
		.amdhsa_dx10_clamp 1
		.amdhsa_ieee_mode 1
		.amdhsa_fp16_overflow 0
		.amdhsa_tg_split 0
		.amdhsa_exception_fp_ieee_invalid_op 0
		.amdhsa_exception_fp_denorm_src 0
		.amdhsa_exception_fp_ieee_div_zero 0
		.amdhsa_exception_fp_ieee_overflow 0
		.amdhsa_exception_fp_ieee_underflow 0
		.amdhsa_exception_fp_ieee_inexact 0
		.amdhsa_exception_int_div_zero 0
	.end_amdhsa_kernel
	.section	.text._ZN4vllm25paged_attention_v1_kernelIfhLi256ELi8ELi128ELNS_18Fp8KVCacheDataTypeE1ELb0EEEvPT_PKS2_PKT0_S8_ifPKiSA_iPKfiiiSC_SC_iiiii,"axG",@progbits,_ZN4vllm25paged_attention_v1_kernelIfhLi256ELi8ELi128ELNS_18Fp8KVCacheDataTypeE1ELb0EEEvPT_PKS2_PKT0_S8_ifPKiSA_iPKfiiiSC_SC_iiiii,comdat
.Lfunc_end179:
	.size	_ZN4vllm25paged_attention_v1_kernelIfhLi256ELi8ELi128ELNS_18Fp8KVCacheDataTypeE1ELb0EEEvPT_PKS2_PKT0_S8_ifPKiSA_iPKfiiiSC_SC_iiiii, .Lfunc_end179-_ZN4vllm25paged_attention_v1_kernelIfhLi256ELi8ELi128ELNS_18Fp8KVCacheDataTypeE1ELb0EEEvPT_PKS2_PKT0_S8_ifPKiSA_iPKfiiiSC_SC_iiiii
                                        ; -- End function
	.set _ZN4vllm25paged_attention_v1_kernelIfhLi256ELi8ELi128ELNS_18Fp8KVCacheDataTypeE1ELb0EEEvPT_PKS2_PKT0_S8_ifPKiSA_iPKfiiiSC_SC_iiiii.num_vgpr, 83
	.set _ZN4vllm25paged_attention_v1_kernelIfhLi256ELi8ELi128ELNS_18Fp8KVCacheDataTypeE1ELb0EEEvPT_PKS2_PKT0_S8_ifPKiSA_iPKfiiiSC_SC_iiiii.num_agpr, 0
	.set _ZN4vllm25paged_attention_v1_kernelIfhLi256ELi8ELi128ELNS_18Fp8KVCacheDataTypeE1ELb0EEEvPT_PKS2_PKT0_S8_ifPKiSA_iPKfiiiSC_SC_iiiii.numbered_sgpr, 37
	.set _ZN4vllm25paged_attention_v1_kernelIfhLi256ELi8ELi128ELNS_18Fp8KVCacheDataTypeE1ELb0EEEvPT_PKS2_PKT0_S8_ifPKiSA_iPKfiiiSC_SC_iiiii.num_named_barrier, 0
	.set _ZN4vllm25paged_attention_v1_kernelIfhLi256ELi8ELi128ELNS_18Fp8KVCacheDataTypeE1ELb0EEEvPT_PKS2_PKT0_S8_ifPKiSA_iPKfiiiSC_SC_iiiii.private_seg_size, 0
	.set _ZN4vllm25paged_attention_v1_kernelIfhLi256ELi8ELi128ELNS_18Fp8KVCacheDataTypeE1ELb0EEEvPT_PKS2_PKT0_S8_ifPKiSA_iPKfiiiSC_SC_iiiii.uses_vcc, 1
	.set _ZN4vllm25paged_attention_v1_kernelIfhLi256ELi8ELi128ELNS_18Fp8KVCacheDataTypeE1ELb0EEEvPT_PKS2_PKT0_S8_ifPKiSA_iPKfiiiSC_SC_iiiii.uses_flat_scratch, 0
	.set _ZN4vllm25paged_attention_v1_kernelIfhLi256ELi8ELi128ELNS_18Fp8KVCacheDataTypeE1ELb0EEEvPT_PKS2_PKT0_S8_ifPKiSA_iPKfiiiSC_SC_iiiii.has_dyn_sized_stack, 0
	.set _ZN4vllm25paged_attention_v1_kernelIfhLi256ELi8ELi128ELNS_18Fp8KVCacheDataTypeE1ELb0EEEvPT_PKS2_PKT0_S8_ifPKiSA_iPKfiiiSC_SC_iiiii.has_recursion, 0
	.set _ZN4vllm25paged_attention_v1_kernelIfhLi256ELi8ELi128ELNS_18Fp8KVCacheDataTypeE1ELb0EEEvPT_PKS2_PKT0_S8_ifPKiSA_iPKfiiiSC_SC_iiiii.has_indirect_call, 0
	.section	.AMDGPU.csdata,"",@progbits
; Kernel info:
; codeLenInByte = 5488
; TotalNumSgprs: 43
; NumVgprs: 83
; NumAgprs: 0
; TotalNumVgprs: 83
; ScratchSize: 0
; MemoryBound: 0
; FloatMode: 240
; IeeeMode: 1
; LDSByteSize: 1040 bytes/workgroup (compile time only)
; SGPRBlocks: 5
; VGPRBlocks: 10
; NumSGPRsForWavesPerEU: 43
; NumVGPRsForWavesPerEU: 83
; AccumOffset: 84
; Occupancy: 5
; WaveLimiterHint : 1
; COMPUTE_PGM_RSRC2:SCRATCH_EN: 0
; COMPUTE_PGM_RSRC2:USER_SGPR: 2
; COMPUTE_PGM_RSRC2:TRAP_HANDLER: 0
; COMPUTE_PGM_RSRC2:TGID_X_EN: 1
; COMPUTE_PGM_RSRC2:TGID_Y_EN: 1
; COMPUTE_PGM_RSRC2:TGID_Z_EN: 1
; COMPUTE_PGM_RSRC2:TIDIG_COMP_CNT: 0
; COMPUTE_PGM_RSRC3_GFX90A:ACCUM_OFFSET: 20
; COMPUTE_PGM_RSRC3_GFX90A:TG_SPLIT: 0
	.section	.text._ZN4vllm25paged_attention_v1_kernelIfhLi32ELi16ELi128ELNS_18Fp8KVCacheDataTypeE1ELb1EEEvPT_PKS2_PKT0_S8_ifPKiSA_iPKfiiiSC_SC_iiiii,"axG",@progbits,_ZN4vllm25paged_attention_v1_kernelIfhLi32ELi16ELi128ELNS_18Fp8KVCacheDataTypeE1ELb1EEEvPT_PKS2_PKT0_S8_ifPKiSA_iPKfiiiSC_SC_iiiii,comdat
	.protected	_ZN4vllm25paged_attention_v1_kernelIfhLi32ELi16ELi128ELNS_18Fp8KVCacheDataTypeE1ELb1EEEvPT_PKS2_PKT0_S8_ifPKiSA_iPKfiiiSC_SC_iiiii ; -- Begin function _ZN4vllm25paged_attention_v1_kernelIfhLi32ELi16ELi128ELNS_18Fp8KVCacheDataTypeE1ELb1EEEvPT_PKS2_PKT0_S8_ifPKiSA_iPKfiiiSC_SC_iiiii
	.globl	_ZN4vllm25paged_attention_v1_kernelIfhLi32ELi16ELi128ELNS_18Fp8KVCacheDataTypeE1ELb1EEEvPT_PKS2_PKT0_S8_ifPKiSA_iPKfiiiSC_SC_iiiii
	.p2align	8
	.type	_ZN4vllm25paged_attention_v1_kernelIfhLi32ELi16ELi128ELNS_18Fp8KVCacheDataTypeE1ELb1EEEvPT_PKS2_PKT0_S8_ifPKiSA_iPKfiiiSC_SC_iiiii,@function
_ZN4vllm25paged_attention_v1_kernelIfhLi32ELi16ELi128ELNS_18Fp8KVCacheDataTypeE1ELb1EEEvPT_PKS2_PKT0_S8_ifPKiSA_iPKfiiiSC_SC_iiiii: ; @_ZN4vllm25paged_attention_v1_kernelIfhLi32ELi16ELi128ELNS_18Fp8KVCacheDataTypeE1ELb1EEEvPT_PKS2_PKT0_S8_ifPKiSA_iPKfiiiSC_SC_iiiii
; %bb.0:
	s_load_dword s5, s[0:1], 0x80
	s_load_dwordx2 s[6:7], s[0:1], 0x30
	s_load_dwordx2 s[36:37], s[0:1], 0x20
	s_mov_b32 s10, s3
	s_ashr_i32 s11, s3, 31
	s_lshl_b64 s[8:9], s[10:11], 2
	s_waitcnt lgkmcnt(0)
	s_add_u32 s6, s6, s8
	s_addc_u32 s7, s7, s9
	s_abs_i32 s3, s36
	v_cvt_f32_u32_e32 v1, s3
	s_sub_i32 s11, 0, s3
	s_abs_i32 s9, s5
	s_xor_b32 s8, s5, s36
	v_rcp_iflag_f32_e32 v1, v1
	s_ashr_i32 s8, s8, 31
	s_mov_b32 s44, 0
	v_mul_f32_e32 v1, 0x4f7ffffe, v1
	v_cvt_u32_f32_e32 v1, v1
	s_nop 0
	v_readfirstlane_b32 s12, v1
	s_mul_i32 s11, s11, s12
	s_mul_hi_u32 s11, s12, s11
	s_add_i32 s12, s12, s11
	s_mul_hi_u32 s11, s9, s12
	s_mul_i32 s12, s11, s3
	s_sub_i32 s9, s9, s12
	s_add_i32 s12, s11, 1
	s_sub_i32 s13, s9, s3
	s_cmp_ge_u32 s9, s3
	s_cselect_b32 s11, s12, s11
	s_cselect_b32 s9, s13, s9
	s_add_i32 s12, s11, 1
	s_cmp_ge_u32 s9, s3
	s_cselect_b32 s3, s12, s11
	s_xor_b32 s3, s3, s8
	s_sub_i32 s15, s3, s8
	s_abs_i32 s12, s15
	v_cvt_f32_u32_e32 v1, s12
	s_load_dwordx2 s[8:9], s[0:1], 0x40
	s_sub_i32 s3, 0, s12
	s_abs_i32 s13, s2
	v_rcp_iflag_f32_e32 v1, v1
	s_nop 0
	v_mul_f32_e32 v1, 0x4f7ffffe, v1
	v_cvt_u32_f32_e32 v1, v1
	s_nop 0
	v_readfirstlane_b32 s11, v1
	s_mul_i32 s3, s3, s11
	s_mul_hi_u32 s3, s11, s3
	s_add_i32 s11, s11, s3
	s_waitcnt lgkmcnt(0)
	s_cmp_eq_u64 s[8:9], 0
	s_mul_hi_u32 s14, s13, s11
	s_cbranch_scc1 .LBB180_2
; %bb.1:
	s_ashr_i32 s3, s2, 31
	s_lshl_b64 s[16:17], s[2:3], 2
	s_add_u32 s8, s8, s16
	s_addc_u32 s9, s9, s17
	s_load_dword s44, s[8:9], 0x0
.LBB180_2:
	s_load_dword s11, s[6:7], 0x0
	s_load_dwordx4 s[16:19], s[0:1], 0x48
	v_lshrrev_b32_e32 v22, 2, v0
	s_ashr_i32 s8, s2, 31
	s_ashr_i32 s9, s15, 31
	v_and_b32_e32 v6, 3, v0
	s_lshl_b32 s24, s2, 5
	v_cmp_gt_u32_e32 vcc, 32, v0
	v_lshlrev_b32_e32 v10, 2, v0
	v_lshlrev_b32_e32 v1, 2, v22
	s_and_saveexec_b64 s[6:7], vcc
	s_cbranch_execz .LBB180_4
; %bb.3:
	s_load_dwordx2 s[20:21], s[0:1], 0x8
	s_waitcnt lgkmcnt(0)
	s_mul_i32 s22, s16, s10
	s_ashr_i32 s23, s22, 31
	s_lshl_b64 s[22:23], s[22:23], 2
	v_lshl_add_u32 v3, v6, 5, v1
	s_add_u32 s3, s20, s22
	s_addc_u32 s15, s21, s23
	s_ashr_i32 s25, s24, 31
	s_lshl_b64 s[20:21], s[24:25], 2
	s_add_u32 s20, s3, s20
	s_addc_u32 s21, s15, s21
	global_load_dword v2, v10, s[20:21]
	s_waitcnt vmcnt(0)
	ds_write_b32 v3, v2
.LBB180_4:
	s_or_b64 exec, exec, s[6:7]
	s_mul_i32 s7, s14, s12
	s_sub_i32 s7, s13, s7
	s_xor_b32 s6, s8, s9
	s_add_i32 s8, s14, 1
	s_sub_i32 s9, s7, s12
	s_load_dwordx4 s[20:23], s[0:1], 0x68
	s_load_dword s3, s[0:1], 0x78
	s_cmp_ge_u32 s7, s12
	s_cselect_b32 s8, s8, s14
	s_cselect_b32 s7, s9, s7
	s_add_i32 s9, s8, 1
	s_cmp_ge_u32 s7, s12
	s_cselect_b32 s7, s9, s8
	s_waitcnt lgkmcnt(0)
	s_abs_i32 s25, s23
	v_cvt_f32_u32_e32 v2, s25
	s_xor_b32 s7, s7, s6
	s_sub_i32 s43, s7, s6
	s_sub_i32 s6, 0, s25
	v_rcp_iflag_f32_e32 v2, v2
	s_add_i32 s12, s11, -1
	s_abs_i32 s8, s12
	v_mul_f32_e32 v2, 0x4f7ffffe, v2
	v_cvt_u32_f32_e32 v2, v2
	s_barrier
	v_readfirstlane_b32 s33, v2
	s_mul_i32 s6, s6, s33
	s_mul_hi_u32 s6, s33, s6
	s_add_i32 s33, s33, s6
	s_cmp_lt_i32 s3, 0
	s_mul_hi_u32 s9, s8, s33
	s_cbranch_scc0 .LBB180_6
; %bb.5:
	s_mul_i32 s6, s20, s36
	s_add_i32 s6, s43, s6
	s_mul_i32 s6, s6, s3
	s_sub_i32 s36, 1, s6
	s_mov_b64 s[6:7], 0
	s_branch .LBB180_7
.LBB180_6:
	s_mov_b64 s[6:7], -1
                                        ; implicit-def: $sgpr36
.LBB180_7:
	s_load_dwordx2 s[28:29], s[0:1], 0x28
	s_ashr_i32 s16, s12, 31
	s_andn2_b64 vcc, exec, s[6:7]
	s_ashr_i32 s23, s23, 31
	s_cbranch_vccnz .LBB180_9
; %bb.8:
	s_mul_i32 s6, s5, s20
	s_add_i32 s2, s6, s2
	s_mul_i32 s2, s2, s3
	s_add_i32 s36, s2, 1
.LBB180_9:
	s_load_dword s2, s[0:1], 0x38
	s_load_dwordx2 s[26:27], s[0:1], 0x0
	s_load_dwordx2 s[34:35], s[0:1], 0x18
	s_load_dword s20, s[0:1], 0x88
	s_load_dwordx4 s[12:15], s[0:1], 0x58
	s_mul_i32 s3, s9, s25
	s_waitcnt lgkmcnt(0)
	s_mul_i32 s30, s2, s10
	s_sub_i32 s3, s8, s3
	s_ashr_i32 s31, s30, 31
	s_xor_b32 s2, s16, s23
	s_add_i32 s6, s9, 1
	s_sub_i32 s7, s3, s25
	s_cmp_ge_u32 s3, s25
	s_cselect_b32 s6, s6, s9
	s_cselect_b32 s3, s7, s3
	s_add_i32 s7, s6, 1
	s_cmp_ge_u32 s3, s25
	s_cselect_b32 s3, s7, s6
	s_xor_b32 s3, s3, s2
	s_sub_i32 s16, s3, s2
	s_add_i32 s2, s11, 15
	s_ashr_i32 s3, s2, 31
	s_lshr_b32 s3, s3, 28
	s_add_i32 s2, s2, s3
	s_ashr_i32 s42, s2, 4
	v_lshrrev_b32_e32 v23, 6, v0
	v_cmp_gt_i32_e64 s[2:3], s42, v23
	v_mov_b32_e32 v7, 0xff7fffff
	s_mul_i32 s43, s43, s18
	v_lshrrev_b32_e32 v12, 4, v0
	v_lshlrev_b32_e32 v24, 4, v23
	v_mbcnt_lo_u32_b32 v8, -1, 0
	s_and_saveexec_b64 s[18:19], s[2:3]
	s_cbranch_execz .LBB180_21
; %bb.10:
	s_load_dwordx2 s[0:1], s[0:1], 0x10
	s_sub_i32 s45, s16, s21
	s_ashr_i32 s7, s43, 31
	v_bfe_u32 v9, v0, 2, 4
	v_mov_b32_e32 v5, 0
	s_waitcnt lgkmcnt(0)
	s_add_u32 s6, s0, s43
	s_addc_u32 s7, s1, s7
	s_abs_i32 s46, s22
	v_cvt_f32_u32_e32 v2, s46
	v_lshlrev_b32_e32 v4, 4, v9
	v_mov_b32_e32 v7, v5
	v_mbcnt_hi_u32_b32 v18, -1, v8
	v_rcp_iflag_f32_e32 v2, v2
	v_cmp_eq_u32_e32 vcc, 0, v6
	s_mov_b32 s47, s17
	v_lshlrev_b32_e32 v11, 5, v6
	v_mul_f32_e32 v2, 0x4f7ffffe, v2
	v_cvt_u32_f32_e32 v13, v2
	v_lshl_add_u64 v[2:3], s[6:7], 0, v[4:5]
	s_sub_i32 s6, 0, s46
	v_lshl_add_u64 v[2:3], v[2:3], 0, v[6:7]
	v_subrev_u32_e32 v7, s11, v9
	v_mul_lo_u32 v4, s6, v13
	s_lshl_b64 s[6:7], s[30:31], 2
	v_add_u32_e32 v15, 1, v7
	v_lshlrev_b32_e32 v7, 2, v9
	v_mul_hi_u32 v4, v13, v4
	s_add_u32 s6, s28, s6
	v_lshl_or_b32 v7, v23, 6, v7
	v_add_u32_e32 v13, v13, v4
	v_and_b32_e32 v4, 60, v12
	s_addc_u32 s7, s29, s7
	v_add_u32_e32 v16, 0x90, v7
	v_and_b32_e32 v7, 64, v18
	v_cmp_neq_f32_e64 s[0:1], s44, 0
	v_lshl_add_u64 v[4:5], s[6:7], 0, v[4:5]
	v_lshlrev_b32_e32 v14, 4, v23
	v_mov_b32_e32 v17, 0xff7fffff
	s_mov_b64 s[38:39], 0
	v_add_u32_e32 v19, 64, v7
	v_xor_b32_e32 v20, 2, v18
	v_xor_b32_e32 v21, 1, v18
	v_mov_b32_e32 v7, 0xff7fffff
	v_mov_b32_e32 v25, v23
	s_branch .LBB180_13
.LBB180_11:                             ;   in Loop: Header=BB180_13 Depth=1
	s_or_b64 exec, exec, s[40:41]
.LBB180_12:                             ;   in Loop: Header=BB180_13 Depth=1
	s_or_b64 exec, exec, s[8:9]
	v_add_u32_e32 v25, 2, v25
	v_cmp_le_i32_e64 s[6:7], s42, v25
	v_lshl_add_u64 v[4:5], v[4:5], 0, 8
	v_add_u32_e32 v14, 32, v14
	s_or_b64 s[38:39], s[6:7], s[38:39]
	v_add_u32_e32 v16, 0x80, v16
	s_andn2_b64 exec, exec, s[38:39]
	s_cbranch_execz .LBB180_20
.LBB180_13:                             ; =>This Inner Loop Header: Depth=1
	v_mul_hi_u32 v26, v14, s33
	s_waitcnt lgkmcnt(0)
	v_mul_lo_u32 v27, v26, s25
	v_sub_u32_e32 v27, v14, v27
	v_add_u32_e32 v28, 1, v26
	v_cmp_le_u32_e64 s[6:7], s25, v27
	s_nop 1
	v_cndmask_b32_e64 v26, v26, v28, s[6:7]
	v_subrev_u32_e32 v28, s25, v27
	v_cndmask_b32_e64 v27, v27, v28, s[6:7]
	v_add_u32_e32 v28, 1, v26
	v_cmp_le_u32_e64 s[6:7], s25, v27
	s_nop 1
	v_cndmask_b32_e64 v26, v26, v28, s[6:7]
	v_xor_b32_e32 v26, s23, v26
	v_subrev_u32_e32 v26, s23, v26
	v_add_u32_e32 v27, s36, v26
	v_sub_u32_e32 v29, 0, v27
	v_ashrrev_i32_e32 v28, 31, v27
	v_max_i32_e32 v27, v27, v29
	v_mul_hi_u32 v29, v27, v13
	v_mul_lo_u32 v29, v29, s46
	v_sub_u32_e32 v27, v27, v29
	v_subrev_u32_e32 v29, s46, v27
	v_cmp_le_u32_e64 s[6:7], s46, v27
	v_cmp_ge_i32_e64 s[8:9], s45, v26
	s_nop 0
	v_cndmask_b32_e64 v27, v27, v29, s[6:7]
	v_subrev_u32_e32 v29, s46, v27
	v_cmp_le_u32_e64 s[6:7], s46, v27
	s_nop 1
	v_cndmask_b32_e64 v27, v27, v29, s[6:7]
	v_xor_b32_e32 v27, v27, v28
	v_sub_u32_e32 v27, v27, v28
	v_cmp_ne_u32_e64 s[6:7], 0, v27
	s_and_b64 s[6:7], s[6:7], s[8:9]
	s_and_saveexec_b64 s[8:9], s[6:7]
	s_xor_b64 s[6:7], exec, s[8:9]
	s_cbranch_execz .LBB180_17
; %bb.14:                               ;   in Loop: Header=BB180_13 Depth=1
	s_and_saveexec_b64 s[8:9], vcc
; %bb.15:                               ;   in Loop: Header=BB180_13 Depth=1
	ds_write_b32 v16, v17
; %bb.16:                               ;   in Loop: Header=BB180_13 Depth=1
	s_or_b64 exec, exec, s[8:9]
.LBB180_17:                             ;   in Loop: Header=BB180_13 Depth=1
	s_andn2_saveexec_b64 s[8:9], s[6:7]
	s_cbranch_execz .LBB180_12
; %bb.18:                               ;   in Loop: Header=BB180_13 Depth=1
	global_load_dword v26, v[4:5], off
	s_waitcnt vmcnt(0)
	v_mad_i64_i32 v[26:27], s[6:7], v26, s47, v[2:3]
	global_load_ubyte v34, v[26:27], off
	global_load_ubyte v35, v[26:27], off offset:4
	global_load_ubyte v36, v[26:27], off offset:8
	;; [unrolled: 1-line block ×7, first 2 shown]
	v_cmp_lt_i32_e64 s[6:7], v20, v19
	ds_read_b128 v[26:29], v11
	ds_read_b128 v[30:33], v11 offset:16
	v_cndmask_b32_e64 v42, v18, v20, s[6:7]
	s_load_dword s6, s[12:13], 0x0
	v_lshlrev_b32_e32 v42, 2, v42
	s_waitcnt vmcnt(7)
	v_cvt_f32_fp8_e32 v34, v34
	s_waitcnt vmcnt(6)
	v_cvt_f32_fp8_e32 v35, v35
	;; [unrolled: 2-line block ×5, first 2 shown]
	s_waitcnt lgkmcnt(0)
	v_mul_f32_e32 v35, s6, v35
	s_waitcnt vmcnt(2)
	v_cvt_f32_fp8_e32 v39, v39
	v_mul_f32_e32 v34, s6, v34
	v_mul_f32_e32 v27, v27, v35
	s_waitcnt vmcnt(1)
	v_cvt_f32_fp8_e32 v40, v40
	v_mul_f32_e32 v36, s6, v36
	v_fmac_f32_e32 v27, v26, v34
	s_waitcnt vmcnt(0)
	v_cvt_f32_fp8_e32 v41, v41
	v_mul_f32_e32 v37, s6, v37
	v_fmac_f32_e32 v27, v28, v36
	v_mul_f32_e32 v38, s6, v38
	v_fmac_f32_e32 v27, v29, v37
	;; [unrolled: 2-line block ×5, first 2 shown]
	v_fmac_f32_e32 v27, v33, v41
	ds_bpermute_b32 v26, v42, v27
	v_cmp_lt_i32_e64 s[6:7], v21, v19
	s_waitcnt lgkmcnt(0)
	v_add_f32_e32 v26, v27, v26
	v_cndmask_b32_e64 v28, v18, v21, s[6:7]
	v_lshlrev_b32_e32 v28, 2, v28
	ds_bpermute_b32 v27, v28, v26
	s_and_saveexec_b64 s[40:41], vcc
	s_cbranch_execz .LBB180_11
; %bb.19:                               ;   in Loop: Header=BB180_13 Depth=1
	v_add_u32_e32 v28, v15, v14
	v_cvt_f32_i32_e32 v28, v28
	s_waitcnt lgkmcnt(0)
	v_add_f32_e32 v26, v26, v27
	v_add_u32_e32 v29, v9, v14
	v_cmp_gt_i32_e64 s[6:7], s11, v29
	v_mul_f32_e32 v27, s44, v28
	v_cndmask_b32_e64 v27, 0, v27, s[0:1]
	v_fmac_f32_e32 v27, s37, v26
	v_cndmask_b32_e64 v26, 0, v27, s[6:7]
	ds_write_b32 v16, v26
	v_max_f32_e32 v26, v7, v7
	v_max_f32_e32 v26, v26, v27
	v_cndmask_b32_e64 v7, v7, v26, s[6:7]
	s_branch .LBB180_11
.LBB180_20:
	s_or_b64 exec, exec, s[38:39]
.LBB180_21:
	s_or_b64 exec, exec, s[18:19]
	v_mbcnt_hi_u32_b32 v2, -1, v8
	v_and_b32_e32 v14, 64, v2
	v_add_u32_e32 v3, 64, v14
	v_xor_b32_e32 v4, 32, v2
	v_cmp_lt_i32_e32 vcc, v4, v3
	v_xor_b32_e32 v8, 16, v2
	v_xor_b32_e32 v9, 8, v2
	v_cndmask_b32_e32 v4, v2, v4, vcc
	v_lshlrev_b32_e32 v4, 2, v4
	ds_bpermute_b32 v5, v4, v7
	v_max_f32_e32 v7, v7, v7
	v_cmp_lt_i32_e32 vcc, v8, v3
	v_xor_b32_e32 v13, 4, v2
	s_waitcnt lgkmcnt(0)
	v_max_f32_e32 v5, v5, v5
	v_max_f32_e32 v7, v7, v5
	v_cndmask_b32_e32 v5, v2, v8, vcc
	v_lshlrev_b32_e32 v5, 2, v5
	ds_bpermute_b32 v8, v5, v7
	v_cmp_lt_i32_e32 vcc, v9, v3
	s_waitcnt lgkmcnt(0)
	v_max_f32_e32 v8, v8, v8
	v_max_f32_e32 v7, v7, v8
	v_cndmask_b32_e32 v8, v2, v9, vcc
	v_lshlrev_b32_e32 v11, 2, v8
	ds_bpermute_b32 v8, v11, v7
	v_cmp_lt_i32_e32 vcc, v13, v3
	s_waitcnt lgkmcnt(0)
	v_max_f32_e32 v8, v8, v8
	v_max_f32_e32 v9, v7, v8
	v_cndmask_b32_e32 v7, v2, v13, vcc
	v_lshlrev_b32_e32 v13, 2, v7
	ds_bpermute_b32 v15, v13, v9
	v_and_b32_e32 v7, 63, v0
	v_cmp_eq_u32_e32 vcc, 0, v7
	v_lshlrev_b32_e32 v8, 2, v23
	s_and_saveexec_b64 s[0:1], vcc
	s_cbranch_execz .LBB180_23
; %bb.22:
	s_waitcnt lgkmcnt(0)
	v_max_f32_e32 v15, v15, v15
	v_max_f32_e32 v9, v9, v9
	;; [unrolled: 1-line block ×3, first 2 shown]
	ds_write_b32 v8, v9 offset:128
.LBB180_23:
	s_or_b64 exec, exec, s[0:1]
	v_cmp_gt_u32_e64 s[0:1], 2, v7
	s_waitcnt lgkmcnt(0)
	v_mov_b32_e32 v15, 0xff7fffff
	v_lshlrev_b32_e32 v9, 2, v7
	s_barrier
	s_and_saveexec_b64 s[6:7], s[0:1]
; %bb.24:
	ds_read_b32 v15, v9 offset:128
; %bb.25:
	s_or_b64 exec, exec, s[6:7]
	v_xor_b32_e32 v16, 1, v2
	v_cmp_lt_i32_e64 s[6:7], v16, v3
	v_lshlrev_b32_e32 v14, 2, v14
	s_nop 0
	v_cndmask_b32_e64 v16, v2, v16, s[6:7]
	v_lshlrev_b32_e32 v25, 2, v16
	s_waitcnt lgkmcnt(0)
	ds_bpermute_b32 v16, v25, v15
	v_max_f32_e32 v15, v15, v15
	s_lshl_b32 s6, s42, 4
	s_min_i32 s37, s6, s11
	v_cmp_gt_i32_e64 s[6:7], s37, v0
	s_waitcnt lgkmcnt(0)
	v_max_f32_e32 v16, v16, v16
	v_max_f32_e32 v15, v15, v16
	ds_bpermute_b32 v15, v14, v15
	v_mov_b32_e32 v14, 0
	s_and_saveexec_b64 s[12:13], s[6:7]
	s_cbranch_execz .LBB180_29
; %bb.26:
	v_mov_b32_e32 v14, 0x90
	v_lshl_add_u32 v16, v0, 2, v14
	v_mov_b32_e32 v14, 0
	s_mov_b64 s[18:19], 0
	v_mov_b32_e32 v17, v0
.LBB180_27:                             ; =>This Inner Loop Header: Depth=1
	ds_read_b32 v18, v16
	v_add_u32_e32 v17, 0x80, v17
	v_cmp_le_i32_e64 s[8:9], s37, v17
	s_or_b64 s[18:19], s[8:9], s[18:19]
	s_waitcnt lgkmcnt(0)
	v_sub_f32_e32 v18, v18, v15
	v_mul_f32_e32 v18, 0x3fb8aa3b, v18
	v_exp_f32_e32 v18, v18
	ds_write_b32 v16, v18
	v_add_f32_e32 v14, v14, v18
	v_add_u32_e32 v16, 0x200, v16
	s_andn2_b64 exec, exec, s[18:19]
	s_cbranch_execnz .LBB180_27
; %bb.28:
	s_or_b64 exec, exec, s[18:19]
.LBB180_29:
	s_or_b64 exec, exec, s[12:13]
	ds_bpermute_b32 v4, v4, v14
	s_waitcnt lgkmcnt(0)
	v_add_f32_e32 v4, v14, v4
	ds_bpermute_b32 v5, v5, v4
	s_waitcnt lgkmcnt(0)
	v_add_f32_e32 v4, v4, v5
	ds_bpermute_b32 v5, v11, v4
	v_xor_b32_e32 v11, 2, v2
	v_cmp_lt_i32_e64 s[8:9], v11, v3
	s_waitcnt lgkmcnt(0)
	v_add_f32_e32 v4, v4, v5
	ds_bpermute_b32 v5, v13, v4
	v_cndmask_b32_e64 v3, v2, v11, s[8:9]
	v_lshlrev_b32_e32 v26, 2, v3
	s_waitcnt lgkmcnt(0)
	v_add_f32_e32 v4, v4, v5
	ds_bpermute_b32 v3, v26, v4
	s_waitcnt lgkmcnt(0)
	v_add_f32_e32 v3, v4, v3
	ds_bpermute_b32 v4, v25, v3
	s_waitcnt lgkmcnt(0)
	v_add_f32_e32 v3, v3, v4
	s_and_saveexec_b64 s[8:9], vcc
; %bb.30:
	ds_write_b32 v8, v3 offset:136
; %bb.31:
	s_or_b64 exec, exec, s[8:9]
	s_waitcnt lgkmcnt(0)
	s_barrier
	s_and_saveexec_b64 s[8:9], s[0:1]
; %bb.32:
	ds_read_b32 v3, v9 offset:136
; %bb.33:
	s_or_b64 exec, exec, s[8:9]
	s_waitcnt lgkmcnt(0)
	ds_bpermute_b32 v4, v25, v3
	v_lshlrev_b32_e32 v2, 2, v2
	v_and_b32_e32 v2, 0x100, v2
	s_waitcnt lgkmcnt(0)
	v_add_f32_e32 v3, v3, v4
	ds_bpermute_b32 v2, v2, v3
	s_and_saveexec_b64 s[0:1], s[6:7]
	s_cbranch_execz .LBB180_46
; %bb.34:
	s_waitcnt lgkmcnt(0)
	v_add_f32_e32 v2, 0x358637bd, v2
	v_div_scale_f32 v3, s[6:7], v2, v2, 1.0
	v_rcp_f32_e32 v4, v3
	v_div_scale_f32 v5, vcc, 1.0, v2, 1.0
	s_movk_i32 s6, 0x7f
	v_fma_f32 v8, -v3, v4, 1.0
	v_fmac_f32_e32 v4, v8, v4
	v_mul_f32_e32 v8, v5, v4
	v_fma_f32 v9, -v3, v8, v5
	v_fmac_f32_e32 v8, v9, v4
	v_fma_f32 v3, -v3, v8, v5
	v_div_fmas_f32 v3, v3, v4, v8
	v_xad_u32 v4, v0, -1, s37
	v_div_fixup_f32 v2, v3, v2, 1.0
	v_cmp_lt_u32_e32 vcc, s6, v4
	s_mov_b64 s[8:9], -1
	v_mov_b32_e32 v3, v0
	s_and_saveexec_b64 s[6:7], vcc
	s_cbranch_execz .LBB180_43
; %bb.35:
	v_lshrrev_b32_e32 v4, 7, v4
	v_add_u32_e32 v8, -1, v4
	v_lshrrev_b32_e32 v5, 1, v8
	v_mov_b32_e32 v3, v2
	v_add_u32_e32 v5, 1, v5
	v_cmp_lt_u32_e32 vcc, 13, v8
	v_mov_b32_e32 v11, 0
	s_and_saveexec_b64 s[8:9], vcc
	s_cbranch_execz .LBB180_39
; %bb.36:
	v_mov_b32_e32 v9, 0x90
	v_and_b32_e32 v8, -8, v5
	v_lshl_add_u32 v9, v0, 2, v9
	s_mov_b32 s18, 0
	s_mov_b64 s[12:13], 0
.LBB180_37:                             ; =>This Inner Loop Header: Depth=1
	ds_read2st64_b32 v[14:15], v9 offset1:2
	ds_read2st64_b32 v[16:17], v9 offset0:4 offset1:6
	ds_read2st64_b32 v[18:19], v9 offset0:8 offset1:10
	;; [unrolled: 1-line block ×3, first 2 shown]
	v_add_u32_e32 v8, -8, v8
	s_waitcnt lgkmcnt(3)
	v_pk_mul_f32 v[14:15], v[2:3], v[14:15]
	s_waitcnt lgkmcnt(2)
	v_pk_mul_f32 v[16:17], v[2:3], v[16:17]
	ds_write2st64_b32 v9, v14, v15 offset1:2
	ds_write2st64_b32 v9, v16, v17 offset0:4 offset1:6
	ds_read2st64_b32 v[16:17], v9 offset0:16 offset1:18
	s_waitcnt lgkmcnt(4)
	v_pk_mul_f32 v[14:15], v[2:3], v[18:19]
	ds_write2st64_b32 v9, v14, v15 offset0:8 offset1:10
	s_waitcnt lgkmcnt(4)
	v_pk_mul_f32 v[14:15], v[2:3], v[20:21]
	ds_write2st64_b32 v9, v14, v15 offset0:12 offset1:14
	ds_read2st64_b32 v[14:15], v9 offset0:20 offset1:22
	s_waitcnt lgkmcnt(3)
	v_pk_mul_f32 v[16:17], v[2:3], v[16:17]
	ds_read2st64_b32 v[18:19], v9 offset0:24 offset1:26
	ds_write2st64_b32 v9, v16, v17 offset0:16 offset1:18
	ds_read2st64_b32 v[16:17], v9 offset0:28 offset1:30
	s_waitcnt lgkmcnt(3)
	v_pk_mul_f32 v[14:15], v[2:3], v[14:15]
	ds_write2st64_b32 v9, v14, v15 offset0:20 offset1:22
	s_waitcnt lgkmcnt(3)
	v_pk_mul_f32 v[14:15], v[2:3], v[18:19]
	ds_write2st64_b32 v9, v14, v15 offset0:24 offset1:26
	s_waitcnt lgkmcnt(2)
	v_pk_mul_f32 v[14:15], v[2:3], v[16:17]
	s_add_i32 s18, s18, 16
	v_cmp_eq_u32_e32 vcc, 0, v8
	ds_write2st64_b32 v9, v14, v15 offset0:28 offset1:30
	v_add_u32_e32 v9, 0x2000, v9
	s_or_b64 s[12:13], vcc, s[12:13]
	v_mov_b32_e32 v11, s18
	s_andn2_b64 exec, exec, s[12:13]
	s_cbranch_execnz .LBB180_37
; %bb.38:
	s_or_b64 exec, exec, s[12:13]
.LBB180_39:
	s_or_b64 exec, exec, s[8:9]
	v_and_b32_e32 v5, 7, v5
	v_cmp_ne_u32_e32 vcc, 0, v5
	s_and_saveexec_b64 s[8:9], vcc
	s_cbranch_execz .LBB180_42
; %bb.40:
	v_lshlrev_b32_e32 v8, 9, v11
	s_movk_i32 s12, 0x90
	v_add3_u32 v8, v8, v10, s12
	s_mov_b64 s[12:13], 0
.LBB180_41:                             ; =>This Inner Loop Header: Depth=1
	ds_read2st64_b32 v[14:15], v8 offset1:2
	v_add_u32_e32 v5, -1, v5
	v_cmp_eq_u32_e32 vcc, 0, v5
	s_or_b64 s[12:13], vcc, s[12:13]
	s_waitcnt lgkmcnt(0)
	v_pk_mul_f32 v[14:15], v[2:3], v[14:15]
	ds_write2st64_b32 v8, v14, v15 offset1:2
	v_add_u32_e32 v8, 0x400, v8
	s_andn2_b64 exec, exec, s[12:13]
	s_cbranch_execnz .LBB180_41
.LBB180_42:
	s_or_b64 exec, exec, s[8:9]
	v_add_u32_e32 v4, 1, v4
	v_and_b32_e32 v5, 0x3fffffe, v4
	v_cmp_ne_u32_e32 vcc, v4, v5
	v_lshl_add_u32 v3, v5, 7, v0
	s_orn2_b64 s[8:9], vcc, exec
.LBB180_43:
	s_or_b64 exec, exec, s[6:7]
	s_and_b64 exec, exec, s[8:9]
	s_cbranch_execz .LBB180_46
; %bb.44:
	v_mov_b32_e32 v4, 0x90
	v_lshl_add_u32 v4, v3, 2, v4
	s_mov_b64 s[6:7], 0
.LBB180_45:                             ; =>This Inner Loop Header: Depth=1
	ds_read_b32 v5, v4
	v_add_u32_e32 v3, 0x80, v3
	v_cmp_le_i32_e32 vcc, s37, v3
	s_or_b64 s[6:7], vcc, s[6:7]
	s_waitcnt lgkmcnt(0)
	v_mul_f32_e32 v5, v2, v5
	ds_write_b32 v4, v5
	v_add_u32_e32 v4, 0x200, v4
	s_andn2_b64 exec, exec, s[6:7]
	s_cbranch_execnz .LBB180_45
.LBB180_46:
	s_or_b64 exec, exec, s[0:1]
	v_mov_b32_e32 v9, 0
	v_mov_b32_e32 v8, 0
	s_waitcnt lgkmcnt(0)
	s_barrier
	s_and_saveexec_b64 s[6:7], s[2:3]
	s_cbranch_execz .LBB180_56
; %bb.47:
	s_sub_i32 s18, s16, s21
	s_ashr_i32 s1, s43, 31
	s_add_u32 s0, s34, s43
	s_addc_u32 s1, s35, s1
	s_abs_i32 s19, s22
	v_cvt_f32_u32_e32 v2, s19
	v_and_b32_e32 v8, 0xfc, v10
	v_mov_b32_e32 v9, 0
	v_and_b32_e32 v27, 12, v10
	v_rcp_iflag_f32_e32 v2, v2
	v_lshl_add_u64 v[10:11], s[0:1], 0, v[8:9]
	s_sub_i32 s0, 0, s19
	s_add_i32 s22, s42, -1
	v_mul_f32_e32 v2, 0x4f7ffffe, v2
	v_cvt_u32_f32_e32 v2, v2
	v_and_b32_e32 v8, 60, v12
	s_mov_b32 s21, s17
	s_mov_b32 s34, s11
	v_mul_lo_u32 v3, s0, v2
	v_mul_hi_u32 v3, v2, v3
	s_lshl_b64 s[0:1], s[30:31], 2
	v_add_u32_e32 v28, v2, v3
	s_add_u32 s0, s28, s0
	v_lshlrev_b32_e32 v2, 4, v6
	s_addc_u32 s1, s29, s1
	v_lshl_or_b32 v2, v23, 6, v2
	v_lshl_add_u64 v[12:13], s[0:1], 0, v[8:9]
	v_add_u32_e32 v29, 0x90, v2
	s_mov_b64 s[2:3], 0
	v_mov_b32_e32 v8, v9
	s_branch .LBB180_50
.LBB180_48:                             ;   in Loop: Header=BB180_50 Depth=1
	s_or_b64 exec, exec, s[0:1]
	v_mul_f32_e32 v16, v2, v16
	v_fmac_f32_e32 v16, v3, v17
	v_fmac_f32_e32 v16, v4, v14
	v_pk_mul_f32 v[2:3], v[2:3], v[20:21]
	v_fmac_f32_e32 v16, v5, v15
	v_pk_mul_f32 v[4:5], v[4:5], v[18:19]
	v_add_f32_e32 v2, v3, v2
	v_add_f32_e32 v2, v4, v2
	;; [unrolled: 1-line block ×5, first 2 shown]
.LBB180_49:                             ;   in Loop: Header=BB180_50 Depth=1
	s_or_b64 exec, exec, s[8:9]
	v_add_u32_e32 v23, 2, v23
	v_cmp_le_i32_e32 vcc, s42, v23
	v_lshl_add_u64 v[12:13], v[12:13], 0, 8
	v_add_u32_e32 v24, 32, v24
	s_or_b64 s[2:3], vcc, s[2:3]
	v_add_u32_e32 v29, 0x80, v29
	s_andn2_b64 exec, exec, s[2:3]
	s_cbranch_execz .LBB180_55
.LBB180_50:                             ; =>This Inner Loop Header: Depth=1
	v_mul_hi_u32 v2, v24, s33
	v_mul_lo_u32 v3, v2, s25
	v_sub_u32_e32 v3, v24, v3
	v_add_u32_e32 v4, 1, v2
	v_cmp_le_u32_e32 vcc, s25, v3
	s_nop 1
	v_cndmask_b32_e32 v2, v2, v4, vcc
	v_subrev_u32_e32 v4, s25, v3
	v_cndmask_b32_e32 v3, v3, v4, vcc
	v_add_u32_e32 v4, 1, v2
	v_cmp_le_u32_e32 vcc, s25, v3
	s_nop 1
	v_cndmask_b32_e32 v2, v2, v4, vcc
	v_xor_b32_e32 v2, s23, v2
	v_subrev_u32_e32 v2, s23, v2
	v_add_u32_e32 v3, s36, v2
	v_sub_u32_e32 v5, 0, v3
	v_ashrrev_i32_e32 v4, 31, v3
	v_max_i32_e32 v3, v3, v5
	v_mul_hi_u32 v5, v3, v28
	v_mul_lo_u32 v5, v5, s19
	v_sub_u32_e32 v3, v3, v5
	v_subrev_u32_e32 v5, s19, v3
	v_cmp_le_u32_e32 vcc, s19, v3
	v_cmp_lt_i32_e64 s[0:1], s18, v2
	s_nop 0
	v_cndmask_b32_e32 v3, v3, v5, vcc
	v_subrev_u32_e32 v5, s19, v3
	v_cmp_le_u32_e32 vcc, s19, v3
	s_nop 1
	v_cndmask_b32_e32 v3, v3, v5, vcc
	v_xor_b32_e32 v3, v3, v4
	v_sub_u32_e32 v3, v3, v4
	v_cmp_eq_u32_e32 vcc, 0, v3
	s_or_b64 s[0:1], vcc, s[0:1]
	s_and_saveexec_b64 s[8:9], s[0:1]
	s_cbranch_execz .LBB180_49
; %bb.51:                               ;   in Loop: Header=BB180_50 Depth=1
	global_load_dword v2, v[12:13], off
	s_load_dword s12, s[14:15], 0x0
	v_add_u32_e32 v30, v27, v24
	v_cmp_eq_u32_e32 vcc, s22, v23
	v_add_u32_e32 v31, 1, v30
	s_waitcnt vmcnt(0)
	v_mad_i64_i32 v[18:19], s[0:1], v2, s21, v[10:11]
	global_load_dword v2, v[18:19], off
	s_waitcnt vmcnt(0)
	v_and_b32_e32 v3, 0xffff, v2
	v_lshrrev_b32_e32 v2, 16, v2
	v_cvt_pk_f32_fp8_e32 v[14:15], v3
	v_cvt_pk_f32_fp8_e32 v[20:21], v2
	ds_read_b128 v[2:5], v29
	s_waitcnt lgkmcnt(0)
	v_pk_mul_f32 v[16:17], v[14:15], s[12:13] op_sel_hi:[1,0]
	v_pk_mul_f32 v[14:15], s[12:13], v[20:21] op_sel_hi:[0,1]
	s_and_saveexec_b64 s[16:17], vcc
	s_cbranch_execz .LBB180_53
; %bb.52:                               ;   in Loop: Header=BB180_50 Depth=1
	v_cmp_gt_i32_e64 s[0:1], s11, v30
	v_add_u32_e32 v20, 2, v30
	s_nop 0
	v_cndmask_b32_e64 v16, 0, v16, s[0:1]
	v_cmp_gt_i32_e64 s[0:1], s11, v31
	s_nop 1
	v_cndmask_b32_e64 v17, 0, v17, s[0:1]
	v_cmp_gt_i32_e64 s[0:1], s11, v20
	v_add_u32_e32 v20, 3, v30
	s_nop 0
	v_cndmask_b32_e64 v14, 0, v14, s[0:1]
	v_cmp_gt_i32_e64 s[0:1], s11, v20
	s_nop 1
	v_cndmask_b32_e64 v15, 0, v15, s[0:1]
.LBB180_53:                             ;   in Loop: Header=BB180_50 Depth=1
	s_or_b64 exec, exec, s[16:17]
	global_load_dword v18, v[18:19], off offset:256
	s_mov_b32 s13, s12
	s_waitcnt vmcnt(0)
	v_and_b32_e32 v19, 0xffff, v18
	v_lshrrev_b32_e32 v20, 16, v18
	v_cvt_pk_f32_fp8_e32 v[18:19], v19
	v_cvt_pk_f32_fp8_e32 v[32:33], v20
	v_pk_mul_f32 v[20:21], s[12:13], v[18:19]
	v_pk_mul_f32 v[18:19], s[12:13], v[32:33]
	s_and_saveexec_b64 s[0:1], vcc
	s_cbranch_execz .LBB180_48
; %bb.54:                               ;   in Loop: Header=BB180_50 Depth=1
	v_cmp_gt_i32_e32 vcc, s34, v31
	v_or_b32_e32 v31, 3, v30
	s_nop 0
	v_cndmask_b32_e32 v21, 0, v21, vcc
	v_cmp_gt_i32_e32 vcc, s11, v30
	v_or_b32_e32 v30, 2, v30
	s_nop 0
	v_cndmask_b32_e32 v20, 0, v20, vcc
	v_cmp_gt_i32_e32 vcc, s34, v31
	s_nop 1
	v_cndmask_b32_e32 v19, 0, v19, vcc
	v_cmp_gt_i32_e32 vcc, s11, v30
	s_nop 1
	v_cndmask_b32_e32 v18, 0, v18, vcc
	s_branch .LBB180_48
.LBB180_55:
	s_or_b64 exec, exec, s[2:3]
.LBB180_56:
	s_or_b64 exec, exec, s[6:7]
	ds_bpermute_b32 v2, v26, v8
	ds_bpermute_b32 v3, v26, v9
	v_and_b32_e32 v4, 0x3c3, v0
	v_cmp_eq_u32_e32 vcc, 64, v4
	s_waitcnt lgkmcnt(0)
	s_barrier
	v_pk_add_f32 v[2:3], v[8:9], v[2:3]
	ds_bpermute_b32 v8, v25, v2
	ds_bpermute_b32 v9, v25, v3
	s_waitcnt lgkmcnt(0)
	v_pk_add_f32 v[2:3], v[2:3], v[8:9]
	s_and_saveexec_b64 s[0:1], vcc
; %bb.57:
	v_add_u32_e32 v5, 0x90, v7
	ds_write2_b32 v5, v2, v3 offset1:16
; %bb.58:
	s_or_b64 exec, exec, s[0:1]
	v_cmp_gt_u32_e32 vcc, 64, v0
	s_waitcnt lgkmcnt(0)
	s_barrier
	s_and_saveexec_b64 s[0:1], vcc
	s_cbranch_execz .LBB180_64
; %bb.59:
	v_mov_b32_e32 v0, 0x90
	v_cmp_eq_u32_e32 vcc, 0, v6
	v_lshl_add_u32 v0, v22, 2, v0
	s_and_saveexec_b64 s[2:3], vcc
	s_cbranch_execz .LBB180_61
; %bb.60:
	ds_read_b32 v5, v0
	s_waitcnt lgkmcnt(0)
	v_add_f32_e32 v2, v2, v5
.LBB180_61:
	s_or_b64 exec, exec, s[2:3]
	s_and_saveexec_b64 s[2:3], vcc
	s_cbranch_execz .LBB180_63
; %bb.62:
	ds_read_b32 v0, v0 offset:64
	s_waitcnt lgkmcnt(0)
	v_add_f32_e32 v3, v3, v0
.LBB180_63:
	s_or_b64 exec, exec, s[2:3]
.LBB180_64:
	s_or_b64 exec, exec, s[0:1]
	v_cmp_eq_u32_e32 vcc, 0, v4
	s_barrier
	s_and_saveexec_b64 s[0:1], vcc
	s_cbranch_execz .LBB180_66
; %bb.65:
	s_mul_i32 s0, s10, s20
	s_mul_i32 s0, s0, s5
	s_lshl_b32 s0, s0, 5
	s_ashr_i32 s1, s0, 31
	s_lshl_b64 s[0:1], s[0:1], 2
	s_add_u32 s2, s26, s0
	s_mul_i32 s0, s20, s24
	s_addc_u32 s3, s27, s1
	s_ashr_i32 s1, s0, 31
	s_lshl_b64 s[0:1], s[0:1], 2
	s_add_u32 s2, s2, s0
	s_addc_u32 s3, s3, s1
	s_lshl_b32 s0, s4, 5
	s_ashr_i32 s1, s0, 31
	s_lshl_b64 s[0:1], s[0:1], 2
	s_add_u32 s0, s2, s0
	s_addc_u32 s1, s3, s1
	global_store_dword v1, v2, s[0:1]
	global_store_dword v1, v3, s[0:1] offset:64
.LBB180_66:
	s_endpgm
	.section	.rodata,"a",@progbits
	.p2align	6, 0x0
	.amdhsa_kernel _ZN4vllm25paged_attention_v1_kernelIfhLi32ELi16ELi128ELNS_18Fp8KVCacheDataTypeE1ELb1EEEvPT_PKS2_PKT0_S8_ifPKiSA_iPKfiiiSC_SC_iiiii
		.amdhsa_group_segment_fixed_size 144
		.amdhsa_private_segment_fixed_size 0
		.amdhsa_kernarg_size 384
		.amdhsa_user_sgpr_count 2
		.amdhsa_user_sgpr_dispatch_ptr 0
		.amdhsa_user_sgpr_queue_ptr 0
		.amdhsa_user_sgpr_kernarg_segment_ptr 1
		.amdhsa_user_sgpr_dispatch_id 0
		.amdhsa_user_sgpr_kernarg_preload_length 0
		.amdhsa_user_sgpr_kernarg_preload_offset 0
		.amdhsa_user_sgpr_private_segment_size 0
		.amdhsa_uses_dynamic_stack 0
		.amdhsa_enable_private_segment 0
		.amdhsa_system_sgpr_workgroup_id_x 1
		.amdhsa_system_sgpr_workgroup_id_y 1
		.amdhsa_system_sgpr_workgroup_id_z 1
		.amdhsa_system_sgpr_workgroup_info 0
		.amdhsa_system_vgpr_workitem_id 0
		.amdhsa_next_free_vgpr 43
		.amdhsa_next_free_sgpr 48
		.amdhsa_accum_offset 44
		.amdhsa_reserve_vcc 1
		.amdhsa_float_round_mode_32 0
		.amdhsa_float_round_mode_16_64 0
		.amdhsa_float_denorm_mode_32 3
		.amdhsa_float_denorm_mode_16_64 3
		.amdhsa_dx10_clamp 1
		.amdhsa_ieee_mode 1
		.amdhsa_fp16_overflow 0
		.amdhsa_tg_split 0
		.amdhsa_exception_fp_ieee_invalid_op 0
		.amdhsa_exception_fp_denorm_src 0
		.amdhsa_exception_fp_ieee_div_zero 0
		.amdhsa_exception_fp_ieee_overflow 0
		.amdhsa_exception_fp_ieee_underflow 0
		.amdhsa_exception_fp_ieee_inexact 0
		.amdhsa_exception_int_div_zero 0
	.end_amdhsa_kernel
	.section	.text._ZN4vllm25paged_attention_v1_kernelIfhLi32ELi16ELi128ELNS_18Fp8KVCacheDataTypeE1ELb1EEEvPT_PKS2_PKT0_S8_ifPKiSA_iPKfiiiSC_SC_iiiii,"axG",@progbits,_ZN4vllm25paged_attention_v1_kernelIfhLi32ELi16ELi128ELNS_18Fp8KVCacheDataTypeE1ELb1EEEvPT_PKS2_PKT0_S8_ifPKiSA_iPKfiiiSC_SC_iiiii,comdat
.Lfunc_end180:
	.size	_ZN4vllm25paged_attention_v1_kernelIfhLi32ELi16ELi128ELNS_18Fp8KVCacheDataTypeE1ELb1EEEvPT_PKS2_PKT0_S8_ifPKiSA_iPKfiiiSC_SC_iiiii, .Lfunc_end180-_ZN4vllm25paged_attention_v1_kernelIfhLi32ELi16ELi128ELNS_18Fp8KVCacheDataTypeE1ELb1EEEvPT_PKS2_PKT0_S8_ifPKiSA_iPKfiiiSC_SC_iiiii
                                        ; -- End function
	.set _ZN4vllm25paged_attention_v1_kernelIfhLi32ELi16ELi128ELNS_18Fp8KVCacheDataTypeE1ELb1EEEvPT_PKS2_PKT0_S8_ifPKiSA_iPKfiiiSC_SC_iiiii.num_vgpr, 43
	.set _ZN4vllm25paged_attention_v1_kernelIfhLi32ELi16ELi128ELNS_18Fp8KVCacheDataTypeE1ELb1EEEvPT_PKS2_PKT0_S8_ifPKiSA_iPKfiiiSC_SC_iiiii.num_agpr, 0
	.set _ZN4vllm25paged_attention_v1_kernelIfhLi32ELi16ELi128ELNS_18Fp8KVCacheDataTypeE1ELb1EEEvPT_PKS2_PKT0_S8_ifPKiSA_iPKfiiiSC_SC_iiiii.numbered_sgpr, 48
	.set _ZN4vllm25paged_attention_v1_kernelIfhLi32ELi16ELi128ELNS_18Fp8KVCacheDataTypeE1ELb1EEEvPT_PKS2_PKT0_S8_ifPKiSA_iPKfiiiSC_SC_iiiii.num_named_barrier, 0
	.set _ZN4vllm25paged_attention_v1_kernelIfhLi32ELi16ELi128ELNS_18Fp8KVCacheDataTypeE1ELb1EEEvPT_PKS2_PKT0_S8_ifPKiSA_iPKfiiiSC_SC_iiiii.private_seg_size, 0
	.set _ZN4vllm25paged_attention_v1_kernelIfhLi32ELi16ELi128ELNS_18Fp8KVCacheDataTypeE1ELb1EEEvPT_PKS2_PKT0_S8_ifPKiSA_iPKfiiiSC_SC_iiiii.uses_vcc, 1
	.set _ZN4vllm25paged_attention_v1_kernelIfhLi32ELi16ELi128ELNS_18Fp8KVCacheDataTypeE1ELb1EEEvPT_PKS2_PKT0_S8_ifPKiSA_iPKfiiiSC_SC_iiiii.uses_flat_scratch, 0
	.set _ZN4vllm25paged_attention_v1_kernelIfhLi32ELi16ELi128ELNS_18Fp8KVCacheDataTypeE1ELb1EEEvPT_PKS2_PKT0_S8_ifPKiSA_iPKfiiiSC_SC_iiiii.has_dyn_sized_stack, 0
	.set _ZN4vllm25paged_attention_v1_kernelIfhLi32ELi16ELi128ELNS_18Fp8KVCacheDataTypeE1ELb1EEEvPT_PKS2_PKT0_S8_ifPKiSA_iPKfiiiSC_SC_iiiii.has_recursion, 0
	.set _ZN4vllm25paged_attention_v1_kernelIfhLi32ELi16ELi128ELNS_18Fp8KVCacheDataTypeE1ELb1EEEvPT_PKS2_PKT0_S8_ifPKiSA_iPKfiiiSC_SC_iiiii.has_indirect_call, 0
	.section	.AMDGPU.csdata,"",@progbits
; Kernel info:
; codeLenInByte = 4116
; TotalNumSgprs: 54
; NumVgprs: 43
; NumAgprs: 0
; TotalNumVgprs: 43
; ScratchSize: 0
; MemoryBound: 0
; FloatMode: 240
; IeeeMode: 1
; LDSByteSize: 144 bytes/workgroup (compile time only)
; SGPRBlocks: 6
; VGPRBlocks: 5
; NumSGPRsForWavesPerEU: 54
; NumVGPRsForWavesPerEU: 43
; AccumOffset: 44
; Occupancy: 8
; WaveLimiterHint : 1
; COMPUTE_PGM_RSRC2:SCRATCH_EN: 0
; COMPUTE_PGM_RSRC2:USER_SGPR: 2
; COMPUTE_PGM_RSRC2:TRAP_HANDLER: 0
; COMPUTE_PGM_RSRC2:TGID_X_EN: 1
; COMPUTE_PGM_RSRC2:TGID_Y_EN: 1
; COMPUTE_PGM_RSRC2:TGID_Z_EN: 1
; COMPUTE_PGM_RSRC2:TIDIG_COMP_CNT: 0
; COMPUTE_PGM_RSRC3_GFX90A:ACCUM_OFFSET: 10
; COMPUTE_PGM_RSRC3_GFX90A:TG_SPLIT: 0
	.section	.text._ZN4vllm25paged_attention_v1_kernelIfhLi64ELi16ELi128ELNS_18Fp8KVCacheDataTypeE1ELb1EEEvPT_PKS2_PKT0_S8_ifPKiSA_iPKfiiiSC_SC_iiiii,"axG",@progbits,_ZN4vllm25paged_attention_v1_kernelIfhLi64ELi16ELi128ELNS_18Fp8KVCacheDataTypeE1ELb1EEEvPT_PKS2_PKT0_S8_ifPKiSA_iPKfiiiSC_SC_iiiii,comdat
	.protected	_ZN4vllm25paged_attention_v1_kernelIfhLi64ELi16ELi128ELNS_18Fp8KVCacheDataTypeE1ELb1EEEvPT_PKS2_PKT0_S8_ifPKiSA_iPKfiiiSC_SC_iiiii ; -- Begin function _ZN4vllm25paged_attention_v1_kernelIfhLi64ELi16ELi128ELNS_18Fp8KVCacheDataTypeE1ELb1EEEvPT_PKS2_PKT0_S8_ifPKiSA_iPKfiiiSC_SC_iiiii
	.globl	_ZN4vllm25paged_attention_v1_kernelIfhLi64ELi16ELi128ELNS_18Fp8KVCacheDataTypeE1ELb1EEEvPT_PKS2_PKT0_S8_ifPKiSA_iPKfiiiSC_SC_iiiii
	.p2align	8
	.type	_ZN4vllm25paged_attention_v1_kernelIfhLi64ELi16ELi128ELNS_18Fp8KVCacheDataTypeE1ELb1EEEvPT_PKS2_PKT0_S8_ifPKiSA_iPKfiiiSC_SC_iiiii,@function
_ZN4vllm25paged_attention_v1_kernelIfhLi64ELi16ELi128ELNS_18Fp8KVCacheDataTypeE1ELb1EEEvPT_PKS2_PKT0_S8_ifPKiSA_iPKfiiiSC_SC_iiiii: ; @_ZN4vllm25paged_attention_v1_kernelIfhLi64ELi16ELi128ELNS_18Fp8KVCacheDataTypeE1ELb1EEEvPT_PKS2_PKT0_S8_ifPKiSA_iPKfiiiSC_SC_iiiii
; %bb.0:
	s_load_dword s5, s[0:1], 0x80
	s_load_dwordx2 s[6:7], s[0:1], 0x30
	s_load_dwordx2 s[38:39], s[0:1], 0x20
	s_mov_b32 s24, s3
	s_ashr_i32 s25, s3, 31
	s_lshl_b64 s[8:9], s[24:25], 2
	s_waitcnt lgkmcnt(0)
	s_add_u32 s6, s6, s8
	s_addc_u32 s7, s7, s9
	s_abs_i32 s3, s38
	v_cvt_f32_u32_e32 v1, s3
	s_sub_i32 s10, 0, s3
	s_abs_i32 s9, s5
	s_xor_b32 s8, s5, s38
	v_rcp_iflag_f32_e32 v1, v1
	s_ashr_i32 s8, s8, 31
	s_mov_b32 s46, 0
	v_mul_f32_e32 v1, 0x4f7ffffe, v1
	v_cvt_u32_f32_e32 v1, v1
	s_nop 0
	v_readfirstlane_b32 s11, v1
	s_mul_i32 s10, s10, s11
	s_mul_hi_u32 s10, s11, s10
	s_add_i32 s11, s11, s10
	s_mul_hi_u32 s10, s9, s11
	s_mul_i32 s11, s10, s3
	s_sub_i32 s9, s9, s11
	s_add_i32 s11, s10, 1
	s_sub_i32 s12, s9, s3
	s_cmp_ge_u32 s9, s3
	s_cselect_b32 s10, s11, s10
	s_cselect_b32 s9, s12, s9
	s_add_i32 s11, s10, 1
	s_cmp_ge_u32 s9, s3
	s_cselect_b32 s3, s11, s10
	s_xor_b32 s3, s3, s8
	s_sub_i32 s14, s3, s8
	s_abs_i32 s10, s14
	v_cvt_f32_u32_e32 v1, s10
	s_load_dwordx2 s[8:9], s[0:1], 0x40
	s_sub_i32 s3, 0, s10
	s_abs_i32 s11, s2
	v_rcp_iflag_f32_e32 v1, v1
	s_nop 0
	v_mul_f32_e32 v1, 0x4f7ffffe, v1
	v_cvt_u32_f32_e32 v1, v1
	s_nop 0
	v_readfirstlane_b32 s12, v1
	s_mul_i32 s3, s3, s12
	s_mul_hi_u32 s3, s12, s3
	s_add_i32 s12, s12, s3
	s_waitcnt lgkmcnt(0)
	s_cmp_eq_u64 s[8:9], 0
	s_mul_hi_u32 s12, s11, s12
	s_cbranch_scc1 .LBB181_2
; %bb.1:
	s_ashr_i32 s3, s2, 31
	s_lshl_b64 s[16:17], s[2:3], 2
	s_add_u32 s8, s8, s16
	s_addc_u32 s9, s9, s17
	s_load_dword s46, s[8:9], 0x0
.LBB181_2:
	s_load_dword s25, s[6:7], 0x0
	s_load_dwordx4 s[16:19], s[0:1], 0x48
	v_lshrrev_b32_e32 v33, 2, v0
	s_ashr_i32 s13, s2, 31
	s_ashr_i32 s14, s14, 31
	v_and_b32_e32 v6, 3, v0
	s_lshl_b32 s26, s2, 6
	v_cmp_gt_u32_e64 s[6:7], 64, v0
	v_lshlrev_b32_e32 v12, 2, v0
	v_lshlrev_b32_e32 v32, 2, v33
	s_and_saveexec_b64 s[8:9], s[6:7]
	s_cbranch_execz .LBB181_4
; %bb.3:
	s_load_dwordx2 s[20:21], s[0:1], 0x8
	s_waitcnt lgkmcnt(0)
	s_mul_i32 s22, s16, s24
	s_ashr_i32 s23, s22, 31
	s_lshl_b64 s[22:23], s[22:23], 2
	v_lshl_add_u32 v2, v6, 6, v32
	s_add_u32 s3, s20, s22
	s_addc_u32 s15, s21, s23
	s_ashr_i32 s27, s26, 31
	s_lshl_b64 s[20:21], s[26:27], 2
	s_add_u32 s20, s3, s20
	s_addc_u32 s21, s15, s21
	global_load_dword v1, v12, s[20:21]
	s_waitcnt vmcnt(0)
	ds_write_b32 v2, v1
.LBB181_4:
	s_or_b64 exec, exec, s[8:9]
	s_mul_i32 s9, s12, s10
	s_sub_i32 s9, s11, s9
	s_xor_b32 s8, s13, s14
	s_add_i32 s11, s12, 1
	s_sub_i32 s13, s9, s10
	s_load_dwordx4 s[20:23], s[0:1], 0x68
	s_load_dword s3, s[0:1], 0x78
	s_cmp_ge_u32 s9, s10
	s_cselect_b32 s11, s11, s12
	s_cselect_b32 s9, s13, s9
	s_add_i32 s12, s11, 1
	s_cmp_ge_u32 s9, s10
	s_cselect_b32 s9, s12, s11
	s_waitcnt lgkmcnt(0)
	s_abs_i32 s27, s23
	v_cvt_f32_u32_e32 v1, s27
	s_xor_b32 s9, s9, s8
	s_sub_i32 s45, s9, s8
	s_sub_i32 s8, 0, s27
	v_rcp_iflag_f32_e32 v1, v1
	s_add_i32 s12, s25, -1
	s_abs_i32 s10, s12
	v_mul_f32_e32 v1, 0x4f7ffffe, v1
	v_cvt_u32_f32_e32 v1, v1
	s_barrier
	v_readfirstlane_b32 s33, v1
	s_mul_i32 s8, s8, s33
	s_mul_hi_u32 s8, s33, s8
	s_add_i32 s33, s33, s8
	s_cmp_lt_i32 s3, 0
	s_mul_hi_u32 s11, s10, s33
	s_cbranch_scc0 .LBB181_6
; %bb.5:
	s_mul_i32 s8, s20, s38
	s_add_i32 s8, s45, s8
	s_mul_i32 s8, s8, s3
	s_sub_i32 s38, 1, s8
	s_mov_b64 s[8:9], 0
	s_branch .LBB181_7
.LBB181_6:
	s_mov_b64 s[8:9], -1
                                        ; implicit-def: $sgpr38
.LBB181_7:
	s_load_dwordx2 s[30:31], s[0:1], 0x28
	s_ashr_i32 s16, s12, 31
	s_andn2_b64 vcc, exec, s[8:9]
	s_ashr_i32 s23, s23, 31
	s_cbranch_vccnz .LBB181_9
; %bb.8:
	s_mul_i32 s8, s5, s20
	s_add_i32 s2, s8, s2
	s_mul_i32 s2, s2, s3
	s_add_i32 s38, s2, 1
.LBB181_9:
	s_load_dword s2, s[0:1], 0x38
	s_load_dwordx2 s[28:29], s[0:1], 0x0
	s_load_dwordx2 s[36:37], s[0:1], 0x18
	s_load_dword s20, s[0:1], 0x88
	s_load_dwordx4 s[12:15], s[0:1], 0x58
	s_mul_i32 s3, s11, s27
	s_waitcnt lgkmcnt(0)
	s_mul_i32 s34, s2, s24
	s_sub_i32 s3, s10, s3
	s_ashr_i32 s35, s34, 31
	s_xor_b32 s2, s16, s23
	s_add_i32 s8, s11, 1
	s_sub_i32 s9, s3, s27
	s_cmp_ge_u32 s3, s27
	s_cselect_b32 s8, s8, s11
	s_cselect_b32 s3, s9, s3
	s_add_i32 s9, s8, 1
	s_cmp_ge_u32 s3, s27
	s_cselect_b32 s3, s9, s8
	s_xor_b32 s3, s3, s2
	s_sub_i32 s16, s3, s2
	s_add_i32 s2, s25, 15
	s_ashr_i32 s3, s2, 31
	s_lshr_b32 s3, s3, 28
	s_add_i32 s2, s2, s3
	s_ashr_i32 s44, s2, 4
	v_lshrrev_b32_e32 v1, 6, v0
	v_cmp_gt_i32_e64 s[2:3], s44, v1
	v_mov_b32_e32 v7, 0xff7fffff
	s_mul_i32 s45, s45, s18
	v_lshrrev_b32_e32 v14, 4, v0
	v_lshlrev_b32_e32 v34, 4, v1
	v_mbcnt_lo_u32_b32 v8, -1, 0
	s_and_saveexec_b64 s[18:19], s[2:3]
	s_cbranch_execz .LBB181_21
; %bb.10:
	s_load_dwordx2 s[0:1], s[0:1], 0x10
	s_sub_i32 s47, s16, s21
	s_ashr_i32 s9, s45, 31
	v_bfe_u32 v9, v0, 2, 4
	v_mov_b32_e32 v5, 0
	s_waitcnt lgkmcnt(0)
	s_add_u32 s8, s0, s45
	s_addc_u32 s9, s1, s9
	s_abs_i32 s48, s22
	v_cvt_f32_u32_e32 v2, s48
	v_lshlrev_b32_e32 v4, 4, v9
	v_mov_b32_e32 v7, v5
	v_mbcnt_hi_u32_b32 v18, -1, v8
	v_rcp_iflag_f32_e32 v2, v2
	v_cmp_eq_u32_e32 vcc, 0, v6
	s_mov_b32 s49, s17
	v_lshlrev_b32_e32 v10, 6, v6
	v_mul_f32_e32 v2, 0x4f7ffffe, v2
	v_cvt_u32_f32_e32 v11, v2
	v_lshl_add_u64 v[2:3], s[8:9], 0, v[4:5]
	s_sub_i32 s8, 0, s48
	v_lshl_add_u64 v[2:3], v[2:3], 0, v[6:7]
	v_subrev_u32_e32 v7, s25, v9
	v_mul_lo_u32 v4, s8, v11
	s_lshl_b64 s[8:9], s[34:35], 2
	v_add_u32_e32 v15, 1, v7
	v_lshlrev_b32_e32 v7, 2, v9
	v_mul_hi_u32 v4, v11, v4
	s_add_u32 s8, s30, s8
	v_lshl_or_b32 v7, v1, 6, v7
	v_add_u32_e32 v11, v11, v4
	v_and_b32_e32 v4, 60, v14
	s_addc_u32 s9, s31, s9
	v_add_u32_e32 v16, 0x110, v7
	v_and_b32_e32 v7, 64, v18
	v_cmp_neq_f32_e64 s[0:1], s46, 0
	v_lshl_add_u64 v[4:5], s[8:9], 0, v[4:5]
	v_lshlrev_b32_e32 v13, 4, v1
	v_mov_b32_e32 v17, 0xff7fffff
	s_mov_b64 s[40:41], 0
	v_add_u32_e32 v19, 64, v7
	v_xor_b32_e32 v20, 2, v18
	v_xor_b32_e32 v21, 1, v18
	v_mov_b32_e32 v7, 0xff7fffff
	v_mov_b32_e32 v22, v1
	s_branch .LBB181_13
.LBB181_11:                             ;   in Loop: Header=BB181_13 Depth=1
	s_or_b64 exec, exec, s[42:43]
.LBB181_12:                             ;   in Loop: Header=BB181_13 Depth=1
	s_or_b64 exec, exec, s[10:11]
	v_add_u32_e32 v22, 2, v22
	v_cmp_le_i32_e64 s[8:9], s44, v22
	v_lshl_add_u64 v[4:5], v[4:5], 0, 8
	v_add_u32_e32 v13, 32, v13
	s_or_b64 s[40:41], s[8:9], s[40:41]
	v_add_u32_e32 v16, 0x80, v16
	s_andn2_b64 exec, exec, s[40:41]
	s_cbranch_execz .LBB181_20
.LBB181_13:                             ; =>This Inner Loop Header: Depth=1
	v_mul_hi_u32 v23, v13, s33
	s_waitcnt lgkmcnt(0)
	v_mul_lo_u32 v24, v23, s27
	v_sub_u32_e32 v24, v13, v24
	v_add_u32_e32 v25, 1, v23
	v_cmp_le_u32_e64 s[8:9], s27, v24
	s_nop 1
	v_cndmask_b32_e64 v23, v23, v25, s[8:9]
	v_subrev_u32_e32 v25, s27, v24
	v_cndmask_b32_e64 v24, v24, v25, s[8:9]
	v_add_u32_e32 v25, 1, v23
	v_cmp_le_u32_e64 s[8:9], s27, v24
	s_nop 1
	v_cndmask_b32_e64 v23, v23, v25, s[8:9]
	v_xor_b32_e32 v23, s23, v23
	v_subrev_u32_e32 v23, s23, v23
	v_add_u32_e32 v24, s38, v23
	v_sub_u32_e32 v26, 0, v24
	v_ashrrev_i32_e32 v25, 31, v24
	v_max_i32_e32 v24, v24, v26
	v_mul_hi_u32 v26, v24, v11
	v_mul_lo_u32 v26, v26, s48
	v_sub_u32_e32 v24, v24, v26
	v_subrev_u32_e32 v26, s48, v24
	v_cmp_le_u32_e64 s[8:9], s48, v24
	v_cmp_ge_i32_e64 s[10:11], s47, v23
	s_nop 0
	v_cndmask_b32_e64 v24, v24, v26, s[8:9]
	v_subrev_u32_e32 v26, s48, v24
	v_cmp_le_u32_e64 s[8:9], s48, v24
	s_nop 1
	v_cndmask_b32_e64 v24, v24, v26, s[8:9]
	v_xor_b32_e32 v24, v24, v25
	v_sub_u32_e32 v24, v24, v25
	v_cmp_ne_u32_e64 s[8:9], 0, v24
	s_and_b64 s[8:9], s[8:9], s[10:11]
	s_and_saveexec_b64 s[10:11], s[8:9]
	s_xor_b64 s[8:9], exec, s[10:11]
	s_cbranch_execz .LBB181_17
; %bb.14:                               ;   in Loop: Header=BB181_13 Depth=1
	s_and_saveexec_b64 s[10:11], vcc
; %bb.15:                               ;   in Loop: Header=BB181_13 Depth=1
	ds_write_b32 v16, v17
; %bb.16:                               ;   in Loop: Header=BB181_13 Depth=1
	s_or_b64 exec, exec, s[10:11]
.LBB181_17:                             ;   in Loop: Header=BB181_13 Depth=1
	s_andn2_saveexec_b64 s[10:11], s[8:9]
	s_cbranch_execz .LBB181_12
; %bb.18:                               ;   in Loop: Header=BB181_13 Depth=1
	global_load_dword v23, v[4:5], off
	s_waitcnt vmcnt(0)
	v_mad_i64_i32 v[24:25], s[8:9], v23, s49, v[2:3]
	global_load_ubyte v23, v[24:25], off
	global_load_ubyte v35, v[24:25], off offset:4
	global_load_ubyte v44, v[24:25], off offset:8
	;; [unrolled: 1-line block ×15, first 2 shown]
	v_cmp_lt_i32_e64 s[8:9], v20, v19
	ds_read_b128 v[24:27], v10
	ds_read_b128 v[28:31], v10 offset:16
	ds_read_b128 v[36:39], v10 offset:32
	;; [unrolled: 1-line block ×3, first 2 shown]
	v_cndmask_b32_e64 v58, v18, v20, s[8:9]
	s_load_dword s8, s[12:13], 0x0
	v_lshlrev_b32_e32 v58, 2, v58
	s_waitcnt vmcnt(15)
	v_cvt_f32_fp8_e32 v23, v23
	s_waitcnt vmcnt(14)
	v_cvt_f32_fp8_e32 v35, v35
	s_waitcnt vmcnt(13)
	v_cvt_f32_fp8_e32 v44, v44
	s_waitcnt vmcnt(12)
	v_cvt_f32_fp8_e32 v45, v45
	s_waitcnt vmcnt(11)
	v_cvt_f32_fp8_e32 v46, v46
	s_waitcnt lgkmcnt(0)
	v_mul_f32_e32 v35, s8, v35
	s_waitcnt vmcnt(10)
	v_cvt_f32_fp8_e32 v47, v47
	v_mul_f32_e32 v23, s8, v23
	v_mul_f32_e32 v25, v25, v35
	s_waitcnt vmcnt(9)
	v_cvt_f32_fp8_e32 v48, v48
	v_mul_f32_e32 v44, s8, v44
	v_fmac_f32_e32 v25, v24, v23
	s_waitcnt vmcnt(8)
	v_cvt_f32_fp8_e32 v49, v49
	v_mul_f32_e32 v45, s8, v45
	v_fmac_f32_e32 v25, v26, v44
	;; [unrolled: 4-line block ×10, first 2 shown]
	v_mul_f32_e32 v54, s8, v54
	v_fmac_f32_e32 v25, v39, v53
	v_mul_f32_e32 v55, s8, v55
	v_fmac_f32_e32 v25, v40, v54
	;; [unrolled: 2-line block ×4, first 2 shown]
	v_fmac_f32_e32 v25, v43, v57
	ds_bpermute_b32 v23, v58, v25
	v_cmp_lt_i32_e64 s[8:9], v21, v19
	s_waitcnt lgkmcnt(0)
	v_add_f32_e32 v23, v25, v23
	v_cndmask_b32_e64 v24, v18, v21, s[8:9]
	v_lshlrev_b32_e32 v24, 2, v24
	ds_bpermute_b32 v24, v24, v23
	s_and_saveexec_b64 s[42:43], vcc
	s_cbranch_execz .LBB181_11
; %bb.19:                               ;   in Loop: Header=BB181_13 Depth=1
	v_add_u32_e32 v25, v15, v13
	v_cvt_f32_i32_e32 v25, v25
	s_waitcnt lgkmcnt(0)
	v_add_f32_e32 v23, v23, v24
	v_add_u32_e32 v26, v9, v13
	v_cmp_gt_i32_e64 s[8:9], s25, v26
	v_mul_f32_e32 v24, s46, v25
	v_cndmask_b32_e64 v24, 0, v24, s[0:1]
	v_fmac_f32_e32 v24, s39, v23
	v_cndmask_b32_e64 v23, 0, v24, s[8:9]
	ds_write_b32 v16, v23
	v_max_f32_e32 v23, v7, v7
	v_max_f32_e32 v23, v23, v24
	v_cndmask_b32_e64 v7, v7, v23, s[8:9]
	s_branch .LBB181_11
.LBB181_20:
	s_or_b64 exec, exec, s[40:41]
.LBB181_21:
	s_or_b64 exec, exec, s[18:19]
	v_mbcnt_hi_u32_b32 v2, -1, v8
	v_and_b32_e32 v13, 64, v2
	v_add_u32_e32 v3, 64, v13
	v_xor_b32_e32 v4, 32, v2
	v_cmp_lt_i32_e32 vcc, v4, v3
	v_xor_b32_e32 v8, 16, v2
	v_xor_b32_e32 v9, 8, v2
	v_cndmask_b32_e32 v4, v2, v4, vcc
	v_lshlrev_b32_e32 v4, 2, v4
	ds_bpermute_b32 v5, v4, v7
	v_max_f32_e32 v7, v7, v7
	v_cmp_lt_i32_e32 vcc, v8, v3
	v_xor_b32_e32 v11, 4, v2
	s_waitcnt lgkmcnt(0)
	v_max_f32_e32 v5, v5, v5
	v_max_f32_e32 v7, v7, v5
	v_cndmask_b32_e32 v5, v2, v8, vcc
	v_lshlrev_b32_e32 v5, 2, v5
	ds_bpermute_b32 v8, v5, v7
	v_cmp_lt_i32_e32 vcc, v9, v3
	s_waitcnt lgkmcnt(0)
	v_max_f32_e32 v8, v8, v8
	v_max_f32_e32 v7, v7, v8
	v_cndmask_b32_e32 v8, v2, v9, vcc
	v_lshlrev_b32_e32 v10, 2, v8
	ds_bpermute_b32 v8, v10, v7
	v_cmp_lt_i32_e32 vcc, v11, v3
	s_waitcnt lgkmcnt(0)
	v_max_f32_e32 v8, v8, v8
	v_max_f32_e32 v9, v7, v8
	v_cndmask_b32_e32 v7, v2, v11, vcc
	v_lshlrev_b32_e32 v11, 2, v7
	ds_bpermute_b32 v15, v11, v9
	v_and_b32_e32 v7, 63, v0
	v_cmp_eq_u32_e32 vcc, 0, v7
	v_lshlrev_b32_e32 v8, 2, v1
	s_and_saveexec_b64 s[0:1], vcc
	s_cbranch_execz .LBB181_23
; %bb.22:
	s_waitcnt lgkmcnt(0)
	v_max_f32_e32 v15, v15, v15
	v_max_f32_e32 v9, v9, v9
	;; [unrolled: 1-line block ×3, first 2 shown]
	ds_write_b32 v8, v9 offset:256
.LBB181_23:
	s_or_b64 exec, exec, s[0:1]
	v_cmp_gt_u32_e64 s[0:1], 2, v7
	s_waitcnt lgkmcnt(0)
	v_mov_b32_e32 v15, 0xff7fffff
	v_lshlrev_b32_e32 v9, 2, v7
	s_barrier
	s_and_saveexec_b64 s[8:9], s[0:1]
; %bb.24:
	ds_read_b32 v15, v9 offset:256
; %bb.25:
	s_or_b64 exec, exec, s[8:9]
	v_xor_b32_e32 v16, 1, v2
	v_cmp_lt_i32_e64 s[8:9], v16, v3
	v_lshlrev_b32_e32 v13, 2, v13
	s_nop 0
	v_cndmask_b32_e64 v16, v2, v16, s[8:9]
	v_lshlrev_b32_e32 v35, 2, v16
	s_waitcnt lgkmcnt(0)
	ds_bpermute_b32 v16, v35, v15
	v_max_f32_e32 v15, v15, v15
	s_lshl_b32 s8, s44, 4
	s_min_i32 s39, s8, s25
	v_cmp_gt_i32_e64 s[8:9], s39, v0
	s_waitcnt lgkmcnt(0)
	v_max_f32_e32 v16, v16, v16
	v_max_f32_e32 v15, v15, v16
	ds_bpermute_b32 v15, v13, v15
	v_mov_b32_e32 v13, 0
	s_and_saveexec_b64 s[12:13], s[8:9]
	s_cbranch_execz .LBB181_29
; %bb.26:
	v_mov_b32_e32 v13, 0x110
	v_lshl_add_u32 v16, v0, 2, v13
	v_mov_b32_e32 v13, 0
	s_mov_b64 s[18:19], 0
	v_mov_b32_e32 v17, v0
.LBB181_27:                             ; =>This Inner Loop Header: Depth=1
	ds_read_b32 v18, v16
	v_add_u32_e32 v17, 0x80, v17
	v_cmp_le_i32_e64 s[10:11], s39, v17
	s_or_b64 s[18:19], s[10:11], s[18:19]
	s_waitcnt lgkmcnt(0)
	v_sub_f32_e32 v18, v18, v15
	v_mul_f32_e32 v18, 0x3fb8aa3b, v18
	v_exp_f32_e32 v18, v18
	ds_write_b32 v16, v18
	v_add_f32_e32 v13, v13, v18
	v_add_u32_e32 v16, 0x200, v16
	s_andn2_b64 exec, exec, s[18:19]
	s_cbranch_execnz .LBB181_27
; %bb.28:
	s_or_b64 exec, exec, s[18:19]
.LBB181_29:
	s_or_b64 exec, exec, s[12:13]
	ds_bpermute_b32 v4, v4, v13
	s_waitcnt lgkmcnt(0)
	v_add_f32_e32 v4, v13, v4
	ds_bpermute_b32 v5, v5, v4
	s_waitcnt lgkmcnt(0)
	v_add_f32_e32 v4, v4, v5
	ds_bpermute_b32 v5, v10, v4
	v_xor_b32_e32 v10, 2, v2
	v_cmp_lt_i32_e64 s[10:11], v10, v3
	s_waitcnt lgkmcnt(0)
	v_add_f32_e32 v4, v4, v5
	ds_bpermute_b32 v5, v11, v4
	v_cndmask_b32_e64 v3, v2, v10, s[10:11]
	v_lshlrev_b32_e32 v36, 2, v3
	s_waitcnt lgkmcnt(0)
	v_add_f32_e32 v4, v4, v5
	ds_bpermute_b32 v3, v36, v4
	s_waitcnt lgkmcnt(0)
	v_add_f32_e32 v3, v4, v3
	ds_bpermute_b32 v4, v35, v3
	s_waitcnt lgkmcnt(0)
	v_add_f32_e32 v3, v3, v4
	s_and_saveexec_b64 s[10:11], vcc
; %bb.30:
	ds_write_b32 v8, v3 offset:264
; %bb.31:
	s_or_b64 exec, exec, s[10:11]
	s_waitcnt lgkmcnt(0)
	s_barrier
	s_and_saveexec_b64 s[10:11], s[0:1]
; %bb.32:
	ds_read_b32 v3, v9 offset:264
; %bb.33:
	s_or_b64 exec, exec, s[10:11]
	s_waitcnt lgkmcnt(0)
	ds_bpermute_b32 v4, v35, v3
	v_lshlrev_b32_e32 v2, 2, v2
	v_and_b32_e32 v2, 0x100, v2
	s_waitcnt lgkmcnt(0)
	v_add_f32_e32 v3, v3, v4
	ds_bpermute_b32 v2, v2, v3
	s_and_saveexec_b64 s[0:1], s[8:9]
	s_cbranch_execz .LBB181_46
; %bb.34:
	s_waitcnt lgkmcnt(0)
	v_add_f32_e32 v2, 0x358637bd, v2
	v_div_scale_f32 v3, s[8:9], v2, v2, 1.0
	v_rcp_f32_e32 v4, v3
	v_div_scale_f32 v5, vcc, 1.0, v2, 1.0
	s_movk_i32 s8, 0x7f
	v_fma_f32 v8, -v3, v4, 1.0
	v_fmac_f32_e32 v4, v8, v4
	v_mul_f32_e32 v8, v5, v4
	v_fma_f32 v9, -v3, v8, v5
	v_fmac_f32_e32 v8, v9, v4
	v_fma_f32 v3, -v3, v8, v5
	v_div_fmas_f32 v3, v3, v4, v8
	v_xad_u32 v4, v0, -1, s39
	v_div_fixup_f32 v2, v3, v2, 1.0
	v_cmp_lt_u32_e32 vcc, s8, v4
	s_mov_b64 s[10:11], -1
	v_mov_b32_e32 v3, v0
	s_and_saveexec_b64 s[8:9], vcc
	s_cbranch_execz .LBB181_43
; %bb.35:
	v_lshrrev_b32_e32 v4, 7, v4
	v_add_u32_e32 v8, -1, v4
	v_lshrrev_b32_e32 v5, 1, v8
	v_mov_b32_e32 v3, v2
	v_add_u32_e32 v5, 1, v5
	v_cmp_lt_u32_e32 vcc, 13, v8
	v_mov_b32_e32 v10, 0
	s_and_saveexec_b64 s[10:11], vcc
	s_cbranch_execz .LBB181_39
; %bb.36:
	v_mov_b32_e32 v9, 0x110
	v_and_b32_e32 v8, -8, v5
	v_lshl_add_u32 v9, v0, 2, v9
	s_mov_b32 s18, 0
	s_mov_b64 s[12:13], 0
.LBB181_37:                             ; =>This Inner Loop Header: Depth=1
	ds_read2st64_b32 v[10:11], v9 offset1:2
	ds_read2st64_b32 v[16:17], v9 offset0:4 offset1:6
	ds_read2st64_b32 v[18:19], v9 offset0:8 offset1:10
	;; [unrolled: 1-line block ×3, first 2 shown]
	v_add_u32_e32 v8, -8, v8
	s_waitcnt lgkmcnt(3)
	v_pk_mul_f32 v[10:11], v[2:3], v[10:11]
	s_waitcnt lgkmcnt(2)
	v_pk_mul_f32 v[16:17], v[2:3], v[16:17]
	ds_write2st64_b32 v9, v10, v11 offset1:2
	ds_write2st64_b32 v9, v16, v17 offset0:4 offset1:6
	ds_read2st64_b32 v[16:17], v9 offset0:16 offset1:18
	s_waitcnt lgkmcnt(4)
	v_pk_mul_f32 v[10:11], v[2:3], v[18:19]
	ds_write2st64_b32 v9, v10, v11 offset0:8 offset1:10
	s_waitcnt lgkmcnt(4)
	v_pk_mul_f32 v[10:11], v[2:3], v[20:21]
	ds_write2st64_b32 v9, v10, v11 offset0:12 offset1:14
	ds_read2st64_b32 v[10:11], v9 offset0:20 offset1:22
	s_waitcnt lgkmcnt(3)
	v_pk_mul_f32 v[16:17], v[2:3], v[16:17]
	ds_read2st64_b32 v[18:19], v9 offset0:24 offset1:26
	ds_write2st64_b32 v9, v16, v17 offset0:16 offset1:18
	ds_read2st64_b32 v[16:17], v9 offset0:28 offset1:30
	s_waitcnt lgkmcnt(3)
	v_pk_mul_f32 v[10:11], v[2:3], v[10:11]
	ds_write2st64_b32 v9, v10, v11 offset0:20 offset1:22
	s_waitcnt lgkmcnt(3)
	v_pk_mul_f32 v[10:11], v[2:3], v[18:19]
	ds_write2st64_b32 v9, v10, v11 offset0:24 offset1:26
	s_waitcnt lgkmcnt(2)
	v_pk_mul_f32 v[10:11], v[2:3], v[16:17]
	s_add_i32 s18, s18, 16
	v_cmp_eq_u32_e32 vcc, 0, v8
	ds_write2st64_b32 v9, v10, v11 offset0:28 offset1:30
	v_add_u32_e32 v9, 0x2000, v9
	s_or_b64 s[12:13], vcc, s[12:13]
	v_mov_b32_e32 v10, s18
	s_andn2_b64 exec, exec, s[12:13]
	s_cbranch_execnz .LBB181_37
; %bb.38:
	s_or_b64 exec, exec, s[12:13]
.LBB181_39:
	s_or_b64 exec, exec, s[10:11]
	v_and_b32_e32 v5, 7, v5
	v_cmp_ne_u32_e32 vcc, 0, v5
	s_and_saveexec_b64 s[10:11], vcc
	s_cbranch_execz .LBB181_42
; %bb.40:
	v_lshlrev_b32_e32 v8, 9, v10
	s_movk_i32 s12, 0x110
	v_add3_u32 v8, v8, v12, s12
	s_mov_b64 s[12:13], 0
.LBB181_41:                             ; =>This Inner Loop Header: Depth=1
	ds_read2st64_b32 v[10:11], v8 offset1:2
	v_add_u32_e32 v5, -1, v5
	v_cmp_eq_u32_e32 vcc, 0, v5
	s_or_b64 s[12:13], vcc, s[12:13]
	s_waitcnt lgkmcnt(0)
	v_pk_mul_f32 v[10:11], v[2:3], v[10:11]
	ds_write2st64_b32 v8, v10, v11 offset1:2
	v_add_u32_e32 v8, 0x400, v8
	s_andn2_b64 exec, exec, s[12:13]
	s_cbranch_execnz .LBB181_41
.LBB181_42:
	s_or_b64 exec, exec, s[10:11]
	v_add_u32_e32 v4, 1, v4
	v_and_b32_e32 v5, 0x3fffffe, v4
	v_cmp_ne_u32_e32 vcc, v4, v5
	v_lshl_add_u32 v3, v5, 7, v0
	s_orn2_b64 s[10:11], vcc, exec
.LBB181_43:
	s_or_b64 exec, exec, s[8:9]
	s_and_b64 exec, exec, s[10:11]
	s_cbranch_execz .LBB181_46
; %bb.44:
	v_mov_b32_e32 v4, 0x110
	v_lshl_add_u32 v4, v3, 2, v4
	s_mov_b64 s[8:9], 0
.LBB181_45:                             ; =>This Inner Loop Header: Depth=1
	ds_read_b32 v5, v4
	v_add_u32_e32 v3, 0x80, v3
	v_cmp_le_i32_e32 vcc, s39, v3
	s_or_b64 s[8:9], vcc, s[8:9]
	s_waitcnt lgkmcnt(0)
	v_mul_f32_e32 v5, v2, v5
	ds_write_b32 v4, v5
	v_add_u32_e32 v4, 0x200, v4
	s_andn2_b64 exec, exec, s[8:9]
	s_cbranch_execnz .LBB181_45
.LBB181_46:
	s_or_b64 exec, exec, s[0:1]
	v_mov_b32_e32 v11, 0
	v_mov_b32_e32 v10, 0
	;; [unrolled: 1-line block ×4, first 2 shown]
	s_waitcnt lgkmcnt(0)
	s_barrier
	s_and_saveexec_b64 s[8:9], s[2:3]
	s_cbranch_execz .LBB181_60
; %bb.47:
	s_sub_i32 s18, s16, s21
	s_ashr_i32 s1, s45, 31
	s_add_u32 s0, s36, s45
	s_addc_u32 s1, s37, s1
	s_abs_i32 s19, s22
	v_cvt_f32_u32_e32 v2, s19
	v_and_b32_e32 v8, 0xfc, v12
	v_mov_b32_e32 v9, 0
	v_and_b32_e32 v37, 12, v12
	v_rcp_iflag_f32_e32 v2, v2
	v_lshl_add_u64 v[12:13], s[0:1], 0, v[8:9]
	s_sub_i32 s0, 0, s19
	s_add_i32 s22, s44, -1
	v_mul_f32_e32 v2, 0x4f7ffffe, v2
	v_cvt_u32_f32_e32 v2, v2
	v_and_b32_e32 v8, 60, v14
	s_mov_b32 s21, s17
	s_mov_b32 s36, s25
	v_mul_lo_u32 v3, s0, v2
	v_mul_hi_u32 v3, v2, v3
	s_lshl_b64 s[0:1], s[34:35], 2
	v_add_u32_e32 v38, v2, v3
	s_add_u32 s0, s30, s0
	v_lshlrev_b32_e32 v2, 4, v6
	s_addc_u32 s1, s31, s1
	v_lshl_or_b32 v2, v1, 6, v2
	v_lshl_add_u64 v[14:15], s[0:1], 0, v[8:9]
	v_add_u32_e32 v39, 0x110, v2
	s_mov_b64 s[2:3], 0
	v_mov_b32_e32 v8, v9
	v_mov_b32_e32 v10, v9
	;; [unrolled: 1-line block ×3, first 2 shown]
	s_branch .LBB181_50
.LBB181_48:                             ;   in Loop: Header=BB181_50 Depth=1
	s_or_b64 exec, exec, s[0:1]
	v_mul_f32_e32 v28, v2, v28
	v_mul_f32_e32 v24, v2, v24
	;; [unrolled: 1-line block ×3, first 2 shown]
	v_fmac_f32_e32 v28, v3, v29
	v_fmac_f32_e32 v24, v3, v25
	;; [unrolled: 1-line block ×6, first 2 shown]
	v_pk_mul_f32 v[2:3], v[2:3], v[30:31]
	v_fmac_f32_e32 v28, v5, v27
	v_fmac_f32_e32 v24, v5, v23
	;; [unrolled: 1-line block ×3, first 2 shown]
	v_pk_mul_f32 v[4:5], v[4:5], v[20:21]
	v_add_f32_e32 v2, v3, v2
	v_add_f32_e32 v2, v4, v2
	;; [unrolled: 1-line block ×7, first 2 shown]
.LBB181_49:                             ;   in Loop: Header=BB181_50 Depth=1
	s_or_b64 exec, exec, s[10:11]
	v_add_u32_e32 v1, 2, v1
	v_cmp_le_i32_e32 vcc, s44, v1
	v_lshl_add_u64 v[14:15], v[14:15], 0, 8
	v_add_u32_e32 v34, 32, v34
	s_or_b64 s[2:3], vcc, s[2:3]
	v_add_u32_e32 v39, 0x80, v39
	s_andn2_b64 exec, exec, s[2:3]
	s_cbranch_execz .LBB181_59
.LBB181_50:                             ; =>This Inner Loop Header: Depth=1
	v_mul_hi_u32 v2, v34, s33
	v_mul_lo_u32 v3, v2, s27
	v_sub_u32_e32 v3, v34, v3
	v_add_u32_e32 v4, 1, v2
	v_cmp_le_u32_e32 vcc, s27, v3
	s_nop 1
	v_cndmask_b32_e32 v2, v2, v4, vcc
	v_subrev_u32_e32 v4, s27, v3
	v_cndmask_b32_e32 v3, v3, v4, vcc
	v_add_u32_e32 v4, 1, v2
	v_cmp_le_u32_e32 vcc, s27, v3
	s_nop 1
	v_cndmask_b32_e32 v2, v2, v4, vcc
	v_xor_b32_e32 v2, s23, v2
	v_subrev_u32_e32 v2, s23, v2
	v_add_u32_e32 v3, s38, v2
	v_sub_u32_e32 v5, 0, v3
	v_ashrrev_i32_e32 v4, 31, v3
	v_max_i32_e32 v3, v3, v5
	v_mul_hi_u32 v5, v3, v38
	v_mul_lo_u32 v5, v5, s19
	v_sub_u32_e32 v3, v3, v5
	v_subrev_u32_e32 v5, s19, v3
	v_cmp_le_u32_e32 vcc, s19, v3
	v_cmp_lt_i32_e64 s[0:1], s18, v2
	s_nop 0
	v_cndmask_b32_e32 v3, v3, v5, vcc
	v_subrev_u32_e32 v5, s19, v3
	v_cmp_le_u32_e32 vcc, s19, v3
	s_nop 1
	v_cndmask_b32_e32 v3, v3, v5, vcc
	v_xor_b32_e32 v3, v3, v4
	v_sub_u32_e32 v3, v3, v4
	v_cmp_eq_u32_e32 vcc, 0, v3
	s_or_b64 s[0:1], vcc, s[0:1]
	s_and_saveexec_b64 s[10:11], s[0:1]
	s_cbranch_execz .LBB181_49
; %bb.51:                               ;   in Loop: Header=BB181_50 Depth=1
	global_load_dword v2, v[14:15], off
	s_load_dword s12, s[14:15], 0x0
	v_add_u32_e32 v40, v37, v34
	v_cmp_eq_u32_e32 vcc, s22, v1
	v_add_u32_e32 v41, 1, v40
	v_add_u32_e32 v30, 2, v40
	;; [unrolled: 1-line block ×3, first 2 shown]
	s_waitcnt vmcnt(0)
	v_mad_i64_i32 v[20:21], s[0:1], v2, s21, v[12:13]
	global_load_dword v16, v[20:21], off
	ds_read_b128 v[2:5], v39
	s_waitcnt vmcnt(0)
	v_and_b32_e32 v17, 0xffff, v16
	v_lshrrev_b32_e32 v18, 16, v16
	v_cvt_pk_f32_fp8_e32 v[16:17], v17
	v_cvt_pk_f32_fp8_e32 v[22:23], v18
	s_waitcnt lgkmcnt(0)
	v_pk_mul_f32 v[18:19], v[16:17], s[12:13] op_sel_hi:[1,0]
	v_pk_mul_f32 v[16:17], s[12:13], v[22:23] op_sel_hi:[0,1]
	s_and_saveexec_b64 s[16:17], vcc
; %bb.52:                               ;   in Loop: Header=BB181_50 Depth=1
	v_cmp_gt_i32_e64 s[0:1], s25, v40
	s_nop 1
	v_cndmask_b32_e64 v18, 0, v18, s[0:1]
	v_cmp_gt_i32_e64 s[0:1], s25, v41
	s_nop 1
	v_cndmask_b32_e64 v19, 0, v19, s[0:1]
	v_cmp_gt_i32_e64 s[0:1], s25, v30
	s_nop 1
	v_cndmask_b32_e64 v16, 0, v16, s[0:1]
	v_cmp_gt_i32_e64 s[0:1], s25, v31
	s_nop 1
	v_cndmask_b32_e64 v17, 0, v17, s[0:1]
; %bb.53:                               ;   in Loop: Header=BB181_50 Depth=1
	s_or_b64 exec, exec, s[16:17]
	global_load_dword v22, v[20:21], off offset:256
	s_mov_b32 s13, s12
	s_waitcnt vmcnt(0)
	v_and_b32_e32 v23, 0xffff, v22
	v_lshrrev_b32_e32 v24, 16, v22
	v_cvt_pk_f32_fp8_e32 v[22:23], v23
	v_cvt_pk_f32_fp8_e32 v[26:27], v24
	v_pk_mul_f32 v[24:25], s[12:13], v[22:23]
	v_pk_mul_f32 v[22:23], s[12:13], v[26:27]
	s_and_saveexec_b64 s[16:17], vcc
; %bb.54:                               ;   in Loop: Header=BB181_50 Depth=1
	v_cmp_gt_i32_e64 s[0:1], s25, v40
	s_nop 1
	v_cndmask_b32_e64 v24, 0, v24, s[0:1]
	v_cmp_gt_i32_e64 s[0:1], s25, v41
	s_nop 1
	v_cndmask_b32_e64 v25, 0, v25, s[0:1]
	;; [unrolled: 3-line block ×4, first 2 shown]
; %bb.55:                               ;   in Loop: Header=BB181_50 Depth=1
	s_or_b64 exec, exec, s[16:17]
	global_load_dword v26, v[20:21], off offset:512
	s_waitcnt vmcnt(0)
	v_and_b32_e32 v27, 0xffff, v26
	v_lshrrev_b32_e32 v28, 16, v26
	v_cvt_pk_f32_fp8_e32 v[26:27], v27
	v_cvt_pk_f32_fp8_e32 v[42:43], v28
	v_pk_mul_f32 v[28:29], s[12:13], v[26:27]
	v_pk_mul_f32 v[26:27], s[12:13], v[42:43]
	s_and_saveexec_b64 s[16:17], vcc
; %bb.56:                               ;   in Loop: Header=BB181_50 Depth=1
	v_cmp_gt_i32_e64 s[0:1], s25, v40
	s_nop 1
	v_cndmask_b32_e64 v28, 0, v28, s[0:1]
	v_cmp_gt_i32_e64 s[0:1], s25, v41
	s_nop 1
	v_cndmask_b32_e64 v29, 0, v29, s[0:1]
	;; [unrolled: 3-line block ×4, first 2 shown]
; %bb.57:                               ;   in Loop: Header=BB181_50 Depth=1
	s_or_b64 exec, exec, s[16:17]
	global_load_dword v20, v[20:21], off offset:768
	s_waitcnt vmcnt(0)
	v_and_b32_e32 v21, 0xffff, v20
	v_lshrrev_b32_e32 v30, 16, v20
	v_cvt_pk_f32_fp8_e32 v[20:21], v21
	v_cvt_pk_f32_fp8_e32 v[42:43], v30
	v_pk_mul_f32 v[30:31], s[12:13], v[20:21]
	v_pk_mul_f32 v[20:21], s[12:13], v[42:43]
	s_and_saveexec_b64 s[0:1], vcc
	s_cbranch_execz .LBB181_48
; %bb.58:                               ;   in Loop: Header=BB181_50 Depth=1
	v_cmp_gt_i32_e32 vcc, s36, v41
	v_or_b32_e32 v41, 3, v40
	s_nop 0
	v_cndmask_b32_e32 v31, 0, v31, vcc
	v_cmp_gt_i32_e32 vcc, s25, v40
	v_or_b32_e32 v40, 2, v40
	s_nop 0
	v_cndmask_b32_e32 v30, 0, v30, vcc
	v_cmp_gt_i32_e32 vcc, s36, v41
	s_nop 1
	v_cndmask_b32_e32 v21, 0, v21, vcc
	v_cmp_gt_i32_e32 vcc, s25, v40
	s_nop 1
	v_cndmask_b32_e32 v20, 0, v20, vcc
	s_branch .LBB181_48
.LBB181_59:
	s_or_b64 exec, exec, s[2:3]
.LBB181_60:
	s_or_b64 exec, exec, s[8:9]
	ds_bpermute_b32 v2, v36, v8
	ds_bpermute_b32 v3, v36, v9
	ds_bpermute_b32 v4, v36, v10
	ds_bpermute_b32 v5, v36, v11
	s_waitcnt lgkmcnt(0)
	s_barrier
	v_pk_add_f32 v[2:3], v[8:9], v[2:3]
	ds_bpermute_b32 v12, v35, v2
	ds_bpermute_b32 v13, v35, v3
	v_pk_add_f32 v[4:5], v[10:11], v[4:5]
	ds_bpermute_b32 v8, v35, v4
	ds_bpermute_b32 v9, v35, v5
	v_and_b32_e32 v10, 0x3c3, v0
	s_waitcnt lgkmcnt(2)
	v_pk_add_f32 v[2:3], v[2:3], v[12:13]
	v_cmp_ne_u32_e32 vcc, 64, v10
	s_waitcnt lgkmcnt(0)
	s_and_saveexec_b64 s[0:1], vcc
	s_xor_b64 s[0:1], exec, s[0:1]
; %bb.61:
                                        ; implicit-def: $vgpr7
; %bb.62:
	s_or_saveexec_b64 s[0:1], s[0:1]
	v_pk_add_f32 v[0:1], v[4:5], v[8:9]
	s_xor_b64 exec, exec, s[0:1]
	s_cbranch_execz .LBB181_64
; %bb.63:
	v_add_u32_e32 v4, 0x110, v7
	ds_write2_b32 v4, v2, v3 offset1:16
	ds_write2_b32 v4, v0, v1 offset0:32 offset1:48
.LBB181_64:
	s_or_b64 exec, exec, s[0:1]
	s_waitcnt lgkmcnt(0)
	s_barrier
	s_and_saveexec_b64 s[0:1], s[6:7]
	s_cbranch_execz .LBB181_71
; %bb.65:
	v_mov_b32_e32 v4, 0x110
	v_cmp_eq_u32_e32 vcc, 0, v6
	v_lshl_add_u32 v4, v33, 2, v4
	s_and_saveexec_b64 s[2:3], vcc
	s_cbranch_execnz .LBB181_74
; %bb.66:
	s_or_b64 exec, exec, s[2:3]
	s_and_saveexec_b64 s[2:3], vcc
	s_cbranch_execnz .LBB181_75
.LBB181_67:
	s_or_b64 exec, exec, s[2:3]
	s_and_saveexec_b64 s[2:3], vcc
	s_cbranch_execnz .LBB181_76
.LBB181_68:
	s_or_b64 exec, exec, s[2:3]
	s_and_saveexec_b64 s[2:3], vcc
	s_cbranch_execz .LBB181_70
.LBB181_69:
	ds_read_b32 v4, v4 offset:192
	s_waitcnt lgkmcnt(0)
	v_add_f32_e32 v1, v1, v4
.LBB181_70:
	s_or_b64 exec, exec, s[2:3]
.LBB181_71:
	s_or_b64 exec, exec, s[0:1]
	v_cmp_eq_u32_e32 vcc, 0, v10
	s_barrier
	s_and_saveexec_b64 s[0:1], vcc
	s_cbranch_execz .LBB181_73
; %bb.72:
	s_mul_i32 s0, s24, s20
	s_mul_i32 s0, s0, s5
	s_lshl_b32 s0, s0, 6
	s_ashr_i32 s1, s0, 31
	s_lshl_b64 s[0:1], s[0:1], 2
	s_add_u32 s2, s28, s0
	s_mul_i32 s0, s20, s26
	s_addc_u32 s3, s29, s1
	s_ashr_i32 s1, s0, 31
	s_lshl_b64 s[0:1], s[0:1], 2
	s_add_u32 s2, s2, s0
	s_addc_u32 s3, s3, s1
	s_lshl_b32 s0, s4, 6
	s_ashr_i32 s1, s0, 31
	s_lshl_b64 s[0:1], s[0:1], 2
	s_add_u32 s0, s2, s0
	s_addc_u32 s1, s3, s1
	global_store_dword v32, v2, s[0:1]
	global_store_dword v32, v3, s[0:1] offset:64
	global_store_dword v32, v0, s[0:1] offset:128
	;; [unrolled: 1-line block ×3, first 2 shown]
.LBB181_73:
	s_endpgm
.LBB181_74:
	ds_read_b32 v5, v4
	s_waitcnt lgkmcnt(0)
	v_add_f32_e32 v2, v2, v5
	s_or_b64 exec, exec, s[2:3]
	s_and_saveexec_b64 s[2:3], vcc
	s_cbranch_execz .LBB181_67
.LBB181_75:
	ds_read_b32 v5, v4 offset:64
	s_waitcnt lgkmcnt(0)
	v_add_f32_e32 v3, v3, v5
	s_or_b64 exec, exec, s[2:3]
	s_and_saveexec_b64 s[2:3], vcc
	s_cbranch_execz .LBB181_68
.LBB181_76:
	ds_read_b32 v5, v4 offset:128
	s_waitcnt lgkmcnt(0)
	v_add_f32_e32 v0, v0, v5
	s_or_b64 exec, exec, s[2:3]
	s_and_saveexec_b64 s[2:3], vcc
	s_cbranch_execnz .LBB181_69
	s_branch .LBB181_70
	.section	.rodata,"a",@progbits
	.p2align	6, 0x0
	.amdhsa_kernel _ZN4vllm25paged_attention_v1_kernelIfhLi64ELi16ELi128ELNS_18Fp8KVCacheDataTypeE1ELb1EEEvPT_PKS2_PKT0_S8_ifPKiSA_iPKfiiiSC_SC_iiiii
		.amdhsa_group_segment_fixed_size 272
		.amdhsa_private_segment_fixed_size 0
		.amdhsa_kernarg_size 384
		.amdhsa_user_sgpr_count 2
		.amdhsa_user_sgpr_dispatch_ptr 0
		.amdhsa_user_sgpr_queue_ptr 0
		.amdhsa_user_sgpr_kernarg_segment_ptr 1
		.amdhsa_user_sgpr_dispatch_id 0
		.amdhsa_user_sgpr_kernarg_preload_length 0
		.amdhsa_user_sgpr_kernarg_preload_offset 0
		.amdhsa_user_sgpr_private_segment_size 0
		.amdhsa_uses_dynamic_stack 0
		.amdhsa_enable_private_segment 0
		.amdhsa_system_sgpr_workgroup_id_x 1
		.amdhsa_system_sgpr_workgroup_id_y 1
		.amdhsa_system_sgpr_workgroup_id_z 1
		.amdhsa_system_sgpr_workgroup_info 0
		.amdhsa_system_vgpr_workitem_id 0
		.amdhsa_next_free_vgpr 59
		.amdhsa_next_free_sgpr 50
		.amdhsa_accum_offset 60
		.amdhsa_reserve_vcc 1
		.amdhsa_float_round_mode_32 0
		.amdhsa_float_round_mode_16_64 0
		.amdhsa_float_denorm_mode_32 3
		.amdhsa_float_denorm_mode_16_64 3
		.amdhsa_dx10_clamp 1
		.amdhsa_ieee_mode 1
		.amdhsa_fp16_overflow 0
		.amdhsa_tg_split 0
		.amdhsa_exception_fp_ieee_invalid_op 0
		.amdhsa_exception_fp_denorm_src 0
		.amdhsa_exception_fp_ieee_div_zero 0
		.amdhsa_exception_fp_ieee_overflow 0
		.amdhsa_exception_fp_ieee_underflow 0
		.amdhsa_exception_fp_ieee_inexact 0
		.amdhsa_exception_int_div_zero 0
	.end_amdhsa_kernel
	.section	.text._ZN4vllm25paged_attention_v1_kernelIfhLi64ELi16ELi128ELNS_18Fp8KVCacheDataTypeE1ELb1EEEvPT_PKS2_PKT0_S8_ifPKiSA_iPKfiiiSC_SC_iiiii,"axG",@progbits,_ZN4vllm25paged_attention_v1_kernelIfhLi64ELi16ELi128ELNS_18Fp8KVCacheDataTypeE1ELb1EEEvPT_PKS2_PKT0_S8_ifPKiSA_iPKfiiiSC_SC_iiiii,comdat
.Lfunc_end181:
	.size	_ZN4vllm25paged_attention_v1_kernelIfhLi64ELi16ELi128ELNS_18Fp8KVCacheDataTypeE1ELb1EEEvPT_PKS2_PKT0_S8_ifPKiSA_iPKfiiiSC_SC_iiiii, .Lfunc_end181-_ZN4vllm25paged_attention_v1_kernelIfhLi64ELi16ELi128ELNS_18Fp8KVCacheDataTypeE1ELb1EEEvPT_PKS2_PKT0_S8_ifPKiSA_iPKfiiiSC_SC_iiiii
                                        ; -- End function
	.set _ZN4vllm25paged_attention_v1_kernelIfhLi64ELi16ELi128ELNS_18Fp8KVCacheDataTypeE1ELb1EEEvPT_PKS2_PKT0_S8_ifPKiSA_iPKfiiiSC_SC_iiiii.num_vgpr, 59
	.set _ZN4vllm25paged_attention_v1_kernelIfhLi64ELi16ELi128ELNS_18Fp8KVCacheDataTypeE1ELb1EEEvPT_PKS2_PKT0_S8_ifPKiSA_iPKfiiiSC_SC_iiiii.num_agpr, 0
	.set _ZN4vllm25paged_attention_v1_kernelIfhLi64ELi16ELi128ELNS_18Fp8KVCacheDataTypeE1ELb1EEEvPT_PKS2_PKT0_S8_ifPKiSA_iPKfiiiSC_SC_iiiii.numbered_sgpr, 50
	.set _ZN4vllm25paged_attention_v1_kernelIfhLi64ELi16ELi128ELNS_18Fp8KVCacheDataTypeE1ELb1EEEvPT_PKS2_PKT0_S8_ifPKiSA_iPKfiiiSC_SC_iiiii.num_named_barrier, 0
	.set _ZN4vllm25paged_attention_v1_kernelIfhLi64ELi16ELi128ELNS_18Fp8KVCacheDataTypeE1ELb1EEEvPT_PKS2_PKT0_S8_ifPKiSA_iPKfiiiSC_SC_iiiii.private_seg_size, 0
	.set _ZN4vllm25paged_attention_v1_kernelIfhLi64ELi16ELi128ELNS_18Fp8KVCacheDataTypeE1ELb1EEEvPT_PKS2_PKT0_S8_ifPKiSA_iPKfiiiSC_SC_iiiii.uses_vcc, 1
	.set _ZN4vllm25paged_attention_v1_kernelIfhLi64ELi16ELi128ELNS_18Fp8KVCacheDataTypeE1ELb1EEEvPT_PKS2_PKT0_S8_ifPKiSA_iPKfiiiSC_SC_iiiii.uses_flat_scratch, 0
	.set _ZN4vllm25paged_attention_v1_kernelIfhLi64ELi16ELi128ELNS_18Fp8KVCacheDataTypeE1ELb1EEEvPT_PKS2_PKT0_S8_ifPKiSA_iPKfiiiSC_SC_iiiii.has_dyn_sized_stack, 0
	.set _ZN4vllm25paged_attention_v1_kernelIfhLi64ELi16ELi128ELNS_18Fp8KVCacheDataTypeE1ELb1EEEvPT_PKS2_PKT0_S8_ifPKiSA_iPKfiiiSC_SC_iiiii.has_recursion, 0
	.set _ZN4vllm25paged_attention_v1_kernelIfhLi64ELi16ELi128ELNS_18Fp8KVCacheDataTypeE1ELb1EEEvPT_PKS2_PKT0_S8_ifPKiSA_iPKfiiiSC_SC_iiiii.has_indirect_call, 0
	.section	.AMDGPU.csdata,"",@progbits
; Kernel info:
; codeLenInByte = 4836
; TotalNumSgprs: 56
; NumVgprs: 59
; NumAgprs: 0
; TotalNumVgprs: 59
; ScratchSize: 0
; MemoryBound: 0
; FloatMode: 240
; IeeeMode: 1
; LDSByteSize: 272 bytes/workgroup (compile time only)
; SGPRBlocks: 6
; VGPRBlocks: 7
; NumSGPRsForWavesPerEU: 56
; NumVGPRsForWavesPerEU: 59
; AccumOffset: 60
; Occupancy: 8
; WaveLimiterHint : 1
; COMPUTE_PGM_RSRC2:SCRATCH_EN: 0
; COMPUTE_PGM_RSRC2:USER_SGPR: 2
; COMPUTE_PGM_RSRC2:TRAP_HANDLER: 0
; COMPUTE_PGM_RSRC2:TGID_X_EN: 1
; COMPUTE_PGM_RSRC2:TGID_Y_EN: 1
; COMPUTE_PGM_RSRC2:TGID_Z_EN: 1
; COMPUTE_PGM_RSRC2:TIDIG_COMP_CNT: 0
; COMPUTE_PGM_RSRC3_GFX90A:ACCUM_OFFSET: 14
; COMPUTE_PGM_RSRC3_GFX90A:TG_SPLIT: 0
	.section	.text._ZN4vllm25paged_attention_v1_kernelIfhLi80ELi16ELi128ELNS_18Fp8KVCacheDataTypeE1ELb1EEEvPT_PKS2_PKT0_S8_ifPKiSA_iPKfiiiSC_SC_iiiii,"axG",@progbits,_ZN4vllm25paged_attention_v1_kernelIfhLi80ELi16ELi128ELNS_18Fp8KVCacheDataTypeE1ELb1EEEvPT_PKS2_PKT0_S8_ifPKiSA_iPKfiiiSC_SC_iiiii,comdat
	.protected	_ZN4vllm25paged_attention_v1_kernelIfhLi80ELi16ELi128ELNS_18Fp8KVCacheDataTypeE1ELb1EEEvPT_PKS2_PKT0_S8_ifPKiSA_iPKfiiiSC_SC_iiiii ; -- Begin function _ZN4vllm25paged_attention_v1_kernelIfhLi80ELi16ELi128ELNS_18Fp8KVCacheDataTypeE1ELb1EEEvPT_PKS2_PKT0_S8_ifPKiSA_iPKfiiiSC_SC_iiiii
	.globl	_ZN4vllm25paged_attention_v1_kernelIfhLi80ELi16ELi128ELNS_18Fp8KVCacheDataTypeE1ELb1EEEvPT_PKS2_PKT0_S8_ifPKiSA_iPKfiiiSC_SC_iiiii
	.p2align	8
	.type	_ZN4vllm25paged_attention_v1_kernelIfhLi80ELi16ELi128ELNS_18Fp8KVCacheDataTypeE1ELb1EEEvPT_PKS2_PKT0_S8_ifPKiSA_iPKfiiiSC_SC_iiiii,@function
_ZN4vllm25paged_attention_v1_kernelIfhLi80ELi16ELi128ELNS_18Fp8KVCacheDataTypeE1ELb1EEEvPT_PKS2_PKT0_S8_ifPKiSA_iPKfiiiSC_SC_iiiii: ; @_ZN4vllm25paged_attention_v1_kernelIfhLi80ELi16ELi128ELNS_18Fp8KVCacheDataTypeE1ELb1EEEvPT_PKS2_PKT0_S8_ifPKiSA_iPKfiiiSC_SC_iiiii
; %bb.0:
	s_load_dword s5, s[0:1], 0x80
	s_load_dwordx2 s[6:7], s[0:1], 0x30
	s_load_dwordx2 s[36:37], s[0:1], 0x20
	s_mov_b32 s10, s3
	s_ashr_i32 s11, s3, 31
	s_lshl_b64 s[8:9], s[10:11], 2
	s_waitcnt lgkmcnt(0)
	s_add_u32 s6, s6, s8
	s_addc_u32 s7, s7, s9
	s_abs_i32 s3, s36
	v_cvt_f32_u32_e32 v1, s3
	s_sub_i32 s11, 0, s3
	s_abs_i32 s9, s5
	s_xor_b32 s8, s5, s36
	v_rcp_iflag_f32_e32 v1, v1
	s_ashr_i32 s8, s8, 31
	s_mov_b32 s44, 0
	v_mul_f32_e32 v1, 0x4f7ffffe, v1
	v_cvt_u32_f32_e32 v1, v1
	s_nop 0
	v_readfirstlane_b32 s12, v1
	s_mul_i32 s11, s11, s12
	s_mul_hi_u32 s11, s12, s11
	s_add_i32 s12, s12, s11
	s_mul_hi_u32 s11, s9, s12
	s_mul_i32 s12, s11, s3
	s_sub_i32 s9, s9, s12
	s_add_i32 s12, s11, 1
	s_sub_i32 s13, s9, s3
	s_cmp_ge_u32 s9, s3
	s_cselect_b32 s11, s12, s11
	s_cselect_b32 s9, s13, s9
	s_add_i32 s12, s11, 1
	s_cmp_ge_u32 s9, s3
	s_cselect_b32 s3, s12, s11
	s_xor_b32 s3, s3, s8
	s_sub_i32 s14, s3, s8
	s_abs_i32 s11, s14
	v_cvt_f32_u32_e32 v1, s11
	s_load_dwordx2 s[8:9], s[0:1], 0x40
	s_sub_i32 s3, 0, s11
	s_abs_i32 s12, s2
	v_rcp_iflag_f32_e32 v1, v1
	s_nop 0
	v_mul_f32_e32 v1, 0x4f7ffffe, v1
	v_cvt_u32_f32_e32 v1, v1
	s_nop 0
	v_readfirstlane_b32 s13, v1
	s_mul_i32 s3, s3, s13
	s_mul_hi_u32 s3, s13, s3
	s_add_i32 s13, s13, s3
	s_waitcnt lgkmcnt(0)
	s_cmp_eq_u64 s[8:9], 0
	s_mul_hi_u32 s13, s12, s13
	s_cbranch_scc1 .LBB182_2
; %bb.1:
	s_ashr_i32 s3, s2, 31
	s_lshl_b64 s[16:17], s[2:3], 2
	s_add_u32 s8, s8, s16
	s_addc_u32 s9, s9, s17
	s_load_dword s44, s[8:9], 0x0
.LBB182_2:
	s_load_dword s33, s[6:7], 0x0
	s_load_dwordx4 s[16:19], s[0:1], 0x48
	v_lshrrev_b32_e32 v38, 2, v0
	s_movk_i32 s3, 0x50
	s_ashr_i32 s8, s2, 31
	s_ashr_i32 s9, s14, 31
	v_and_b32_e32 v6, 3, v0
	s_mul_i32 s24, s2, 0x50
	v_cmp_gt_u32_e32 vcc, s3, v0
	v_lshlrev_b32_e32 v8, 2, v0
	v_lshlrev_b32_e32 v1, 2, v38
	s_and_saveexec_b64 s[6:7], vcc
	s_cbranch_execz .LBB182_4
; %bb.3:
	s_load_dwordx2 s[14:15], s[0:1], 0x8
	s_waitcnt lgkmcnt(0)
	s_mul_i32 s20, s16, s10
	s_ashr_i32 s21, s20, 31
	s_lshl_b64 s[20:21], s[20:21], 2
	v_mad_u32_u24 v3, v6, s3, v1
	s_add_u32 s16, s14, s20
	s_addc_u32 s19, s15, s21
	s_ashr_i32 s25, s24, 31
	s_lshl_b64 s[14:15], s[24:25], 2
	s_add_u32 s14, s16, s14
	s_addc_u32 s15, s19, s15
	global_load_dword v2, v8, s[14:15]
	s_waitcnt vmcnt(0)
	ds_write_b32 v3, v2
.LBB182_4:
	s_or_b64 exec, exec, s[6:7]
	s_mul_i32 s7, s13, s11
	s_sub_i32 s7, s12, s7
	s_xor_b32 s6, s8, s9
	s_add_i32 s8, s13, 1
	s_sub_i32 s9, s7, s11
	s_load_dwordx4 s[20:23], s[0:1], 0x68
	s_load_dword s3, s[0:1], 0x78
	s_cmp_ge_u32 s7, s11
	s_cselect_b32 s8, s8, s13
	s_cselect_b32 s7, s9, s7
	s_add_i32 s9, s8, 1
	s_cmp_ge_u32 s7, s11
	s_cselect_b32 s7, s9, s8
	s_waitcnt lgkmcnt(0)
	s_abs_i32 s25, s23
	v_cvt_f32_u32_e32 v2, s25
	s_xor_b32 s7, s7, s6
	s_sub_i32 s43, s7, s6
	s_sub_i32 s6, 0, s25
	v_rcp_iflag_f32_e32 v2, v2
	s_add_i32 s11, s33, -1
	s_abs_i32 s8, s11
	v_mul_f32_e32 v2, 0x4f7ffffe, v2
	v_cvt_u32_f32_e32 v2, v2
	s_barrier
	v_readfirstlane_b32 s42, v2
	s_mul_i32 s6, s6, s42
	s_mul_hi_u32 s6, s42, s6
	s_add_i32 s42, s42, s6
	s_cmp_lt_i32 s3, 0
	s_mul_hi_u32 s9, s8, s42
	s_cbranch_scc0 .LBB182_6
; %bb.5:
	s_mul_i32 s6, s20, s36
	s_add_i32 s6, s43, s6
	s_mul_i32 s6, s6, s3
	s_sub_i32 s36, 1, s6
	s_mov_b64 s[6:7], 0
	s_branch .LBB182_7
.LBB182_6:
	s_mov_b64 s[6:7], -1
                                        ; implicit-def: $sgpr36
.LBB182_7:
	s_load_dwordx2 s[28:29], s[0:1], 0x28
	s_ashr_i32 s16, s11, 31
	s_andn2_b64 vcc, exec, s[6:7]
	s_ashr_i32 s23, s23, 31
	s_cbranch_vccnz .LBB182_9
; %bb.8:
	s_mul_i32 s6, s5, s20
	s_add_i32 s2, s6, s2
	s_mul_i32 s2, s2, s3
	s_add_i32 s36, s2, 1
.LBB182_9:
	s_load_dword s2, s[0:1], 0x38
	s_load_dwordx2 s[26:27], s[0:1], 0x0
	s_load_dwordx2 s[34:35], s[0:1], 0x18
	s_load_dword s11, s[0:1], 0x88
	s_load_dwordx4 s[12:15], s[0:1], 0x58
	s_mul_i32 s3, s9, s25
	s_waitcnt lgkmcnt(0)
	s_mul_i32 s30, s2, s10
	s_sub_i32 s3, s8, s3
	s_ashr_i32 s31, s30, 31
	s_xor_b32 s2, s16, s23
	s_add_i32 s6, s9, 1
	s_sub_i32 s7, s3, s25
	s_cmp_ge_u32 s3, s25
	s_cselect_b32 s6, s6, s9
	s_cselect_b32 s3, s7, s3
	s_add_i32 s7, s6, 1
	s_cmp_ge_u32 s3, s25
	s_cselect_b32 s3, s7, s6
	s_xor_b32 s3, s3, s2
	s_sub_i32 s16, s3, s2
	s_add_i32 s2, s33, 15
	s_ashr_i32 s3, s2, 31
	s_lshr_b32 s3, s3, 28
	s_add_i32 s2, s2, s3
	s_ashr_i32 s20, s2, 4
	v_lshrrev_b32_e32 v39, 6, v0
	v_cmp_gt_i32_e64 s[6:7], s20, v39
	v_mov_b32_e32 v7, 0xff7fffff
	s_mul_i32 s43, s43, s18
	v_lshrrev_b32_e32 v16, 4, v0
	v_lshlrev_b32_e32 v40, 4, v39
	v_mbcnt_lo_u32_b32 v9, -1, 0
	s_and_saveexec_b64 s[18:19], s[6:7]
	s_cbranch_execz .LBB182_21
; %bb.10:
	s_load_dwordx2 s[0:1], s[0:1], 0x10
	s_sub_i32 s45, s16, s21
	s_ashr_i32 s2, s43, 31
	v_bfe_u32 v10, v0, 2, 4
	v_mov_b32_e32 v5, 0
	s_waitcnt lgkmcnt(0)
	s_add_u32 s0, s0, s43
	s_addc_u32 s1, s1, s2
	s_abs_i32 s46, s22
	v_cvt_f32_u32_e32 v2, s46
	v_lshlrev_b32_e32 v4, 4, v10
	v_mov_b32_e32 v7, v5
	v_mbcnt_hi_u32_b32 v18, -1, v9
	v_rcp_iflag_f32_e32 v2, v2
	v_cmp_eq_u32_e32 vcc, 0, v6
	s_mov_b32 s47, s17
	v_mul_u32_u24_e32 v11, 0x50, v6
	v_mul_f32_e32 v2, 0x4f7ffffe, v2
	v_cvt_u32_f32_e32 v12, v2
	v_lshl_add_u64 v[2:3], s[0:1], 0, v[4:5]
	s_sub_i32 s0, 0, s46
	v_lshl_add_u64 v[2:3], v[2:3], 0, v[6:7]
	v_subrev_u32_e32 v7, s33, v10
	v_mul_lo_u32 v4, s0, v12
	s_lshl_b64 s[0:1], s[30:31], 2
	v_add_u32_e32 v14, 1, v7
	v_lshlrev_b32_e32 v7, 2, v10
	v_mul_hi_u32 v4, v12, v4
	s_add_u32 s0, s28, s0
	v_lshl_or_b32 v7, v39, 6, v7
	v_add_u32_e32 v12, v12, v4
	v_and_b32_e32 v4, 60, v16
	s_addc_u32 s1, s29, s1
	v_add_u32_e32 v15, 0x150, v7
	v_and_b32_e32 v7, 64, v18
	v_cmp_neq_f32_e64 s[2:3], s44, 0
	v_lshl_add_u64 v[4:5], s[0:1], 0, v[4:5]
	v_lshlrev_b32_e32 v13, 4, v39
	v_mov_b32_e32 v17, 0xff7fffff
	s_mov_b64 s[38:39], 0
	v_add_u32_e32 v19, 64, v7
	v_xor_b32_e32 v20, 2, v18
	v_xor_b32_e32 v21, 1, v18
	v_mov_b32_e32 v7, 0xff7fffff
	v_mov_b32_e32 v22, v39
	s_branch .LBB182_13
.LBB182_11:                             ;   in Loop: Header=BB182_13 Depth=1
	s_or_b64 exec, exec, s[40:41]
.LBB182_12:                             ;   in Loop: Header=BB182_13 Depth=1
	s_or_b64 exec, exec, s[8:9]
	v_add_u32_e32 v22, 2, v22
	v_cmp_le_i32_e64 s[0:1], s20, v22
	v_lshl_add_u64 v[4:5], v[4:5], 0, 8
	v_add_u32_e32 v13, 32, v13
	s_or_b64 s[38:39], s[0:1], s[38:39]
	v_add_u32_e32 v15, 0x80, v15
	s_andn2_b64 exec, exec, s[38:39]
	s_cbranch_execz .LBB182_20
.LBB182_13:                             ; =>This Inner Loop Header: Depth=1
	v_mul_hi_u32 v23, v13, s42
	s_waitcnt lgkmcnt(0)
	v_mul_lo_u32 v24, v23, s25
	v_sub_u32_e32 v24, v13, v24
	v_add_u32_e32 v25, 1, v23
	v_cmp_le_u32_e64 s[0:1], s25, v24
	s_nop 1
	v_cndmask_b32_e64 v23, v23, v25, s[0:1]
	v_subrev_u32_e32 v25, s25, v24
	v_cndmask_b32_e64 v24, v24, v25, s[0:1]
	v_add_u32_e32 v25, 1, v23
	v_cmp_le_u32_e64 s[0:1], s25, v24
	s_nop 1
	v_cndmask_b32_e64 v23, v23, v25, s[0:1]
	v_xor_b32_e32 v23, s23, v23
	v_subrev_u32_e32 v23, s23, v23
	v_add_u32_e32 v24, s36, v23
	v_sub_u32_e32 v26, 0, v24
	v_ashrrev_i32_e32 v25, 31, v24
	v_max_i32_e32 v24, v24, v26
	v_mul_hi_u32 v26, v24, v12
	v_mul_lo_u32 v26, v26, s46
	v_sub_u32_e32 v24, v24, v26
	v_subrev_u32_e32 v26, s46, v24
	v_cmp_le_u32_e64 s[0:1], s46, v24
	v_cmp_ge_i32_e64 s[8:9], s45, v23
	s_nop 0
	v_cndmask_b32_e64 v24, v24, v26, s[0:1]
	v_subrev_u32_e32 v26, s46, v24
	v_cmp_le_u32_e64 s[0:1], s46, v24
	s_nop 1
	v_cndmask_b32_e64 v24, v24, v26, s[0:1]
	v_xor_b32_e32 v24, v24, v25
	v_sub_u32_e32 v24, v24, v25
	v_cmp_ne_u32_e64 s[0:1], 0, v24
	s_and_b64 s[0:1], s[0:1], s[8:9]
	s_and_saveexec_b64 s[8:9], s[0:1]
	s_xor_b64 s[0:1], exec, s[8:9]
	s_cbranch_execz .LBB182_17
; %bb.14:                               ;   in Loop: Header=BB182_13 Depth=1
	s_and_saveexec_b64 s[8:9], vcc
; %bb.15:                               ;   in Loop: Header=BB182_13 Depth=1
	ds_write_b32 v15, v17
; %bb.16:                               ;   in Loop: Header=BB182_13 Depth=1
	s_or_b64 exec, exec, s[8:9]
.LBB182_17:                             ;   in Loop: Header=BB182_13 Depth=1
	s_andn2_saveexec_b64 s[8:9], s[0:1]
	s_cbranch_execz .LBB182_12
; %bb.18:                               ;   in Loop: Header=BB182_13 Depth=1
	global_load_dword v23, v[4:5], off
	s_waitcnt vmcnt(0)
	v_mad_i64_i32 v[24:25], s[0:1], v23, s47, v[2:3]
	global_load_ubyte v23, v[24:25], off
	global_load_ubyte v36, v[24:25], off offset:4
	global_load_ubyte v37, v[24:25], off offset:8
	;; [unrolled: 1-line block ×19, first 2 shown]
	v_cmp_lt_i32_e64 s[0:1], v20, v19
	ds_read_b128 v[24:27], v11
	ds_read_b128 v[28:31], v11 offset:16
	ds_read_b128 v[32:35], v11 offset:32
	;; [unrolled: 1-line block ×4, first 2 shown]
	v_cndmask_b32_e64 v66, v18, v20, s[0:1]
	s_load_dword s0, s[12:13], 0x0
	v_lshlrev_b32_e32 v66, 2, v66
	s_waitcnt vmcnt(19)
	v_cvt_f32_fp8_e32 v23, v23
	s_waitcnt vmcnt(18)
	v_cvt_f32_fp8_e32 v36, v36
	;; [unrolled: 2-line block ×5, first 2 shown]
	s_waitcnt lgkmcnt(0)
	v_mul_f32_e32 v36, s0, v36
	s_waitcnt vmcnt(14)
	v_cvt_f32_fp8_e32 v51, v51
	v_mul_f32_e32 v23, s0, v23
	v_mul_f32_e32 v25, v25, v36
	s_waitcnt vmcnt(13)
	v_cvt_f32_fp8_e32 v52, v52
	v_mul_f32_e32 v37, s0, v37
	v_fmac_f32_e32 v25, v24, v23
	s_waitcnt vmcnt(12)
	v_cvt_f32_fp8_e32 v53, v53
	v_mul_f32_e32 v41, s0, v41
	v_fmac_f32_e32 v25, v26, v37
	s_waitcnt vmcnt(11)
	v_cvt_f32_fp8_e32 v54, v54
	v_mul_f32_e32 v50, s0, v50
	v_fmac_f32_e32 v25, v27, v41
	s_waitcnt vmcnt(10)
	v_cvt_f32_fp8_e32 v55, v55
	v_mul_f32_e32 v51, s0, v51
	v_fmac_f32_e32 v25, v28, v50
	s_waitcnt vmcnt(9)
	v_cvt_f32_fp8_e32 v56, v56
	v_mul_f32_e32 v52, s0, v52
	v_fmac_f32_e32 v25, v29, v51
	s_waitcnt vmcnt(8)
	v_cvt_f32_fp8_e32 v57, v57
	v_mul_f32_e32 v53, s0, v53
	v_fmac_f32_e32 v25, v30, v52
	s_waitcnt vmcnt(7)
	v_cvt_f32_fp8_e32 v58, v58
	v_mul_f32_e32 v54, s0, v54
	v_fmac_f32_e32 v25, v31, v53
	s_waitcnt vmcnt(6)
	v_cvt_f32_fp8_e32 v59, v59
	v_mul_f32_e32 v55, s0, v55
	v_fmac_f32_e32 v25, v32, v54
	s_waitcnt vmcnt(5)
	v_cvt_f32_fp8_e32 v60, v60
	v_mul_f32_e32 v56, s0, v56
	v_fmac_f32_e32 v25, v33, v55
	s_waitcnt vmcnt(4)
	v_cvt_f32_fp8_e32 v61, v61
	v_mul_f32_e32 v57, s0, v57
	v_fmac_f32_e32 v25, v34, v56
	s_waitcnt vmcnt(3)
	v_cvt_f32_fp8_e32 v62, v62
	v_mul_f32_e32 v58, s0, v58
	v_fmac_f32_e32 v25, v35, v57
	s_waitcnt vmcnt(2)
	v_cvt_f32_fp8_e32 v63, v63
	v_mul_f32_e32 v59, s0, v59
	v_fmac_f32_e32 v25, v42, v58
	s_waitcnt vmcnt(1)
	v_cvt_f32_fp8_e32 v64, v64
	v_mul_f32_e32 v60, s0, v60
	v_fmac_f32_e32 v25, v43, v59
	s_waitcnt vmcnt(0)
	v_cvt_f32_fp8_e32 v65, v65
	v_mul_f32_e32 v61, s0, v61
	v_fmac_f32_e32 v25, v44, v60
	v_mul_f32_e32 v62, s0, v62
	v_fmac_f32_e32 v25, v45, v61
	v_mul_f32_e32 v63, s0, v63
	v_fmac_f32_e32 v25, v46, v62
	;; [unrolled: 2-line block ×4, first 2 shown]
	v_fmac_f32_e32 v25, v49, v65
	ds_bpermute_b32 v23, v66, v25
	v_cmp_lt_i32_e64 s[0:1], v21, v19
	s_waitcnt lgkmcnt(0)
	v_add_f32_e32 v23, v25, v23
	v_cndmask_b32_e64 v24, v18, v21, s[0:1]
	v_lshlrev_b32_e32 v24, 2, v24
	ds_bpermute_b32 v24, v24, v23
	s_and_saveexec_b64 s[40:41], vcc
	s_cbranch_execz .LBB182_11
; %bb.19:                               ;   in Loop: Header=BB182_13 Depth=1
	v_add_u32_e32 v25, v14, v13
	v_cvt_f32_i32_e32 v25, v25
	s_waitcnt lgkmcnt(0)
	v_add_f32_e32 v23, v23, v24
	v_add_u32_e32 v26, v10, v13
	v_cmp_gt_i32_e64 s[0:1], s33, v26
	v_mul_f32_e32 v24, s44, v25
	v_cndmask_b32_e64 v24, 0, v24, s[2:3]
	v_fmac_f32_e32 v24, s37, v23
	v_cndmask_b32_e64 v23, 0, v24, s[0:1]
	ds_write_b32 v15, v23
	v_max_f32_e32 v23, v7, v7
	v_max_f32_e32 v23, v23, v24
	v_cndmask_b32_e64 v7, v7, v23, s[0:1]
	s_branch .LBB182_11
.LBB182_20:
	s_or_b64 exec, exec, s[38:39]
.LBB182_21:
	s_or_b64 exec, exec, s[18:19]
	v_mbcnt_hi_u32_b32 v2, -1, v9
	v_and_b32_e32 v13, 64, v2
	v_add_u32_e32 v3, 64, v13
	v_xor_b32_e32 v4, 32, v2
	v_cmp_lt_i32_e32 vcc, v4, v3
	v_xor_b32_e32 v9, 16, v2
	v_xor_b32_e32 v10, 8, v2
	v_cndmask_b32_e32 v4, v2, v4, vcc
	v_lshlrev_b32_e32 v4, 2, v4
	ds_bpermute_b32 v5, v4, v7
	v_max_f32_e32 v7, v7, v7
	v_cmp_lt_i32_e32 vcc, v9, v3
	v_xor_b32_e32 v12, 4, v2
	s_waitcnt lgkmcnt(0)
	v_max_f32_e32 v5, v5, v5
	v_max_f32_e32 v7, v7, v5
	v_cndmask_b32_e32 v5, v2, v9, vcc
	v_lshlrev_b32_e32 v5, 2, v5
	ds_bpermute_b32 v9, v5, v7
	v_cmp_lt_i32_e32 vcc, v10, v3
	s_waitcnt lgkmcnt(0)
	v_max_f32_e32 v9, v9, v9
	v_max_f32_e32 v7, v7, v9
	v_cndmask_b32_e32 v9, v2, v10, vcc
	v_lshlrev_b32_e32 v11, 2, v9
	ds_bpermute_b32 v9, v11, v7
	v_cmp_lt_i32_e32 vcc, v12, v3
	s_waitcnt lgkmcnt(0)
	v_max_f32_e32 v9, v9, v9
	v_max_f32_e32 v10, v7, v9
	v_cndmask_b32_e32 v7, v2, v12, vcc
	v_lshlrev_b32_e32 v12, 2, v7
	ds_bpermute_b32 v14, v12, v10
	v_and_b32_e32 v7, 63, v0
	v_cmp_eq_u32_e32 vcc, 0, v7
	v_lshlrev_b32_e32 v9, 2, v39
	s_and_saveexec_b64 s[0:1], vcc
	s_cbranch_execz .LBB182_23
; %bb.22:
	s_waitcnt lgkmcnt(0)
	v_max_f32_e32 v14, v14, v14
	v_max_f32_e32 v10, v10, v10
	;; [unrolled: 1-line block ×3, first 2 shown]
	ds_write_b32 v9, v10 offset:320
.LBB182_23:
	s_or_b64 exec, exec, s[0:1]
	v_cmp_gt_u32_e64 s[0:1], 2, v7
	s_waitcnt lgkmcnt(0)
	v_mov_b32_e32 v14, 0xff7fffff
	v_lshlrev_b32_e32 v10, 2, v7
	s_barrier
	s_and_saveexec_b64 s[2:3], s[0:1]
; %bb.24:
	ds_read_b32 v14, v10 offset:320
; %bb.25:
	s_or_b64 exec, exec, s[2:3]
	v_xor_b32_e32 v15, 1, v2
	v_cmp_lt_i32_e64 s[2:3], v15, v3
	v_lshlrev_b32_e32 v13, 2, v13
	s_nop 0
	v_cndmask_b32_e64 v15, v2, v15, s[2:3]
	v_lshlrev_b32_e32 v41, 2, v15
	s_waitcnt lgkmcnt(0)
	ds_bpermute_b32 v15, v41, v14
	v_max_f32_e32 v14, v14, v14
	s_lshl_b32 s2, s20, 4
	s_min_i32 s37, s2, s33
	v_cmp_gt_i32_e64 s[2:3], s37, v0
	s_waitcnt lgkmcnt(0)
	v_max_f32_e32 v15, v15, v15
	v_max_f32_e32 v14, v14, v15
	ds_bpermute_b32 v14, v13, v14
	v_mov_b32_e32 v13, 0
	s_and_saveexec_b64 s[12:13], s[2:3]
	s_cbranch_execz .LBB182_29
; %bb.26:
	v_mov_b32_e32 v13, 0x150
	v_lshl_add_u32 v15, v0, 2, v13
	v_mov_b32_e32 v13, 0
	s_mov_b64 s[18:19], 0
	v_mov_b32_e32 v17, v0
.LBB182_27:                             ; =>This Inner Loop Header: Depth=1
	ds_read_b32 v18, v15
	v_add_u32_e32 v17, 0x80, v17
	v_cmp_le_i32_e64 s[8:9], s37, v17
	s_or_b64 s[18:19], s[8:9], s[18:19]
	s_waitcnt lgkmcnt(0)
	v_sub_f32_e32 v18, v18, v14
	v_mul_f32_e32 v18, 0x3fb8aa3b, v18
	v_exp_f32_e32 v18, v18
	ds_write_b32 v15, v18
	v_add_f32_e32 v13, v13, v18
	v_add_u32_e32 v15, 0x200, v15
	s_andn2_b64 exec, exec, s[18:19]
	s_cbranch_execnz .LBB182_27
; %bb.28:
	s_or_b64 exec, exec, s[18:19]
.LBB182_29:
	s_or_b64 exec, exec, s[12:13]
	ds_bpermute_b32 v4, v4, v13
	s_waitcnt lgkmcnt(0)
	v_add_f32_e32 v4, v13, v4
	ds_bpermute_b32 v5, v5, v4
	s_waitcnt lgkmcnt(0)
	v_add_f32_e32 v4, v4, v5
	ds_bpermute_b32 v5, v11, v4
	v_xor_b32_e32 v11, 2, v2
	v_cmp_lt_i32_e64 s[8:9], v11, v3
	s_waitcnt lgkmcnt(0)
	v_add_f32_e32 v4, v4, v5
	ds_bpermute_b32 v5, v12, v4
	v_cndmask_b32_e64 v3, v2, v11, s[8:9]
	v_lshlrev_b32_e32 v42, 2, v3
	s_waitcnt lgkmcnt(0)
	v_add_f32_e32 v4, v4, v5
	ds_bpermute_b32 v3, v42, v4
	s_waitcnt lgkmcnt(0)
	v_add_f32_e32 v3, v4, v3
	ds_bpermute_b32 v4, v41, v3
	s_waitcnt lgkmcnt(0)
	v_add_f32_e32 v3, v3, v4
	s_and_saveexec_b64 s[8:9], vcc
; %bb.30:
	ds_write_b32 v9, v3 offset:328
; %bb.31:
	s_or_b64 exec, exec, s[8:9]
	s_waitcnt lgkmcnt(0)
	s_barrier
	s_and_saveexec_b64 s[8:9], s[0:1]
; %bb.32:
	ds_read_b32 v3, v10 offset:328
; %bb.33:
	s_or_b64 exec, exec, s[8:9]
	s_waitcnt lgkmcnt(0)
	ds_bpermute_b32 v4, v41, v3
	v_lshlrev_b32_e32 v2, 2, v2
	v_and_b32_e32 v2, 0x100, v2
	s_waitcnt lgkmcnt(0)
	v_add_f32_e32 v3, v3, v4
	ds_bpermute_b32 v2, v2, v3
	s_and_saveexec_b64 s[0:1], s[2:3]
	s_cbranch_execz .LBB182_46
; %bb.34:
	s_waitcnt lgkmcnt(0)
	v_add_f32_e32 v2, 0x358637bd, v2
	v_div_scale_f32 v3, s[2:3], v2, v2, 1.0
	v_rcp_f32_e32 v4, v3
	v_div_scale_f32 v5, vcc, 1.0, v2, 1.0
	s_movk_i32 s2, 0x7f
	v_fma_f32 v9, -v3, v4, 1.0
	v_fmac_f32_e32 v4, v9, v4
	v_mul_f32_e32 v9, v5, v4
	v_fma_f32 v10, -v3, v9, v5
	v_fmac_f32_e32 v9, v10, v4
	v_fma_f32 v3, -v3, v9, v5
	v_div_fmas_f32 v3, v3, v4, v9
	v_xad_u32 v4, v0, -1, s37
	v_div_fixup_f32 v2, v3, v2, 1.0
	v_cmp_lt_u32_e32 vcc, s2, v4
	s_mov_b64 s[8:9], -1
	v_mov_b32_e32 v3, v0
	s_and_saveexec_b64 s[2:3], vcc
	s_cbranch_execz .LBB182_43
; %bb.35:
	v_lshrrev_b32_e32 v4, 7, v4
	v_add_u32_e32 v9, -1, v4
	v_lshrrev_b32_e32 v5, 1, v9
	v_mov_b32_e32 v3, v2
	v_add_u32_e32 v5, 1, v5
	v_cmp_lt_u32_e32 vcc, 13, v9
	v_mov_b32_e32 v11, 0
	s_and_saveexec_b64 s[8:9], vcc
	s_cbranch_execz .LBB182_39
; %bb.36:
	v_mov_b32_e32 v10, 0x150
	v_and_b32_e32 v9, -8, v5
	v_lshl_add_u32 v10, v0, 2, v10
	s_mov_b32 s18, 0
	s_mov_b64 s[12:13], 0
.LBB182_37:                             ; =>This Inner Loop Header: Depth=1
	ds_read2st64_b32 v[12:13], v10 offset1:2
	ds_read2st64_b32 v[14:15], v10 offset0:4 offset1:6
	ds_read2st64_b32 v[18:19], v10 offset0:8 offset1:10
	ds_read2st64_b32 v[20:21], v10 offset0:12 offset1:14
	v_add_u32_e32 v9, -8, v9
	s_waitcnt lgkmcnt(3)
	v_pk_mul_f32 v[12:13], v[2:3], v[12:13]
	s_waitcnt lgkmcnt(2)
	v_pk_mul_f32 v[14:15], v[2:3], v[14:15]
	ds_write2st64_b32 v10, v12, v13 offset1:2
	ds_write2st64_b32 v10, v14, v15 offset0:4 offset1:6
	ds_read2st64_b32 v[14:15], v10 offset0:16 offset1:18
	s_waitcnt lgkmcnt(4)
	v_pk_mul_f32 v[12:13], v[2:3], v[18:19]
	ds_write2st64_b32 v10, v12, v13 offset0:8 offset1:10
	s_waitcnt lgkmcnt(4)
	v_pk_mul_f32 v[12:13], v[2:3], v[20:21]
	ds_write2st64_b32 v10, v12, v13 offset0:12 offset1:14
	ds_read2st64_b32 v[12:13], v10 offset0:20 offset1:22
	s_waitcnt lgkmcnt(3)
	v_pk_mul_f32 v[14:15], v[2:3], v[14:15]
	ds_read2st64_b32 v[18:19], v10 offset0:24 offset1:26
	ds_write2st64_b32 v10, v14, v15 offset0:16 offset1:18
	ds_read2st64_b32 v[14:15], v10 offset0:28 offset1:30
	s_waitcnt lgkmcnt(3)
	v_pk_mul_f32 v[12:13], v[2:3], v[12:13]
	ds_write2st64_b32 v10, v12, v13 offset0:20 offset1:22
	s_waitcnt lgkmcnt(3)
	v_pk_mul_f32 v[12:13], v[2:3], v[18:19]
	ds_write2st64_b32 v10, v12, v13 offset0:24 offset1:26
	s_waitcnt lgkmcnt(2)
	v_pk_mul_f32 v[12:13], v[2:3], v[14:15]
	s_add_i32 s18, s18, 16
	v_cmp_eq_u32_e32 vcc, 0, v9
	ds_write2st64_b32 v10, v12, v13 offset0:28 offset1:30
	v_add_u32_e32 v10, 0x2000, v10
	s_or_b64 s[12:13], vcc, s[12:13]
	v_mov_b32_e32 v11, s18
	s_andn2_b64 exec, exec, s[12:13]
	s_cbranch_execnz .LBB182_37
; %bb.38:
	s_or_b64 exec, exec, s[12:13]
.LBB182_39:
	s_or_b64 exec, exec, s[8:9]
	v_and_b32_e32 v5, 7, v5
	v_cmp_ne_u32_e32 vcc, 0, v5
	s_and_saveexec_b64 s[8:9], vcc
	s_cbranch_execz .LBB182_42
; %bb.40:
	v_lshlrev_b32_e32 v9, 9, v11
	s_movk_i32 s12, 0x150
	v_add3_u32 v9, v9, v8, s12
	s_mov_b64 s[12:13], 0
.LBB182_41:                             ; =>This Inner Loop Header: Depth=1
	ds_read2st64_b32 v[10:11], v9 offset1:2
	v_add_u32_e32 v5, -1, v5
	v_cmp_eq_u32_e32 vcc, 0, v5
	s_or_b64 s[12:13], vcc, s[12:13]
	s_waitcnt lgkmcnt(0)
	v_pk_mul_f32 v[10:11], v[2:3], v[10:11]
	ds_write2st64_b32 v9, v10, v11 offset1:2
	v_add_u32_e32 v9, 0x400, v9
	s_andn2_b64 exec, exec, s[12:13]
	s_cbranch_execnz .LBB182_41
.LBB182_42:
	s_or_b64 exec, exec, s[8:9]
	v_add_u32_e32 v4, 1, v4
	v_and_b32_e32 v5, 0x3fffffe, v4
	v_cmp_ne_u32_e32 vcc, v4, v5
	v_lshl_add_u32 v3, v5, 7, v0
	s_orn2_b64 s[8:9], vcc, exec
.LBB182_43:
	s_or_b64 exec, exec, s[2:3]
	s_and_b64 exec, exec, s[8:9]
	s_cbranch_execz .LBB182_46
; %bb.44:
	v_mov_b32_e32 v4, 0x150
	v_lshl_add_u32 v4, v3, 2, v4
	s_mov_b64 s[2:3], 0
.LBB182_45:                             ; =>This Inner Loop Header: Depth=1
	ds_read_b32 v5, v4
	v_add_u32_e32 v3, 0x80, v3
	v_cmp_le_i32_e32 vcc, s37, v3
	s_or_b64 s[2:3], vcc, s[2:3]
	s_waitcnt lgkmcnt(0)
	v_mul_f32_e32 v5, v2, v5
	ds_write_b32 v4, v5
	v_add_u32_e32 v4, 0x200, v4
	s_andn2_b64 exec, exec, s[2:3]
	s_cbranch_execnz .LBB182_45
.LBB182_46:
	s_or_b64 exec, exec, s[0:1]
	v_mov_b32_e32 v11, 0
	v_mov_b32_e32 v10, 0
	v_mov_b32_e32 v13, 0
	v_mov_b32_e32 v12, 0
	v_mov_b32_e32 v9, 0
	s_waitcnt lgkmcnt(0)
	s_barrier
	s_and_saveexec_b64 s[2:3], s[6:7]
	s_cbranch_execz .LBB182_62
; %bb.47:
	s_sub_i32 s18, s16, s21
	s_ashr_i32 s1, s43, 31
	s_add_u32 s0, s34, s43
	s_addc_u32 s1, s35, s1
	s_abs_i32 s19, s22
	v_cvt_f32_u32_e32 v2, s19
	v_and_b32_e32 v43, 12, v8
	v_and_b32_e32 v8, 0xfc, v8
	v_mov_b32_e32 v9, 0
	v_rcp_iflag_f32_e32 v2, v2
	v_lshl_add_u64 v[14:15], s[0:1], 0, v[8:9]
	s_sub_i32 s0, 0, s19
	s_add_i32 s22, s20, -1
	v_mul_f32_e32 v2, 0x4f7ffffe, v2
	v_cvt_u32_f32_e32 v2, v2
	v_and_b32_e32 v8, 60, v16
	s_mov_b32 s21, s17
	s_mov_b32 s34, s33
	v_mul_lo_u32 v3, s0, v2
	v_mul_hi_u32 v3, v2, v3
	s_lshl_b64 s[0:1], s[30:31], 2
	v_add_u32_e32 v44, v2, v3
	s_add_u32 s0, s28, s0
	v_lshlrev_b32_e32 v2, 4, v6
	s_addc_u32 s1, s29, s1
	v_lshl_or_b32 v2, v39, 6, v2
	v_lshl_add_u64 v[16:17], s[0:1], 0, v[8:9]
	v_add_u32_e32 v8, 0x150, v2
	s_mov_b64 s[6:7], 0
	v_mov_b32_e32 v12, v9
	v_mov_b32_e32 v13, v9
	;; [unrolled: 1-line block ×4, first 2 shown]
	s_branch .LBB182_50
.LBB182_48:                             ;   in Loop: Header=BB182_50 Depth=1
	s_or_b64 exec, exec, s[0:1]
	v_mul_f32_e32 v34, v2, v34
	v_mul_f32_e32 v30, v2, v30
	;; [unrolled: 1-line block ×4, first 2 shown]
	v_fmac_f32_e32 v34, v3, v35
	v_fmac_f32_e32 v30, v3, v31
	v_fmac_f32_e32 v26, v3, v27
	v_fmac_f32_e32 v20, v3, v21
	v_fmac_f32_e32 v34, v4, v32
	v_fmac_f32_e32 v30, v4, v28
	v_fmac_f32_e32 v26, v4, v22
	v_fmac_f32_e32 v20, v4, v18
	v_pk_mul_f32 v[2:3], v[2:3], v[36:37]
	v_fmac_f32_e32 v34, v5, v33
	v_fmac_f32_e32 v30, v5, v29
	;; [unrolled: 1-line block ×4, first 2 shown]
	v_pk_mul_f32 v[4:5], v[4:5], v[24:25]
	v_add_f32_e32 v2, v3, v2
	v_add_f32_e32 v2, v4, v2
	;; [unrolled: 1-line block ×8, first 2 shown]
.LBB182_49:                             ;   in Loop: Header=BB182_50 Depth=1
	s_or_b64 exec, exec, s[8:9]
	v_add_u32_e32 v39, 2, v39
	v_cmp_le_i32_e32 vcc, s20, v39
	v_lshl_add_u64 v[16:17], v[16:17], 0, 8
	v_add_u32_e32 v40, 32, v40
	s_or_b64 s[6:7], vcc, s[6:7]
	v_add_u32_e32 v8, 0x80, v8
	s_andn2_b64 exec, exec, s[6:7]
	s_cbranch_execz .LBB182_61
.LBB182_50:                             ; =>This Inner Loop Header: Depth=1
	v_mul_hi_u32 v2, v40, s42
	v_mul_lo_u32 v3, v2, s25
	v_sub_u32_e32 v3, v40, v3
	v_add_u32_e32 v4, 1, v2
	v_cmp_le_u32_e32 vcc, s25, v3
	s_nop 1
	v_cndmask_b32_e32 v2, v2, v4, vcc
	v_subrev_u32_e32 v4, s25, v3
	v_cndmask_b32_e32 v3, v3, v4, vcc
	v_add_u32_e32 v4, 1, v2
	v_cmp_le_u32_e32 vcc, s25, v3
	s_nop 1
	v_cndmask_b32_e32 v2, v2, v4, vcc
	v_xor_b32_e32 v2, s23, v2
	v_subrev_u32_e32 v2, s23, v2
	v_add_u32_e32 v3, s36, v2
	v_sub_u32_e32 v5, 0, v3
	v_ashrrev_i32_e32 v4, 31, v3
	v_max_i32_e32 v3, v3, v5
	v_mul_hi_u32 v5, v3, v44
	v_mul_lo_u32 v5, v5, s19
	v_sub_u32_e32 v3, v3, v5
	v_subrev_u32_e32 v5, s19, v3
	v_cmp_le_u32_e32 vcc, s19, v3
	v_cmp_lt_i32_e64 s[0:1], s18, v2
	s_nop 0
	v_cndmask_b32_e32 v3, v3, v5, vcc
	v_subrev_u32_e32 v5, s19, v3
	v_cmp_le_u32_e32 vcc, s19, v3
	s_nop 1
	v_cndmask_b32_e32 v3, v3, v5, vcc
	v_xor_b32_e32 v3, v3, v4
	v_sub_u32_e32 v3, v3, v4
	v_cmp_eq_u32_e32 vcc, 0, v3
	s_or_b64 s[0:1], vcc, s[0:1]
	s_and_saveexec_b64 s[8:9], s[0:1]
	s_cbranch_execz .LBB182_49
; %bb.51:                               ;   in Loop: Header=BB182_50 Depth=1
	global_load_dword v2, v[16:17], off
	s_load_dword s12, s[14:15], 0x0
	v_add_u32_e32 v45, v43, v40
	v_cmp_eq_u32_e32 vcc, s22, v39
	v_add_u32_e32 v46, 1, v45
	v_add_u32_e32 v36, 2, v45
	;; [unrolled: 1-line block ×3, first 2 shown]
	s_waitcnt vmcnt(0)
	v_mad_i64_i32 v[24:25], s[0:1], v2, s21, v[14:15]
	global_load_dword v18, v[24:25], off
	ds_read_b128 v[2:5], v8
	s_waitcnt vmcnt(0)
	v_and_b32_e32 v19, 0xffff, v18
	v_lshrrev_b32_e32 v20, 16, v18
	v_cvt_pk_f32_fp8_e32 v[18:19], v19
	v_cvt_pk_f32_fp8_e32 v[22:23], v20
	s_waitcnt lgkmcnt(0)
	v_pk_mul_f32 v[20:21], v[18:19], s[12:13] op_sel_hi:[1,0]
	v_pk_mul_f32 v[18:19], s[12:13], v[22:23] op_sel_hi:[0,1]
	s_and_saveexec_b64 s[16:17], vcc
; %bb.52:                               ;   in Loop: Header=BB182_50 Depth=1
	v_cmp_gt_i32_e64 s[0:1], s33, v45
	s_nop 1
	v_cndmask_b32_e64 v20, 0, v20, s[0:1]
	v_cmp_gt_i32_e64 s[0:1], s33, v46
	s_nop 1
	v_cndmask_b32_e64 v21, 0, v21, s[0:1]
	;; [unrolled: 3-line block ×4, first 2 shown]
; %bb.53:                               ;   in Loop: Header=BB182_50 Depth=1
	s_or_b64 exec, exec, s[16:17]
	global_load_dword v22, v[24:25], off offset:256
	s_mov_b32 s13, s12
	s_waitcnt vmcnt(0)
	v_and_b32_e32 v23, 0xffff, v22
	v_lshrrev_b32_e32 v26, 16, v22
	v_cvt_pk_f32_fp8_e32 v[22:23], v23
	v_cvt_pk_f32_fp8_e32 v[28:29], v26
	v_pk_mul_f32 v[26:27], s[12:13], v[22:23]
	v_pk_mul_f32 v[22:23], s[12:13], v[28:29]
	s_and_saveexec_b64 s[16:17], vcc
; %bb.54:                               ;   in Loop: Header=BB182_50 Depth=1
	v_cmp_gt_i32_e64 s[0:1], s33, v45
	s_nop 1
	v_cndmask_b32_e64 v26, 0, v26, s[0:1]
	v_cmp_gt_i32_e64 s[0:1], s33, v46
	s_nop 1
	v_cndmask_b32_e64 v27, 0, v27, s[0:1]
	v_cmp_gt_i32_e64 s[0:1], s33, v36
	s_nop 1
	v_cndmask_b32_e64 v22, 0, v22, s[0:1]
	v_cmp_gt_i32_e64 s[0:1], s33, v37
	s_nop 1
	v_cndmask_b32_e64 v23, 0, v23, s[0:1]
; %bb.55:                               ;   in Loop: Header=BB182_50 Depth=1
	s_or_b64 exec, exec, s[16:17]
	global_load_dword v28, v[24:25], off offset:512
	s_waitcnt vmcnt(0)
	v_and_b32_e32 v29, 0xffff, v28
	v_lshrrev_b32_e32 v30, 16, v28
	v_cvt_pk_f32_fp8_e32 v[28:29], v29
	v_cvt_pk_f32_fp8_e32 v[32:33], v30
	v_pk_mul_f32 v[30:31], s[12:13], v[28:29]
	v_pk_mul_f32 v[28:29], s[12:13], v[32:33]
	s_and_saveexec_b64 s[16:17], vcc
; %bb.56:                               ;   in Loop: Header=BB182_50 Depth=1
	v_cmp_gt_i32_e64 s[0:1], s33, v45
	s_nop 1
	v_cndmask_b32_e64 v30, 0, v30, s[0:1]
	v_cmp_gt_i32_e64 s[0:1], s33, v46
	s_nop 1
	v_cndmask_b32_e64 v31, 0, v31, s[0:1]
	v_cmp_gt_i32_e64 s[0:1], s33, v36
	s_nop 1
	v_cndmask_b32_e64 v28, 0, v28, s[0:1]
	v_cmp_gt_i32_e64 s[0:1], s33, v37
	s_nop 1
	v_cndmask_b32_e64 v29, 0, v29, s[0:1]
; %bb.57:                               ;   in Loop: Header=BB182_50 Depth=1
	s_or_b64 exec, exec, s[16:17]
	global_load_dword v32, v[24:25], off offset:768
	;; [unrolled: 24-line block ×3, first 2 shown]
	s_waitcnt vmcnt(0)
	v_and_b32_e32 v25, 0xffff, v24
	v_lshrrev_b32_e32 v36, 16, v24
	v_cvt_pk_f32_fp8_e32 v[24:25], v25
	v_cvt_pk_f32_fp8_e32 v[48:49], v36
	v_pk_mul_f32 v[36:37], s[12:13], v[24:25]
	v_pk_mul_f32 v[24:25], s[12:13], v[48:49]
	s_and_saveexec_b64 s[0:1], vcc
	s_cbranch_execz .LBB182_48
; %bb.60:                               ;   in Loop: Header=BB182_50 Depth=1
	v_cmp_gt_i32_e32 vcc, s34, v46
	v_or_b32_e32 v46, 3, v45
	s_nop 0
	v_cndmask_b32_e32 v37, 0, v37, vcc
	v_cmp_gt_i32_e32 vcc, s33, v45
	v_or_b32_e32 v45, 2, v45
	s_nop 0
	v_cndmask_b32_e32 v36, 0, v36, vcc
	v_cmp_gt_i32_e32 vcc, s34, v46
	s_nop 1
	v_cndmask_b32_e32 v25, 0, v25, vcc
	v_cmp_gt_i32_e32 vcc, s33, v45
	s_nop 1
	v_cndmask_b32_e32 v24, 0, v24, vcc
	s_branch .LBB182_48
.LBB182_61:
	s_or_b64 exec, exec, s[6:7]
.LBB182_62:
	s_or_b64 exec, exec, s[2:3]
	ds_bpermute_b32 v2, v42, v12
	ds_bpermute_b32 v3, v42, v13
	;; [unrolled: 1-line block ×5, first 2 shown]
	s_waitcnt lgkmcnt(0)
	v_pk_add_f32 v[2:3], v[12:13], v[2:3]
	ds_bpermute_b32 v12, v41, v2
	v_pk_add_f32 v[10:11], v[10:11], v[4:5]
	ds_bpermute_b32 v13, v41, v3
	ds_bpermute_b32 v14, v41, v10
	;; [unrolled: 1-line block ×3, first 2 shown]
	v_add_f32_e32 v9, v9, v8
	v_and_b32_e32 v8, 0x3c3, v0
	s_waitcnt lgkmcnt(2)
	v_pk_add_f32 v[4:5], v[2:3], v[12:13]
	v_cmp_ne_u32_e32 vcc, 64, v8
	s_waitcnt lgkmcnt(0)
	v_pk_add_f32 v[2:3], v[10:11], v[14:15]
	ds_bpermute_b32 v10, v41, v9
	s_barrier
	s_waitcnt lgkmcnt(0)
	s_and_saveexec_b64 s[0:1], vcc
	s_xor_b64 s[0:1], exec, s[0:1]
; %bb.63:
                                        ; implicit-def: $vgpr7
; %bb.64:
	s_or_saveexec_b64 s[0:1], s[0:1]
	v_add_f32_e32 v9, v9, v10
	s_xor_b64 exec, exec, s[0:1]
	s_cbranch_execz .LBB182_66
; %bb.65:
	v_add_u32_e32 v7, 0x150, v7
	ds_write2_b32 v7, v4, v5 offset1:16
	ds_write2_b32 v7, v2, v3 offset0:32 offset1:48
	ds_write_b32 v7, v9 offset:256
.LBB182_66:
	s_or_b64 exec, exec, s[0:1]
	v_cmp_gt_u32_e32 vcc, 64, v0
	s_waitcnt lgkmcnt(0)
	s_barrier
	s_and_saveexec_b64 s[0:1], vcc
	s_cbranch_execz .LBB182_74
; %bb.67:
	v_mov_b32_e32 v0, 0x150
	v_cmp_eq_u32_e32 vcc, 0, v6
	v_lshl_add_u32 v0, v38, 2, v0
	s_and_saveexec_b64 s[2:3], vcc
	s_cbranch_execnz .LBB182_77
; %bb.68:
	s_or_b64 exec, exec, s[2:3]
	s_and_saveexec_b64 s[2:3], vcc
	s_cbranch_execnz .LBB182_78
.LBB182_69:
	s_or_b64 exec, exec, s[2:3]
	s_and_saveexec_b64 s[2:3], vcc
	s_cbranch_execnz .LBB182_79
.LBB182_70:
	s_or_b64 exec, exec, s[2:3]
	s_and_saveexec_b64 s[2:3], vcc
	s_cbranch_execnz .LBB182_80
.LBB182_71:
	s_or_b64 exec, exec, s[2:3]
	s_and_saveexec_b64 s[2:3], vcc
	s_cbranch_execz .LBB182_73
.LBB182_72:
	ds_read_b32 v0, v0 offset:256
	s_waitcnt lgkmcnt(0)
	v_add_f32_e32 v9, v9, v0
.LBB182_73:
	s_or_b64 exec, exec, s[2:3]
.LBB182_74:
	s_or_b64 exec, exec, s[0:1]
	v_cmp_eq_u32_e32 vcc, 0, v8
	s_barrier
	s_and_saveexec_b64 s[0:1], vcc
	s_cbranch_execz .LBB182_76
; %bb.75:
	s_mul_i32 s0, s10, s11
	s_mul_i32 s0, s0, s5
	s_mulk_i32 s0, 0x50
	s_ashr_i32 s1, s0, 31
	s_lshl_b64 s[0:1], s[0:1], 2
	s_add_u32 s2, s26, s0
	s_mul_i32 s0, s11, s24
	s_addc_u32 s3, s27, s1
	s_ashr_i32 s1, s0, 31
	s_lshl_b64 s[0:1], s[0:1], 2
	s_add_u32 s2, s2, s0
	s_mul_i32 s0, s4, 0x50
	s_addc_u32 s3, s3, s1
	s_ashr_i32 s1, s0, 31
	s_lshl_b64 s[0:1], s[0:1], 2
	s_add_u32 s0, s2, s0
	s_addc_u32 s1, s3, s1
	global_store_dword v1, v4, s[0:1]
	global_store_dword v1, v5, s[0:1] offset:64
	global_store_dword v1, v2, s[0:1] offset:128
	;; [unrolled: 1-line block ×4, first 2 shown]
.LBB182_76:
	s_endpgm
.LBB182_77:
	ds_read_b32 v6, v0
	s_waitcnt lgkmcnt(0)
	v_add_f32_e32 v4, v4, v6
	s_or_b64 exec, exec, s[2:3]
	s_and_saveexec_b64 s[2:3], vcc
	s_cbranch_execz .LBB182_69
.LBB182_78:
	ds_read_b32 v6, v0 offset:64
	s_waitcnt lgkmcnt(0)
	v_add_f32_e32 v5, v5, v6
	s_or_b64 exec, exec, s[2:3]
	s_and_saveexec_b64 s[2:3], vcc
	s_cbranch_execz .LBB182_70
.LBB182_79:
	ds_read_b32 v6, v0 offset:128
	s_waitcnt lgkmcnt(0)
	v_add_f32_e32 v2, v2, v6
	s_or_b64 exec, exec, s[2:3]
	s_and_saveexec_b64 s[2:3], vcc
	s_cbranch_execz .LBB182_71
.LBB182_80:
	ds_read_b32 v6, v0 offset:192
	s_waitcnt lgkmcnt(0)
	v_add_f32_e32 v3, v3, v6
	s_or_b64 exec, exec, s[2:3]
	s_and_saveexec_b64 s[2:3], vcc
	s_cbranch_execnz .LBB182_72
	s_branch .LBB182_73
	.section	.rodata,"a",@progbits
	.p2align	6, 0x0
	.amdhsa_kernel _ZN4vllm25paged_attention_v1_kernelIfhLi80ELi16ELi128ELNS_18Fp8KVCacheDataTypeE1ELb1EEEvPT_PKS2_PKT0_S8_ifPKiSA_iPKfiiiSC_SC_iiiii
		.amdhsa_group_segment_fixed_size 336
		.amdhsa_private_segment_fixed_size 0
		.amdhsa_kernarg_size 384
		.amdhsa_user_sgpr_count 2
		.amdhsa_user_sgpr_dispatch_ptr 0
		.amdhsa_user_sgpr_queue_ptr 0
		.amdhsa_user_sgpr_kernarg_segment_ptr 1
		.amdhsa_user_sgpr_dispatch_id 0
		.amdhsa_user_sgpr_kernarg_preload_length 0
		.amdhsa_user_sgpr_kernarg_preload_offset 0
		.amdhsa_user_sgpr_private_segment_size 0
		.amdhsa_uses_dynamic_stack 0
		.amdhsa_enable_private_segment 0
		.amdhsa_system_sgpr_workgroup_id_x 1
		.amdhsa_system_sgpr_workgroup_id_y 1
		.amdhsa_system_sgpr_workgroup_id_z 1
		.amdhsa_system_sgpr_workgroup_info 0
		.amdhsa_system_vgpr_workitem_id 0
		.amdhsa_next_free_vgpr 67
		.amdhsa_next_free_sgpr 48
		.amdhsa_accum_offset 68
		.amdhsa_reserve_vcc 1
		.amdhsa_float_round_mode_32 0
		.amdhsa_float_round_mode_16_64 0
		.amdhsa_float_denorm_mode_32 3
		.amdhsa_float_denorm_mode_16_64 3
		.amdhsa_dx10_clamp 1
		.amdhsa_ieee_mode 1
		.amdhsa_fp16_overflow 0
		.amdhsa_tg_split 0
		.amdhsa_exception_fp_ieee_invalid_op 0
		.amdhsa_exception_fp_denorm_src 0
		.amdhsa_exception_fp_ieee_div_zero 0
		.amdhsa_exception_fp_ieee_overflow 0
		.amdhsa_exception_fp_ieee_underflow 0
		.amdhsa_exception_fp_ieee_inexact 0
		.amdhsa_exception_int_div_zero 0
	.end_amdhsa_kernel
	.section	.text._ZN4vllm25paged_attention_v1_kernelIfhLi80ELi16ELi128ELNS_18Fp8KVCacheDataTypeE1ELb1EEEvPT_PKS2_PKT0_S8_ifPKiSA_iPKfiiiSC_SC_iiiii,"axG",@progbits,_ZN4vllm25paged_attention_v1_kernelIfhLi80ELi16ELi128ELNS_18Fp8KVCacheDataTypeE1ELb1EEEvPT_PKS2_PKT0_S8_ifPKiSA_iPKfiiiSC_SC_iiiii,comdat
.Lfunc_end182:
	.size	_ZN4vllm25paged_attention_v1_kernelIfhLi80ELi16ELi128ELNS_18Fp8KVCacheDataTypeE1ELb1EEEvPT_PKS2_PKT0_S8_ifPKiSA_iPKfiiiSC_SC_iiiii, .Lfunc_end182-_ZN4vllm25paged_attention_v1_kernelIfhLi80ELi16ELi128ELNS_18Fp8KVCacheDataTypeE1ELb1EEEvPT_PKS2_PKT0_S8_ifPKiSA_iPKfiiiSC_SC_iiiii
                                        ; -- End function
	.set _ZN4vllm25paged_attention_v1_kernelIfhLi80ELi16ELi128ELNS_18Fp8KVCacheDataTypeE1ELb1EEEvPT_PKS2_PKT0_S8_ifPKiSA_iPKfiiiSC_SC_iiiii.num_vgpr, 67
	.set _ZN4vllm25paged_attention_v1_kernelIfhLi80ELi16ELi128ELNS_18Fp8KVCacheDataTypeE1ELb1EEEvPT_PKS2_PKT0_S8_ifPKiSA_iPKfiiiSC_SC_iiiii.num_agpr, 0
	.set _ZN4vllm25paged_attention_v1_kernelIfhLi80ELi16ELi128ELNS_18Fp8KVCacheDataTypeE1ELb1EEEvPT_PKS2_PKT0_S8_ifPKiSA_iPKfiiiSC_SC_iiiii.numbered_sgpr, 48
	.set _ZN4vllm25paged_attention_v1_kernelIfhLi80ELi16ELi128ELNS_18Fp8KVCacheDataTypeE1ELb1EEEvPT_PKS2_PKT0_S8_ifPKiSA_iPKfiiiSC_SC_iiiii.num_named_barrier, 0
	.set _ZN4vllm25paged_attention_v1_kernelIfhLi80ELi16ELi128ELNS_18Fp8KVCacheDataTypeE1ELb1EEEvPT_PKS2_PKT0_S8_ifPKiSA_iPKfiiiSC_SC_iiiii.private_seg_size, 0
	.set _ZN4vllm25paged_attention_v1_kernelIfhLi80ELi16ELi128ELNS_18Fp8KVCacheDataTypeE1ELb1EEEvPT_PKS2_PKT0_S8_ifPKiSA_iPKfiiiSC_SC_iiiii.uses_vcc, 1
	.set _ZN4vllm25paged_attention_v1_kernelIfhLi80ELi16ELi128ELNS_18Fp8KVCacheDataTypeE1ELb1EEEvPT_PKS2_PKT0_S8_ifPKiSA_iPKfiiiSC_SC_iiiii.uses_flat_scratch, 0
	.set _ZN4vllm25paged_attention_v1_kernelIfhLi80ELi16ELi128ELNS_18Fp8KVCacheDataTypeE1ELb1EEEvPT_PKS2_PKT0_S8_ifPKiSA_iPKfiiiSC_SC_iiiii.has_dyn_sized_stack, 0
	.set _ZN4vllm25paged_attention_v1_kernelIfhLi80ELi16ELi128ELNS_18Fp8KVCacheDataTypeE1ELb1EEEvPT_PKS2_PKT0_S8_ifPKiSA_iPKfiiiSC_SC_iiiii.has_recursion, 0
	.set _ZN4vllm25paged_attention_v1_kernelIfhLi80ELi16ELi128ELNS_18Fp8KVCacheDataTypeE1ELb1EEEvPT_PKS2_PKT0_S8_ifPKiSA_iPKfiiiSC_SC_iiiii.has_indirect_call, 0
	.section	.AMDGPU.csdata,"",@progbits
; Kernel info:
; codeLenInByte = 5204
; TotalNumSgprs: 54
; NumVgprs: 67
; NumAgprs: 0
; TotalNumVgprs: 67
; ScratchSize: 0
; MemoryBound: 0
; FloatMode: 240
; IeeeMode: 1
; LDSByteSize: 336 bytes/workgroup (compile time only)
; SGPRBlocks: 6
; VGPRBlocks: 8
; NumSGPRsForWavesPerEU: 54
; NumVGPRsForWavesPerEU: 67
; AccumOffset: 68
; Occupancy: 7
; WaveLimiterHint : 1
; COMPUTE_PGM_RSRC2:SCRATCH_EN: 0
; COMPUTE_PGM_RSRC2:USER_SGPR: 2
; COMPUTE_PGM_RSRC2:TRAP_HANDLER: 0
; COMPUTE_PGM_RSRC2:TGID_X_EN: 1
; COMPUTE_PGM_RSRC2:TGID_Y_EN: 1
; COMPUTE_PGM_RSRC2:TGID_Z_EN: 1
; COMPUTE_PGM_RSRC2:TIDIG_COMP_CNT: 0
; COMPUTE_PGM_RSRC3_GFX90A:ACCUM_OFFSET: 16
; COMPUTE_PGM_RSRC3_GFX90A:TG_SPLIT: 0
	.section	.text._ZN4vllm25paged_attention_v1_kernelIfhLi96ELi16ELi128ELNS_18Fp8KVCacheDataTypeE1ELb1EEEvPT_PKS2_PKT0_S8_ifPKiSA_iPKfiiiSC_SC_iiiii,"axG",@progbits,_ZN4vllm25paged_attention_v1_kernelIfhLi96ELi16ELi128ELNS_18Fp8KVCacheDataTypeE1ELb1EEEvPT_PKS2_PKT0_S8_ifPKiSA_iPKfiiiSC_SC_iiiii,comdat
	.protected	_ZN4vllm25paged_attention_v1_kernelIfhLi96ELi16ELi128ELNS_18Fp8KVCacheDataTypeE1ELb1EEEvPT_PKS2_PKT0_S8_ifPKiSA_iPKfiiiSC_SC_iiiii ; -- Begin function _ZN4vllm25paged_attention_v1_kernelIfhLi96ELi16ELi128ELNS_18Fp8KVCacheDataTypeE1ELb1EEEvPT_PKS2_PKT0_S8_ifPKiSA_iPKfiiiSC_SC_iiiii
	.globl	_ZN4vllm25paged_attention_v1_kernelIfhLi96ELi16ELi128ELNS_18Fp8KVCacheDataTypeE1ELb1EEEvPT_PKS2_PKT0_S8_ifPKiSA_iPKfiiiSC_SC_iiiii
	.p2align	8
	.type	_ZN4vllm25paged_attention_v1_kernelIfhLi96ELi16ELi128ELNS_18Fp8KVCacheDataTypeE1ELb1EEEvPT_PKS2_PKT0_S8_ifPKiSA_iPKfiiiSC_SC_iiiii,@function
_ZN4vllm25paged_attention_v1_kernelIfhLi96ELi16ELi128ELNS_18Fp8KVCacheDataTypeE1ELb1EEEvPT_PKS2_PKT0_S8_ifPKiSA_iPKfiiiSC_SC_iiiii: ; @_ZN4vllm25paged_attention_v1_kernelIfhLi96ELi16ELi128ELNS_18Fp8KVCacheDataTypeE1ELb1EEEvPT_PKS2_PKT0_S8_ifPKiSA_iPKfiiiSC_SC_iiiii
; %bb.0:
	s_load_dword s5, s[0:1], 0x80
	s_load_dwordx2 s[6:7], s[0:1], 0x30
	s_load_dwordx2 s[36:37], s[0:1], 0x20
	s_mov_b32 s10, s3
	s_ashr_i32 s11, s3, 31
	s_lshl_b64 s[8:9], s[10:11], 2
	s_waitcnt lgkmcnt(0)
	s_add_u32 s6, s6, s8
	s_addc_u32 s7, s7, s9
	s_abs_i32 s3, s36
	v_cvt_f32_u32_e32 v1, s3
	s_sub_i32 s11, 0, s3
	s_abs_i32 s9, s5
	s_xor_b32 s8, s5, s36
	v_rcp_iflag_f32_e32 v1, v1
	s_ashr_i32 s8, s8, 31
	s_mov_b32 s44, 0
	v_mul_f32_e32 v1, 0x4f7ffffe, v1
	v_cvt_u32_f32_e32 v1, v1
	s_nop 0
	v_readfirstlane_b32 s12, v1
	s_mul_i32 s11, s11, s12
	s_mul_hi_u32 s11, s12, s11
	s_add_i32 s12, s12, s11
	s_mul_hi_u32 s11, s9, s12
	s_mul_i32 s12, s11, s3
	s_sub_i32 s9, s9, s12
	s_add_i32 s12, s11, 1
	s_sub_i32 s13, s9, s3
	s_cmp_ge_u32 s9, s3
	s_cselect_b32 s11, s12, s11
	s_cselect_b32 s9, s13, s9
	s_add_i32 s12, s11, 1
	s_cmp_ge_u32 s9, s3
	s_cselect_b32 s3, s12, s11
	s_xor_b32 s3, s3, s8
	s_sub_i32 s14, s3, s8
	s_abs_i32 s11, s14
	v_cvt_f32_u32_e32 v1, s11
	s_load_dwordx2 s[8:9], s[0:1], 0x40
	s_sub_i32 s3, 0, s11
	s_abs_i32 s12, s2
	v_rcp_iflag_f32_e32 v1, v1
	s_nop 0
	v_mul_f32_e32 v1, 0x4f7ffffe, v1
	v_cvt_u32_f32_e32 v1, v1
	s_nop 0
	v_readfirstlane_b32 s13, v1
	s_mul_i32 s3, s3, s13
	s_mul_hi_u32 s3, s13, s3
	s_add_i32 s13, s13, s3
	s_waitcnt lgkmcnt(0)
	s_cmp_eq_u64 s[8:9], 0
	s_mul_hi_u32 s13, s12, s13
	s_cbranch_scc1 .LBB183_2
; %bb.1:
	s_ashr_i32 s3, s2, 31
	s_lshl_b64 s[16:17], s[2:3], 2
	s_add_u32 s8, s8, s16
	s_addc_u32 s9, s9, s17
	s_load_dword s44, s[8:9], 0x0
.LBB183_2:
	s_load_dword s33, s[6:7], 0x0
	s_load_dwordx4 s[16:19], s[0:1], 0x48
	v_lshrrev_b32_e32 v42, 2, v0
	s_movk_i32 s3, 0x60
	s_ashr_i32 s8, s2, 31
	s_ashr_i32 s9, s14, 31
	v_and_b32_e32 v6, 3, v0
	s_mul_i32 s24, s2, 0x60
	v_cmp_gt_u32_e32 vcc, s3, v0
	v_lshlrev_b32_e32 v14, 2, v0
	v_lshlrev_b32_e32 v1, 2, v42
	s_and_saveexec_b64 s[6:7], vcc
	s_cbranch_execz .LBB183_4
; %bb.3:
	s_load_dwordx2 s[14:15], s[0:1], 0x8
	s_waitcnt lgkmcnt(0)
	s_mul_i32 s20, s16, s10
	s_ashr_i32 s21, s20, 31
	s_lshl_b64 s[20:21], s[20:21], 2
	v_mad_u32_u24 v3, v6, s3, v1
	s_add_u32 s16, s14, s20
	s_addc_u32 s19, s15, s21
	s_ashr_i32 s25, s24, 31
	s_lshl_b64 s[14:15], s[24:25], 2
	s_add_u32 s14, s16, s14
	s_addc_u32 s15, s19, s15
	global_load_dword v2, v14, s[14:15]
	s_waitcnt vmcnt(0)
	ds_write_b32 v3, v2
.LBB183_4:
	s_or_b64 exec, exec, s[6:7]
	s_mul_i32 s7, s13, s11
	s_sub_i32 s7, s12, s7
	s_xor_b32 s6, s8, s9
	s_add_i32 s8, s13, 1
	s_sub_i32 s9, s7, s11
	s_load_dwordx4 s[20:23], s[0:1], 0x68
	s_load_dword s3, s[0:1], 0x78
	s_cmp_ge_u32 s7, s11
	s_cselect_b32 s8, s8, s13
	s_cselect_b32 s7, s9, s7
	s_add_i32 s9, s8, 1
	s_cmp_ge_u32 s7, s11
	s_cselect_b32 s7, s9, s8
	s_waitcnt lgkmcnt(0)
	s_abs_i32 s25, s23
	v_cvt_f32_u32_e32 v2, s25
	s_xor_b32 s7, s7, s6
	s_sub_i32 s43, s7, s6
	s_sub_i32 s6, 0, s25
	v_rcp_iflag_f32_e32 v2, v2
	s_add_i32 s11, s33, -1
	s_abs_i32 s8, s11
	v_mul_f32_e32 v2, 0x4f7ffffe, v2
	v_cvt_u32_f32_e32 v2, v2
	s_barrier
	v_readfirstlane_b32 s42, v2
	s_mul_i32 s6, s6, s42
	s_mul_hi_u32 s6, s42, s6
	s_add_i32 s42, s42, s6
	s_cmp_lt_i32 s3, 0
	s_mul_hi_u32 s9, s8, s42
	s_cbranch_scc0 .LBB183_6
; %bb.5:
	s_mul_i32 s6, s20, s36
	s_add_i32 s6, s43, s6
	s_mul_i32 s6, s6, s3
	s_sub_i32 s36, 1, s6
	s_mov_b64 s[6:7], 0
	s_branch .LBB183_7
.LBB183_6:
	s_mov_b64 s[6:7], -1
                                        ; implicit-def: $sgpr36
.LBB183_7:
	s_load_dwordx2 s[28:29], s[0:1], 0x28
	s_ashr_i32 s16, s11, 31
	s_andn2_b64 vcc, exec, s[6:7]
	s_ashr_i32 s23, s23, 31
	s_cbranch_vccnz .LBB183_9
; %bb.8:
	s_mul_i32 s6, s5, s20
	s_add_i32 s2, s6, s2
	s_mul_i32 s2, s2, s3
	s_add_i32 s36, s2, 1
.LBB183_9:
	s_load_dword s2, s[0:1], 0x38
	s_load_dwordx2 s[26:27], s[0:1], 0x0
	s_load_dwordx2 s[34:35], s[0:1], 0x18
	s_load_dword s11, s[0:1], 0x88
	s_load_dwordx4 s[12:15], s[0:1], 0x58
	s_mul_i32 s3, s9, s25
	s_waitcnt lgkmcnt(0)
	s_mul_i32 s30, s2, s10
	s_sub_i32 s3, s8, s3
	s_ashr_i32 s31, s30, 31
	s_xor_b32 s2, s16, s23
	s_add_i32 s6, s9, 1
	s_sub_i32 s7, s3, s25
	s_cmp_ge_u32 s3, s25
	s_cselect_b32 s6, s6, s9
	s_cselect_b32 s3, s7, s3
	s_add_i32 s7, s6, 1
	s_cmp_ge_u32 s3, s25
	s_cselect_b32 s3, s7, s6
	s_xor_b32 s3, s3, s2
	s_sub_i32 s16, s3, s2
	s_add_i32 s2, s33, 15
	s_ashr_i32 s3, s2, 31
	s_lshr_b32 s3, s3, 28
	s_add_i32 s2, s2, s3
	s_ashr_i32 s20, s2, 4
	v_lshrrev_b32_e32 v43, 6, v0
	v_cmp_gt_i32_e64 s[6:7], s20, v43
	v_mov_b32_e32 v7, 0xff7fffff
	s_mul_i32 s43, s43, s18
	v_lshrrev_b32_e32 v16, 4, v0
	v_lshlrev_b32_e32 v44, 4, v43
	v_mbcnt_lo_u32_b32 v8, -1, 0
	s_and_saveexec_b64 s[18:19], s[6:7]
	s_cbranch_execz .LBB183_21
; %bb.10:
	s_load_dwordx2 s[0:1], s[0:1], 0x10
	s_sub_i32 s45, s16, s21
	s_ashr_i32 s2, s43, 31
	v_bfe_u32 v9, v0, 2, 4
	v_mov_b32_e32 v5, 0
	s_waitcnt lgkmcnt(0)
	s_add_u32 s0, s0, s43
	s_addc_u32 s1, s1, s2
	s_abs_i32 s46, s22
	v_cvt_f32_u32_e32 v2, s46
	v_lshlrev_b32_e32 v4, 4, v9
	v_mov_b32_e32 v7, v5
	v_mbcnt_hi_u32_b32 v18, -1, v8
	v_rcp_iflag_f32_e32 v2, v2
	v_cmp_eq_u32_e32 vcc, 0, v6
	s_mov_b32 s47, s17
	v_mul_u32_u24_e32 v10, 0x60, v6
	v_mul_f32_e32 v2, 0x4f7ffffe, v2
	v_cvt_u32_f32_e32 v11, v2
	v_lshl_add_u64 v[2:3], s[0:1], 0, v[4:5]
	s_sub_i32 s0, 0, s46
	v_lshl_add_u64 v[2:3], v[2:3], 0, v[6:7]
	v_subrev_u32_e32 v7, s33, v9
	v_mul_lo_u32 v4, s0, v11
	s_lshl_b64 s[0:1], s[30:31], 2
	v_add_u32_e32 v13, 1, v7
	v_lshlrev_b32_e32 v7, 2, v9
	v_mul_hi_u32 v4, v11, v4
	s_add_u32 s0, s28, s0
	v_lshl_or_b32 v7, v43, 6, v7
	v_add_u32_e32 v11, v11, v4
	v_and_b32_e32 v4, 60, v16
	s_addc_u32 s1, s29, s1
	v_add_u32_e32 v15, 0x190, v7
	v_and_b32_e32 v7, 64, v18
	v_cmp_neq_f32_e64 s[2:3], s44, 0
	v_lshl_add_u64 v[4:5], s[0:1], 0, v[4:5]
	v_lshlrev_b32_e32 v12, 4, v43
	v_mov_b32_e32 v17, 0xff7fffff
	s_mov_b64 s[38:39], 0
	v_add_u32_e32 v19, 64, v7
	v_xor_b32_e32 v20, 2, v18
	v_xor_b32_e32 v21, 1, v18
	v_mov_b32_e32 v7, 0xff7fffff
	v_mov_b32_e32 v22, v43
	s_branch .LBB183_13
.LBB183_11:                             ;   in Loop: Header=BB183_13 Depth=1
	s_or_b64 exec, exec, s[40:41]
.LBB183_12:                             ;   in Loop: Header=BB183_13 Depth=1
	s_or_b64 exec, exec, s[8:9]
	v_add_u32_e32 v22, 2, v22
	v_cmp_le_i32_e64 s[0:1], s20, v22
	v_lshl_add_u64 v[4:5], v[4:5], 0, 8
	v_add_u32_e32 v12, 32, v12
	s_or_b64 s[38:39], s[0:1], s[38:39]
	v_add_u32_e32 v15, 0x80, v15
	s_andn2_b64 exec, exec, s[38:39]
	s_cbranch_execz .LBB183_20
.LBB183_13:                             ; =>This Inner Loop Header: Depth=1
	v_mul_hi_u32 v23, v12, s42
	s_waitcnt lgkmcnt(0)
	v_mul_lo_u32 v24, v23, s25
	v_sub_u32_e32 v24, v12, v24
	v_add_u32_e32 v25, 1, v23
	v_cmp_le_u32_e64 s[0:1], s25, v24
	s_nop 1
	v_cndmask_b32_e64 v23, v23, v25, s[0:1]
	v_subrev_u32_e32 v25, s25, v24
	v_cndmask_b32_e64 v24, v24, v25, s[0:1]
	v_add_u32_e32 v25, 1, v23
	v_cmp_le_u32_e64 s[0:1], s25, v24
	s_nop 1
	v_cndmask_b32_e64 v23, v23, v25, s[0:1]
	v_xor_b32_e32 v23, s23, v23
	v_subrev_u32_e32 v23, s23, v23
	v_add_u32_e32 v24, s36, v23
	v_sub_u32_e32 v26, 0, v24
	v_ashrrev_i32_e32 v25, 31, v24
	v_max_i32_e32 v24, v24, v26
	v_mul_hi_u32 v26, v24, v11
	v_mul_lo_u32 v26, v26, s46
	v_sub_u32_e32 v24, v24, v26
	v_subrev_u32_e32 v26, s46, v24
	v_cmp_le_u32_e64 s[0:1], s46, v24
	v_cmp_ge_i32_e64 s[8:9], s45, v23
	s_nop 0
	v_cndmask_b32_e64 v24, v24, v26, s[0:1]
	v_subrev_u32_e32 v26, s46, v24
	v_cmp_le_u32_e64 s[0:1], s46, v24
	s_nop 1
	v_cndmask_b32_e64 v24, v24, v26, s[0:1]
	v_xor_b32_e32 v24, v24, v25
	v_sub_u32_e32 v24, v24, v25
	v_cmp_ne_u32_e64 s[0:1], 0, v24
	s_and_b64 s[0:1], s[0:1], s[8:9]
	s_and_saveexec_b64 s[8:9], s[0:1]
	s_xor_b64 s[0:1], exec, s[8:9]
	s_cbranch_execz .LBB183_17
; %bb.14:                               ;   in Loop: Header=BB183_13 Depth=1
	s_and_saveexec_b64 s[8:9], vcc
; %bb.15:                               ;   in Loop: Header=BB183_13 Depth=1
	ds_write_b32 v15, v17
; %bb.16:                               ;   in Loop: Header=BB183_13 Depth=1
	s_or_b64 exec, exec, s[8:9]
.LBB183_17:                             ;   in Loop: Header=BB183_13 Depth=1
	s_andn2_saveexec_b64 s[8:9], s[0:1]
	s_cbranch_execz .LBB183_12
; %bb.18:                               ;   in Loop: Header=BB183_13 Depth=1
	global_load_dword v23, v[4:5], off
	s_waitcnt vmcnt(0)
	v_mad_i64_i32 v[24:25], s[0:1], v23, s47, v[2:3]
	global_load_ubyte v23, v[24:25], off
	global_load_ubyte v40, v[24:25], off offset:4
	global_load_ubyte v41, v[24:25], off offset:8
	;; [unrolled: 1-line block ×23, first 2 shown]
	v_cmp_lt_i32_e64 s[0:1], v20, v19
	ds_read_b128 v[24:27], v10
	ds_read_b128 v[28:31], v10 offset:16
	ds_read_b128 v[32:35], v10 offset:32
	;; [unrolled: 1-line block ×5, first 2 shown]
	v_cndmask_b32_e64 v74, v18, v20, s[0:1]
	s_load_dword s0, s[12:13], 0x0
	v_lshlrev_b32_e32 v74, 2, v74
	s_waitcnt vmcnt(23)
	v_cvt_f32_fp8_e32 v23, v23
	s_waitcnt vmcnt(22)
	v_cvt_f32_fp8_e32 v40, v40
	;; [unrolled: 2-line block ×5, first 2 shown]
	s_waitcnt lgkmcnt(0)
	v_mul_f32_e32 v40, s0, v40
	s_waitcnt vmcnt(18)
	v_cvt_f32_fp8_e32 v55, v55
	v_mul_f32_e32 v23, s0, v23
	v_mul_f32_e32 v25, v25, v40
	s_waitcnt vmcnt(17)
	v_cvt_f32_fp8_e32 v56, v56
	v_mul_f32_e32 v41, s0, v41
	v_fmac_f32_e32 v25, v24, v23
	s_waitcnt vmcnt(16)
	v_cvt_f32_fp8_e32 v57, v57
	v_mul_f32_e32 v45, s0, v45
	v_fmac_f32_e32 v25, v26, v41
	;; [unrolled: 4-line block ×18, first 2 shown]
	v_mul_f32_e32 v70, s0, v70
	v_fmac_f32_e32 v25, v49, v69
	v_mul_f32_e32 v71, s0, v71
	v_fmac_f32_e32 v25, v50, v70
	;; [unrolled: 2-line block ×4, first 2 shown]
	v_fmac_f32_e32 v25, v53, v73
	ds_bpermute_b32 v23, v74, v25
	v_cmp_lt_i32_e64 s[0:1], v21, v19
	s_waitcnt lgkmcnt(0)
	v_add_f32_e32 v23, v25, v23
	v_cndmask_b32_e64 v24, v18, v21, s[0:1]
	v_lshlrev_b32_e32 v24, 2, v24
	ds_bpermute_b32 v24, v24, v23
	s_and_saveexec_b64 s[40:41], vcc
	s_cbranch_execz .LBB183_11
; %bb.19:                               ;   in Loop: Header=BB183_13 Depth=1
	v_add_u32_e32 v25, v13, v12
	v_cvt_f32_i32_e32 v25, v25
	s_waitcnt lgkmcnt(0)
	v_add_f32_e32 v23, v23, v24
	v_add_u32_e32 v26, v9, v12
	v_cmp_gt_i32_e64 s[0:1], s33, v26
	v_mul_f32_e32 v24, s44, v25
	v_cndmask_b32_e64 v24, 0, v24, s[2:3]
	v_fmac_f32_e32 v24, s37, v23
	v_cndmask_b32_e64 v23, 0, v24, s[0:1]
	ds_write_b32 v15, v23
	v_max_f32_e32 v23, v7, v7
	v_max_f32_e32 v23, v23, v24
	v_cndmask_b32_e64 v7, v7, v23, s[0:1]
	s_branch .LBB183_11
.LBB183_20:
	s_or_b64 exec, exec, s[38:39]
.LBB183_21:
	s_or_b64 exec, exec, s[18:19]
	v_mbcnt_hi_u32_b32 v2, -1, v8
	v_and_b32_e32 v12, 64, v2
	v_add_u32_e32 v3, 64, v12
	v_xor_b32_e32 v4, 32, v2
	v_cmp_lt_i32_e32 vcc, v4, v3
	v_xor_b32_e32 v8, 16, v2
	v_xor_b32_e32 v9, 8, v2
	v_cndmask_b32_e32 v4, v2, v4, vcc
	v_lshlrev_b32_e32 v4, 2, v4
	ds_bpermute_b32 v5, v4, v7
	v_max_f32_e32 v7, v7, v7
	v_cmp_lt_i32_e32 vcc, v8, v3
	v_xor_b32_e32 v11, 4, v2
	s_waitcnt lgkmcnt(0)
	v_max_f32_e32 v5, v5, v5
	v_max_f32_e32 v7, v7, v5
	v_cndmask_b32_e32 v5, v2, v8, vcc
	v_lshlrev_b32_e32 v5, 2, v5
	ds_bpermute_b32 v8, v5, v7
	v_cmp_lt_i32_e32 vcc, v9, v3
	s_waitcnt lgkmcnt(0)
	v_max_f32_e32 v8, v8, v8
	v_max_f32_e32 v7, v7, v8
	v_cndmask_b32_e32 v8, v2, v9, vcc
	v_lshlrev_b32_e32 v10, 2, v8
	ds_bpermute_b32 v8, v10, v7
	v_cmp_lt_i32_e32 vcc, v11, v3
	s_waitcnt lgkmcnt(0)
	v_max_f32_e32 v8, v8, v8
	v_max_f32_e32 v9, v7, v8
	v_cndmask_b32_e32 v7, v2, v11, vcc
	v_lshlrev_b32_e32 v11, 2, v7
	ds_bpermute_b32 v13, v11, v9
	v_and_b32_e32 v7, 63, v0
	v_cmp_eq_u32_e32 vcc, 0, v7
	v_lshlrev_b32_e32 v8, 2, v43
	s_and_saveexec_b64 s[0:1], vcc
	s_cbranch_execz .LBB183_23
; %bb.22:
	s_waitcnt lgkmcnt(0)
	v_max_f32_e32 v13, v13, v13
	v_max_f32_e32 v9, v9, v9
	;; [unrolled: 1-line block ×3, first 2 shown]
	ds_write_b32 v8, v9 offset:384
.LBB183_23:
	s_or_b64 exec, exec, s[0:1]
	v_cmp_gt_u32_e64 s[0:1], 2, v7
	s_waitcnt lgkmcnt(0)
	v_mov_b32_e32 v13, 0xff7fffff
	v_lshlrev_b32_e32 v9, 2, v7
	s_barrier
	s_and_saveexec_b64 s[2:3], s[0:1]
; %bb.24:
	ds_read_b32 v13, v9 offset:384
; %bb.25:
	s_or_b64 exec, exec, s[2:3]
	v_xor_b32_e32 v15, 1, v2
	v_cmp_lt_i32_e64 s[2:3], v15, v3
	v_lshlrev_b32_e32 v12, 2, v12
	s_nop 0
	v_cndmask_b32_e64 v15, v2, v15, s[2:3]
	v_lshlrev_b32_e32 v45, 2, v15
	s_waitcnt lgkmcnt(0)
	ds_bpermute_b32 v15, v45, v13
	v_max_f32_e32 v13, v13, v13
	s_lshl_b32 s2, s20, 4
	s_min_i32 s37, s2, s33
	v_cmp_gt_i32_e64 s[2:3], s37, v0
	s_waitcnt lgkmcnt(0)
	v_max_f32_e32 v15, v15, v15
	v_max_f32_e32 v13, v13, v15
	ds_bpermute_b32 v13, v12, v13
	v_mov_b32_e32 v12, 0
	s_and_saveexec_b64 s[12:13], s[2:3]
	s_cbranch_execz .LBB183_29
; %bb.26:
	v_mov_b32_e32 v12, 0x190
	v_lshl_add_u32 v15, v0, 2, v12
	v_mov_b32_e32 v12, 0
	s_mov_b64 s[18:19], 0
	v_mov_b32_e32 v17, v0
.LBB183_27:                             ; =>This Inner Loop Header: Depth=1
	ds_read_b32 v18, v15
	v_add_u32_e32 v17, 0x80, v17
	v_cmp_le_i32_e64 s[8:9], s37, v17
	s_or_b64 s[18:19], s[8:9], s[18:19]
	s_waitcnt lgkmcnt(0)
	v_sub_f32_e32 v18, v18, v13
	v_mul_f32_e32 v18, 0x3fb8aa3b, v18
	v_exp_f32_e32 v18, v18
	ds_write_b32 v15, v18
	v_add_f32_e32 v12, v12, v18
	v_add_u32_e32 v15, 0x200, v15
	s_andn2_b64 exec, exec, s[18:19]
	s_cbranch_execnz .LBB183_27
; %bb.28:
	s_or_b64 exec, exec, s[18:19]
.LBB183_29:
	s_or_b64 exec, exec, s[12:13]
	ds_bpermute_b32 v4, v4, v12
	s_waitcnt lgkmcnt(0)
	v_add_f32_e32 v4, v12, v4
	ds_bpermute_b32 v5, v5, v4
	s_waitcnt lgkmcnt(0)
	v_add_f32_e32 v4, v4, v5
	ds_bpermute_b32 v5, v10, v4
	v_xor_b32_e32 v10, 2, v2
	v_cmp_lt_i32_e64 s[8:9], v10, v3
	s_waitcnt lgkmcnt(0)
	v_add_f32_e32 v4, v4, v5
	ds_bpermute_b32 v5, v11, v4
	v_cndmask_b32_e64 v3, v2, v10, s[8:9]
	v_lshlrev_b32_e32 v46, 2, v3
	s_waitcnt lgkmcnt(0)
	v_add_f32_e32 v4, v4, v5
	ds_bpermute_b32 v3, v46, v4
	s_waitcnt lgkmcnt(0)
	v_add_f32_e32 v3, v4, v3
	ds_bpermute_b32 v4, v45, v3
	s_waitcnt lgkmcnt(0)
	v_add_f32_e32 v3, v3, v4
	s_and_saveexec_b64 s[8:9], vcc
; %bb.30:
	ds_write_b32 v8, v3 offset:392
; %bb.31:
	s_or_b64 exec, exec, s[8:9]
	s_waitcnt lgkmcnt(0)
	s_barrier
	s_and_saveexec_b64 s[8:9], s[0:1]
; %bb.32:
	ds_read_b32 v3, v9 offset:392
; %bb.33:
	s_or_b64 exec, exec, s[8:9]
	s_waitcnt lgkmcnt(0)
	ds_bpermute_b32 v4, v45, v3
	v_lshlrev_b32_e32 v2, 2, v2
	v_and_b32_e32 v2, 0x100, v2
	s_waitcnt lgkmcnt(0)
	v_add_f32_e32 v3, v3, v4
	ds_bpermute_b32 v2, v2, v3
	s_and_saveexec_b64 s[0:1], s[2:3]
	s_cbranch_execz .LBB183_46
; %bb.34:
	s_waitcnt lgkmcnt(0)
	v_add_f32_e32 v2, 0x358637bd, v2
	v_div_scale_f32 v3, s[2:3], v2, v2, 1.0
	v_rcp_f32_e32 v4, v3
	v_div_scale_f32 v5, vcc, 1.0, v2, 1.0
	s_movk_i32 s2, 0x7f
	v_fma_f32 v8, -v3, v4, 1.0
	v_fmac_f32_e32 v4, v8, v4
	v_mul_f32_e32 v8, v5, v4
	v_fma_f32 v9, -v3, v8, v5
	v_fmac_f32_e32 v8, v9, v4
	v_fma_f32 v3, -v3, v8, v5
	v_div_fmas_f32 v3, v3, v4, v8
	v_xad_u32 v4, v0, -1, s37
	v_div_fixup_f32 v2, v3, v2, 1.0
	v_cmp_lt_u32_e32 vcc, s2, v4
	s_mov_b64 s[8:9], -1
	v_mov_b32_e32 v3, v0
	s_and_saveexec_b64 s[2:3], vcc
	s_cbranch_execz .LBB183_43
; %bb.35:
	v_lshrrev_b32_e32 v4, 7, v4
	v_add_u32_e32 v8, -1, v4
	v_lshrrev_b32_e32 v5, 1, v8
	v_mov_b32_e32 v3, v2
	v_add_u32_e32 v5, 1, v5
	v_cmp_lt_u32_e32 vcc, 13, v8
	v_mov_b32_e32 v10, 0
	s_and_saveexec_b64 s[8:9], vcc
	s_cbranch_execz .LBB183_39
; %bb.36:
	v_mov_b32_e32 v9, 0x190
	v_and_b32_e32 v8, -8, v5
	v_lshl_add_u32 v9, v0, 2, v9
	s_mov_b32 s18, 0
	s_mov_b64 s[12:13], 0
.LBB183_37:                             ; =>This Inner Loop Header: Depth=1
	ds_read2st64_b32 v[10:11], v9 offset1:2
	ds_read2st64_b32 v[12:13], v9 offset0:4 offset1:6
	ds_read2st64_b32 v[18:19], v9 offset0:8 offset1:10
	;; [unrolled: 1-line block ×3, first 2 shown]
	v_add_u32_e32 v8, -8, v8
	s_waitcnt lgkmcnt(3)
	v_pk_mul_f32 v[10:11], v[2:3], v[10:11]
	s_waitcnt lgkmcnt(2)
	v_pk_mul_f32 v[12:13], v[2:3], v[12:13]
	ds_write2st64_b32 v9, v10, v11 offset1:2
	ds_write2st64_b32 v9, v12, v13 offset0:4 offset1:6
	ds_read2st64_b32 v[12:13], v9 offset0:16 offset1:18
	s_waitcnt lgkmcnt(4)
	v_pk_mul_f32 v[10:11], v[2:3], v[18:19]
	ds_write2st64_b32 v9, v10, v11 offset0:8 offset1:10
	s_waitcnt lgkmcnt(4)
	v_pk_mul_f32 v[10:11], v[2:3], v[20:21]
	ds_write2st64_b32 v9, v10, v11 offset0:12 offset1:14
	ds_read2st64_b32 v[10:11], v9 offset0:20 offset1:22
	s_waitcnt lgkmcnt(3)
	v_pk_mul_f32 v[12:13], v[2:3], v[12:13]
	ds_read2st64_b32 v[18:19], v9 offset0:24 offset1:26
	ds_write2st64_b32 v9, v12, v13 offset0:16 offset1:18
	ds_read2st64_b32 v[12:13], v9 offset0:28 offset1:30
	s_waitcnt lgkmcnt(3)
	v_pk_mul_f32 v[10:11], v[2:3], v[10:11]
	ds_write2st64_b32 v9, v10, v11 offset0:20 offset1:22
	s_waitcnt lgkmcnt(3)
	v_pk_mul_f32 v[10:11], v[2:3], v[18:19]
	ds_write2st64_b32 v9, v10, v11 offset0:24 offset1:26
	s_waitcnt lgkmcnt(2)
	v_pk_mul_f32 v[10:11], v[2:3], v[12:13]
	s_add_i32 s18, s18, 16
	v_cmp_eq_u32_e32 vcc, 0, v8
	ds_write2st64_b32 v9, v10, v11 offset0:28 offset1:30
	v_add_u32_e32 v9, 0x2000, v9
	s_or_b64 s[12:13], vcc, s[12:13]
	v_mov_b32_e32 v10, s18
	s_andn2_b64 exec, exec, s[12:13]
	s_cbranch_execnz .LBB183_37
; %bb.38:
	s_or_b64 exec, exec, s[12:13]
.LBB183_39:
	s_or_b64 exec, exec, s[8:9]
	v_and_b32_e32 v5, 7, v5
	v_cmp_ne_u32_e32 vcc, 0, v5
	s_and_saveexec_b64 s[8:9], vcc
	s_cbranch_execz .LBB183_42
; %bb.40:
	v_lshlrev_b32_e32 v8, 9, v10
	s_movk_i32 s12, 0x190
	v_add3_u32 v8, v8, v14, s12
	s_mov_b64 s[12:13], 0
.LBB183_41:                             ; =>This Inner Loop Header: Depth=1
	ds_read2st64_b32 v[10:11], v8 offset1:2
	v_add_u32_e32 v5, -1, v5
	v_cmp_eq_u32_e32 vcc, 0, v5
	s_or_b64 s[12:13], vcc, s[12:13]
	s_waitcnt lgkmcnt(0)
	v_pk_mul_f32 v[10:11], v[2:3], v[10:11]
	ds_write2st64_b32 v8, v10, v11 offset1:2
	v_add_u32_e32 v8, 0x400, v8
	s_andn2_b64 exec, exec, s[12:13]
	s_cbranch_execnz .LBB183_41
.LBB183_42:
	s_or_b64 exec, exec, s[8:9]
	v_add_u32_e32 v4, 1, v4
	v_and_b32_e32 v5, 0x3fffffe, v4
	v_cmp_ne_u32_e32 vcc, v4, v5
	v_lshl_add_u32 v3, v5, 7, v0
	s_orn2_b64 s[8:9], vcc, exec
.LBB183_43:
	s_or_b64 exec, exec, s[2:3]
	s_and_b64 exec, exec, s[8:9]
	s_cbranch_execz .LBB183_46
; %bb.44:
	v_mov_b32_e32 v4, 0x190
	v_lshl_add_u32 v4, v3, 2, v4
	s_mov_b64 s[2:3], 0
.LBB183_45:                             ; =>This Inner Loop Header: Depth=1
	ds_read_b32 v5, v4
	v_add_u32_e32 v3, 0x80, v3
	v_cmp_le_i32_e32 vcc, s37, v3
	s_or_b64 s[2:3], vcc, s[2:3]
	s_waitcnt lgkmcnt(0)
	v_mul_f32_e32 v5, v2, v5
	ds_write_b32 v4, v5
	v_add_u32_e32 v4, 0x200, v4
	s_andn2_b64 exec, exec, s[2:3]
	s_cbranch_execnz .LBB183_45
.LBB183_46:
	s_or_b64 exec, exec, s[0:1]
	v_mov_b32_e32 v11, 0
	v_mov_b32_e32 v10, 0
	;; [unrolled: 1-line block ×6, first 2 shown]
	s_waitcnt lgkmcnt(0)
	s_barrier
	s_and_saveexec_b64 s[2:3], s[6:7]
	s_cbranch_execz .LBB183_64
; %bb.47:
	s_sub_i32 s18, s16, s21
	s_ashr_i32 s1, s43, 31
	s_add_u32 s0, s34, s43
	s_addc_u32 s1, s35, s1
	s_abs_i32 s19, s22
	v_cvt_f32_u32_e32 v2, s19
	v_and_b32_e32 v8, 0xfc, v14
	v_mov_b32_e32 v9, 0
	v_and_b32_e32 v47, 12, v14
	v_rcp_iflag_f32_e32 v2, v2
	v_lshl_add_u64 v[14:15], s[0:1], 0, v[8:9]
	s_sub_i32 s0, 0, s19
	s_add_i32 s22, s20, -1
	v_mul_f32_e32 v2, 0x4f7ffffe, v2
	v_cvt_u32_f32_e32 v2, v2
	v_and_b32_e32 v8, 60, v16
	s_mov_b32 s21, s17
	s_mov_b32 s34, s33
	v_mul_lo_u32 v3, s0, v2
	v_mul_hi_u32 v3, v2, v3
	s_lshl_b64 s[0:1], s[30:31], 2
	v_add_u32_e32 v48, v2, v3
	s_add_u32 s0, s28, s0
	v_lshlrev_b32_e32 v2, 4, v6
	s_addc_u32 s1, s29, s1
	v_lshl_or_b32 v2, v43, 6, v2
	v_lshl_add_u64 v[16:17], s[0:1], 0, v[8:9]
	v_add_u32_e32 v49, 0x190, v2
	s_mov_b64 s[6:7], 0
	v_mov_b32_e32 v8, v9
	v_mov_b32_e32 v12, v9
	;; [unrolled: 1-line block ×5, first 2 shown]
	s_branch .LBB183_50
.LBB183_48:                             ;   in Loop: Header=BB183_50 Depth=1
	s_or_b64 exec, exec, s[0:1]
	v_mul_f32_e32 v38, v2, v38
	v_mul_f32_e32 v34, v2, v34
	;; [unrolled: 1-line block ×5, first 2 shown]
	v_fmac_f32_e32 v38, v3, v39
	v_fmac_f32_e32 v34, v3, v35
	;; [unrolled: 1-line block ×10, first 2 shown]
	v_pk_mul_f32 v[2:3], v[2:3], v[40:41]
	v_fmac_f32_e32 v38, v5, v37
	v_fmac_f32_e32 v34, v5, v33
	;; [unrolled: 1-line block ×5, first 2 shown]
	v_pk_mul_f32 v[4:5], v[4:5], v[26:27]
	v_add_f32_e32 v2, v3, v2
	v_add_f32_e32 v2, v4, v2
	v_add_f32_e32 v2, v5, v2
	v_add_f32_e32 v10, v10, v38
	v_add_f32_e32 v13, v13, v34
	v_add_f32_e32 v12, v12, v30
	v_add_f32_e32 v9, v9, v24
	v_add_f32_e32 v8, v8, v20
	v_add_f32_e32 v11, v11, v2
.LBB183_49:                             ;   in Loop: Header=BB183_50 Depth=1
	s_or_b64 exec, exec, s[8:9]
	v_add_u32_e32 v43, 2, v43
	v_cmp_le_i32_e32 vcc, s20, v43
	v_lshl_add_u64 v[16:17], v[16:17], 0, 8
	v_add_u32_e32 v44, 32, v44
	s_or_b64 s[6:7], vcc, s[6:7]
	v_add_u32_e32 v49, 0x80, v49
	s_andn2_b64 exec, exec, s[6:7]
	s_cbranch_execz .LBB183_63
.LBB183_50:                             ; =>This Inner Loop Header: Depth=1
	v_mul_hi_u32 v2, v44, s42
	v_mul_lo_u32 v3, v2, s25
	v_sub_u32_e32 v3, v44, v3
	v_add_u32_e32 v4, 1, v2
	v_cmp_le_u32_e32 vcc, s25, v3
	s_nop 1
	v_cndmask_b32_e32 v2, v2, v4, vcc
	v_subrev_u32_e32 v4, s25, v3
	v_cndmask_b32_e32 v3, v3, v4, vcc
	v_add_u32_e32 v4, 1, v2
	v_cmp_le_u32_e32 vcc, s25, v3
	s_nop 1
	v_cndmask_b32_e32 v2, v2, v4, vcc
	v_xor_b32_e32 v2, s23, v2
	v_subrev_u32_e32 v2, s23, v2
	v_add_u32_e32 v3, s36, v2
	v_sub_u32_e32 v5, 0, v3
	v_ashrrev_i32_e32 v4, 31, v3
	v_max_i32_e32 v3, v3, v5
	v_mul_hi_u32 v5, v3, v48
	v_mul_lo_u32 v5, v5, s19
	v_sub_u32_e32 v3, v3, v5
	v_subrev_u32_e32 v5, s19, v3
	v_cmp_le_u32_e32 vcc, s19, v3
	v_cmp_lt_i32_e64 s[0:1], s18, v2
	s_nop 0
	v_cndmask_b32_e32 v3, v3, v5, vcc
	v_subrev_u32_e32 v5, s19, v3
	v_cmp_le_u32_e32 vcc, s19, v3
	s_nop 1
	v_cndmask_b32_e32 v3, v3, v5, vcc
	v_xor_b32_e32 v3, v3, v4
	v_sub_u32_e32 v3, v3, v4
	v_cmp_eq_u32_e32 vcc, 0, v3
	s_or_b64 s[0:1], vcc, s[0:1]
	s_and_saveexec_b64 s[8:9], s[0:1]
	s_cbranch_execz .LBB183_49
; %bb.51:                               ;   in Loop: Header=BB183_50 Depth=1
	global_load_dword v2, v[16:17], off
	s_load_dword s12, s[14:15], 0x0
	v_add_u32_e32 v50, v47, v44
	v_cmp_eq_u32_e32 vcc, s22, v43
	v_add_u32_e32 v51, 1, v50
	v_add_u32_e32 v40, 2, v50
	v_add_u32_e32 v41, 3, v50
	s_waitcnt vmcnt(0)
	v_mad_i64_i32 v[26:27], s[0:1], v2, s21, v[14:15]
	global_load_dword v18, v[26:27], off
	ds_read_b128 v[2:5], v49
	s_waitcnt vmcnt(0)
	v_and_b32_e32 v19, 0xffff, v18
	v_lshrrev_b32_e32 v20, 16, v18
	v_cvt_pk_f32_fp8_e32 v[18:19], v19
	v_cvt_pk_f32_fp8_e32 v[22:23], v20
	s_waitcnt lgkmcnt(0)
	v_pk_mul_f32 v[20:21], v[18:19], s[12:13] op_sel_hi:[1,0]
	v_pk_mul_f32 v[18:19], s[12:13], v[22:23] op_sel_hi:[0,1]
	s_and_saveexec_b64 s[16:17], vcc
; %bb.52:                               ;   in Loop: Header=BB183_50 Depth=1
	v_cmp_gt_i32_e64 s[0:1], s33, v50
	s_nop 1
	v_cndmask_b32_e64 v20, 0, v20, s[0:1]
	v_cmp_gt_i32_e64 s[0:1], s33, v51
	s_nop 1
	v_cndmask_b32_e64 v21, 0, v21, s[0:1]
	;; [unrolled: 3-line block ×4, first 2 shown]
; %bb.53:                               ;   in Loop: Header=BB183_50 Depth=1
	s_or_b64 exec, exec, s[16:17]
	global_load_dword v22, v[26:27], off offset:256
	s_mov_b32 s13, s12
	s_waitcnt vmcnt(0)
	v_and_b32_e32 v23, 0xffff, v22
	v_lshrrev_b32_e32 v24, 16, v22
	v_cvt_pk_f32_fp8_e32 v[22:23], v23
	v_cvt_pk_f32_fp8_e32 v[28:29], v24
	v_pk_mul_f32 v[24:25], s[12:13], v[22:23]
	v_pk_mul_f32 v[22:23], s[12:13], v[28:29]
	s_and_saveexec_b64 s[16:17], vcc
; %bb.54:                               ;   in Loop: Header=BB183_50 Depth=1
	v_cmp_gt_i32_e64 s[0:1], s33, v50
	s_nop 1
	v_cndmask_b32_e64 v24, 0, v24, s[0:1]
	v_cmp_gt_i32_e64 s[0:1], s33, v51
	s_nop 1
	v_cndmask_b32_e64 v25, 0, v25, s[0:1]
	v_cmp_gt_i32_e64 s[0:1], s33, v40
	s_nop 1
	v_cndmask_b32_e64 v22, 0, v22, s[0:1]
	v_cmp_gt_i32_e64 s[0:1], s33, v41
	s_nop 1
	v_cndmask_b32_e64 v23, 0, v23, s[0:1]
; %bb.55:                               ;   in Loop: Header=BB183_50 Depth=1
	s_or_b64 exec, exec, s[16:17]
	global_load_dword v28, v[26:27], off offset:512
	s_waitcnt vmcnt(0)
	v_and_b32_e32 v29, 0xffff, v28
	v_lshrrev_b32_e32 v30, 16, v28
	v_cvt_pk_f32_fp8_e32 v[28:29], v29
	v_cvt_pk_f32_fp8_e32 v[32:33], v30
	v_pk_mul_f32 v[30:31], s[12:13], v[28:29]
	v_pk_mul_f32 v[28:29], s[12:13], v[32:33]
	s_and_saveexec_b64 s[16:17], vcc
; %bb.56:                               ;   in Loop: Header=BB183_50 Depth=1
	v_cmp_gt_i32_e64 s[0:1], s33, v50
	s_nop 1
	v_cndmask_b32_e64 v30, 0, v30, s[0:1]
	v_cmp_gt_i32_e64 s[0:1], s33, v51
	s_nop 1
	v_cndmask_b32_e64 v31, 0, v31, s[0:1]
	v_cmp_gt_i32_e64 s[0:1], s33, v40
	s_nop 1
	v_cndmask_b32_e64 v28, 0, v28, s[0:1]
	v_cmp_gt_i32_e64 s[0:1], s33, v41
	s_nop 1
	v_cndmask_b32_e64 v29, 0, v29, s[0:1]
; %bb.57:                               ;   in Loop: Header=BB183_50 Depth=1
	s_or_b64 exec, exec, s[16:17]
	global_load_dword v32, v[26:27], off offset:768
	;; [unrolled: 24-line block ×4, first 2 shown]
	s_waitcnt vmcnt(0)
	v_and_b32_e32 v27, 0xffff, v26
	v_lshrrev_b32_e32 v40, 16, v26
	v_cvt_pk_f32_fp8_e32 v[26:27], v27
	v_cvt_pk_f32_fp8_e32 v[52:53], v40
	v_pk_mul_f32 v[40:41], s[12:13], v[26:27]
	v_pk_mul_f32 v[26:27], s[12:13], v[52:53]
	s_and_saveexec_b64 s[0:1], vcc
	s_cbranch_execz .LBB183_48
; %bb.62:                               ;   in Loop: Header=BB183_50 Depth=1
	v_cmp_gt_i32_e32 vcc, s34, v51
	v_or_b32_e32 v51, 3, v50
	s_nop 0
	v_cndmask_b32_e32 v41, 0, v41, vcc
	v_cmp_gt_i32_e32 vcc, s33, v50
	v_or_b32_e32 v50, 2, v50
	s_nop 0
	v_cndmask_b32_e32 v40, 0, v40, vcc
	v_cmp_gt_i32_e32 vcc, s34, v51
	s_nop 1
	v_cndmask_b32_e32 v27, 0, v27, vcc
	v_cmp_gt_i32_e32 vcc, s33, v50
	s_nop 1
	v_cndmask_b32_e32 v26, 0, v26, vcc
	s_branch .LBB183_48
.LBB183_63:
	s_or_b64 exec, exec, s[6:7]
.LBB183_64:
	s_or_b64 exec, exec, s[2:3]
	ds_bpermute_b32 v2, v46, v8
	ds_bpermute_b32 v3, v46, v9
	;; [unrolled: 1-line block ×6, first 2 shown]
	s_waitcnt lgkmcnt(4)
	v_pk_add_f32 v[2:3], v[8:9], v[2:3]
	ds_bpermute_b32 v8, v45, v2
	ds_bpermute_b32 v9, v45, v3
	s_waitcnt lgkmcnt(4)
	v_pk_add_f32 v[12:13], v[12:13], v[4:5]
	ds_bpermute_b32 v14, v45, v12
	ds_bpermute_b32 v15, v45, v13
	s_waitcnt lgkmcnt(0)
	v_pk_add_f32 v[4:5], v[2:3], v[8:9]
	v_pk_add_f32 v[8:9], v[10:11], v[16:17]
	ds_bpermute_b32 v10, v45, v8
	ds_bpermute_b32 v11, v45, v9
	v_pk_add_f32 v[2:3], v[12:13], v[14:15]
	v_and_b32_e32 v12, 0x3c3, v0
	v_cmp_ne_u32_e32 vcc, 64, v12
	s_barrier
	s_waitcnt lgkmcnt(0)
	s_and_saveexec_b64 s[0:1], vcc
	s_xor_b64 s[0:1], exec, s[0:1]
; %bb.65:
                                        ; implicit-def: $vgpr7
; %bb.66:
	s_or_saveexec_b64 s[0:1], s[0:1]
	v_pk_add_f32 v[8:9], v[8:9], v[10:11]
	s_xor_b64 exec, exec, s[0:1]
	s_cbranch_execz .LBB183_68
; %bb.67:
	v_add_u32_e32 v7, 0x190, v7
	ds_write2_b32 v7, v4, v5 offset1:16
	ds_write2_b32 v7, v2, v3 offset0:32 offset1:48
	ds_write2_b32 v7, v8, v9 offset0:64 offset1:80
.LBB183_68:
	s_or_b64 exec, exec, s[0:1]
	v_cmp_gt_u32_e32 vcc, 64, v0
	s_waitcnt lgkmcnt(0)
	s_barrier
	s_and_saveexec_b64 s[0:1], vcc
	s_cbranch_execz .LBB183_77
; %bb.69:
	v_mov_b32_e32 v0, 0x190
	v_cmp_eq_u32_e32 vcc, 0, v6
	v_lshl_add_u32 v0, v42, 2, v0
	s_and_saveexec_b64 s[2:3], vcc
	s_cbranch_execnz .LBB183_80
; %bb.70:
	s_or_b64 exec, exec, s[2:3]
	s_and_saveexec_b64 s[2:3], vcc
	s_cbranch_execnz .LBB183_81
.LBB183_71:
	s_or_b64 exec, exec, s[2:3]
	s_and_saveexec_b64 s[2:3], vcc
	s_cbranch_execnz .LBB183_82
.LBB183_72:
	s_or_b64 exec, exec, s[2:3]
	s_and_saveexec_b64 s[2:3], vcc
	s_cbranch_execnz .LBB183_83
.LBB183_73:
	s_or_b64 exec, exec, s[2:3]
	s_and_saveexec_b64 s[2:3], vcc
	s_cbranch_execnz .LBB183_84
.LBB183_74:
	s_or_b64 exec, exec, s[2:3]
	s_and_saveexec_b64 s[2:3], vcc
	s_cbranch_execz .LBB183_76
.LBB183_75:
	ds_read_b32 v0, v0 offset:320
	s_waitcnt lgkmcnt(0)
	v_add_f32_e32 v9, v9, v0
.LBB183_76:
	s_or_b64 exec, exec, s[2:3]
.LBB183_77:
	s_or_b64 exec, exec, s[0:1]
	v_cmp_eq_u32_e32 vcc, 0, v12
	s_barrier
	s_and_saveexec_b64 s[0:1], vcc
	s_cbranch_execz .LBB183_79
; %bb.78:
	s_mul_i32 s0, s10, s11
	s_mul_i32 s0, s0, s5
	s_mulk_i32 s0, 0x60
	s_ashr_i32 s1, s0, 31
	s_lshl_b64 s[0:1], s[0:1], 2
	s_add_u32 s2, s26, s0
	s_mul_i32 s0, s11, s24
	s_addc_u32 s3, s27, s1
	s_ashr_i32 s1, s0, 31
	s_lshl_b64 s[0:1], s[0:1], 2
	s_add_u32 s2, s2, s0
	s_mul_i32 s0, s4, 0x60
	s_addc_u32 s3, s3, s1
	s_ashr_i32 s1, s0, 31
	s_lshl_b64 s[0:1], s[0:1], 2
	s_add_u32 s0, s2, s0
	s_addc_u32 s1, s3, s1
	global_store_dword v1, v4, s[0:1]
	global_store_dword v1, v5, s[0:1] offset:64
	global_store_dword v1, v2, s[0:1] offset:128
	;; [unrolled: 1-line block ×5, first 2 shown]
.LBB183_79:
	s_endpgm
.LBB183_80:
	ds_read_b32 v6, v0
	s_waitcnt lgkmcnt(0)
	v_add_f32_e32 v4, v4, v6
	s_or_b64 exec, exec, s[2:3]
	s_and_saveexec_b64 s[2:3], vcc
	s_cbranch_execz .LBB183_71
.LBB183_81:
	ds_read_b32 v6, v0 offset:64
	s_waitcnt lgkmcnt(0)
	v_add_f32_e32 v5, v5, v6
	s_or_b64 exec, exec, s[2:3]
	s_and_saveexec_b64 s[2:3], vcc
	s_cbranch_execz .LBB183_72
.LBB183_82:
	ds_read_b32 v6, v0 offset:128
	s_waitcnt lgkmcnt(0)
	v_add_f32_e32 v2, v2, v6
	s_or_b64 exec, exec, s[2:3]
	s_and_saveexec_b64 s[2:3], vcc
	s_cbranch_execz .LBB183_73
.LBB183_83:
	ds_read_b32 v6, v0 offset:192
	s_waitcnt lgkmcnt(0)
	v_add_f32_e32 v3, v3, v6
	s_or_b64 exec, exec, s[2:3]
	s_and_saveexec_b64 s[2:3], vcc
	s_cbranch_execz .LBB183_74
.LBB183_84:
	ds_read_b32 v6, v0 offset:256
	s_waitcnt lgkmcnt(0)
	v_add_f32_e32 v8, v8, v6
	s_or_b64 exec, exec, s[2:3]
	s_and_saveexec_b64 s[2:3], vcc
	s_cbranch_execnz .LBB183_75
	s_branch .LBB183_76
	.section	.rodata,"a",@progbits
	.p2align	6, 0x0
	.amdhsa_kernel _ZN4vllm25paged_attention_v1_kernelIfhLi96ELi16ELi128ELNS_18Fp8KVCacheDataTypeE1ELb1EEEvPT_PKS2_PKT0_S8_ifPKiSA_iPKfiiiSC_SC_iiiii
		.amdhsa_group_segment_fixed_size 400
		.amdhsa_private_segment_fixed_size 0
		.amdhsa_kernarg_size 384
		.amdhsa_user_sgpr_count 2
		.amdhsa_user_sgpr_dispatch_ptr 0
		.amdhsa_user_sgpr_queue_ptr 0
		.amdhsa_user_sgpr_kernarg_segment_ptr 1
		.amdhsa_user_sgpr_dispatch_id 0
		.amdhsa_user_sgpr_kernarg_preload_length 0
		.amdhsa_user_sgpr_kernarg_preload_offset 0
		.amdhsa_user_sgpr_private_segment_size 0
		.amdhsa_uses_dynamic_stack 0
		.amdhsa_enable_private_segment 0
		.amdhsa_system_sgpr_workgroup_id_x 1
		.amdhsa_system_sgpr_workgroup_id_y 1
		.amdhsa_system_sgpr_workgroup_id_z 1
		.amdhsa_system_sgpr_workgroup_info 0
		.amdhsa_system_vgpr_workitem_id 0
		.amdhsa_next_free_vgpr 75
		.amdhsa_next_free_sgpr 48
		.amdhsa_accum_offset 76
		.amdhsa_reserve_vcc 1
		.amdhsa_float_round_mode_32 0
		.amdhsa_float_round_mode_16_64 0
		.amdhsa_float_denorm_mode_32 3
		.amdhsa_float_denorm_mode_16_64 3
		.amdhsa_dx10_clamp 1
		.amdhsa_ieee_mode 1
		.amdhsa_fp16_overflow 0
		.amdhsa_tg_split 0
		.amdhsa_exception_fp_ieee_invalid_op 0
		.amdhsa_exception_fp_denorm_src 0
		.amdhsa_exception_fp_ieee_div_zero 0
		.amdhsa_exception_fp_ieee_overflow 0
		.amdhsa_exception_fp_ieee_underflow 0
		.amdhsa_exception_fp_ieee_inexact 0
		.amdhsa_exception_int_div_zero 0
	.end_amdhsa_kernel
	.section	.text._ZN4vllm25paged_attention_v1_kernelIfhLi96ELi16ELi128ELNS_18Fp8KVCacheDataTypeE1ELb1EEEvPT_PKS2_PKT0_S8_ifPKiSA_iPKfiiiSC_SC_iiiii,"axG",@progbits,_ZN4vllm25paged_attention_v1_kernelIfhLi96ELi16ELi128ELNS_18Fp8KVCacheDataTypeE1ELb1EEEvPT_PKS2_PKT0_S8_ifPKiSA_iPKfiiiSC_SC_iiiii,comdat
.Lfunc_end183:
	.size	_ZN4vllm25paged_attention_v1_kernelIfhLi96ELi16ELi128ELNS_18Fp8KVCacheDataTypeE1ELb1EEEvPT_PKS2_PKT0_S8_ifPKiSA_iPKfiiiSC_SC_iiiii, .Lfunc_end183-_ZN4vllm25paged_attention_v1_kernelIfhLi96ELi16ELi128ELNS_18Fp8KVCacheDataTypeE1ELb1EEEvPT_PKS2_PKT0_S8_ifPKiSA_iPKfiiiSC_SC_iiiii
                                        ; -- End function
	.set _ZN4vllm25paged_attention_v1_kernelIfhLi96ELi16ELi128ELNS_18Fp8KVCacheDataTypeE1ELb1EEEvPT_PKS2_PKT0_S8_ifPKiSA_iPKfiiiSC_SC_iiiii.num_vgpr, 75
	.set _ZN4vllm25paged_attention_v1_kernelIfhLi96ELi16ELi128ELNS_18Fp8KVCacheDataTypeE1ELb1EEEvPT_PKS2_PKT0_S8_ifPKiSA_iPKfiiiSC_SC_iiiii.num_agpr, 0
	.set _ZN4vllm25paged_attention_v1_kernelIfhLi96ELi16ELi128ELNS_18Fp8KVCacheDataTypeE1ELb1EEEvPT_PKS2_PKT0_S8_ifPKiSA_iPKfiiiSC_SC_iiiii.numbered_sgpr, 48
	.set _ZN4vllm25paged_attention_v1_kernelIfhLi96ELi16ELi128ELNS_18Fp8KVCacheDataTypeE1ELb1EEEvPT_PKS2_PKT0_S8_ifPKiSA_iPKfiiiSC_SC_iiiii.num_named_barrier, 0
	.set _ZN4vllm25paged_attention_v1_kernelIfhLi96ELi16ELi128ELNS_18Fp8KVCacheDataTypeE1ELb1EEEvPT_PKS2_PKT0_S8_ifPKiSA_iPKfiiiSC_SC_iiiii.private_seg_size, 0
	.set _ZN4vllm25paged_attention_v1_kernelIfhLi96ELi16ELi128ELNS_18Fp8KVCacheDataTypeE1ELb1EEEvPT_PKS2_PKT0_S8_ifPKiSA_iPKfiiiSC_SC_iiiii.uses_vcc, 1
	.set _ZN4vllm25paged_attention_v1_kernelIfhLi96ELi16ELi128ELNS_18Fp8KVCacheDataTypeE1ELb1EEEvPT_PKS2_PKT0_S8_ifPKiSA_iPKfiiiSC_SC_iiiii.uses_flat_scratch, 0
	.set _ZN4vllm25paged_attention_v1_kernelIfhLi96ELi16ELi128ELNS_18Fp8KVCacheDataTypeE1ELb1EEEvPT_PKS2_PKT0_S8_ifPKiSA_iPKfiiiSC_SC_iiiii.has_dyn_sized_stack, 0
	.set _ZN4vllm25paged_attention_v1_kernelIfhLi96ELi16ELi128ELNS_18Fp8KVCacheDataTypeE1ELb1EEEvPT_PKS2_PKT0_S8_ifPKiSA_iPKfiiiSC_SC_iiiii.has_recursion, 0
	.set _ZN4vllm25paged_attention_v1_kernelIfhLi96ELi16ELi128ELNS_18Fp8KVCacheDataTypeE1ELb1EEEvPT_PKS2_PKT0_S8_ifPKiSA_iPKfiiiSC_SC_iiiii.has_indirect_call, 0
	.section	.AMDGPU.csdata,"",@progbits
; Kernel info:
; codeLenInByte = 5544
; TotalNumSgprs: 54
; NumVgprs: 75
; NumAgprs: 0
; TotalNumVgprs: 75
; ScratchSize: 0
; MemoryBound: 0
; FloatMode: 240
; IeeeMode: 1
; LDSByteSize: 400 bytes/workgroup (compile time only)
; SGPRBlocks: 6
; VGPRBlocks: 9
; NumSGPRsForWavesPerEU: 54
; NumVGPRsForWavesPerEU: 75
; AccumOffset: 76
; Occupancy: 6
; WaveLimiterHint : 1
; COMPUTE_PGM_RSRC2:SCRATCH_EN: 0
; COMPUTE_PGM_RSRC2:USER_SGPR: 2
; COMPUTE_PGM_RSRC2:TRAP_HANDLER: 0
; COMPUTE_PGM_RSRC2:TGID_X_EN: 1
; COMPUTE_PGM_RSRC2:TGID_Y_EN: 1
; COMPUTE_PGM_RSRC2:TGID_Z_EN: 1
; COMPUTE_PGM_RSRC2:TIDIG_COMP_CNT: 0
; COMPUTE_PGM_RSRC3_GFX90A:ACCUM_OFFSET: 18
; COMPUTE_PGM_RSRC3_GFX90A:TG_SPLIT: 0
	.section	.text._ZN4vllm25paged_attention_v1_kernelIfhLi112ELi16ELi128ELNS_18Fp8KVCacheDataTypeE1ELb1EEEvPT_PKS2_PKT0_S8_ifPKiSA_iPKfiiiSC_SC_iiiii,"axG",@progbits,_ZN4vllm25paged_attention_v1_kernelIfhLi112ELi16ELi128ELNS_18Fp8KVCacheDataTypeE1ELb1EEEvPT_PKS2_PKT0_S8_ifPKiSA_iPKfiiiSC_SC_iiiii,comdat
	.protected	_ZN4vllm25paged_attention_v1_kernelIfhLi112ELi16ELi128ELNS_18Fp8KVCacheDataTypeE1ELb1EEEvPT_PKS2_PKT0_S8_ifPKiSA_iPKfiiiSC_SC_iiiii ; -- Begin function _ZN4vllm25paged_attention_v1_kernelIfhLi112ELi16ELi128ELNS_18Fp8KVCacheDataTypeE1ELb1EEEvPT_PKS2_PKT0_S8_ifPKiSA_iPKfiiiSC_SC_iiiii
	.globl	_ZN4vllm25paged_attention_v1_kernelIfhLi112ELi16ELi128ELNS_18Fp8KVCacheDataTypeE1ELb1EEEvPT_PKS2_PKT0_S8_ifPKiSA_iPKfiiiSC_SC_iiiii
	.p2align	8
	.type	_ZN4vllm25paged_attention_v1_kernelIfhLi112ELi16ELi128ELNS_18Fp8KVCacheDataTypeE1ELb1EEEvPT_PKS2_PKT0_S8_ifPKiSA_iPKfiiiSC_SC_iiiii,@function
_ZN4vllm25paged_attention_v1_kernelIfhLi112ELi16ELi128ELNS_18Fp8KVCacheDataTypeE1ELb1EEEvPT_PKS2_PKT0_S8_ifPKiSA_iPKfiiiSC_SC_iiiii: ; @_ZN4vllm25paged_attention_v1_kernelIfhLi112ELi16ELi128ELNS_18Fp8KVCacheDataTypeE1ELb1EEEvPT_PKS2_PKT0_S8_ifPKiSA_iPKfiiiSC_SC_iiiii
; %bb.0:
	s_load_dword s5, s[0:1], 0x80
	s_load_dwordx2 s[6:7], s[0:1], 0x30
	s_load_dwordx2 s[36:37], s[0:1], 0x20
	s_mov_b32 s10, s3
	s_ashr_i32 s11, s3, 31
	s_lshl_b64 s[8:9], s[10:11], 2
	s_waitcnt lgkmcnt(0)
	s_add_u32 s6, s6, s8
	s_addc_u32 s7, s7, s9
	s_abs_i32 s3, s36
	v_cvt_f32_u32_e32 v1, s3
	s_sub_i32 s11, 0, s3
	s_abs_i32 s9, s5
	s_xor_b32 s8, s5, s36
	v_rcp_iflag_f32_e32 v1, v1
	s_ashr_i32 s8, s8, 31
	s_mov_b32 s44, 0
	v_mul_f32_e32 v1, 0x4f7ffffe, v1
	v_cvt_u32_f32_e32 v1, v1
	s_nop 0
	v_readfirstlane_b32 s12, v1
	s_mul_i32 s11, s11, s12
	s_mul_hi_u32 s11, s12, s11
	s_add_i32 s12, s12, s11
	s_mul_hi_u32 s11, s9, s12
	s_mul_i32 s12, s11, s3
	s_sub_i32 s9, s9, s12
	s_add_i32 s12, s11, 1
	s_sub_i32 s13, s9, s3
	s_cmp_ge_u32 s9, s3
	s_cselect_b32 s11, s12, s11
	s_cselect_b32 s9, s13, s9
	s_add_i32 s12, s11, 1
	s_cmp_ge_u32 s9, s3
	s_cselect_b32 s3, s12, s11
	s_xor_b32 s3, s3, s8
	s_sub_i32 s14, s3, s8
	s_abs_i32 s11, s14
	v_cvt_f32_u32_e32 v1, s11
	s_load_dwordx2 s[8:9], s[0:1], 0x40
	s_sub_i32 s3, 0, s11
	s_abs_i32 s12, s2
	v_rcp_iflag_f32_e32 v1, v1
	s_nop 0
	v_mul_f32_e32 v1, 0x4f7ffffe, v1
	v_cvt_u32_f32_e32 v1, v1
	s_nop 0
	v_readfirstlane_b32 s13, v1
	s_mul_i32 s3, s3, s13
	s_mul_hi_u32 s3, s13, s3
	s_add_i32 s13, s13, s3
	s_waitcnt lgkmcnt(0)
	s_cmp_eq_u64 s[8:9], 0
	s_mul_hi_u32 s13, s12, s13
	s_cbranch_scc1 .LBB184_2
; %bb.1:
	s_ashr_i32 s3, s2, 31
	s_lshl_b64 s[16:17], s[2:3], 2
	s_add_u32 s8, s8, s16
	s_addc_u32 s9, s9, s17
	s_load_dword s44, s[8:9], 0x0
.LBB184_2:
	s_load_dword s33, s[6:7], 0x0
	s_load_dwordx4 s[16:19], s[0:1], 0x48
	v_lshrrev_b32_e32 v48, 2, v0
	s_movk_i32 s3, 0x70
	s_ashr_i32 s8, s2, 31
	s_ashr_i32 s9, s14, 31
	v_and_b32_e32 v6, 3, v0
	s_mul_i32 s24, s2, 0x70
	v_cmp_gt_u32_e32 vcc, s3, v0
	v_lshlrev_b32_e32 v8, 2, v0
	v_lshlrev_b32_e32 v1, 2, v48
	s_and_saveexec_b64 s[6:7], vcc
	s_cbranch_execz .LBB184_4
; %bb.3:
	s_load_dwordx2 s[14:15], s[0:1], 0x8
	s_waitcnt lgkmcnt(0)
	s_mul_i32 s20, s16, s10
	s_ashr_i32 s21, s20, 31
	s_lshl_b64 s[20:21], s[20:21], 2
	v_mad_u32_u24 v3, v6, s3, v1
	s_add_u32 s16, s14, s20
	s_addc_u32 s19, s15, s21
	s_ashr_i32 s25, s24, 31
	s_lshl_b64 s[14:15], s[24:25], 2
	s_add_u32 s14, s16, s14
	s_addc_u32 s15, s19, s15
	global_load_dword v2, v8, s[14:15]
	s_waitcnt vmcnt(0)
	ds_write_b32 v3, v2
.LBB184_4:
	s_or_b64 exec, exec, s[6:7]
	s_mul_i32 s7, s13, s11
	s_sub_i32 s7, s12, s7
	s_xor_b32 s6, s8, s9
	s_add_i32 s8, s13, 1
	s_sub_i32 s9, s7, s11
	s_load_dwordx4 s[20:23], s[0:1], 0x68
	s_load_dword s3, s[0:1], 0x78
	s_cmp_ge_u32 s7, s11
	s_cselect_b32 s8, s8, s13
	s_cselect_b32 s7, s9, s7
	s_add_i32 s9, s8, 1
	s_cmp_ge_u32 s7, s11
	s_cselect_b32 s7, s9, s8
	s_waitcnt lgkmcnt(0)
	s_abs_i32 s25, s23
	v_cvt_f32_u32_e32 v2, s25
	s_xor_b32 s7, s7, s6
	s_sub_i32 s43, s7, s6
	s_sub_i32 s6, 0, s25
	v_rcp_iflag_f32_e32 v2, v2
	s_add_i32 s11, s33, -1
	s_abs_i32 s8, s11
	v_mul_f32_e32 v2, 0x4f7ffffe, v2
	v_cvt_u32_f32_e32 v2, v2
	s_barrier
	v_readfirstlane_b32 s42, v2
	s_mul_i32 s6, s6, s42
	s_mul_hi_u32 s6, s42, s6
	s_add_i32 s42, s42, s6
	s_cmp_lt_i32 s3, 0
	s_mul_hi_u32 s9, s8, s42
	s_cbranch_scc0 .LBB184_6
; %bb.5:
	s_mul_i32 s6, s20, s36
	s_add_i32 s6, s43, s6
	s_mul_i32 s6, s6, s3
	s_sub_i32 s36, 1, s6
	s_mov_b64 s[6:7], 0
	s_branch .LBB184_7
.LBB184_6:
	s_mov_b64 s[6:7], -1
                                        ; implicit-def: $sgpr36
.LBB184_7:
	s_load_dwordx2 s[28:29], s[0:1], 0x28
	s_ashr_i32 s16, s11, 31
	s_andn2_b64 vcc, exec, s[6:7]
	s_ashr_i32 s23, s23, 31
	s_cbranch_vccnz .LBB184_9
; %bb.8:
	s_mul_i32 s6, s5, s20
	s_add_i32 s2, s6, s2
	s_mul_i32 s2, s2, s3
	s_add_i32 s36, s2, 1
.LBB184_9:
	s_load_dword s2, s[0:1], 0x38
	s_load_dwordx2 s[26:27], s[0:1], 0x0
	s_load_dwordx2 s[34:35], s[0:1], 0x18
	s_load_dword s11, s[0:1], 0x88
	s_load_dwordx4 s[12:15], s[0:1], 0x58
	s_mul_i32 s3, s9, s25
	s_waitcnt lgkmcnt(0)
	s_mul_i32 s30, s2, s10
	s_sub_i32 s3, s8, s3
	s_ashr_i32 s31, s30, 31
	s_xor_b32 s2, s16, s23
	s_add_i32 s6, s9, 1
	s_sub_i32 s7, s3, s25
	s_cmp_ge_u32 s3, s25
	s_cselect_b32 s6, s6, s9
	s_cselect_b32 s3, s7, s3
	s_add_i32 s7, s6, 1
	s_cmp_ge_u32 s3, s25
	s_cselect_b32 s3, s7, s6
	s_xor_b32 s3, s3, s2
	s_sub_i32 s16, s3, s2
	s_add_i32 s2, s33, 15
	s_ashr_i32 s3, s2, 31
	s_lshr_b32 s3, s3, 28
	s_add_i32 s2, s2, s3
	s_ashr_i32 s20, s2, 4
	v_lshrrev_b32_e32 v49, 6, v0
	v_cmp_gt_i32_e64 s[6:7], s20, v49
	v_mov_b32_e32 v7, 0xff7fffff
	s_mul_i32 s43, s43, s18
	v_lshrrev_b32_e32 v18, 4, v0
	v_lshlrev_b32_e32 v50, 4, v49
	v_mbcnt_lo_u32_b32 v9, -1, 0
	s_and_saveexec_b64 s[18:19], s[6:7]
	s_cbranch_execz .LBB184_21
; %bb.10:
	s_load_dwordx2 s[0:1], s[0:1], 0x10
	s_sub_i32 s45, s16, s21
	s_ashr_i32 s2, s43, 31
	v_bfe_u32 v10, v0, 2, 4
	v_mov_b32_e32 v5, 0
	s_waitcnt lgkmcnt(0)
	s_add_u32 s0, s0, s43
	s_addc_u32 s1, s1, s2
	s_abs_i32 s46, s22
	v_cvt_f32_u32_e32 v2, s46
	v_lshlrev_b32_e32 v4, 4, v10
	v_mov_b32_e32 v7, v5
	v_mbcnt_hi_u32_b32 v17, -1, v9
	v_rcp_iflag_f32_e32 v2, v2
	v_cmp_eq_u32_e32 vcc, 0, v6
	s_mov_b32 s47, s17
	v_mul_u32_u24_e32 v11, 0x70, v6
	v_mul_f32_e32 v2, 0x4f7ffffe, v2
	v_cvt_u32_f32_e32 v12, v2
	v_lshl_add_u64 v[2:3], s[0:1], 0, v[4:5]
	s_sub_i32 s0, 0, s46
	v_lshl_add_u64 v[2:3], v[2:3], 0, v[6:7]
	v_subrev_u32_e32 v7, s33, v10
	v_mul_lo_u32 v4, s0, v12
	s_lshl_b64 s[0:1], s[30:31], 2
	v_add_u32_e32 v14, 1, v7
	v_lshlrev_b32_e32 v7, 2, v10
	v_mul_hi_u32 v4, v12, v4
	s_add_u32 s0, s28, s0
	v_lshl_or_b32 v7, v49, 6, v7
	v_add_u32_e32 v12, v12, v4
	v_and_b32_e32 v4, 60, v18
	s_addc_u32 s1, s29, s1
	v_add_u32_e32 v15, 0x1d0, v7
	v_and_b32_e32 v7, 64, v17
	v_cmp_neq_f32_e64 s[2:3], s44, 0
	v_lshl_add_u64 v[4:5], s[0:1], 0, v[4:5]
	v_lshlrev_b32_e32 v13, 4, v49
	v_mov_b32_e32 v16, 0xff7fffff
	s_mov_b64 s[38:39], 0
	v_add_u32_e32 v19, 64, v7
	v_xor_b32_e32 v20, 2, v17
	v_xor_b32_e32 v21, 1, v17
	v_mov_b32_e32 v7, 0xff7fffff
	v_mov_b32_e32 v22, v49
	s_branch .LBB184_13
.LBB184_11:                             ;   in Loop: Header=BB184_13 Depth=1
	s_or_b64 exec, exec, s[40:41]
.LBB184_12:                             ;   in Loop: Header=BB184_13 Depth=1
	s_or_b64 exec, exec, s[8:9]
	v_add_u32_e32 v22, 2, v22
	v_cmp_le_i32_e64 s[0:1], s20, v22
	v_lshl_add_u64 v[4:5], v[4:5], 0, 8
	v_add_u32_e32 v13, 32, v13
	s_or_b64 s[38:39], s[0:1], s[38:39]
	v_add_u32_e32 v15, 0x80, v15
	s_andn2_b64 exec, exec, s[38:39]
	s_cbranch_execz .LBB184_20
.LBB184_13:                             ; =>This Inner Loop Header: Depth=1
	v_mul_hi_u32 v23, v13, s42
	s_waitcnt lgkmcnt(0)
	v_mul_lo_u32 v24, v23, s25
	v_sub_u32_e32 v24, v13, v24
	v_add_u32_e32 v25, 1, v23
	v_cmp_le_u32_e64 s[0:1], s25, v24
	s_nop 1
	v_cndmask_b32_e64 v23, v23, v25, s[0:1]
	v_subrev_u32_e32 v25, s25, v24
	v_cndmask_b32_e64 v24, v24, v25, s[0:1]
	v_add_u32_e32 v25, 1, v23
	v_cmp_le_u32_e64 s[0:1], s25, v24
	s_nop 1
	v_cndmask_b32_e64 v23, v23, v25, s[0:1]
	v_xor_b32_e32 v23, s23, v23
	v_subrev_u32_e32 v23, s23, v23
	v_add_u32_e32 v24, s36, v23
	v_sub_u32_e32 v26, 0, v24
	v_ashrrev_i32_e32 v25, 31, v24
	v_max_i32_e32 v24, v24, v26
	v_mul_hi_u32 v26, v24, v12
	v_mul_lo_u32 v26, v26, s46
	v_sub_u32_e32 v24, v24, v26
	v_subrev_u32_e32 v26, s46, v24
	v_cmp_le_u32_e64 s[0:1], s46, v24
	v_cmp_ge_i32_e64 s[8:9], s45, v23
	s_nop 0
	v_cndmask_b32_e64 v24, v24, v26, s[0:1]
	v_subrev_u32_e32 v26, s46, v24
	v_cmp_le_u32_e64 s[0:1], s46, v24
	s_nop 1
	v_cndmask_b32_e64 v24, v24, v26, s[0:1]
	v_xor_b32_e32 v24, v24, v25
	v_sub_u32_e32 v24, v24, v25
	v_cmp_ne_u32_e64 s[0:1], 0, v24
	s_and_b64 s[0:1], s[0:1], s[8:9]
	s_and_saveexec_b64 s[8:9], s[0:1]
	s_xor_b64 s[0:1], exec, s[8:9]
	s_cbranch_execz .LBB184_17
; %bb.14:                               ;   in Loop: Header=BB184_13 Depth=1
	s_and_saveexec_b64 s[8:9], vcc
; %bb.15:                               ;   in Loop: Header=BB184_13 Depth=1
	ds_write_b32 v15, v16
; %bb.16:                               ;   in Loop: Header=BB184_13 Depth=1
	s_or_b64 exec, exec, s[8:9]
.LBB184_17:                             ;   in Loop: Header=BB184_13 Depth=1
	s_andn2_saveexec_b64 s[8:9], s[0:1]
	s_cbranch_execz .LBB184_12
; %bb.18:                               ;   in Loop: Header=BB184_13 Depth=1
	global_load_dword v23, v[4:5], off
	s_waitcnt vmcnt(0)
	v_mad_i64_i32 v[24:25], s[0:1], v23, s47, v[2:3]
	global_load_ubyte v23, v[24:25], off
	global_load_ubyte v51, v[24:25], off offset:4
	global_load_ubyte v56, v[24:25], off offset:8
	;; [unrolled: 1-line block ×27, first 2 shown]
	ds_read_b128 v[24:27], v11
	ds_read_b128 v[28:31], v11 offset:16
	ds_read_b128 v[32:35], v11 offset:32
	;; [unrolled: 1-line block ×3, first 2 shown]
	s_load_dword s40, s[12:13], 0x0
	ds_read_b128 v[40:43], v11 offset:64
	ds_read_b128 v[44:47], v11 offset:80
	;; [unrolled: 1-line block ×3, first 2 shown]
	v_cmp_lt_i32_e64 s[0:1], v20, v19
	s_waitcnt vmcnt(27)
	v_cvt_f32_fp8_e32 v23, v23
	s_waitcnt vmcnt(26)
	v_cvt_f32_fp8_e32 v51, v51
	;; [unrolled: 2-line block ×5, first 2 shown]
	s_waitcnt lgkmcnt(0)
	v_mul_f32_e32 v51, s40, v51
	s_waitcnt vmcnt(22)
	v_cvt_f32_fp8_e32 v59, v59
	v_mul_f32_e32 v23, s40, v23
	v_mul_f32_e32 v25, v25, v51
	s_waitcnt vmcnt(21)
	v_cvt_f32_fp8_e32 v60, v60
	v_mul_f32_e32 v56, s40, v56
	v_fmac_f32_e32 v25, v24, v23
	s_waitcnt vmcnt(20)
	v_cvt_f32_fp8_e32 v61, v61
	v_mul_f32_e32 v57, s40, v57
	v_fmac_f32_e32 v25, v26, v56
	;; [unrolled: 4-line block ×22, first 2 shown]
	v_mul_f32_e32 v78, s40, v78
	v_fmac_f32_e32 v25, v47, v77
	v_mul_f32_e32 v79, s40, v79
	v_fmac_f32_e32 v25, v52, v78
	;; [unrolled: 2-line block ×3, first 2 shown]
	v_cndmask_b32_e64 v82, v17, v20, s[0:1]
	v_mul_f32_e32 v81, s40, v81
	v_fmac_f32_e32 v25, v54, v80
	v_lshlrev_b32_e32 v23, 2, v82
	v_fmac_f32_e32 v25, v55, v81
	ds_bpermute_b32 v23, v23, v25
	v_cmp_lt_i32_e64 s[0:1], v21, v19
	s_waitcnt lgkmcnt(0)
	v_add_f32_e32 v23, v25, v23
	v_cndmask_b32_e64 v24, v17, v21, s[0:1]
	v_lshlrev_b32_e32 v24, 2, v24
	ds_bpermute_b32 v24, v24, v23
	s_and_saveexec_b64 s[40:41], vcc
	s_cbranch_execz .LBB184_11
; %bb.19:                               ;   in Loop: Header=BB184_13 Depth=1
	v_add_u32_e32 v25, v14, v13
	v_cvt_f32_i32_e32 v25, v25
	s_waitcnt lgkmcnt(0)
	v_add_f32_e32 v23, v23, v24
	v_add_u32_e32 v26, v10, v13
	v_cmp_gt_i32_e64 s[0:1], s33, v26
	v_mul_f32_e32 v24, s44, v25
	v_cndmask_b32_e64 v24, 0, v24, s[2:3]
	v_fmac_f32_e32 v24, s37, v23
	v_cndmask_b32_e64 v23, 0, v24, s[0:1]
	ds_write_b32 v15, v23
	v_max_f32_e32 v23, v7, v7
	v_max_f32_e32 v23, v23, v24
	v_cndmask_b32_e64 v7, v7, v23, s[0:1]
	s_branch .LBB184_11
.LBB184_20:
	s_or_b64 exec, exec, s[38:39]
.LBB184_21:
	s_or_b64 exec, exec, s[18:19]
	v_mbcnt_hi_u32_b32 v2, -1, v9
	v_and_b32_e32 v13, 64, v2
	v_add_u32_e32 v3, 64, v13
	v_xor_b32_e32 v4, 32, v2
	v_cmp_lt_i32_e32 vcc, v4, v3
	v_xor_b32_e32 v9, 16, v2
	v_xor_b32_e32 v10, 8, v2
	v_cndmask_b32_e32 v4, v2, v4, vcc
	v_lshlrev_b32_e32 v4, 2, v4
	ds_bpermute_b32 v5, v4, v7
	v_max_f32_e32 v7, v7, v7
	v_cmp_lt_i32_e32 vcc, v9, v3
	v_xor_b32_e32 v12, 4, v2
	s_waitcnt lgkmcnt(0)
	v_max_f32_e32 v5, v5, v5
	v_max_f32_e32 v7, v7, v5
	v_cndmask_b32_e32 v5, v2, v9, vcc
	v_lshlrev_b32_e32 v5, 2, v5
	ds_bpermute_b32 v9, v5, v7
	v_cmp_lt_i32_e32 vcc, v10, v3
	s_waitcnt lgkmcnt(0)
	v_max_f32_e32 v9, v9, v9
	v_max_f32_e32 v7, v7, v9
	v_cndmask_b32_e32 v9, v2, v10, vcc
	v_lshlrev_b32_e32 v11, 2, v9
	ds_bpermute_b32 v9, v11, v7
	v_cmp_lt_i32_e32 vcc, v12, v3
	s_waitcnt lgkmcnt(0)
	v_max_f32_e32 v9, v9, v9
	v_max_f32_e32 v10, v7, v9
	v_cndmask_b32_e32 v7, v2, v12, vcc
	v_lshlrev_b32_e32 v12, 2, v7
	ds_bpermute_b32 v14, v12, v10
	v_and_b32_e32 v7, 63, v0
	v_cmp_eq_u32_e32 vcc, 0, v7
	v_lshlrev_b32_e32 v9, 2, v49
	s_and_saveexec_b64 s[0:1], vcc
	s_cbranch_execz .LBB184_23
; %bb.22:
	s_waitcnt lgkmcnt(0)
	v_max_f32_e32 v14, v14, v14
	v_max_f32_e32 v10, v10, v10
	;; [unrolled: 1-line block ×3, first 2 shown]
	ds_write_b32 v9, v10 offset:448
.LBB184_23:
	s_or_b64 exec, exec, s[0:1]
	v_cmp_gt_u32_e64 s[0:1], 2, v7
	s_waitcnt lgkmcnt(0)
	v_mov_b32_e32 v14, 0xff7fffff
	v_lshlrev_b32_e32 v10, 2, v7
	s_barrier
	s_and_saveexec_b64 s[2:3], s[0:1]
; %bb.24:
	ds_read_b32 v14, v10 offset:448
; %bb.25:
	s_or_b64 exec, exec, s[2:3]
	v_xor_b32_e32 v15, 1, v2
	v_cmp_lt_i32_e64 s[2:3], v15, v3
	v_lshlrev_b32_e32 v13, 2, v13
	s_nop 0
	v_cndmask_b32_e64 v15, v2, v15, s[2:3]
	v_lshlrev_b32_e32 v51, 2, v15
	s_waitcnt lgkmcnt(0)
	ds_bpermute_b32 v15, v51, v14
	v_max_f32_e32 v14, v14, v14
	s_lshl_b32 s2, s20, 4
	s_min_i32 s37, s2, s33
	v_cmp_gt_i32_e64 s[2:3], s37, v0
	s_waitcnt lgkmcnt(0)
	v_max_f32_e32 v15, v15, v15
	v_max_f32_e32 v14, v14, v15
	ds_bpermute_b32 v14, v13, v14
	v_mov_b32_e32 v13, 0
	s_and_saveexec_b64 s[12:13], s[2:3]
	s_cbranch_execz .LBB184_29
; %bb.26:
	v_mov_b32_e32 v13, 0x1d0
	v_lshl_add_u32 v15, v0, 2, v13
	v_mov_b32_e32 v13, 0
	s_mov_b64 s[18:19], 0
	v_mov_b32_e32 v16, v0
.LBB184_27:                             ; =>This Inner Loop Header: Depth=1
	ds_read_b32 v17, v15
	v_add_u32_e32 v16, 0x80, v16
	v_cmp_le_i32_e64 s[8:9], s37, v16
	s_or_b64 s[18:19], s[8:9], s[18:19]
	s_waitcnt lgkmcnt(0)
	v_sub_f32_e32 v17, v17, v14
	v_mul_f32_e32 v17, 0x3fb8aa3b, v17
	v_exp_f32_e32 v17, v17
	ds_write_b32 v15, v17
	v_add_f32_e32 v13, v13, v17
	v_add_u32_e32 v15, 0x200, v15
	s_andn2_b64 exec, exec, s[18:19]
	s_cbranch_execnz .LBB184_27
; %bb.28:
	s_or_b64 exec, exec, s[18:19]
.LBB184_29:
	s_or_b64 exec, exec, s[12:13]
	ds_bpermute_b32 v4, v4, v13
	s_waitcnt lgkmcnt(0)
	v_add_f32_e32 v4, v13, v4
	ds_bpermute_b32 v5, v5, v4
	s_waitcnt lgkmcnt(0)
	v_add_f32_e32 v4, v4, v5
	ds_bpermute_b32 v5, v11, v4
	v_xor_b32_e32 v11, 2, v2
	v_cmp_lt_i32_e64 s[8:9], v11, v3
	s_waitcnt lgkmcnt(0)
	v_add_f32_e32 v4, v4, v5
	ds_bpermute_b32 v5, v12, v4
	v_cndmask_b32_e64 v3, v2, v11, s[8:9]
	v_lshlrev_b32_e32 v52, 2, v3
	s_waitcnt lgkmcnt(0)
	v_add_f32_e32 v4, v4, v5
	ds_bpermute_b32 v3, v52, v4
	s_waitcnt lgkmcnt(0)
	v_add_f32_e32 v3, v4, v3
	ds_bpermute_b32 v4, v51, v3
	s_waitcnt lgkmcnt(0)
	v_add_f32_e32 v3, v3, v4
	s_and_saveexec_b64 s[8:9], vcc
; %bb.30:
	ds_write_b32 v9, v3 offset:456
; %bb.31:
	s_or_b64 exec, exec, s[8:9]
	s_waitcnt lgkmcnt(0)
	s_barrier
	s_and_saveexec_b64 s[8:9], s[0:1]
; %bb.32:
	ds_read_b32 v3, v10 offset:456
; %bb.33:
	s_or_b64 exec, exec, s[8:9]
	s_waitcnt lgkmcnt(0)
	ds_bpermute_b32 v4, v51, v3
	v_lshlrev_b32_e32 v2, 2, v2
	v_and_b32_e32 v2, 0x100, v2
	s_waitcnt lgkmcnt(0)
	v_add_f32_e32 v3, v3, v4
	ds_bpermute_b32 v2, v2, v3
	s_and_saveexec_b64 s[0:1], s[2:3]
	s_cbranch_execz .LBB184_46
; %bb.34:
	s_waitcnt lgkmcnt(0)
	v_add_f32_e32 v2, 0x358637bd, v2
	v_div_scale_f32 v3, s[2:3], v2, v2, 1.0
	v_rcp_f32_e32 v4, v3
	v_div_scale_f32 v5, vcc, 1.0, v2, 1.0
	s_movk_i32 s2, 0x7f
	v_fma_f32 v9, -v3, v4, 1.0
	v_fmac_f32_e32 v4, v9, v4
	v_mul_f32_e32 v9, v5, v4
	v_fma_f32 v10, -v3, v9, v5
	v_fmac_f32_e32 v9, v10, v4
	v_fma_f32 v3, -v3, v9, v5
	v_div_fmas_f32 v3, v3, v4, v9
	v_xad_u32 v4, v0, -1, s37
	v_div_fixup_f32 v2, v3, v2, 1.0
	v_cmp_lt_u32_e32 vcc, s2, v4
	s_mov_b64 s[8:9], -1
	v_mov_b32_e32 v3, v0
	s_and_saveexec_b64 s[2:3], vcc
	s_cbranch_execz .LBB184_43
; %bb.35:
	v_lshrrev_b32_e32 v4, 7, v4
	v_add_u32_e32 v9, -1, v4
	v_lshrrev_b32_e32 v5, 1, v9
	v_mov_b32_e32 v3, v2
	v_add_u32_e32 v5, 1, v5
	v_cmp_lt_u32_e32 vcc, 13, v9
	v_mov_b32_e32 v11, 0
	s_and_saveexec_b64 s[8:9], vcc
	s_cbranch_execz .LBB184_39
; %bb.36:
	v_mov_b32_e32 v10, 0x1d0
	v_and_b32_e32 v9, -8, v5
	v_lshl_add_u32 v10, v0, 2, v10
	s_mov_b32 s18, 0
	s_mov_b64 s[12:13], 0
.LBB184_37:                             ; =>This Inner Loop Header: Depth=1
	ds_read2st64_b32 v[12:13], v10 offset1:2
	ds_read2st64_b32 v[14:15], v10 offset0:4 offset1:6
	ds_read2st64_b32 v[16:17], v10 offset0:8 offset1:10
	;; [unrolled: 1-line block ×3, first 2 shown]
	v_add_u32_e32 v9, -8, v9
	s_waitcnt lgkmcnt(3)
	v_pk_mul_f32 v[12:13], v[2:3], v[12:13]
	s_waitcnt lgkmcnt(2)
	v_pk_mul_f32 v[14:15], v[2:3], v[14:15]
	ds_write2st64_b32 v10, v12, v13 offset1:2
	ds_write2st64_b32 v10, v14, v15 offset0:4 offset1:6
	ds_read2st64_b32 v[14:15], v10 offset0:16 offset1:18
	s_waitcnt lgkmcnt(4)
	v_pk_mul_f32 v[12:13], v[2:3], v[16:17]
	ds_write2st64_b32 v10, v12, v13 offset0:8 offset1:10
	s_waitcnt lgkmcnt(4)
	v_pk_mul_f32 v[12:13], v[2:3], v[20:21]
	ds_write2st64_b32 v10, v12, v13 offset0:12 offset1:14
	ds_read2st64_b32 v[12:13], v10 offset0:20 offset1:22
	s_waitcnt lgkmcnt(3)
	v_pk_mul_f32 v[14:15], v[2:3], v[14:15]
	ds_read2st64_b32 v[16:17], v10 offset0:24 offset1:26
	ds_write2st64_b32 v10, v14, v15 offset0:16 offset1:18
	ds_read2st64_b32 v[14:15], v10 offset0:28 offset1:30
	s_waitcnt lgkmcnt(3)
	v_pk_mul_f32 v[12:13], v[2:3], v[12:13]
	ds_write2st64_b32 v10, v12, v13 offset0:20 offset1:22
	s_waitcnt lgkmcnt(3)
	v_pk_mul_f32 v[12:13], v[2:3], v[16:17]
	ds_write2st64_b32 v10, v12, v13 offset0:24 offset1:26
	s_waitcnt lgkmcnt(2)
	v_pk_mul_f32 v[12:13], v[2:3], v[14:15]
	s_add_i32 s18, s18, 16
	v_cmp_eq_u32_e32 vcc, 0, v9
	ds_write2st64_b32 v10, v12, v13 offset0:28 offset1:30
	v_add_u32_e32 v10, 0x2000, v10
	s_or_b64 s[12:13], vcc, s[12:13]
	v_mov_b32_e32 v11, s18
	s_andn2_b64 exec, exec, s[12:13]
	s_cbranch_execnz .LBB184_37
; %bb.38:
	s_or_b64 exec, exec, s[12:13]
.LBB184_39:
	s_or_b64 exec, exec, s[8:9]
	v_and_b32_e32 v5, 7, v5
	v_cmp_ne_u32_e32 vcc, 0, v5
	s_and_saveexec_b64 s[8:9], vcc
	s_cbranch_execz .LBB184_42
; %bb.40:
	v_lshlrev_b32_e32 v9, 9, v11
	s_movk_i32 s12, 0x1d0
	v_add3_u32 v9, v9, v8, s12
	s_mov_b64 s[12:13], 0
.LBB184_41:                             ; =>This Inner Loop Header: Depth=1
	ds_read2st64_b32 v[10:11], v9 offset1:2
	v_add_u32_e32 v5, -1, v5
	v_cmp_eq_u32_e32 vcc, 0, v5
	s_or_b64 s[12:13], vcc, s[12:13]
	s_waitcnt lgkmcnt(0)
	v_pk_mul_f32 v[10:11], v[2:3], v[10:11]
	ds_write2st64_b32 v9, v10, v11 offset1:2
	v_add_u32_e32 v9, 0x400, v9
	s_andn2_b64 exec, exec, s[12:13]
	s_cbranch_execnz .LBB184_41
.LBB184_42:
	s_or_b64 exec, exec, s[8:9]
	v_add_u32_e32 v4, 1, v4
	v_and_b32_e32 v5, 0x3fffffe, v4
	v_cmp_ne_u32_e32 vcc, v4, v5
	v_lshl_add_u32 v3, v5, 7, v0
	s_orn2_b64 s[8:9], vcc, exec
.LBB184_43:
	s_or_b64 exec, exec, s[2:3]
	s_and_b64 exec, exec, s[8:9]
	s_cbranch_execz .LBB184_46
; %bb.44:
	v_mov_b32_e32 v4, 0x1d0
	v_lshl_add_u32 v4, v3, 2, v4
	s_mov_b64 s[2:3], 0
.LBB184_45:                             ; =>This Inner Loop Header: Depth=1
	ds_read_b32 v5, v4
	v_add_u32_e32 v3, 0x80, v3
	v_cmp_le_i32_e32 vcc, s37, v3
	s_or_b64 s[2:3], vcc, s[2:3]
	s_waitcnt lgkmcnt(0)
	v_mul_f32_e32 v5, v2, v5
	ds_write_b32 v4, v5
	v_add_u32_e32 v4, 0x200, v4
	s_andn2_b64 exec, exec, s[2:3]
	s_cbranch_execnz .LBB184_45
.LBB184_46:
	s_or_b64 exec, exec, s[0:1]
	v_mov_b32_e32 v11, 0
	v_mov_b32_e32 v10, 0
	;; [unrolled: 1-line block ×7, first 2 shown]
	s_waitcnt lgkmcnt(0)
	s_barrier
	s_and_saveexec_b64 s[2:3], s[6:7]
	s_cbranch_execz .LBB184_66
; %bb.47:
	s_sub_i32 s18, s16, s21
	s_ashr_i32 s1, s43, 31
	s_add_u32 s0, s34, s43
	s_addc_u32 s1, s35, s1
	s_abs_i32 s19, s22
	v_cvt_f32_u32_e32 v2, s19
	v_and_b32_e32 v53, 12, v8
	v_and_b32_e32 v8, 0xfc, v8
	v_mov_b32_e32 v9, 0
	v_rcp_iflag_f32_e32 v2, v2
	v_lshl_add_u64 v[16:17], s[0:1], 0, v[8:9]
	s_sub_i32 s0, 0, s19
	s_add_i32 s22, s20, -1
	v_mul_f32_e32 v2, 0x4f7ffffe, v2
	v_cvt_u32_f32_e32 v2, v2
	v_and_b32_e32 v8, 60, v18
	s_mov_b32 s21, s17
	s_mov_b32 s34, s33
	v_mul_lo_u32 v3, s0, v2
	v_mul_hi_u32 v3, v2, v3
	s_lshl_b64 s[0:1], s[30:31], 2
	v_add_u32_e32 v54, v2, v3
	s_add_u32 s0, s28, s0
	v_lshlrev_b32_e32 v2, 4, v6
	s_addc_u32 s1, s29, s1
	v_lshl_or_b32 v2, v49, 6, v2
	v_lshl_add_u64 v[18:19], s[0:1], 0, v[8:9]
	v_add_u32_e32 v8, 0x1d0, v2
	s_mov_b64 s[6:7], 0
	v_mov_b32_e32 v14, v9
	v_mov_b32_e32 v15, v9
	;; [unrolled: 1-line block ×6, first 2 shown]
	s_branch .LBB184_50
.LBB184_48:                             ;   in Loop: Header=BB184_50 Depth=1
	s_or_b64 exec, exec, s[0:1]
	v_mul_f32_e32 v46, v2, v46
	v_mul_f32_e32 v40, v2, v40
	v_mul_f32_e32 v36, v2, v36
	v_mul_f32_e32 v32, v2, v32
	v_mul_f32_e32 v26, v2, v26
	v_mul_f32_e32 v22, v2, v22
	v_fmac_f32_e32 v46, v3, v47
	v_fmac_f32_e32 v40, v3, v41
	;; [unrolled: 1-line block ×12, first 2 shown]
	v_pk_mul_f32 v[2:3], v[2:3], v[42:43]
	v_fmac_f32_e32 v46, v5, v45
	v_fmac_f32_e32 v40, v5, v39
	;; [unrolled: 1-line block ×6, first 2 shown]
	v_pk_mul_f32 v[4:5], v[4:5], v[28:29]
	v_add_f32_e32 v2, v3, v2
	v_add_f32_e32 v2, v4, v2
	;; [unrolled: 1-line block ×10, first 2 shown]
.LBB184_49:                             ;   in Loop: Header=BB184_50 Depth=1
	s_or_b64 exec, exec, s[8:9]
	v_add_u32_e32 v49, 2, v49
	v_cmp_le_i32_e32 vcc, s20, v49
	v_lshl_add_u64 v[18:19], v[18:19], 0, 8
	v_add_u32_e32 v50, 32, v50
	s_or_b64 s[6:7], vcc, s[6:7]
	v_add_u32_e32 v8, 0x80, v8
	s_andn2_b64 exec, exec, s[6:7]
	s_cbranch_execz .LBB184_65
.LBB184_50:                             ; =>This Inner Loop Header: Depth=1
	v_mul_hi_u32 v2, v50, s42
	v_mul_lo_u32 v3, v2, s25
	v_sub_u32_e32 v3, v50, v3
	v_add_u32_e32 v4, 1, v2
	v_cmp_le_u32_e32 vcc, s25, v3
	s_nop 1
	v_cndmask_b32_e32 v2, v2, v4, vcc
	v_subrev_u32_e32 v4, s25, v3
	v_cndmask_b32_e32 v3, v3, v4, vcc
	v_add_u32_e32 v4, 1, v2
	v_cmp_le_u32_e32 vcc, s25, v3
	s_nop 1
	v_cndmask_b32_e32 v2, v2, v4, vcc
	v_xor_b32_e32 v2, s23, v2
	v_subrev_u32_e32 v2, s23, v2
	v_add_u32_e32 v3, s36, v2
	v_sub_u32_e32 v5, 0, v3
	v_ashrrev_i32_e32 v4, 31, v3
	v_max_i32_e32 v3, v3, v5
	v_mul_hi_u32 v5, v3, v54
	v_mul_lo_u32 v5, v5, s19
	v_sub_u32_e32 v3, v3, v5
	v_subrev_u32_e32 v5, s19, v3
	v_cmp_le_u32_e32 vcc, s19, v3
	v_cmp_lt_i32_e64 s[0:1], s18, v2
	s_nop 0
	v_cndmask_b32_e32 v3, v3, v5, vcc
	v_subrev_u32_e32 v5, s19, v3
	v_cmp_le_u32_e32 vcc, s19, v3
	s_nop 1
	v_cndmask_b32_e32 v3, v3, v5, vcc
	v_xor_b32_e32 v3, v3, v4
	v_sub_u32_e32 v3, v3, v4
	v_cmp_eq_u32_e32 vcc, 0, v3
	s_or_b64 s[0:1], vcc, s[0:1]
	s_and_saveexec_b64 s[8:9], s[0:1]
	s_cbranch_execz .LBB184_49
; %bb.51:                               ;   in Loop: Header=BB184_50 Depth=1
	global_load_dword v2, v[18:19], off
	s_load_dword s12, s[14:15], 0x0
	v_add_u32_e32 v55, v53, v50
	v_cmp_eq_u32_e32 vcc, s22, v49
	v_add_u32_e32 v56, 1, v55
	v_add_u32_e32 v42, 2, v55
	v_add_u32_e32 v43, 3, v55
	s_waitcnt vmcnt(0)
	v_mad_i64_i32 v[28:29], s[0:1], v2, s21, v[16:17]
	global_load_dword v20, v[28:29], off
	ds_read_b128 v[2:5], v8
	s_waitcnt vmcnt(0)
	v_and_b32_e32 v21, 0xffff, v20
	v_lshrrev_b32_e32 v22, 16, v20
	v_cvt_pk_f32_fp8_e32 v[20:21], v21
	v_cvt_pk_f32_fp8_e32 v[24:25], v22
	s_waitcnt lgkmcnt(0)
	v_pk_mul_f32 v[22:23], v[20:21], s[12:13] op_sel_hi:[1,0]
	v_pk_mul_f32 v[20:21], s[12:13], v[24:25] op_sel_hi:[0,1]
	s_and_saveexec_b64 s[16:17], vcc
; %bb.52:                               ;   in Loop: Header=BB184_50 Depth=1
	v_cmp_gt_i32_e64 s[0:1], s33, v55
	s_nop 1
	v_cndmask_b32_e64 v22, 0, v22, s[0:1]
	v_cmp_gt_i32_e64 s[0:1], s33, v56
	s_nop 1
	v_cndmask_b32_e64 v23, 0, v23, s[0:1]
	;; [unrolled: 3-line block ×4, first 2 shown]
; %bb.53:                               ;   in Loop: Header=BB184_50 Depth=1
	s_or_b64 exec, exec, s[16:17]
	global_load_dword v24, v[28:29], off offset:256
	s_mov_b32 s13, s12
	s_waitcnt vmcnt(0)
	v_and_b32_e32 v25, 0xffff, v24
	v_lshrrev_b32_e32 v26, 16, v24
	v_cvt_pk_f32_fp8_e32 v[24:25], v25
	v_cvt_pk_f32_fp8_e32 v[30:31], v26
	v_pk_mul_f32 v[26:27], s[12:13], v[24:25]
	v_pk_mul_f32 v[24:25], s[12:13], v[30:31]
	s_and_saveexec_b64 s[16:17], vcc
; %bb.54:                               ;   in Loop: Header=BB184_50 Depth=1
	v_cmp_gt_i32_e64 s[0:1], s33, v55
	s_nop 1
	v_cndmask_b32_e64 v26, 0, v26, s[0:1]
	v_cmp_gt_i32_e64 s[0:1], s33, v56
	s_nop 1
	v_cndmask_b32_e64 v27, 0, v27, s[0:1]
	v_cmp_gt_i32_e64 s[0:1], s33, v42
	s_nop 1
	v_cndmask_b32_e64 v24, 0, v24, s[0:1]
	v_cmp_gt_i32_e64 s[0:1], s33, v43
	s_nop 1
	v_cndmask_b32_e64 v25, 0, v25, s[0:1]
; %bb.55:                               ;   in Loop: Header=BB184_50 Depth=1
	s_or_b64 exec, exec, s[16:17]
	global_load_dword v30, v[28:29], off offset:512
	s_waitcnt vmcnt(0)
	v_and_b32_e32 v31, 0xffff, v30
	v_lshrrev_b32_e32 v32, 16, v30
	v_cvt_pk_f32_fp8_e32 v[30:31], v31
	v_cvt_pk_f32_fp8_e32 v[34:35], v32
	v_pk_mul_f32 v[32:33], s[12:13], v[30:31]
	v_pk_mul_f32 v[30:31], s[12:13], v[34:35]
	s_and_saveexec_b64 s[16:17], vcc
; %bb.56:                               ;   in Loop: Header=BB184_50 Depth=1
	v_cmp_gt_i32_e64 s[0:1], s33, v55
	s_nop 1
	v_cndmask_b32_e64 v32, 0, v32, s[0:1]
	v_cmp_gt_i32_e64 s[0:1], s33, v56
	s_nop 1
	v_cndmask_b32_e64 v33, 0, v33, s[0:1]
	v_cmp_gt_i32_e64 s[0:1], s33, v42
	s_nop 1
	v_cndmask_b32_e64 v30, 0, v30, s[0:1]
	v_cmp_gt_i32_e64 s[0:1], s33, v43
	s_nop 1
	v_cndmask_b32_e64 v31, 0, v31, s[0:1]
; %bb.57:                               ;   in Loop: Header=BB184_50 Depth=1
	s_or_b64 exec, exec, s[16:17]
	global_load_dword v34, v[28:29], off offset:768
	;; [unrolled: 24-line block ×5, first 2 shown]
	s_waitcnt vmcnt(0)
	v_and_b32_e32 v29, 0xffff, v28
	v_lshrrev_b32_e32 v42, 16, v28
	v_cvt_pk_f32_fp8_e32 v[28:29], v29
	v_cvt_pk_f32_fp8_e32 v[58:59], v42
	v_pk_mul_f32 v[42:43], s[12:13], v[28:29]
	v_pk_mul_f32 v[28:29], s[12:13], v[58:59]
	s_and_saveexec_b64 s[0:1], vcc
	s_cbranch_execz .LBB184_48
; %bb.64:                               ;   in Loop: Header=BB184_50 Depth=1
	v_cmp_gt_i32_e32 vcc, s34, v56
	v_or_b32_e32 v56, 3, v55
	s_nop 0
	v_cndmask_b32_e32 v43, 0, v43, vcc
	v_cmp_gt_i32_e32 vcc, s33, v55
	v_or_b32_e32 v55, 2, v55
	s_nop 0
	v_cndmask_b32_e32 v42, 0, v42, vcc
	v_cmp_gt_i32_e32 vcc, s34, v56
	s_nop 1
	v_cndmask_b32_e32 v29, 0, v29, vcc
	v_cmp_gt_i32_e32 vcc, s33, v55
	s_nop 1
	v_cndmask_b32_e32 v28, 0, v28, vcc
	s_branch .LBB184_48
.LBB184_65:
	s_or_b64 exec, exec, s[6:7]
.LBB184_66:
	s_or_b64 exec, exec, s[2:3]
	ds_bpermute_b32 v4, v52, v12
	ds_bpermute_b32 v5, v52, v13
	;; [unrolled: 1-line block ×6, first 2 shown]
	s_waitcnt lgkmcnt(4)
	v_pk_add_f32 v[4:5], v[12:13], v[4:5]
	ds_bpermute_b32 v8, v52, v9
	ds_bpermute_b32 v12, v51, v4
	;; [unrolled: 1-line block ×3, first 2 shown]
	s_waitcnt lgkmcnt(5)
	v_pk_add_f32 v[2:3], v[14:15], v[2:3]
	s_waitcnt lgkmcnt(3)
	v_pk_add_f32 v[16:17], v[10:11], v[16:17]
	ds_bpermute_b32 v14, v51, v2
	ds_bpermute_b32 v15, v51, v3
	;; [unrolled: 1-line block ×4, first 2 shown]
	s_waitcnt lgkmcnt(6)
	v_add_f32_e32 v9, v9, v8
	s_waitcnt lgkmcnt(4)
	v_pk_add_f32 v[4:5], v[4:5], v[12:13]
	ds_bpermute_b32 v12, v51, v9
	v_and_b32_e32 v8, 0x3c3, v0
	s_waitcnt lgkmcnt(3)
	v_pk_add_f32 v[10:11], v[2:3], v[14:15]
	s_waitcnt lgkmcnt(1)
	v_pk_add_f32 v[2:3], v[16:17], v[18:19]
	v_cmp_ne_u32_e32 vcc, 64, v8
	s_waitcnt lgkmcnt(0)
	s_barrier
	s_and_saveexec_b64 s[0:1], vcc
	s_xor_b64 s[0:1], exec, s[0:1]
; %bb.67:
                                        ; implicit-def: $vgpr7
; %bb.68:
	s_or_saveexec_b64 s[0:1], s[0:1]
	v_add_f32_e32 v9, v9, v12
	s_xor_b64 exec, exec, s[0:1]
	s_cbranch_execz .LBB184_70
; %bb.69:
	v_add_u32_e32 v7, 0x1d0, v7
	ds_write2_b32 v7, v10, v11 offset1:16
	ds_write2_b32 v7, v4, v5 offset0:32 offset1:48
	ds_write2_b32 v7, v2, v3 offset0:64 offset1:80
	ds_write_b32 v7, v9 offset:384
.LBB184_70:
	s_or_b64 exec, exec, s[0:1]
	v_cmp_gt_u32_e32 vcc, 64, v0
	s_waitcnt lgkmcnt(0)
	s_barrier
	s_and_saveexec_b64 s[0:1], vcc
	s_cbranch_execz .LBB184_80
; %bb.71:
	v_mov_b32_e32 v0, 0x1d0
	v_cmp_eq_u32_e32 vcc, 0, v6
	v_lshl_add_u32 v0, v48, 2, v0
	s_and_saveexec_b64 s[2:3], vcc
	s_cbranch_execnz .LBB184_83
; %bb.72:
	s_or_b64 exec, exec, s[2:3]
	s_and_saveexec_b64 s[2:3], vcc
	s_cbranch_execnz .LBB184_84
.LBB184_73:
	s_or_b64 exec, exec, s[2:3]
	s_and_saveexec_b64 s[2:3], vcc
	s_cbranch_execnz .LBB184_85
.LBB184_74:
	s_or_b64 exec, exec, s[2:3]
	s_and_saveexec_b64 s[2:3], vcc
	s_cbranch_execnz .LBB184_86
.LBB184_75:
	s_or_b64 exec, exec, s[2:3]
	s_and_saveexec_b64 s[2:3], vcc
	s_cbranch_execnz .LBB184_87
.LBB184_76:
	s_or_b64 exec, exec, s[2:3]
	s_and_saveexec_b64 s[2:3], vcc
	s_cbranch_execnz .LBB184_88
.LBB184_77:
	s_or_b64 exec, exec, s[2:3]
	s_and_saveexec_b64 s[2:3], vcc
	s_cbranch_execz .LBB184_79
.LBB184_78:
	ds_read_b32 v0, v0 offset:384
	s_waitcnt lgkmcnt(0)
	v_add_f32_e32 v9, v9, v0
.LBB184_79:
	s_or_b64 exec, exec, s[2:3]
.LBB184_80:
	s_or_b64 exec, exec, s[0:1]
	v_cmp_eq_u32_e32 vcc, 0, v8
	s_barrier
	s_and_saveexec_b64 s[0:1], vcc
	s_cbranch_execz .LBB184_82
; %bb.81:
	s_mul_i32 s0, s10, s11
	s_mul_i32 s0, s0, s5
	s_mulk_i32 s0, 0x70
	s_ashr_i32 s1, s0, 31
	s_lshl_b64 s[0:1], s[0:1], 2
	s_add_u32 s2, s26, s0
	s_mul_i32 s0, s11, s24
	s_addc_u32 s3, s27, s1
	s_ashr_i32 s1, s0, 31
	s_lshl_b64 s[0:1], s[0:1], 2
	s_add_u32 s2, s2, s0
	s_mul_i32 s0, s4, 0x70
	s_addc_u32 s3, s3, s1
	s_ashr_i32 s1, s0, 31
	s_lshl_b64 s[0:1], s[0:1], 2
	s_add_u32 s0, s2, s0
	s_addc_u32 s1, s3, s1
	global_store_dword v1, v10, s[0:1]
	global_store_dword v1, v11, s[0:1] offset:64
	global_store_dword v1, v4, s[0:1] offset:128
	;; [unrolled: 1-line block ×6, first 2 shown]
.LBB184_82:
	s_endpgm
.LBB184_83:
	ds_read_b32 v6, v0
	s_waitcnt lgkmcnt(0)
	v_add_f32_e32 v10, v10, v6
	s_or_b64 exec, exec, s[2:3]
	s_and_saveexec_b64 s[2:3], vcc
	s_cbranch_execz .LBB184_73
.LBB184_84:
	ds_read_b32 v6, v0 offset:64
	s_waitcnt lgkmcnt(0)
	v_add_f32_e32 v11, v11, v6
	s_or_b64 exec, exec, s[2:3]
	s_and_saveexec_b64 s[2:3], vcc
	s_cbranch_execz .LBB184_74
.LBB184_85:
	ds_read_b32 v6, v0 offset:128
	s_waitcnt lgkmcnt(0)
	v_add_f32_e32 v4, v4, v6
	s_or_b64 exec, exec, s[2:3]
	s_and_saveexec_b64 s[2:3], vcc
	s_cbranch_execz .LBB184_75
.LBB184_86:
	ds_read_b32 v6, v0 offset:192
	s_waitcnt lgkmcnt(0)
	v_add_f32_e32 v5, v5, v6
	s_or_b64 exec, exec, s[2:3]
	s_and_saveexec_b64 s[2:3], vcc
	s_cbranch_execz .LBB184_76
.LBB184_87:
	ds_read_b32 v6, v0 offset:256
	s_waitcnt lgkmcnt(0)
	v_add_f32_e32 v2, v2, v6
	s_or_b64 exec, exec, s[2:3]
	s_and_saveexec_b64 s[2:3], vcc
	s_cbranch_execz .LBB184_77
.LBB184_88:
	ds_read_b32 v6, v0 offset:320
	s_waitcnt lgkmcnt(0)
	v_add_f32_e32 v3, v3, v6
	s_or_b64 exec, exec, s[2:3]
	s_and_saveexec_b64 s[2:3], vcc
	s_cbranch_execnz .LBB184_78
	s_branch .LBB184_79
	.section	.rodata,"a",@progbits
	.p2align	6, 0x0
	.amdhsa_kernel _ZN4vllm25paged_attention_v1_kernelIfhLi112ELi16ELi128ELNS_18Fp8KVCacheDataTypeE1ELb1EEEvPT_PKS2_PKT0_S8_ifPKiSA_iPKfiiiSC_SC_iiiii
		.amdhsa_group_segment_fixed_size 464
		.amdhsa_private_segment_fixed_size 0
		.amdhsa_kernarg_size 384
		.amdhsa_user_sgpr_count 2
		.amdhsa_user_sgpr_dispatch_ptr 0
		.amdhsa_user_sgpr_queue_ptr 0
		.amdhsa_user_sgpr_kernarg_segment_ptr 1
		.amdhsa_user_sgpr_dispatch_id 0
		.amdhsa_user_sgpr_kernarg_preload_length 0
		.amdhsa_user_sgpr_kernarg_preload_offset 0
		.amdhsa_user_sgpr_private_segment_size 0
		.amdhsa_uses_dynamic_stack 0
		.amdhsa_enable_private_segment 0
		.amdhsa_system_sgpr_workgroup_id_x 1
		.amdhsa_system_sgpr_workgroup_id_y 1
		.amdhsa_system_sgpr_workgroup_id_z 1
		.amdhsa_system_sgpr_workgroup_info 0
		.amdhsa_system_vgpr_workitem_id 0
		.amdhsa_next_free_vgpr 83
		.amdhsa_next_free_sgpr 48
		.amdhsa_accum_offset 84
		.amdhsa_reserve_vcc 1
		.amdhsa_float_round_mode_32 0
		.amdhsa_float_round_mode_16_64 0
		.amdhsa_float_denorm_mode_32 3
		.amdhsa_float_denorm_mode_16_64 3
		.amdhsa_dx10_clamp 1
		.amdhsa_ieee_mode 1
		.amdhsa_fp16_overflow 0
		.amdhsa_tg_split 0
		.amdhsa_exception_fp_ieee_invalid_op 0
		.amdhsa_exception_fp_denorm_src 0
		.amdhsa_exception_fp_ieee_div_zero 0
		.amdhsa_exception_fp_ieee_overflow 0
		.amdhsa_exception_fp_ieee_underflow 0
		.amdhsa_exception_fp_ieee_inexact 0
		.amdhsa_exception_int_div_zero 0
	.end_amdhsa_kernel
	.section	.text._ZN4vllm25paged_attention_v1_kernelIfhLi112ELi16ELi128ELNS_18Fp8KVCacheDataTypeE1ELb1EEEvPT_PKS2_PKT0_S8_ifPKiSA_iPKfiiiSC_SC_iiiii,"axG",@progbits,_ZN4vllm25paged_attention_v1_kernelIfhLi112ELi16ELi128ELNS_18Fp8KVCacheDataTypeE1ELb1EEEvPT_PKS2_PKT0_S8_ifPKiSA_iPKfiiiSC_SC_iiiii,comdat
.Lfunc_end184:
	.size	_ZN4vllm25paged_attention_v1_kernelIfhLi112ELi16ELi128ELNS_18Fp8KVCacheDataTypeE1ELb1EEEvPT_PKS2_PKT0_S8_ifPKiSA_iPKfiiiSC_SC_iiiii, .Lfunc_end184-_ZN4vllm25paged_attention_v1_kernelIfhLi112ELi16ELi128ELNS_18Fp8KVCacheDataTypeE1ELb1EEEvPT_PKS2_PKT0_S8_ifPKiSA_iPKfiiiSC_SC_iiiii
                                        ; -- End function
	.set _ZN4vllm25paged_attention_v1_kernelIfhLi112ELi16ELi128ELNS_18Fp8KVCacheDataTypeE1ELb1EEEvPT_PKS2_PKT0_S8_ifPKiSA_iPKfiiiSC_SC_iiiii.num_vgpr, 83
	.set _ZN4vllm25paged_attention_v1_kernelIfhLi112ELi16ELi128ELNS_18Fp8KVCacheDataTypeE1ELb1EEEvPT_PKS2_PKT0_S8_ifPKiSA_iPKfiiiSC_SC_iiiii.num_agpr, 0
	.set _ZN4vllm25paged_attention_v1_kernelIfhLi112ELi16ELi128ELNS_18Fp8KVCacheDataTypeE1ELb1EEEvPT_PKS2_PKT0_S8_ifPKiSA_iPKfiiiSC_SC_iiiii.numbered_sgpr, 48
	.set _ZN4vllm25paged_attention_v1_kernelIfhLi112ELi16ELi128ELNS_18Fp8KVCacheDataTypeE1ELb1EEEvPT_PKS2_PKT0_S8_ifPKiSA_iPKfiiiSC_SC_iiiii.num_named_barrier, 0
	.set _ZN4vllm25paged_attention_v1_kernelIfhLi112ELi16ELi128ELNS_18Fp8KVCacheDataTypeE1ELb1EEEvPT_PKS2_PKT0_S8_ifPKiSA_iPKfiiiSC_SC_iiiii.private_seg_size, 0
	.set _ZN4vllm25paged_attention_v1_kernelIfhLi112ELi16ELi128ELNS_18Fp8KVCacheDataTypeE1ELb1EEEvPT_PKS2_PKT0_S8_ifPKiSA_iPKfiiiSC_SC_iiiii.uses_vcc, 1
	.set _ZN4vllm25paged_attention_v1_kernelIfhLi112ELi16ELi128ELNS_18Fp8KVCacheDataTypeE1ELb1EEEvPT_PKS2_PKT0_S8_ifPKiSA_iPKfiiiSC_SC_iiiii.uses_flat_scratch, 0
	.set _ZN4vllm25paged_attention_v1_kernelIfhLi112ELi16ELi128ELNS_18Fp8KVCacheDataTypeE1ELb1EEEvPT_PKS2_PKT0_S8_ifPKiSA_iPKfiiiSC_SC_iiiii.has_dyn_sized_stack, 0
	.set _ZN4vllm25paged_attention_v1_kernelIfhLi112ELi16ELi128ELNS_18Fp8KVCacheDataTypeE1ELb1EEEvPT_PKS2_PKT0_S8_ifPKiSA_iPKfiiiSC_SC_iiiii.has_recursion, 0
	.set _ZN4vllm25paged_attention_v1_kernelIfhLi112ELi16ELi128ELNS_18Fp8KVCacheDataTypeE1ELb1EEEvPT_PKS2_PKT0_S8_ifPKiSA_iPKfiiiSC_SC_iiiii.has_indirect_call, 0
	.section	.AMDGPU.csdata,"",@progbits
; Kernel info:
; codeLenInByte = 5908
; TotalNumSgprs: 54
; NumVgprs: 83
; NumAgprs: 0
; TotalNumVgprs: 83
; ScratchSize: 0
; MemoryBound: 0
; FloatMode: 240
; IeeeMode: 1
; LDSByteSize: 464 bytes/workgroup (compile time only)
; SGPRBlocks: 6
; VGPRBlocks: 10
; NumSGPRsForWavesPerEU: 54
; NumVGPRsForWavesPerEU: 83
; AccumOffset: 84
; Occupancy: 5
; WaveLimiterHint : 1
; COMPUTE_PGM_RSRC2:SCRATCH_EN: 0
; COMPUTE_PGM_RSRC2:USER_SGPR: 2
; COMPUTE_PGM_RSRC2:TRAP_HANDLER: 0
; COMPUTE_PGM_RSRC2:TGID_X_EN: 1
; COMPUTE_PGM_RSRC2:TGID_Y_EN: 1
; COMPUTE_PGM_RSRC2:TGID_Z_EN: 1
; COMPUTE_PGM_RSRC2:TIDIG_COMP_CNT: 0
; COMPUTE_PGM_RSRC3_GFX90A:ACCUM_OFFSET: 20
; COMPUTE_PGM_RSRC3_GFX90A:TG_SPLIT: 0
	.section	.text._ZN4vllm25paged_attention_v1_kernelIfhLi120ELi16ELi128ELNS_18Fp8KVCacheDataTypeE1ELb1EEEvPT_PKS2_PKT0_S8_ifPKiSA_iPKfiiiSC_SC_iiiii,"axG",@progbits,_ZN4vllm25paged_attention_v1_kernelIfhLi120ELi16ELi128ELNS_18Fp8KVCacheDataTypeE1ELb1EEEvPT_PKS2_PKT0_S8_ifPKiSA_iPKfiiiSC_SC_iiiii,comdat
	.protected	_ZN4vllm25paged_attention_v1_kernelIfhLi120ELi16ELi128ELNS_18Fp8KVCacheDataTypeE1ELb1EEEvPT_PKS2_PKT0_S8_ifPKiSA_iPKfiiiSC_SC_iiiii ; -- Begin function _ZN4vllm25paged_attention_v1_kernelIfhLi120ELi16ELi128ELNS_18Fp8KVCacheDataTypeE1ELb1EEEvPT_PKS2_PKT0_S8_ifPKiSA_iPKfiiiSC_SC_iiiii
	.globl	_ZN4vllm25paged_attention_v1_kernelIfhLi120ELi16ELi128ELNS_18Fp8KVCacheDataTypeE1ELb1EEEvPT_PKS2_PKT0_S8_ifPKiSA_iPKfiiiSC_SC_iiiii
	.p2align	8
	.type	_ZN4vllm25paged_attention_v1_kernelIfhLi120ELi16ELi128ELNS_18Fp8KVCacheDataTypeE1ELb1EEEvPT_PKS2_PKT0_S8_ifPKiSA_iPKfiiiSC_SC_iiiii,@function
_ZN4vllm25paged_attention_v1_kernelIfhLi120ELi16ELi128ELNS_18Fp8KVCacheDataTypeE1ELb1EEEvPT_PKS2_PKT0_S8_ifPKiSA_iPKfiiiSC_SC_iiiii: ; @_ZN4vllm25paged_attention_v1_kernelIfhLi120ELi16ELi128ELNS_18Fp8KVCacheDataTypeE1ELb1EEEvPT_PKS2_PKT0_S8_ifPKiSA_iPKfiiiSC_SC_iiiii
; %bb.0:
	s_load_dword s5, s[0:1], 0x80
	s_load_dwordx2 s[6:7], s[0:1], 0x30
	s_load_dwordx2 s[36:37], s[0:1], 0x20
	s_mov_b32 s10, s3
	s_ashr_i32 s11, s3, 31
	s_lshl_b64 s[8:9], s[10:11], 2
	s_waitcnt lgkmcnt(0)
	s_add_u32 s6, s6, s8
	s_addc_u32 s7, s7, s9
	s_abs_i32 s3, s36
	v_cvt_f32_u32_e32 v1, s3
	s_sub_i32 s11, 0, s3
	s_abs_i32 s9, s5
	s_xor_b32 s8, s5, s36
	v_rcp_iflag_f32_e32 v1, v1
	s_ashr_i32 s8, s8, 31
	s_mov_b32 s44, 0
	v_mul_f32_e32 v1, 0x4f7ffffe, v1
	v_cvt_u32_f32_e32 v1, v1
	s_nop 0
	v_readfirstlane_b32 s12, v1
	s_mul_i32 s11, s11, s12
	s_mul_hi_u32 s11, s12, s11
	s_add_i32 s12, s12, s11
	s_mul_hi_u32 s11, s9, s12
	s_mul_i32 s12, s11, s3
	s_sub_i32 s9, s9, s12
	s_add_i32 s12, s11, 1
	s_sub_i32 s13, s9, s3
	s_cmp_ge_u32 s9, s3
	s_cselect_b32 s11, s12, s11
	s_cselect_b32 s9, s13, s9
	s_add_i32 s12, s11, 1
	s_cmp_ge_u32 s9, s3
	s_cselect_b32 s3, s12, s11
	s_xor_b32 s3, s3, s8
	s_sub_i32 s14, s3, s8
	s_abs_i32 s11, s14
	v_cvt_f32_u32_e32 v1, s11
	s_load_dwordx2 s[8:9], s[0:1], 0x40
	s_sub_i32 s3, 0, s11
	s_abs_i32 s12, s2
	v_rcp_iflag_f32_e32 v1, v1
	s_nop 0
	v_mul_f32_e32 v1, 0x4f7ffffe, v1
	v_cvt_u32_f32_e32 v1, v1
	s_nop 0
	v_readfirstlane_b32 s13, v1
	s_mul_i32 s3, s3, s13
	s_mul_hi_u32 s3, s13, s3
	s_add_i32 s13, s13, s3
	s_waitcnt lgkmcnt(0)
	s_cmp_eq_u64 s[8:9], 0
	s_mul_hi_u32 s13, s12, s13
	s_cbranch_scc1 .LBB185_2
; %bb.1:
	s_ashr_i32 s3, s2, 31
	s_lshl_b64 s[16:17], s[2:3], 2
	s_add_u32 s8, s8, s16
	s_addc_u32 s9, s9, s17
	s_load_dword s44, s[8:9], 0x0
.LBB185_2:
	s_load_dword s33, s[6:7], 0x0
	s_load_dwordx4 s[16:19], s[0:1], 0x48
	v_lshrrev_b32_e32 v54, 2, v0
	s_movk_i32 s8, 0x78
	s_ashr_i32 s3, s2, 31
	s_ashr_i32 s9, s14, 31
	v_and_b32_e32 v18, 3, v0
	s_mul_i32 s24, s2, 0x78
	v_cmp_gt_u32_e32 vcc, s8, v0
	v_lshlrev_b32_e32 v24, 2, v0
	v_lshlrev_b32_e32 v1, 2, v54
	s_and_saveexec_b64 s[6:7], vcc
	s_cbranch_execz .LBB185_4
; %bb.3:
	s_load_dwordx2 s[14:15], s[0:1], 0x8
	s_waitcnt lgkmcnt(0)
	s_mul_i32 s20, s16, s10
	s_ashr_i32 s21, s20, 31
	s_lshl_b64 s[20:21], s[20:21], 2
	v_mad_u32_u24 v3, v18, s8, v1
	s_add_u32 s16, s14, s20
	s_addc_u32 s19, s15, s21
	s_ashr_i32 s25, s24, 31
	s_lshl_b64 s[14:15], s[24:25], 2
	s_add_u32 s14, s16, s14
	s_addc_u32 s15, s19, s15
	global_load_dword v2, v24, s[14:15]
	s_waitcnt vmcnt(0)
	ds_write_b32 v3, v2
.LBB185_4:
	s_or_b64 exec, exec, s[6:7]
	s_mul_i32 s6, s13, s11
	s_sub_i32 s6, s12, s6
	s_xor_b32 s3, s3, s9
	s_add_i32 s7, s13, 1
	s_sub_i32 s9, s6, s11
	s_load_dwordx4 s[20:23], s[0:1], 0x68
	s_load_dword s8, s[0:1], 0x78
	s_cmp_ge_u32 s6, s11
	s_cselect_b32 s7, s7, s13
	s_cselect_b32 s6, s9, s6
	s_add_i32 s9, s7, 1
	s_cmp_ge_u32 s6, s11
	s_cselect_b32 s6, s9, s7
	s_waitcnt lgkmcnt(0)
	s_abs_i32 s25, s23
	v_cvt_f32_u32_e32 v2, s25
	s_xor_b32 s6, s6, s3
	s_sub_i32 s3, s6, s3
	s_sub_i32 s6, 0, s25
	v_rcp_iflag_f32_e32 v2, v2
	s_add_i32 s11, s33, -1
	s_abs_i32 s9, s11
	v_mul_f32_e32 v2, 0x4f7ffffe, v2
	v_cvt_u32_f32_e32 v2, v2
	s_barrier
	v_readfirstlane_b32 s42, v2
	s_mul_i32 s6, s6, s42
	s_mul_hi_u32 s6, s42, s6
	s_add_i32 s42, s42, s6
	s_cmp_lt_i32 s8, 0
	s_mul_hi_u32 s16, s9, s42
	s_cbranch_scc0 .LBB185_6
; %bb.5:
	s_mul_i32 s6, s20, s36
	s_add_i32 s6, s3, s6
	s_mul_i32 s6, s6, s8
	s_sub_i32 s36, 1, s6
	s_mov_b64 s[6:7], 0
	s_branch .LBB185_7
.LBB185_6:
	s_mov_b64 s[6:7], -1
                                        ; implicit-def: $sgpr36
.LBB185_7:
	s_load_dwordx2 s[28:29], s[0:1], 0x28
	s_ashr_i32 s19, s11, 31
	s_andn2_b64 vcc, exec, s[6:7]
	s_ashr_i32 s23, s23, 31
	s_cbranch_vccnz .LBB185_9
; %bb.8:
	s_mul_i32 s6, s5, s20
	s_add_i32 s2, s6, s2
	s_mul_i32 s2, s2, s8
	s_add_i32 s36, s2, 1
.LBB185_9:
	s_load_dword s2, s[0:1], 0x38
	s_load_dwordx2 s[26:27], s[0:1], 0x0
	s_load_dwordx2 s[34:35], s[0:1], 0x18
	s_load_dword s11, s[0:1], 0x88
	s_load_dwordx4 s[12:15], s[0:1], 0x58
	s_mul_i32 s6, s16, s25
	s_waitcnt lgkmcnt(0)
	s_mul_i32 s30, s2, s10
	s_sub_i32 s6, s9, s6
	s_ashr_i32 s31, s30, 31
	s_xor_b32 s2, s19, s23
	s_add_i32 s7, s16, 1
	s_sub_i32 s8, s6, s25
	s_cmp_ge_u32 s6, s25
	s_cselect_b32 s7, s7, s16
	s_cselect_b32 s6, s8, s6
	s_add_i32 s8, s7, 1
	s_cmp_ge_u32 s6, s25
	s_cselect_b32 s6, s8, s7
	s_xor_b32 s6, s6, s2
	s_sub_i32 s16, s6, s2
	s_add_i32 s2, s33, 15
	s_ashr_i32 s6, s2, 31
	s_lshr_b32 s6, s6, 28
	s_add_i32 s2, s2, s6
	s_ashr_i32 s43, s2, 4
	v_lshrrev_b32_e32 v55, 6, v0
	v_cmp_le_i32_e64 s[6:7], s43, v55
	v_cmp_gt_i32_e32 vcc, s43, v55
	v_mov_b32_e32 v19, 0xff7fffff
	s_mul_i32 s20, s3, s18
	v_lshrrev_b32_e32 v25, 4, v0
	v_lshlrev_b32_e32 v56, 4, v55
	v_mbcnt_lo_u32_b32 v26, -1, 0
	s_and_saveexec_b64 s[18:19], vcc
	s_cbranch_execz .LBB185_21
; %bb.10:
	s_load_dwordx2 s[0:1], s[0:1], 0x10
	s_sub_i32 s45, s16, s21
	s_ashr_i32 s2, s20, 31
	v_bfe_u32 v27, v0, 2, 4
	v_mov_b32_e32 v3, 0
	s_waitcnt lgkmcnt(0)
	s_add_u32 s0, s0, s20
	s_addc_u32 s1, s1, s2
	s_abs_i32 s46, s22
	v_cvt_f32_u32_e32 v2, s46
	v_mbcnt_hi_u32_b32 v34, -1, v26
	v_mov_b32_e32 v19, v3
	v_cmp_eq_u32_e32 vcc, 0, v18
	v_rcp_iflag_f32_e32 v4, v2
	v_lshlrev_b32_e32 v2, 4, v27
	s_mov_b32 s47, s17
	v_mul_u32_u24_e32 v28, 0x78, v18
	v_mul_f32_e32 v4, 0x4f7ffffe, v4
	v_cvt_u32_f32_e32 v6, v4
	v_lshl_add_u64 v[4:5], s[0:1], 0, v[2:3]
	s_sub_i32 s0, 0, s46
	v_cmp_neq_f32_e64 s[2:3], s44, 0
	v_mul_lo_u32 v2, s0, v6
	s_lshl_b64 s[0:1], s[30:31], 2
	v_mul_hi_u32 v2, v6, v2
	s_add_u32 s0, s28, s0
	v_add_u32_e32 v29, v6, v2
	v_and_b32_e32 v2, 60, v25
	s_addc_u32 s1, s29, s1
	v_lshl_add_u64 v[22:23], s[0:1], 0, v[2:3]
	v_subrev_u32_e32 v2, s33, v27
	v_add_u32_e32 v31, 1, v2
	v_lshlrev_b32_e32 v2, 2, v27
	v_lshl_or_b32 v2, v55, 6, v2
	v_add_u32_e32 v32, 0x1f0, v2
	v_and_b32_e32 v2, 64, v34
	v_lshl_add_u64 v[20:21], v[4:5], 0, v[18:19]
	v_lshlrev_b32_e32 v30, 4, v55
	v_mov_b32_e32 v33, 0xff7fffff
	s_mov_b64 s[38:39], 0
	v_add_u32_e32 v35, 64, v2
	v_xor_b32_e32 v36, 2, v34
	v_xor_b32_e32 v37, 1, v34
	v_mov_b32_e32 v19, 0xff7fffff
	v_mov_b32_e32 v38, v55
	s_branch .LBB185_13
.LBB185_11:                             ;   in Loop: Header=BB185_13 Depth=1
	s_or_b64 exec, exec, s[40:41]
.LBB185_12:                             ;   in Loop: Header=BB185_13 Depth=1
	s_or_b64 exec, exec, s[8:9]
	v_add_u32_e32 v38, 2, v38
	v_cmp_le_i32_e64 s[0:1], s43, v38
	v_lshl_add_u64 v[22:23], v[22:23], 0, 8
	v_add_u32_e32 v30, 32, v30
	s_or_b64 s[38:39], s[0:1], s[38:39]
	v_add_u32_e32 v32, 0x80, v32
	s_andn2_b64 exec, exec, s[38:39]
	s_cbranch_execz .LBB185_20
.LBB185_13:                             ; =>This Inner Loop Header: Depth=1
	v_mul_hi_u32 v2, v30, s42
	s_waitcnt lgkmcnt(0)
	v_mul_lo_u32 v3, v2, s25
	v_sub_u32_e32 v3, v30, v3
	v_add_u32_e32 v4, 1, v2
	v_cmp_le_u32_e64 s[0:1], s25, v3
	s_nop 1
	v_cndmask_b32_e64 v2, v2, v4, s[0:1]
	v_subrev_u32_e32 v4, s25, v3
	v_cndmask_b32_e64 v3, v3, v4, s[0:1]
	v_add_u32_e32 v4, 1, v2
	v_cmp_le_u32_e64 s[0:1], s25, v3
	s_nop 1
	v_cndmask_b32_e64 v2, v2, v4, s[0:1]
	v_xor_b32_e32 v2, s23, v2
	v_subrev_u32_e32 v2, s23, v2
	v_add_u32_e32 v3, s36, v2
	v_sub_u32_e32 v5, 0, v3
	v_ashrrev_i32_e32 v4, 31, v3
	v_max_i32_e32 v3, v3, v5
	v_mul_hi_u32 v5, v3, v29
	v_mul_lo_u32 v5, v5, s46
	v_sub_u32_e32 v3, v3, v5
	v_subrev_u32_e32 v5, s46, v3
	v_cmp_le_u32_e64 s[0:1], s46, v3
	v_cmp_ge_i32_e64 s[8:9], s45, v2
	s_nop 0
	v_cndmask_b32_e64 v3, v3, v5, s[0:1]
	v_subrev_u32_e32 v5, s46, v3
	v_cmp_le_u32_e64 s[0:1], s46, v3
	s_nop 1
	v_cndmask_b32_e64 v3, v3, v5, s[0:1]
	v_xor_b32_e32 v3, v3, v4
	v_sub_u32_e32 v3, v3, v4
	v_cmp_ne_u32_e64 s[0:1], 0, v3
	s_and_b64 s[0:1], s[0:1], s[8:9]
	s_and_saveexec_b64 s[8:9], s[0:1]
	s_xor_b64 s[0:1], exec, s[8:9]
	s_cbranch_execz .LBB185_17
; %bb.14:                               ;   in Loop: Header=BB185_13 Depth=1
	s_and_saveexec_b64 s[8:9], vcc
; %bb.15:                               ;   in Loop: Header=BB185_13 Depth=1
	ds_write_b32 v32, v33
; %bb.16:                               ;   in Loop: Header=BB185_13 Depth=1
	s_or_b64 exec, exec, s[8:9]
.LBB185_17:                             ;   in Loop: Header=BB185_13 Depth=1
	s_andn2_saveexec_b64 s[8:9], s[0:1]
	s_cbranch_execz .LBB185_12
; %bb.18:                               ;   in Loop: Header=BB185_13 Depth=1
	global_load_dword v2, v[22:23], off
	s_waitcnt vmcnt(0)
	v_mad_i64_i32 v[2:3], s[0:1], v2, s47, v[20:21]
	global_load_ubyte v39, v[2:3], off
	global_load_ubyte v57, v[2:3], off offset:4
	global_load_ubyte v58, v[2:3], off offset:8
	;; [unrolled: 1-line block ×29, first 2 shown]
	ds_read2_b64 v[40:43], v28 offset1:1
	ds_read2_b64 v[10:13], v28 offset0:2 offset1:3
	ds_read2_b64 v[6:9], v28 offset0:4 offset1:5
	;; [unrolled: 1-line block ×3, first 2 shown]
	s_load_dword s40, s[12:13], 0x0
	ds_read2_b64 v[14:17], v28 offset0:8 offset1:9
	ds_read2_b64 v[44:47], v28 offset0:10 offset1:11
	ds_read2_b64 v[48:51], v28 offset0:12 offset1:13
	ds_read_b64 v[52:53], v28 offset:112
	v_cmp_lt_i32_e64 s[0:1], v36, v35
	s_waitcnt vmcnt(29)
	v_cvt_f32_fp8_e32 v39, v39
	s_waitcnt vmcnt(28)
	v_cvt_f32_fp8_e32 v57, v57
	;; [unrolled: 2-line block ×5, first 2 shown]
	s_waitcnt lgkmcnt(0)
	v_mul_f32_e32 v57, s40, v57
	s_waitcnt vmcnt(24)
	v_cvt_f32_fp8_e32 v61, v61
	v_mul_f32_e32 v39, s40, v39
	v_mul_f32_e32 v41, v41, v57
	s_waitcnt vmcnt(23)
	v_cvt_f32_fp8_e32 v62, v62
	v_mul_f32_e32 v58, s40, v58
	v_fmac_f32_e32 v41, v40, v39
	s_waitcnt vmcnt(22)
	v_cvt_f32_fp8_e32 v63, v63
	v_mul_f32_e32 v59, s40, v59
	v_fmac_f32_e32 v41, v42, v58
	;; [unrolled: 4-line block ×24, first 2 shown]
	v_mul_f32_e32 v82, s40, v82
	v_fmac_f32_e32 v41, v49, v81
	v_mul_f32_e32 v83, s40, v83
	v_fmac_f32_e32 v41, v50, v82
	;; [unrolled: 2-line block ×3, first 2 shown]
	v_cndmask_b32_e64 v86, v34, v36, s[0:1]
	v_mul_f32_e32 v85, s40, v85
	v_fmac_f32_e32 v41, v52, v84
	v_lshlrev_b32_e32 v10, 2, v86
	v_fmac_f32_e32 v41, v53, v85
	ds_bpermute_b32 v2, v10, v41
	v_cmp_lt_i32_e64 s[0:1], v37, v35
	s_waitcnt lgkmcnt(0)
	v_add_f32_e32 v2, v41, v2
	v_cndmask_b32_e64 v3, v34, v37, s[0:1]
	v_lshlrev_b32_e32 v3, 2, v3
	ds_bpermute_b32 v3, v3, v2
	s_and_saveexec_b64 s[40:41], vcc
	s_cbranch_execz .LBB185_11
; %bb.19:                               ;   in Loop: Header=BB185_13 Depth=1
	v_add_u32_e32 v4, v31, v30
	v_cvt_f32_i32_e32 v4, v4
	s_waitcnt lgkmcnt(0)
	v_add_f32_e32 v2, v2, v3
	v_add_u32_e32 v5, v27, v30
	v_cmp_gt_i32_e64 s[0:1], s33, v5
	v_mul_f32_e32 v3, s44, v4
	v_cndmask_b32_e64 v3, 0, v3, s[2:3]
	v_fmac_f32_e32 v3, s37, v2
	v_cndmask_b32_e64 v2, 0, v3, s[0:1]
	ds_write_b32 v32, v2
	v_max_f32_e32 v2, v19, v19
	v_max_f32_e32 v2, v2, v3
	v_cndmask_b32_e64 v19, v19, v2, s[0:1]
	s_branch .LBB185_11
.LBB185_20:
	s_or_b64 exec, exec, s[38:39]
.LBB185_21:
	s_or_b64 exec, exec, s[18:19]
	v_mbcnt_hi_u32_b32 v2, -1, v26
	v_and_b32_e32 v11, 64, v2
	s_waitcnt lgkmcnt(0)
	v_add_u32_e32 v3, 64, v11
	v_xor_b32_e32 v4, 32, v2
	v_cmp_lt_i32_e32 vcc, v4, v3
	v_xor_b32_e32 v7, 16, v2
	v_max_f32_e32 v6, v19, v19
	v_cndmask_b32_e32 v4, v2, v4, vcc
	v_lshlrev_b32_e32 v5, 2, v4
	ds_bpermute_b32 v4, v5, v19
	v_cmp_lt_i32_e32 vcc, v7, v3
	v_xor_b32_e32 v8, 8, v2
	v_xor_b32_e32 v10, 4, v2
	s_waitcnt lgkmcnt(0)
	v_max_f32_e32 v4, v4, v4
	v_max_f32_e32 v4, v6, v4
	v_cndmask_b32_e32 v6, v2, v7, vcc
	v_lshlrev_b32_e32 v6, 2, v6
	ds_bpermute_b32 v7, v6, v4
	v_cmp_lt_i32_e32 vcc, v8, v3
	s_waitcnt lgkmcnt(0)
	v_max_f32_e32 v7, v7, v7
	v_max_f32_e32 v4, v4, v7
	v_cndmask_b32_e32 v7, v2, v8, vcc
	v_lshlrev_b32_e32 v9, 2, v7
	ds_bpermute_b32 v7, v9, v4
	v_cmp_lt_i32_e32 vcc, v10, v3
	s_waitcnt lgkmcnt(0)
	v_max_f32_e32 v7, v7, v7
	v_max_f32_e32 v8, v4, v7
	v_cndmask_b32_e32 v4, v2, v10, vcc
	v_lshlrev_b32_e32 v10, 2, v4
	ds_bpermute_b32 v12, v10, v8
	v_and_b32_e32 v4, 63, v0
	v_cmp_eq_u32_e32 vcc, 0, v4
	v_lshlrev_b32_e32 v7, 2, v55
	s_and_saveexec_b64 s[0:1], vcc
	s_cbranch_execz .LBB185_23
; %bb.22:
	s_waitcnt lgkmcnt(0)
	v_max_f32_e32 v12, v12, v12
	v_max_f32_e32 v8, v8, v8
	;; [unrolled: 1-line block ×3, first 2 shown]
	ds_write_b32 v7, v8 offset:480
.LBB185_23:
	s_or_b64 exec, exec, s[0:1]
	v_cmp_gt_u32_e64 s[0:1], 2, v4
	s_waitcnt lgkmcnt(0)
	v_mov_b32_e32 v12, 0xff7fffff
	v_lshlrev_b32_e32 v8, 2, v4
	s_barrier
	s_and_saveexec_b64 s[2:3], s[0:1]
; %bb.24:
	ds_read_b32 v12, v8 offset:480
; %bb.25:
	s_or_b64 exec, exec, s[2:3]
	v_xor_b32_e32 v13, 1, v2
	v_cmp_lt_i32_e64 s[2:3], v13, v3
	v_lshlrev_b32_e32 v11, 2, v11
	s_nop 0
	v_cndmask_b32_e64 v13, v2, v13, s[2:3]
	v_lshlrev_b32_e32 v19, 2, v13
	s_waitcnt lgkmcnt(0)
	ds_bpermute_b32 v13, v19, v12
	v_max_f32_e32 v12, v12, v12
	s_lshl_b32 s2, s43, 4
	s_min_i32 s37, s2, s33
	v_cmp_gt_i32_e64 s[2:3], s37, v0
	s_waitcnt lgkmcnt(0)
	v_max_f32_e32 v13, v13, v13
	v_max_f32_e32 v12, v12, v13
	ds_bpermute_b32 v12, v11, v12
	v_mov_b32_e32 v11, 0
	s_and_saveexec_b64 s[12:13], s[2:3]
	s_cbranch_execz .LBB185_29
; %bb.26:
	v_mov_b32_e32 v11, 0x1f0
	v_lshl_add_u32 v13, v0, 2, v11
	v_mov_b32_e32 v11, 0
	s_mov_b64 s[18:19], 0
	v_mov_b32_e32 v14, v0
.LBB185_27:                             ; =>This Inner Loop Header: Depth=1
	ds_read_b32 v15, v13
	v_add_u32_e32 v14, 0x80, v14
	v_cmp_le_i32_e64 s[8:9], s37, v14
	s_or_b64 s[18:19], s[8:9], s[18:19]
	s_waitcnt lgkmcnt(0)
	v_sub_f32_e32 v15, v15, v12
	v_mul_f32_e32 v15, 0x3fb8aa3b, v15
	v_exp_f32_e32 v15, v15
	ds_write_b32 v13, v15
	v_add_f32_e32 v11, v11, v15
	v_add_u32_e32 v13, 0x200, v13
	s_andn2_b64 exec, exec, s[18:19]
	s_cbranch_execnz .LBB185_27
; %bb.28:
	s_or_b64 exec, exec, s[18:19]
.LBB185_29:
	s_or_b64 exec, exec, s[12:13]
	ds_bpermute_b32 v5, v5, v11
	s_waitcnt lgkmcnt(0)
	v_add_f32_e32 v5, v11, v5
	ds_bpermute_b32 v6, v6, v5
	s_waitcnt lgkmcnt(0)
	v_add_f32_e32 v5, v5, v6
	ds_bpermute_b32 v6, v9, v5
	v_xor_b32_e32 v9, 2, v2
	v_cmp_lt_i32_e64 s[8:9], v9, v3
	s_waitcnt lgkmcnt(0)
	v_add_f32_e32 v5, v5, v6
	ds_bpermute_b32 v6, v10, v5
	v_cndmask_b32_e64 v3, v2, v9, s[8:9]
	v_lshlrev_b32_e32 v57, 2, v3
	s_waitcnt lgkmcnt(0)
	v_add_f32_e32 v5, v5, v6
	ds_bpermute_b32 v3, v57, v5
	s_waitcnt lgkmcnt(0)
	v_add_f32_e32 v3, v5, v3
	ds_bpermute_b32 v5, v19, v3
	s_waitcnt lgkmcnt(0)
	v_add_f32_e32 v3, v3, v5
	s_and_saveexec_b64 s[8:9], vcc
; %bb.30:
	ds_write_b32 v7, v3 offset:488
; %bb.31:
	s_or_b64 exec, exec, s[8:9]
	s_waitcnt lgkmcnt(0)
	s_barrier
	s_and_saveexec_b64 s[8:9], s[0:1]
; %bb.32:
	ds_read_b32 v3, v8 offset:488
; %bb.33:
	s_or_b64 exec, exec, s[8:9]
	s_waitcnt lgkmcnt(0)
	ds_bpermute_b32 v5, v19, v3
	v_lshlrev_b32_e32 v2, 2, v2
	v_and_b32_e32 v2, 0x100, v2
	s_waitcnt lgkmcnt(0)
	v_add_f32_e32 v3, v3, v5
	ds_bpermute_b32 v2, v2, v3
	s_and_saveexec_b64 s[0:1], s[2:3]
	s_cbranch_execz .LBB185_46
; %bb.34:
	s_waitcnt lgkmcnt(0)
	v_add_f32_e32 v2, 0x358637bd, v2
	v_div_scale_f32 v3, s[2:3], v2, v2, 1.0
	v_rcp_f32_e32 v5, v3
	v_div_scale_f32 v6, vcc, 1.0, v2, 1.0
	s_movk_i32 s2, 0x7f
	v_fma_f32 v7, -v3, v5, 1.0
	v_fmac_f32_e32 v5, v7, v5
	v_mul_f32_e32 v7, v6, v5
	v_fma_f32 v8, -v3, v7, v6
	v_fmac_f32_e32 v7, v8, v5
	v_fma_f32 v3, -v3, v7, v6
	v_div_fmas_f32 v3, v3, v5, v7
	v_xad_u32 v5, v0, -1, s37
	v_div_fixup_f32 v2, v3, v2, 1.0
	v_cmp_lt_u32_e32 vcc, s2, v5
	s_mov_b64 s[8:9], -1
	v_mov_b32_e32 v3, v0
	s_and_saveexec_b64 s[2:3], vcc
	s_cbranch_execz .LBB185_43
; %bb.35:
	v_lshrrev_b32_e32 v5, 7, v5
	v_add_u32_e32 v7, -1, v5
	v_lshrrev_b32_e32 v6, 1, v7
	v_mov_b32_e32 v3, v2
	v_add_u32_e32 v6, 1, v6
	v_cmp_lt_u32_e32 vcc, 13, v7
	v_mov_b32_e32 v9, 0
	s_and_saveexec_b64 s[8:9], vcc
	s_cbranch_execz .LBB185_39
; %bb.36:
	v_mov_b32_e32 v8, 0x1f0
	v_and_b32_e32 v7, -8, v6
	v_lshl_add_u32 v8, v0, 2, v8
	s_mov_b32 s18, 0
	s_mov_b64 s[12:13], 0
.LBB185_37:                             ; =>This Inner Loop Header: Depth=1
	ds_read2st64_b32 v[10:11], v8 offset1:2
	ds_read2st64_b32 v[12:13], v8 offset0:4 offset1:6
	ds_read2st64_b32 v[14:15], v8 offset0:8 offset1:10
	;; [unrolled: 1-line block ×3, first 2 shown]
	v_add_u32_e32 v7, -8, v7
	s_waitcnt lgkmcnt(3)
	v_pk_mul_f32 v[10:11], v[2:3], v[10:11]
	s_waitcnt lgkmcnt(2)
	v_pk_mul_f32 v[12:13], v[2:3], v[12:13]
	ds_write2st64_b32 v8, v10, v11 offset1:2
	ds_write2st64_b32 v8, v12, v13 offset0:4 offset1:6
	ds_read2st64_b32 v[12:13], v8 offset0:16 offset1:18
	s_waitcnt lgkmcnt(4)
	v_pk_mul_f32 v[10:11], v[2:3], v[14:15]
	ds_write2st64_b32 v8, v10, v11 offset0:8 offset1:10
	s_waitcnt lgkmcnt(4)
	v_pk_mul_f32 v[10:11], v[2:3], v[16:17]
	ds_write2st64_b32 v8, v10, v11 offset0:12 offset1:14
	ds_read2st64_b32 v[10:11], v8 offset0:20 offset1:22
	s_waitcnt lgkmcnt(3)
	v_pk_mul_f32 v[12:13], v[2:3], v[12:13]
	ds_read2st64_b32 v[14:15], v8 offset0:24 offset1:26
	ds_write2st64_b32 v8, v12, v13 offset0:16 offset1:18
	ds_read2st64_b32 v[12:13], v8 offset0:28 offset1:30
	s_waitcnt lgkmcnt(3)
	v_pk_mul_f32 v[10:11], v[2:3], v[10:11]
	ds_write2st64_b32 v8, v10, v11 offset0:20 offset1:22
	s_waitcnt lgkmcnt(3)
	v_pk_mul_f32 v[10:11], v[2:3], v[14:15]
	ds_write2st64_b32 v8, v10, v11 offset0:24 offset1:26
	s_waitcnt lgkmcnt(2)
	v_pk_mul_f32 v[10:11], v[2:3], v[12:13]
	s_add_i32 s18, s18, 16
	v_cmp_eq_u32_e32 vcc, 0, v7
	ds_write2st64_b32 v8, v10, v11 offset0:28 offset1:30
	v_add_u32_e32 v8, 0x2000, v8
	s_or_b64 s[12:13], vcc, s[12:13]
	v_mov_b32_e32 v9, s18
	s_andn2_b64 exec, exec, s[12:13]
	s_cbranch_execnz .LBB185_37
; %bb.38:
	s_or_b64 exec, exec, s[12:13]
.LBB185_39:
	s_or_b64 exec, exec, s[8:9]
	v_and_b32_e32 v6, 7, v6
	v_cmp_ne_u32_e32 vcc, 0, v6
	s_and_saveexec_b64 s[8:9], vcc
	s_cbranch_execz .LBB185_42
; %bb.40:
	v_lshlrev_b32_e32 v7, 9, v9
	s_movk_i32 s12, 0x1f0
	v_add3_u32 v7, v7, v24, s12
	s_mov_b64 s[12:13], 0
.LBB185_41:                             ; =>This Inner Loop Header: Depth=1
	ds_read2st64_b32 v[8:9], v7 offset1:2
	v_add_u32_e32 v6, -1, v6
	v_cmp_eq_u32_e32 vcc, 0, v6
	s_or_b64 s[12:13], vcc, s[12:13]
	s_waitcnt lgkmcnt(0)
	v_pk_mul_f32 v[8:9], v[2:3], v[8:9]
	ds_write2st64_b32 v7, v8, v9 offset1:2
	v_add_u32_e32 v7, 0x400, v7
	s_andn2_b64 exec, exec, s[12:13]
	s_cbranch_execnz .LBB185_41
.LBB185_42:
	s_or_b64 exec, exec, s[8:9]
	v_add_u32_e32 v5, 1, v5
	v_and_b32_e32 v6, 0x3fffffe, v5
	v_cmp_ne_u32_e32 vcc, v5, v6
	v_lshl_add_u32 v3, v6, 7, v0
	s_orn2_b64 s[8:9], vcc, exec
.LBB185_43:
	s_or_b64 exec, exec, s[2:3]
	s_and_b64 exec, exec, s[8:9]
	s_cbranch_execz .LBB185_46
; %bb.44:
	v_mov_b32_e32 v5, 0x1f0
	v_lshl_add_u32 v5, v3, 2, v5
	s_mov_b64 s[2:3], 0
.LBB185_45:                             ; =>This Inner Loop Header: Depth=1
	ds_read_b32 v6, v5
	v_add_u32_e32 v3, 0x80, v3
	v_cmp_le_i32_e32 vcc, s37, v3
	s_or_b64 s[2:3], vcc, s[2:3]
	s_waitcnt lgkmcnt(0)
	v_mul_f32_e32 v6, v2, v6
	ds_write_b32 v5, v6
	v_add_u32_e32 v5, 0x200, v5
	s_andn2_b64 exec, exec, s[2:3]
	s_cbranch_execnz .LBB185_45
.LBB185_46:
	s_or_b64 exec, exec, s[0:1]
	v_lshrrev_b32_e32 v58, 2, v4
	s_waitcnt lgkmcnt(0)
	s_barrier
	s_and_saveexec_b64 s[0:1], s[6:7]
	s_xor_b64 s[0:1], exec, s[0:1]
; %bb.47:
	v_lshrrev_b32_e32 v58, 2, v4
                                        ; implicit-def: $vgpr56
                                        ; implicit-def: $vgpr55
                                        ; implicit-def: $vgpr24
                                        ; implicit-def: $vgpr25
; %bb.48:
	s_or_saveexec_b64 s[6:7], s[0:1]
	v_mov_b32_e32 v7, 0
	v_mov_b32_e32 v6, 0
	;; [unrolled: 1-line block ×8, first 2 shown]
	s_xor_b64 exec, exec, s[6:7]
	s_cbranch_execz .LBB185_72
; %bb.49:
	s_sub_i32 s37, s16, s21
	s_ashr_i32 s0, s20, 31
	s_add_u32 s8, s34, s20
	s_addc_u32 s9, s35, s0
	s_abs_i32 s22, s22
	v_cvt_f32_u32_e32 v2, s22
	v_or_b32_e32 v3, 0x70, v58
	s_movk_i32 s0, 0x78
	v_and_b32_e32 v59, 12, v24
	v_rcp_iflag_f32_e32 v2, v2
	v_cmp_gt_u32_e32 vcc, s0, v3
	s_sub_i32 s0, 0, s22
	s_add_i32 s34, s43, -1
	v_mul_f32_e32 v2, 0x4f7ffffe, v2
	v_cvt_u32_f32_e32 v2, v2
	v_lshl_or_b32 v16, v3, 4, v59
	v_mov_b32_e32 v15, 0
	s_mov_b32 s38, s17
	v_mul_lo_u32 v3, s0, v2
	s_lshl_b64 s[0:1], s[30:31], 2
	v_mul_hi_u32 v3, v2, v3
	s_add_u32 s0, s28, s0
	v_add_u32_e32 v60, v2, v3
	v_and_b32_e32 v2, 60, v25
	v_mov_b32_e32 v3, v15
	s_addc_u32 s1, s29, s1
	v_lshl_add_u64 v[20:21], s[0:1], 0, v[2:3]
	v_lshlrev_b32_e32 v2, 4, v18
	v_lshl_or_b32 v2, v55, 6, v2
	v_lshl_or_b32 v14, v58, 4, v59
	v_mov_b32_e32 v17, v15
	s_mov_b32 s35, s33
	v_add_u32_e32 v61, 0x1f0, v2
	s_mov_b64 s[12:13], 0
	v_mov_b32_e32 v12, v15
	v_mov_b32_e32 v13, v15
	;; [unrolled: 1-line block ×8, first 2 shown]
	s_branch .LBB185_53
.LBB185_50:                             ;   in Loop: Header=BB185_53 Depth=1
	s_or_b64 exec, exec, s[18:19]
	v_pk_mul_f32 v[52:53], v[2:3], v[52:53]
	v_pk_mul_f32 v[30:31], v[4:5], v[30:31]
	v_add_f32_e32 v52, v53, v52
	v_add_f32_e32 v30, v30, v52
	v_add_f32_e32 v30, v31, v30
	v_add_f32_e32 v7, v7, v30
.LBB185_51:                             ;   in Loop: Header=BB185_53 Depth=1
	s_or_b64 exec, exec, s[2:3]
	v_mul_f32_e32 v30, v2, v50
	v_fmac_f32_e32 v30, v3, v51
	v_fmac_f32_e32 v30, v4, v36
	v_fmac_f32_e32 v30, v5, v37
	v_add_f32_e32 v6, v6, v30
	v_mul_f32_e32 v30, v2, v48
	v_fmac_f32_e32 v30, v3, v49
	v_fmac_f32_e32 v30, v4, v46
	v_fmac_f32_e32 v30, v5, v47
	v_add_f32_e32 v9, v9, v30
	;; [unrolled: 5-line block ×4, first 2 shown]
	v_mul_f32_e32 v30, v2, v34
	v_mul_f32_e32 v28, v2, v28
	;; [unrolled: 1-line block ×3, first 2 shown]
	v_fmac_f32_e32 v30, v3, v35
	v_fmac_f32_e32 v28, v3, v29
	;; [unrolled: 1-line block ×9, first 2 shown]
	v_add_f32_e32 v10, v10, v30
	v_add_f32_e32 v13, v13, v28
	v_add_f32_e32 v12, v12, v2
.LBB185_52:                             ;   in Loop: Header=BB185_53 Depth=1
	s_or_b64 exec, exec, s[16:17]
	v_add_u32_e32 v55, 2, v55
	v_cmp_le_i32_e64 s[0:1], s43, v55
	v_lshl_add_u64 v[20:21], v[20:21], 0, 8
	v_add_u32_e32 v56, 32, v56
	s_or_b64 s[12:13], s[0:1], s[12:13]
	v_add_u32_e32 v61, 0x80, v61
	s_andn2_b64 exec, exec, s[12:13]
	s_cbranch_execz .LBB185_71
.LBB185_53:                             ; =>This Inner Loop Header: Depth=1
	v_mul_hi_u32 v2, v56, s42
	v_mul_lo_u32 v3, v2, s25
	v_sub_u32_e32 v3, v56, v3
	v_add_u32_e32 v4, 1, v2
	v_cmp_le_u32_e64 s[0:1], s25, v3
	s_nop 1
	v_cndmask_b32_e64 v2, v2, v4, s[0:1]
	v_subrev_u32_e32 v4, s25, v3
	v_cndmask_b32_e64 v3, v3, v4, s[0:1]
	v_add_u32_e32 v4, 1, v2
	v_cmp_le_u32_e64 s[0:1], s25, v3
	s_nop 1
	v_cndmask_b32_e64 v2, v2, v4, s[0:1]
	v_xor_b32_e32 v2, s23, v2
	v_subrev_u32_e32 v2, s23, v2
	v_add_u32_e32 v3, s36, v2
	v_sub_u32_e32 v5, 0, v3
	v_ashrrev_i32_e32 v4, 31, v3
	v_max_i32_e32 v3, v3, v5
	v_mul_hi_u32 v5, v3, v60
	v_mul_lo_u32 v5, v5, s22
	v_sub_u32_e32 v3, v3, v5
	v_subrev_u32_e32 v5, s22, v3
	v_cmp_le_u32_e64 s[0:1], s22, v3
	v_cmp_lt_i32_e64 s[2:3], s37, v2
	s_nop 0
	v_cndmask_b32_e64 v3, v3, v5, s[0:1]
	v_subrev_u32_e32 v5, s22, v3
	v_cmp_le_u32_e64 s[0:1], s22, v3
	s_nop 1
	v_cndmask_b32_e64 v3, v3, v5, s[0:1]
	v_xor_b32_e32 v3, v3, v4
	v_sub_u32_e32 v3, v3, v4
	v_cmp_eq_u32_e64 s[0:1], 0, v3
	s_or_b64 s[0:1], s[0:1], s[2:3]
	s_and_saveexec_b64 s[16:17], s[0:1]
	s_cbranch_execz .LBB185_52
; %bb.54:                               ;   in Loop: Header=BB185_53 Depth=1
	global_load_dword v4, v[20:21], off
	v_mov_b64_e32 v[2:3], s[8:9]
	s_load_dword s18, s[14:15], 0x0
	v_add_u32_e32 v62, v59, v56
	v_add_u32_e32 v52, 2, v62
	;; [unrolled: 1-line block ×3, first 2 shown]
	s_waitcnt vmcnt(0)
	v_mad_i64_i32 v[30:31], s[0:1], v4, s38, v[2:3]
	v_lshl_add_u64 v[36:37], v[30:31], 0, v[14:15]
	global_load_dword v22, v[36:37], off
	ds_read_b128 v[2:5], v61
	v_cmp_eq_u32_e64 s[0:1], s34, v55
	s_waitcnt vmcnt(0)
	v_and_b32_e32 v23, 0xffff, v22
	v_lshrrev_b32_e32 v24, 16, v22
	v_cvt_pk_f32_fp8_e32 v[22:23], v23
	v_cvt_pk_f32_fp8_e32 v[26:27], v24
	s_waitcnt lgkmcnt(0)
	v_pk_mul_f32 v[24:25], v[22:23], s[18:19] op_sel_hi:[1,0]
	v_pk_mul_f32 v[22:23], s[18:19], v[26:27] op_sel_hi:[0,1]
	s_and_saveexec_b64 s[20:21], s[0:1]
; %bb.55:                               ;   in Loop: Header=BB185_53 Depth=1
	v_cmp_gt_i32_e64 s[2:3], s33, v62
	v_add_u32_e32 v26, 1, v62
	s_nop 0
	v_cndmask_b32_e64 v24, 0, v24, s[2:3]
	v_cmp_gt_i32_e64 s[2:3], s33, v26
	s_nop 1
	v_cndmask_b32_e64 v25, 0, v25, s[2:3]
	v_cmp_gt_i32_e64 s[2:3], s33, v52
	;; [unrolled: 3-line block ×3, first 2 shown]
	s_nop 1
	v_cndmask_b32_e64 v23, 0, v23, s[2:3]
; %bb.56:                               ;   in Loop: Header=BB185_53 Depth=1
	s_or_b64 exec, exec, s[20:21]
	global_load_dword v26, v[36:37], off offset:256
	s_mov_b32 s19, s18
	s_waitcnt vmcnt(0)
	v_and_b32_e32 v27, 0xffff, v26
	v_lshrrev_b32_e32 v28, 16, v26
	v_cvt_pk_f32_fp8_e32 v[26:27], v27
	v_cvt_pk_f32_fp8_e32 v[32:33], v28
	v_pk_mul_f32 v[28:29], s[18:19], v[26:27]
	v_pk_mul_f32 v[26:27], s[18:19], v[32:33]
	s_and_saveexec_b64 s[20:21], s[0:1]
; %bb.57:                               ;   in Loop: Header=BB185_53 Depth=1
	v_cmp_gt_i32_e64 s[2:3], s33, v62
	v_add_u32_e32 v32, 1, v62
	s_nop 0
	v_cndmask_b32_e64 v28, 0, v28, s[2:3]
	v_cmp_gt_i32_e64 s[2:3], s33, v32
	s_nop 1
	v_cndmask_b32_e64 v29, 0, v29, s[2:3]
	v_cmp_gt_i32_e64 s[2:3], s33, v52
	s_nop 1
	v_cndmask_b32_e64 v26, 0, v26, s[2:3]
	v_cmp_gt_i32_e64 s[2:3], s33, v53
	s_nop 1
	v_cndmask_b32_e64 v27, 0, v27, s[2:3]
; %bb.58:                               ;   in Loop: Header=BB185_53 Depth=1
	s_or_b64 exec, exec, s[20:21]
	global_load_dword v32, v[36:37], off offset:512
	s_waitcnt vmcnt(0)
	v_and_b32_e32 v33, 0xffff, v32
	v_lshrrev_b32_e32 v34, 16, v32
	v_cvt_pk_f32_fp8_e32 v[32:33], v33
	v_cvt_pk_f32_fp8_e32 v[38:39], v34
	v_pk_mul_f32 v[34:35], s[18:19], v[32:33]
	v_pk_mul_f32 v[32:33], s[18:19], v[38:39]
	s_and_saveexec_b64 s[20:21], s[0:1]
; %bb.59:                               ;   in Loop: Header=BB185_53 Depth=1
	v_cmp_gt_i32_e64 s[2:3], s33, v62
	v_add_u32_e32 v38, 1, v62
	s_nop 0
	v_cndmask_b32_e64 v34, 0, v34, s[2:3]
	v_cmp_gt_i32_e64 s[2:3], s33, v38
	s_nop 1
	v_cndmask_b32_e64 v35, 0, v35, s[2:3]
	v_cmp_gt_i32_e64 s[2:3], s33, v52
	s_nop 1
	v_cndmask_b32_e64 v32, 0, v32, s[2:3]
	v_cmp_gt_i32_e64 s[2:3], s33, v53
	s_nop 1
	v_cndmask_b32_e64 v33, 0, v33, s[2:3]
; %bb.60:                               ;   in Loop: Header=BB185_53 Depth=1
	s_or_b64 exec, exec, s[20:21]
	global_load_dword v38, v[36:37], off offset:768
	;; [unrolled: 25-line block ×5, first 2 shown]
	s_waitcnt vmcnt(0)
	v_and_b32_e32 v37, 0xffff, v36
	v_lshrrev_b32_e32 v50, 16, v36
	v_cvt_pk_f32_fp8_e32 v[36:37], v37
	v_cvt_pk_f32_fp8_e32 v[64:65], v50
	v_pk_mul_f32 v[50:51], s[18:19], v[36:37]
	v_pk_mul_f32 v[36:37], s[18:19], v[64:65]
	s_and_saveexec_b64 s[20:21], s[0:1]
; %bb.67:                               ;   in Loop: Header=BB185_53 Depth=1
	v_cmp_gt_i32_e64 s[2:3], s33, v62
	v_add_u32_e32 v63, 1, v62
	s_nop 0
	v_cndmask_b32_e64 v50, 0, v50, s[2:3]
	v_cmp_gt_i32_e64 s[2:3], s33, v63
	s_nop 1
	v_cndmask_b32_e64 v51, 0, v51, s[2:3]
	v_cmp_gt_i32_e64 s[2:3], s33, v52
	;; [unrolled: 3-line block ×3, first 2 shown]
	s_nop 1
	v_cndmask_b32_e64 v37, 0, v37, s[2:3]
; %bb.68:                               ;   in Loop: Header=BB185_53 Depth=1
	s_or_b64 exec, exec, s[20:21]
	s_and_saveexec_b64 s[2:3], vcc
	s_cbranch_execz .LBB185_51
; %bb.69:                               ;   in Loop: Header=BB185_53 Depth=1
	v_lshl_add_u64 v[30:31], v[30:31], 0, v[16:17]
	global_load_dword v30, v[30:31], off
	s_waitcnt vmcnt(0)
	v_and_b32_e32 v31, 0xffff, v30
	v_lshrrev_b32_e32 v52, 16, v30
	v_cvt_pk_f32_fp8_e32 v[30:31], v31
	v_cvt_pk_f32_fp8_e32 v[64:65], v52
	v_pk_mul_f32 v[52:53], s[18:19], v[30:31]
	v_pk_mul_f32 v[30:31], s[18:19], v[64:65]
	s_and_saveexec_b64 s[18:19], s[0:1]
	s_cbranch_execz .LBB185_50
; %bb.70:                               ;   in Loop: Header=BB185_53 Depth=1
	v_add_u32_e32 v63, 1, v62
	v_cmp_gt_i32_e64 s[0:1], s35, v63
	v_or_b32_e32 v63, 3, v62
	s_nop 0
	v_cndmask_b32_e64 v53, 0, v53, s[0:1]
	v_cmp_gt_i32_e64 s[0:1], s33, v62
	v_or_b32_e32 v62, 2, v62
	s_nop 0
	v_cndmask_b32_e64 v52, 0, v52, s[0:1]
	v_cmp_gt_i32_e64 s[0:1], s35, v63
	s_nop 1
	v_cndmask_b32_e64 v31, 0, v31, s[0:1]
	v_cmp_gt_i32_e64 s[0:1], s33, v62
	s_nop 1
	v_cndmask_b32_e64 v30, 0, v30, s[0:1]
	s_branch .LBB185_50
.LBB185_71:
	s_or_b64 exec, exec, s[12:13]
.LBB185_72:
	s_or_b64 exec, exec, s[6:7]
	ds_bpermute_b32 v4, v57, v10
	ds_bpermute_b32 v5, v57, v11
	ds_bpermute_b32 v2, v57, v12
	ds_bpermute_b32 v3, v57, v13
	ds_bpermute_b32 v16, v57, v6
	ds_bpermute_b32 v17, v57, v7
	s_waitcnt lgkmcnt(4)
	v_pk_add_f32 v[4:5], v[10:11], v[4:5]
	ds_bpermute_b32 v10, v57, v8
	ds_bpermute_b32 v11, v57, v9
	s_waitcnt lgkmcnt(4)
	v_pk_add_f32 v[2:3], v[12:13], v[2:3]
	ds_bpermute_b32 v14, v19, v4
	ds_bpermute_b32 v15, v19, v5
	s_waitcnt lgkmcnt(4)
	v_pk_add_f32 v[16:17], v[6:7], v[16:17]
	s_waitcnt lgkmcnt(2)
	v_pk_add_f32 v[10:11], v[8:9], v[10:11]
	ds_bpermute_b32 v20, v19, v10
	ds_bpermute_b32 v21, v19, v11
	;; [unrolled: 1-line block ×6, first 2 shown]
	s_waitcnt lgkmcnt(6)
	v_pk_add_f32 v[6:7], v[4:5], v[14:15]
	s_waitcnt lgkmcnt(4)
	v_pk_add_f32 v[4:5], v[10:11], v[20:21]
	v_and_b32_e32 v10, 0x3c0, v0
	s_waitcnt lgkmcnt(2)
	v_pk_add_f32 v[8:9], v[2:3], v[12:13]
	s_waitcnt lgkmcnt(0)
	v_pk_add_f32 v[2:3], v[16:17], v[22:23]
	v_cmp_eq_u32_e64 s[0:1], 64, v10
	v_cmp_eq_u32_e32 vcc, 0, v18
	s_barrier
	s_and_saveexec_b64 s[2:3], s[0:1]
	s_cbranch_execz .LBB185_77
; %bb.73:
	s_and_saveexec_b64 s[0:1], vcc
	s_cbranch_execz .LBB185_75
; %bb.74:
	v_mov_b32_e32 v10, 0x1f0
	v_lshl_add_u32 v10, v58, 2, v10
	ds_write2_b32 v10, v8, v9 offset1:16
	ds_write2_b32 v10, v6, v7 offset0:32 offset1:48
	ds_write2_b32 v10, v4, v5 offset0:64 offset1:80
	ds_write_b32 v10, v2 offset:384
.LBB185_75:
	s_or_b64 exec, exec, s[0:1]
	v_or_b32_e32 v10, 0x70, v58
	s_movk_i32 s0, 0x78
	v_cmp_gt_u32_e64 s[0:1], s0, v10
	s_and_b64 s[0:1], vcc, s[0:1]
	s_and_b64 exec, exec, s[0:1]
; %bb.76:
	v_mov_b32_e32 v10, 0x1f0
	v_lshl_add_u32 v10, v58, 2, v10
	ds_write_b32 v10, v3 offset:448
.LBB185_77:
	s_or_b64 exec, exec, s[2:3]
	v_cmp_gt_u32_e64 s[0:1], 64, v0
	s_waitcnt lgkmcnt(0)
	s_barrier
	s_and_saveexec_b64 s[6:7], s[0:1]
	s_cbranch_execz .LBB185_95
; %bb.78:
	s_and_saveexec_b64 s[2:3], vcc
	s_cbranch_execz .LBB185_80
; %bb.79:
	v_mov_b32_e32 v0, 0x1f0
	v_lshl_add_u32 v0, v54, 2, v0
	ds_read_b32 v0, v0
	s_waitcnt lgkmcnt(0)
	v_add_f32_e32 v8, v8, v0
.LBB185_80:
	s_or_b64 exec, exec, s[2:3]
	v_or_b32_e32 v0, 16, v54
	s_movk_i32 s8, 0x78
	v_cmp_gt_u32_e64 s[2:3], s8, v0
	s_and_b64 s[12:13], vcc, s[2:3]
	s_and_saveexec_b64 s[2:3], s[12:13]
	s_cbranch_execz .LBB185_82
; %bb.81:
	v_mov_b32_e32 v0, 0x1f0
	v_lshl_add_u32 v0, v54, 2, v0
	ds_read_b32 v0, v0 offset:64
	s_waitcnt lgkmcnt(0)
	v_add_f32_e32 v9, v9, v0
.LBB185_82:
	s_or_b64 exec, exec, s[2:3]
	v_or_b32_e32 v0, 32, v54
	v_cmp_gt_u32_e64 s[2:3], s8, v0
	s_and_b64 s[8:9], vcc, s[2:3]
	s_and_saveexec_b64 s[2:3], s[8:9]
	s_cbranch_execz .LBB185_84
; %bb.83:
	v_mov_b32_e32 v0, 0x1f0
	v_lshl_add_u32 v0, v54, 2, v0
	ds_read_b32 v0, v0 offset:128
	s_waitcnt lgkmcnt(0)
	v_add_f32_e32 v6, v6, v0
.LBB185_84:
	s_or_b64 exec, exec, s[2:3]
	v_or_b32_e32 v0, 48, v54
	s_movk_i32 s8, 0x78
	v_cmp_gt_u32_e64 s[2:3], s8, v0
	s_and_b64 s[12:13], vcc, s[2:3]
	s_and_saveexec_b64 s[2:3], s[12:13]
	s_cbranch_execz .LBB185_86
; %bb.85:
	v_mov_b32_e32 v0, 0x1f0
	v_lshl_add_u32 v0, v54, 2, v0
	ds_read_b32 v0, v0 offset:192
	s_waitcnt lgkmcnt(0)
	v_add_f32_e32 v7, v7, v0
.LBB185_86:
	s_or_b64 exec, exec, s[2:3]
	v_or_b32_e32 v0, 64, v54
	v_cmp_gt_u32_e64 s[2:3], s8, v0
	s_and_b64 s[8:9], vcc, s[2:3]
	s_and_saveexec_b64 s[2:3], s[8:9]
	s_cbranch_execz .LBB185_88
; %bb.87:
	v_mov_b32_e32 v0, 0x1f0
	v_lshl_add_u32 v0, v54, 2, v0
	ds_read_b32 v0, v0 offset:256
	s_waitcnt lgkmcnt(0)
	v_add_f32_e32 v4, v4, v0
.LBB185_88:
	;; [unrolled: 27-line block ×3, first 2 shown]
	s_or_b64 exec, exec, s[2:3]
	v_or_b32_e32 v0, 0x70, v54
	s_movk_i32 s2, 0x78
	v_cmp_gt_u32_e64 s[2:3], s2, v0
	s_and_b64 s[8:9], vcc, s[2:3]
	s_and_saveexec_b64 s[2:3], s[8:9]
	s_cbranch_execz .LBB185_94
; %bb.93:
	v_mov_b32_e32 v0, 0x1f0
	v_lshl_add_u32 v0, v54, 2, v0
	ds_read_b32 v0, v0 offset:448
	s_waitcnt lgkmcnt(0)
	v_add_f32_e32 v3, v3, v0
.LBB185_94:
	s_or_b64 exec, exec, s[2:3]
.LBB185_95:
	s_or_b64 exec, exec, s[6:7]
	s_barrier
	s_and_saveexec_b64 s[2:3], s[0:1]
	s_cbranch_execz .LBB185_112
; %bb.96:
	s_mul_i32 s0, s10, s11
	s_mul_i32 s0, s0, s5
	s_mulk_i32 s0, 0x78
	s_ashr_i32 s1, s0, 31
	s_lshl_b64 s[0:1], s[0:1], 2
	s_add_u32 s2, s26, s0
	s_mul_i32 s0, s11, s24
	s_addc_u32 s3, s27, s1
	s_ashr_i32 s1, s0, 31
	s_lshl_b64 s[0:1], s[0:1], 2
	s_add_u32 s2, s2, s0
	s_mul_i32 s0, s4, 0x78
	s_addc_u32 s3, s3, s1
	s_ashr_i32 s1, s0, 31
	s_lshl_b64 s[0:1], s[0:1], 2
	s_add_u32 s2, s2, s0
	s_movk_i32 s5, 0x78
	s_addc_u32 s3, s3, s1
	s_and_saveexec_b64 s[0:1], vcc
	s_cbranch_execz .LBB185_98
; %bb.97:
	global_store_dword v1, v8, s[2:3]
.LBB185_98:
	s_or_b64 exec, exec, s[0:1]
	v_or_b32_e32 v0, 16, v54
	v_cmp_gt_u32_e64 s[0:1], s5, v0
	s_and_b64 s[4:5], vcc, s[0:1]
	s_and_saveexec_b64 s[0:1], s[4:5]
	s_cbranch_execz .LBB185_100
; %bb.99:
	global_store_dword v1, v9, s[2:3] offset:64
.LBB185_100:
	s_or_b64 exec, exec, s[0:1]
	v_or_b32_e32 v0, 32, v54
	s_movk_i32 s4, 0x78
	v_cmp_gt_u32_e64 s[0:1], s4, v0
	s_and_b64 s[6:7], vcc, s[0:1]
	s_and_saveexec_b64 s[0:1], s[6:7]
	s_cbranch_execz .LBB185_102
; %bb.101:
	global_store_dword v1, v6, s[2:3] offset:128
.LBB185_102:
	s_or_b64 exec, exec, s[0:1]
	v_or_b32_e32 v0, 48, v54
	v_cmp_gt_u32_e64 s[0:1], s4, v0
	s_and_b64 s[4:5], vcc, s[0:1]
	s_and_saveexec_b64 s[0:1], s[4:5]
	s_cbranch_execz .LBB185_104
; %bb.103:
	global_store_dword v1, v7, s[2:3] offset:192
.LBB185_104:
	s_or_b64 exec, exec, s[0:1]
	v_or_b32_e32 v0, 64, v54
	s_movk_i32 s4, 0x78
	v_cmp_gt_u32_e64 s[0:1], s4, v0
	s_and_b64 s[6:7], vcc, s[0:1]
	s_and_saveexec_b64 s[0:1], s[6:7]
	s_cbranch_execz .LBB185_106
; %bb.105:
	global_store_dword v1, v4, s[2:3] offset:256
.LBB185_106:
	;; [unrolled: 19-line block ×3, first 2 shown]
	s_or_b64 exec, exec, s[0:1]
	v_or_b32_e32 v0, 0x70, v54
	v_cmp_gt_u32_e64 s[0:1], s4, v0
	s_and_b64 s[0:1], vcc, s[0:1]
	s_and_b64 exec, exec, s[0:1]
	s_cbranch_execz .LBB185_112
; %bb.111:
	global_store_dword v1, v3, s[2:3] offset:448
.LBB185_112:
	s_endpgm
	.section	.rodata,"a",@progbits
	.p2align	6, 0x0
	.amdhsa_kernel _ZN4vllm25paged_attention_v1_kernelIfhLi120ELi16ELi128ELNS_18Fp8KVCacheDataTypeE1ELb1EEEvPT_PKS2_PKT0_S8_ifPKiSA_iPKfiiiSC_SC_iiiii
		.amdhsa_group_segment_fixed_size 496
		.amdhsa_private_segment_fixed_size 0
		.amdhsa_kernarg_size 384
		.amdhsa_user_sgpr_count 2
		.amdhsa_user_sgpr_dispatch_ptr 0
		.amdhsa_user_sgpr_queue_ptr 0
		.amdhsa_user_sgpr_kernarg_segment_ptr 1
		.amdhsa_user_sgpr_dispatch_id 0
		.amdhsa_user_sgpr_kernarg_preload_length 0
		.amdhsa_user_sgpr_kernarg_preload_offset 0
		.amdhsa_user_sgpr_private_segment_size 0
		.amdhsa_uses_dynamic_stack 0
		.amdhsa_enable_private_segment 0
		.amdhsa_system_sgpr_workgroup_id_x 1
		.amdhsa_system_sgpr_workgroup_id_y 1
		.amdhsa_system_sgpr_workgroup_id_z 1
		.amdhsa_system_sgpr_workgroup_info 0
		.amdhsa_system_vgpr_workitem_id 0
		.amdhsa_next_free_vgpr 87
		.amdhsa_next_free_sgpr 48
		.amdhsa_accum_offset 88
		.amdhsa_reserve_vcc 1
		.amdhsa_float_round_mode_32 0
		.amdhsa_float_round_mode_16_64 0
		.amdhsa_float_denorm_mode_32 3
		.amdhsa_float_denorm_mode_16_64 3
		.amdhsa_dx10_clamp 1
		.amdhsa_ieee_mode 1
		.amdhsa_fp16_overflow 0
		.amdhsa_tg_split 0
		.amdhsa_exception_fp_ieee_invalid_op 0
		.amdhsa_exception_fp_denorm_src 0
		.amdhsa_exception_fp_ieee_div_zero 0
		.amdhsa_exception_fp_ieee_overflow 0
		.amdhsa_exception_fp_ieee_underflow 0
		.amdhsa_exception_fp_ieee_inexact 0
		.amdhsa_exception_int_div_zero 0
	.end_amdhsa_kernel
	.section	.text._ZN4vllm25paged_attention_v1_kernelIfhLi120ELi16ELi128ELNS_18Fp8KVCacheDataTypeE1ELb1EEEvPT_PKS2_PKT0_S8_ifPKiSA_iPKfiiiSC_SC_iiiii,"axG",@progbits,_ZN4vllm25paged_attention_v1_kernelIfhLi120ELi16ELi128ELNS_18Fp8KVCacheDataTypeE1ELb1EEEvPT_PKS2_PKT0_S8_ifPKiSA_iPKfiiiSC_SC_iiiii,comdat
.Lfunc_end185:
	.size	_ZN4vllm25paged_attention_v1_kernelIfhLi120ELi16ELi128ELNS_18Fp8KVCacheDataTypeE1ELb1EEEvPT_PKS2_PKT0_S8_ifPKiSA_iPKfiiiSC_SC_iiiii, .Lfunc_end185-_ZN4vllm25paged_attention_v1_kernelIfhLi120ELi16ELi128ELNS_18Fp8KVCacheDataTypeE1ELb1EEEvPT_PKS2_PKT0_S8_ifPKiSA_iPKfiiiSC_SC_iiiii
                                        ; -- End function
	.set _ZN4vllm25paged_attention_v1_kernelIfhLi120ELi16ELi128ELNS_18Fp8KVCacheDataTypeE1ELb1EEEvPT_PKS2_PKT0_S8_ifPKiSA_iPKfiiiSC_SC_iiiii.num_vgpr, 87
	.set _ZN4vllm25paged_attention_v1_kernelIfhLi120ELi16ELi128ELNS_18Fp8KVCacheDataTypeE1ELb1EEEvPT_PKS2_PKT0_S8_ifPKiSA_iPKfiiiSC_SC_iiiii.num_agpr, 0
	.set _ZN4vllm25paged_attention_v1_kernelIfhLi120ELi16ELi128ELNS_18Fp8KVCacheDataTypeE1ELb1EEEvPT_PKS2_PKT0_S8_ifPKiSA_iPKfiiiSC_SC_iiiii.numbered_sgpr, 48
	.set _ZN4vllm25paged_attention_v1_kernelIfhLi120ELi16ELi128ELNS_18Fp8KVCacheDataTypeE1ELb1EEEvPT_PKS2_PKT0_S8_ifPKiSA_iPKfiiiSC_SC_iiiii.num_named_barrier, 0
	.set _ZN4vllm25paged_attention_v1_kernelIfhLi120ELi16ELi128ELNS_18Fp8KVCacheDataTypeE1ELb1EEEvPT_PKS2_PKT0_S8_ifPKiSA_iPKfiiiSC_SC_iiiii.private_seg_size, 0
	.set _ZN4vllm25paged_attention_v1_kernelIfhLi120ELi16ELi128ELNS_18Fp8KVCacheDataTypeE1ELb1EEEvPT_PKS2_PKT0_S8_ifPKiSA_iPKfiiiSC_SC_iiiii.uses_vcc, 1
	.set _ZN4vllm25paged_attention_v1_kernelIfhLi120ELi16ELi128ELNS_18Fp8KVCacheDataTypeE1ELb1EEEvPT_PKS2_PKT0_S8_ifPKiSA_iPKfiiiSC_SC_iiiii.uses_flat_scratch, 0
	.set _ZN4vllm25paged_attention_v1_kernelIfhLi120ELi16ELi128ELNS_18Fp8KVCacheDataTypeE1ELb1EEEvPT_PKS2_PKT0_S8_ifPKiSA_iPKfiiiSC_SC_iiiii.has_dyn_sized_stack, 0
	.set _ZN4vllm25paged_attention_v1_kernelIfhLi120ELi16ELi128ELNS_18Fp8KVCacheDataTypeE1ELb1EEEvPT_PKS2_PKT0_S8_ifPKiSA_iPKfiiiSC_SC_iiiii.has_recursion, 0
	.set _ZN4vllm25paged_attention_v1_kernelIfhLi120ELi16ELi128ELNS_18Fp8KVCacheDataTypeE1ELb1EEEvPT_PKS2_PKT0_S8_ifPKiSA_iPKfiiiSC_SC_iiiii.has_indirect_call, 0
	.section	.AMDGPU.csdata,"",@progbits
; Kernel info:
; codeLenInByte = 6856
; TotalNumSgprs: 54
; NumVgprs: 87
; NumAgprs: 0
; TotalNumVgprs: 87
; ScratchSize: 0
; MemoryBound: 0
; FloatMode: 240
; IeeeMode: 1
; LDSByteSize: 496 bytes/workgroup (compile time only)
; SGPRBlocks: 6
; VGPRBlocks: 10
; NumSGPRsForWavesPerEU: 54
; NumVGPRsForWavesPerEU: 87
; AccumOffset: 88
; Occupancy: 5
; WaveLimiterHint : 1
; COMPUTE_PGM_RSRC2:SCRATCH_EN: 0
; COMPUTE_PGM_RSRC2:USER_SGPR: 2
; COMPUTE_PGM_RSRC2:TRAP_HANDLER: 0
; COMPUTE_PGM_RSRC2:TGID_X_EN: 1
; COMPUTE_PGM_RSRC2:TGID_Y_EN: 1
; COMPUTE_PGM_RSRC2:TGID_Z_EN: 1
; COMPUTE_PGM_RSRC2:TIDIG_COMP_CNT: 0
; COMPUTE_PGM_RSRC3_GFX90A:ACCUM_OFFSET: 21
; COMPUTE_PGM_RSRC3_GFX90A:TG_SPLIT: 0
	.section	.text._ZN4vllm25paged_attention_v1_kernelIfhLi128ELi16ELi128ELNS_18Fp8KVCacheDataTypeE1ELb1EEEvPT_PKS2_PKT0_S8_ifPKiSA_iPKfiiiSC_SC_iiiii,"axG",@progbits,_ZN4vllm25paged_attention_v1_kernelIfhLi128ELi16ELi128ELNS_18Fp8KVCacheDataTypeE1ELb1EEEvPT_PKS2_PKT0_S8_ifPKiSA_iPKfiiiSC_SC_iiiii,comdat
	.protected	_ZN4vllm25paged_attention_v1_kernelIfhLi128ELi16ELi128ELNS_18Fp8KVCacheDataTypeE1ELb1EEEvPT_PKS2_PKT0_S8_ifPKiSA_iPKfiiiSC_SC_iiiii ; -- Begin function _ZN4vllm25paged_attention_v1_kernelIfhLi128ELi16ELi128ELNS_18Fp8KVCacheDataTypeE1ELb1EEEvPT_PKS2_PKT0_S8_ifPKiSA_iPKfiiiSC_SC_iiiii
	.globl	_ZN4vllm25paged_attention_v1_kernelIfhLi128ELi16ELi128ELNS_18Fp8KVCacheDataTypeE1ELb1EEEvPT_PKS2_PKT0_S8_ifPKiSA_iPKfiiiSC_SC_iiiii
	.p2align	8
	.type	_ZN4vllm25paged_attention_v1_kernelIfhLi128ELi16ELi128ELNS_18Fp8KVCacheDataTypeE1ELb1EEEvPT_PKS2_PKT0_S8_ifPKiSA_iPKfiiiSC_SC_iiiii,@function
_ZN4vllm25paged_attention_v1_kernelIfhLi128ELi16ELi128ELNS_18Fp8KVCacheDataTypeE1ELb1EEEvPT_PKS2_PKT0_S8_ifPKiSA_iPKfiiiSC_SC_iiiii: ; @_ZN4vllm25paged_attention_v1_kernelIfhLi128ELi16ELi128ELNS_18Fp8KVCacheDataTypeE1ELb1EEEvPT_PKS2_PKT0_S8_ifPKiSA_iPKfiiiSC_SC_iiiii
; %bb.0:
	s_load_dword s5, s[0:1], 0x80
	s_load_dwordx2 s[6:7], s[0:1], 0x30
	s_load_dwordx2 s[36:37], s[0:1], 0x20
	s_mov_b32 s10, s3
	s_ashr_i32 s11, s3, 31
	s_lshl_b64 s[8:9], s[10:11], 2
	s_waitcnt lgkmcnt(0)
	s_add_u32 s6, s6, s8
	s_addc_u32 s7, s7, s9
	s_abs_i32 s3, s36
	v_cvt_f32_u32_e32 v1, s3
	s_sub_i32 s11, 0, s3
	s_abs_i32 s9, s5
	s_xor_b32 s8, s5, s36
	v_rcp_iflag_f32_e32 v1, v1
	s_ashr_i32 s8, s8, 31
	s_mov_b32 s44, 0
	v_mul_f32_e32 v1, 0x4f7ffffe, v1
	v_cvt_u32_f32_e32 v1, v1
	s_nop 0
	v_readfirstlane_b32 s12, v1
	s_mul_i32 s11, s11, s12
	s_mul_hi_u32 s11, s12, s11
	s_add_i32 s12, s12, s11
	s_mul_hi_u32 s11, s9, s12
	s_mul_i32 s12, s11, s3
	s_sub_i32 s9, s9, s12
	s_add_i32 s12, s11, 1
	s_sub_i32 s13, s9, s3
	s_cmp_ge_u32 s9, s3
	s_cselect_b32 s11, s12, s11
	s_cselect_b32 s9, s13, s9
	s_add_i32 s12, s11, 1
	s_cmp_ge_u32 s9, s3
	s_cselect_b32 s3, s12, s11
	s_xor_b32 s3, s3, s8
	s_sub_i32 s14, s3, s8
	s_abs_i32 s11, s14
	v_cvt_f32_u32_e32 v1, s11
	s_load_dwordx2 s[8:9], s[0:1], 0x40
	s_sub_i32 s3, 0, s11
	s_abs_i32 s12, s2
	v_rcp_iflag_f32_e32 v1, v1
	s_nop 0
	v_mul_f32_e32 v1, 0x4f7ffffe, v1
	v_cvt_u32_f32_e32 v1, v1
	s_nop 0
	v_readfirstlane_b32 s13, v1
	s_mul_i32 s3, s3, s13
	s_mul_hi_u32 s3, s13, s3
	s_add_i32 s13, s13, s3
	s_waitcnt lgkmcnt(0)
	s_cmp_eq_u64 s[8:9], 0
	s_mul_hi_u32 s13, s12, s13
	s_cbranch_scc1 .LBB186_2
; %bb.1:
	s_ashr_i32 s3, s2, 31
	s_lshl_b64 s[16:17], s[2:3], 2
	s_add_u32 s8, s8, s16
	s_addc_u32 s9, s9, s17
	s_load_dword s44, s[8:9], 0x0
.LBB186_2:
	s_load_dword s33, s[6:7], 0x0
	s_load_dwordx4 s[16:19], s[0:1], 0x48
	v_lshrrev_b32_e32 v52, 2, v0
	s_movk_i32 s3, 0x80
	s_ashr_i32 s8, s2, 31
	s_ashr_i32 s9, s14, 31
	v_and_b32_e32 v26, 3, v0
	s_lshl_b32 s24, s2, 7
	v_cmp_gt_u32_e32 vcc, s3, v0
	v_lshlrev_b32_e32 v32, 2, v0
	v_lshlrev_b32_e32 v1, 2, v52
	s_and_saveexec_b64 s[6:7], vcc
	s_cbranch_execz .LBB186_4
; %bb.3:
	s_load_dwordx2 s[14:15], s[0:1], 0x8
	s_waitcnt lgkmcnt(0)
	s_mul_i32 s20, s16, s10
	s_ashr_i32 s21, s20, 31
	s_lshl_b64 s[20:21], s[20:21], 2
	v_lshl_add_u32 v3, v26, 7, v1
	s_add_u32 s3, s14, s20
	s_addc_u32 s16, s15, s21
	s_ashr_i32 s25, s24, 31
	s_lshl_b64 s[14:15], s[24:25], 2
	s_add_u32 s14, s3, s14
	s_addc_u32 s15, s16, s15
	global_load_dword v2, v32, s[14:15]
	s_waitcnt vmcnt(0)
	ds_write_b32 v3, v2
.LBB186_4:
	s_or_b64 exec, exec, s[6:7]
	s_mul_i32 s7, s13, s11
	s_sub_i32 s7, s12, s7
	s_xor_b32 s6, s8, s9
	s_add_i32 s8, s13, 1
	s_sub_i32 s9, s7, s11
	s_load_dwordx4 s[20:23], s[0:1], 0x68
	s_load_dword s3, s[0:1], 0x78
	s_cmp_ge_u32 s7, s11
	s_cselect_b32 s8, s8, s13
	s_cselect_b32 s7, s9, s7
	s_add_i32 s9, s8, 1
	s_cmp_ge_u32 s7, s11
	s_cselect_b32 s7, s9, s8
	s_waitcnt lgkmcnt(0)
	s_abs_i32 s25, s23
	v_cvt_f32_u32_e32 v2, s25
	s_xor_b32 s7, s7, s6
	s_sub_i32 s43, s7, s6
	s_sub_i32 s6, 0, s25
	v_rcp_iflag_f32_e32 v2, v2
	s_add_i32 s11, s33, -1
	s_abs_i32 s8, s11
	v_mul_f32_e32 v2, 0x4f7ffffe, v2
	v_cvt_u32_f32_e32 v2, v2
	s_barrier
	v_readfirstlane_b32 s42, v2
	s_mul_i32 s6, s6, s42
	s_mul_hi_u32 s6, s42, s6
	s_add_i32 s42, s42, s6
	s_cmp_lt_i32 s3, 0
	s_mul_hi_u32 s9, s8, s42
	s_cbranch_scc0 .LBB186_6
; %bb.5:
	s_mul_i32 s6, s20, s36
	s_add_i32 s6, s43, s6
	s_mul_i32 s6, s6, s3
	s_sub_i32 s36, 1, s6
	s_mov_b64 s[6:7], 0
	s_branch .LBB186_7
.LBB186_6:
	s_mov_b64 s[6:7], -1
                                        ; implicit-def: $sgpr36
.LBB186_7:
	s_load_dwordx2 s[28:29], s[0:1], 0x28
	s_ashr_i32 s16, s11, 31
	s_andn2_b64 vcc, exec, s[6:7]
	s_ashr_i32 s23, s23, 31
	s_cbranch_vccnz .LBB186_9
; %bb.8:
	s_mul_i32 s6, s5, s20
	s_add_i32 s2, s6, s2
	s_mul_i32 s2, s2, s3
	s_add_i32 s36, s2, 1
.LBB186_9:
	s_load_dword s2, s[0:1], 0x38
	s_load_dwordx2 s[26:27], s[0:1], 0x0
	s_load_dwordx2 s[34:35], s[0:1], 0x18
	s_load_dword s11, s[0:1], 0x88
	s_load_dwordx4 s[12:15], s[0:1], 0x58
	s_mul_i32 s3, s9, s25
	s_waitcnt lgkmcnt(0)
	s_mul_i32 s30, s2, s10
	s_sub_i32 s3, s8, s3
	s_ashr_i32 s31, s30, 31
	s_xor_b32 s2, s16, s23
	s_add_i32 s6, s9, 1
	s_sub_i32 s7, s3, s25
	s_cmp_ge_u32 s3, s25
	s_cselect_b32 s6, s6, s9
	s_cselect_b32 s3, s7, s3
	s_add_i32 s7, s6, 1
	s_cmp_ge_u32 s3, s25
	s_cselect_b32 s3, s7, s6
	s_xor_b32 s3, s3, s2
	s_sub_i32 s16, s3, s2
	s_add_i32 s2, s33, 15
	s_ashr_i32 s3, s2, 31
	s_lshr_b32 s3, s3, 28
	s_add_i32 s2, s2, s3
	s_ashr_i32 s20, s2, 4
	v_lshrrev_b32_e32 v53, 6, v0
	v_cmp_gt_i32_e64 s[6:7], s20, v53
	v_mov_b32_e32 v27, 0xff7fffff
	s_mul_i32 s43, s43, s18
	v_lshrrev_b32_e32 v33, 4, v0
	v_lshlrev_b32_e32 v54, 4, v53
	v_mbcnt_lo_u32_b32 v34, -1, 0
	s_and_saveexec_b64 s[18:19], s[6:7]
	s_cbranch_execz .LBB186_21
; %bb.10:
	s_load_dwordx2 s[0:1], s[0:1], 0x10
	s_sub_i32 s45, s16, s21
	s_ashr_i32 s2, s43, 31
	v_bfe_u32 v35, v0, 2, 4
	v_mov_b32_e32 v3, 0
	s_waitcnt lgkmcnt(0)
	s_add_u32 s0, s0, s43
	s_addc_u32 s1, s1, s2
	s_abs_i32 s46, s22
	v_cvt_f32_u32_e32 v2, s46
	v_mbcnt_hi_u32_b32 v42, -1, v34
	v_mov_b32_e32 v27, v3
	v_cmp_eq_u32_e32 vcc, 0, v26
	v_rcp_iflag_f32_e32 v4, v2
	v_lshlrev_b32_e32 v2, 4, v35
	s_mov_b32 s47, s17
	v_lshlrev_b32_e32 v36, 7, v26
	v_mul_f32_e32 v4, 0x4f7ffffe, v4
	v_cvt_u32_f32_e32 v6, v4
	v_lshl_add_u64 v[4:5], s[0:1], 0, v[2:3]
	s_sub_i32 s0, 0, s46
	v_cmp_neq_f32_e64 s[2:3], s44, 0
	v_mul_lo_u32 v2, s0, v6
	s_lshl_b64 s[0:1], s[30:31], 2
	v_mul_hi_u32 v2, v6, v2
	s_add_u32 s0, s28, s0
	v_add_u32_e32 v37, v6, v2
	v_and_b32_e32 v2, 60, v33
	s_addc_u32 s1, s29, s1
	v_lshl_add_u64 v[30:31], s[0:1], 0, v[2:3]
	v_subrev_u32_e32 v2, s33, v35
	v_add_u32_e32 v39, 1, v2
	v_lshlrev_b32_e32 v2, 2, v35
	v_lshl_or_b32 v2, v53, 6, v2
	v_add_u32_e32 v40, 0x210, v2
	v_and_b32_e32 v2, 64, v42
	v_lshl_add_u64 v[28:29], v[4:5], 0, v[26:27]
	v_lshlrev_b32_e32 v38, 4, v53
	v_mov_b32_e32 v41, 0xff7fffff
	s_mov_b64 s[38:39], 0
	v_add_u32_e32 v43, 64, v2
	v_xor_b32_e32 v44, 2, v42
	v_xor_b32_e32 v45, 1, v42
	v_mov_b32_e32 v27, 0xff7fffff
	v_mov_b32_e32 v46, v53
	s_branch .LBB186_13
.LBB186_11:                             ;   in Loop: Header=BB186_13 Depth=1
	s_or_b64 exec, exec, s[40:41]
.LBB186_12:                             ;   in Loop: Header=BB186_13 Depth=1
	s_or_b64 exec, exec, s[8:9]
	v_add_u32_e32 v46, 2, v46
	v_cmp_le_i32_e64 s[0:1], s20, v46
	v_lshl_add_u64 v[30:31], v[30:31], 0, 8
	v_add_u32_e32 v38, 32, v38
	s_or_b64 s[38:39], s[0:1], s[38:39]
	v_add_u32_e32 v40, 0x80, v40
	s_andn2_b64 exec, exec, s[38:39]
	s_cbranch_execz .LBB186_20
.LBB186_13:                             ; =>This Inner Loop Header: Depth=1
	v_mul_hi_u32 v2, v38, s42
	s_waitcnt lgkmcnt(0)
	v_mul_lo_u32 v3, v2, s25
	v_sub_u32_e32 v3, v38, v3
	v_add_u32_e32 v4, 1, v2
	v_cmp_le_u32_e64 s[0:1], s25, v3
	s_nop 1
	v_cndmask_b32_e64 v2, v2, v4, s[0:1]
	v_subrev_u32_e32 v4, s25, v3
	v_cndmask_b32_e64 v3, v3, v4, s[0:1]
	v_add_u32_e32 v4, 1, v2
	v_cmp_le_u32_e64 s[0:1], s25, v3
	s_nop 1
	v_cndmask_b32_e64 v2, v2, v4, s[0:1]
	v_xor_b32_e32 v2, s23, v2
	v_subrev_u32_e32 v2, s23, v2
	v_add_u32_e32 v3, s36, v2
	v_sub_u32_e32 v5, 0, v3
	v_ashrrev_i32_e32 v4, 31, v3
	v_max_i32_e32 v3, v3, v5
	v_mul_hi_u32 v5, v3, v37
	v_mul_lo_u32 v5, v5, s46
	v_sub_u32_e32 v3, v3, v5
	v_subrev_u32_e32 v5, s46, v3
	v_cmp_le_u32_e64 s[0:1], s46, v3
	v_cmp_ge_i32_e64 s[8:9], s45, v2
	s_nop 0
	v_cndmask_b32_e64 v3, v3, v5, s[0:1]
	v_subrev_u32_e32 v5, s46, v3
	v_cmp_le_u32_e64 s[0:1], s46, v3
	s_nop 1
	v_cndmask_b32_e64 v3, v3, v5, s[0:1]
	v_xor_b32_e32 v3, v3, v4
	v_sub_u32_e32 v3, v3, v4
	v_cmp_ne_u32_e64 s[0:1], 0, v3
	s_and_b64 s[0:1], s[0:1], s[8:9]
	s_and_saveexec_b64 s[8:9], s[0:1]
	s_xor_b64 s[0:1], exec, s[8:9]
	s_cbranch_execz .LBB186_17
; %bb.14:                               ;   in Loop: Header=BB186_13 Depth=1
	s_and_saveexec_b64 s[8:9], vcc
; %bb.15:                               ;   in Loop: Header=BB186_13 Depth=1
	ds_write_b32 v40, v41
; %bb.16:                               ;   in Loop: Header=BB186_13 Depth=1
	s_or_b64 exec, exec, s[8:9]
.LBB186_17:                             ;   in Loop: Header=BB186_13 Depth=1
	s_andn2_saveexec_b64 s[8:9], s[0:1]
	s_cbranch_execz .LBB186_12
; %bb.18:                               ;   in Loop: Header=BB186_13 Depth=1
	global_load_dword v2, v[30:31], off
	s_waitcnt vmcnt(0)
	v_mad_i64_i32 v[2:3], s[0:1], v2, s47, v[28:29]
	global_load_ubyte v47, v[2:3], off
	global_load_ubyte v55, v[2:3], off offset:4
	global_load_ubyte v60, v[2:3], off offset:8
	;; [unrolled: 1-line block ×31, first 2 shown]
	ds_read_b128 v[18:21], v36
	ds_read_b128 v[14:17], v36 offset:16
	ds_read_b128 v[6:9], v36 offset:32
	;; [unrolled: 1-line block ×3, first 2 shown]
	s_load_dword s40, s[12:13], 0x0
	ds_read_b128 v[10:13], v36 offset:64
	ds_read_b128 v[22:25], v36 offset:80
	;; [unrolled: 1-line block ×4, first 2 shown]
	v_cmp_lt_i32_e64 s[0:1], v44, v43
	s_waitcnt vmcnt(31)
	v_cvt_f32_fp8_e32 v47, v47
	s_waitcnt vmcnt(30)
	v_cvt_f32_fp8_e32 v55, v55
	;; [unrolled: 2-line block ×5, first 2 shown]
	s_waitcnt lgkmcnt(0)
	v_mul_f32_e32 v55, s40, v55
	s_waitcnt vmcnt(26)
	v_cvt_f32_fp8_e32 v63, v63
	v_mul_f32_e32 v47, s40, v47
	v_mul_f32_e32 v19, v19, v55
	s_waitcnt vmcnt(25)
	v_cvt_f32_fp8_e32 v64, v64
	v_mul_f32_e32 v60, s40, v60
	v_fmac_f32_e32 v19, v18, v47
	s_waitcnt vmcnt(24)
	v_cvt_f32_fp8_e32 v65, v65
	v_mul_f32_e32 v61, s40, v61
	v_fmac_f32_e32 v19, v20, v60
	;; [unrolled: 4-line block ×26, first 2 shown]
	v_mul_f32_e32 v86, s40, v86
	v_fmac_f32_e32 v19, v51, v85
	v_mul_f32_e32 v87, s40, v87
	v_fmac_f32_e32 v19, v56, v86
	v_mul_f32_e32 v88, s40, v88
	v_fmac_f32_e32 v19, v57, v87
	v_cndmask_b32_e64 v90, v42, v44, s[0:1]
	v_mul_f32_e32 v89, s40, v89
	v_fmac_f32_e32 v19, v58, v88
	v_lshlrev_b32_e32 v14, 2, v90
	v_fmac_f32_e32 v19, v59, v89
	ds_bpermute_b32 v2, v14, v19
	v_cmp_lt_i32_e64 s[0:1], v45, v43
	s_waitcnt lgkmcnt(0)
	v_add_f32_e32 v2, v19, v2
	v_cndmask_b32_e64 v3, v42, v45, s[0:1]
	v_lshlrev_b32_e32 v3, 2, v3
	ds_bpermute_b32 v3, v3, v2
	s_and_saveexec_b64 s[40:41], vcc
	s_cbranch_execz .LBB186_11
; %bb.19:                               ;   in Loop: Header=BB186_13 Depth=1
	v_add_u32_e32 v4, v39, v38
	v_cvt_f32_i32_e32 v4, v4
	s_waitcnt lgkmcnt(0)
	v_add_f32_e32 v2, v2, v3
	v_add_u32_e32 v5, v35, v38
	v_cmp_gt_i32_e64 s[0:1], s33, v5
	v_mul_f32_e32 v3, s44, v4
	v_cndmask_b32_e64 v3, 0, v3, s[2:3]
	v_fmac_f32_e32 v3, s37, v2
	v_cndmask_b32_e64 v2, 0, v3, s[0:1]
	ds_write_b32 v40, v2
	v_max_f32_e32 v2, v27, v27
	v_max_f32_e32 v2, v2, v3
	v_cndmask_b32_e64 v27, v27, v2, s[0:1]
	s_branch .LBB186_11
.LBB186_20:
	s_or_b64 exec, exec, s[38:39]
.LBB186_21:
	s_or_b64 exec, exec, s[18:19]
	v_mbcnt_hi_u32_b32 v2, -1, v34
	v_and_b32_e32 v10, 64, v2
	s_waitcnt lgkmcnt(0)
	v_add_u32_e32 v3, 64, v10
	v_xor_b32_e32 v4, 32, v2
	v_cmp_lt_i32_e32 vcc, v4, v3
	v_xor_b32_e32 v7, 16, v2
	v_max_f32_e32 v6, v27, v27
	v_cndmask_b32_e32 v4, v2, v4, vcc
	v_lshlrev_b32_e32 v4, 2, v4
	ds_bpermute_b32 v5, v4, v27
	v_cmp_lt_i32_e32 vcc, v7, v3
	v_xor_b32_e32 v8, 8, v2
	v_xor_b32_e32 v9, 4, v2
	v_and_b32_e32 v27, 63, v0
	s_waitcnt lgkmcnt(0)
	v_max_f32_e32 v5, v5, v5
	v_max_f32_e32 v6, v6, v5
	v_cndmask_b32_e32 v5, v2, v7, vcc
	v_lshlrev_b32_e32 v5, 2, v5
	ds_bpermute_b32 v7, v5, v6
	v_cmp_lt_i32_e32 vcc, v8, v3
	s_waitcnt lgkmcnt(0)
	v_max_f32_e32 v7, v7, v7
	v_max_f32_e32 v6, v6, v7
	v_cndmask_b32_e32 v7, v2, v8, vcc
	v_lshlrev_b32_e32 v8, 2, v7
	ds_bpermute_b32 v7, v8, v6
	v_cmp_lt_i32_e32 vcc, v9, v3
	s_waitcnt lgkmcnt(0)
	v_max_f32_e32 v7, v7, v7
	v_max_f32_e32 v7, v6, v7
	v_cndmask_b32_e32 v6, v2, v9, vcc
	v_lshlrev_b32_e32 v9, 2, v6
	ds_bpermute_b32 v11, v9, v7
	v_cmp_eq_u32_e32 vcc, 0, v27
	v_lshlrev_b32_e32 v6, 2, v53
	s_and_saveexec_b64 s[0:1], vcc
	s_cbranch_execz .LBB186_23
; %bb.22:
	s_waitcnt lgkmcnt(0)
	v_max_f32_e32 v11, v11, v11
	v_max_f32_e32 v7, v7, v7
	;; [unrolled: 1-line block ×3, first 2 shown]
	ds_write_b32 v6, v7 offset:512
.LBB186_23:
	s_or_b64 exec, exec, s[0:1]
	v_cmp_gt_u32_e64 s[0:1], 2, v27
	s_waitcnt lgkmcnt(0)
	v_mov_b32_e32 v11, 0xff7fffff
	v_lshlrev_b32_e32 v7, 2, v27
	s_barrier
	s_and_saveexec_b64 s[2:3], s[0:1]
; %bb.24:
	ds_read_b32 v11, v7 offset:512
; %bb.25:
	s_or_b64 exec, exec, s[2:3]
	v_xor_b32_e32 v12, 1, v2
	v_cmp_lt_i32_e64 s[2:3], v12, v3
	v_lshlrev_b32_e32 v10, 2, v10
	s_nop 0
	v_cndmask_b32_e64 v12, v2, v12, s[2:3]
	v_lshlrev_b32_e32 v55, 2, v12
	s_waitcnt lgkmcnt(0)
	ds_bpermute_b32 v12, v55, v11
	v_max_f32_e32 v11, v11, v11
	s_lshl_b32 s2, s20, 4
	s_min_i32 s37, s2, s33
	v_cmp_gt_i32_e64 s[2:3], s37, v0
	s_waitcnt lgkmcnt(0)
	v_max_f32_e32 v12, v12, v12
	v_max_f32_e32 v11, v11, v12
	ds_bpermute_b32 v11, v10, v11
	v_mov_b32_e32 v10, 0
	s_and_saveexec_b64 s[12:13], s[2:3]
	s_cbranch_execz .LBB186_29
; %bb.26:
	v_mov_b32_e32 v10, 0x210
	v_lshl_add_u32 v12, v0, 2, v10
	v_mov_b32_e32 v10, 0
	s_mov_b64 s[18:19], 0
	v_mov_b32_e32 v13, v0
.LBB186_27:                             ; =>This Inner Loop Header: Depth=1
	ds_read_b32 v14, v12
	v_add_u32_e32 v13, 0x80, v13
	v_cmp_le_i32_e64 s[8:9], s37, v13
	s_or_b64 s[18:19], s[8:9], s[18:19]
	s_waitcnt lgkmcnt(0)
	v_sub_f32_e32 v14, v14, v11
	v_mul_f32_e32 v14, 0x3fb8aa3b, v14
	v_exp_f32_e32 v14, v14
	ds_write_b32 v12, v14
	v_add_f32_e32 v10, v10, v14
	v_add_u32_e32 v12, 0x200, v12
	s_andn2_b64 exec, exec, s[18:19]
	s_cbranch_execnz .LBB186_27
; %bb.28:
	s_or_b64 exec, exec, s[18:19]
.LBB186_29:
	s_or_b64 exec, exec, s[12:13]
	ds_bpermute_b32 v4, v4, v10
	s_waitcnt lgkmcnt(0)
	v_add_f32_e32 v4, v10, v4
	ds_bpermute_b32 v5, v5, v4
	s_waitcnt lgkmcnt(0)
	v_add_f32_e32 v4, v4, v5
	ds_bpermute_b32 v5, v8, v4
	v_xor_b32_e32 v8, 2, v2
	v_cmp_lt_i32_e64 s[8:9], v8, v3
	s_waitcnt lgkmcnt(0)
	v_add_f32_e32 v4, v4, v5
	ds_bpermute_b32 v5, v9, v4
	v_cndmask_b32_e64 v3, v2, v8, s[8:9]
	v_lshlrev_b32_e32 v56, 2, v3
	s_waitcnt lgkmcnt(0)
	v_add_f32_e32 v4, v4, v5
	ds_bpermute_b32 v3, v56, v4
	s_waitcnt lgkmcnt(0)
	v_add_f32_e32 v3, v4, v3
	ds_bpermute_b32 v4, v55, v3
	s_waitcnt lgkmcnt(0)
	v_add_f32_e32 v3, v3, v4
	s_and_saveexec_b64 s[8:9], vcc
; %bb.30:
	ds_write_b32 v6, v3 offset:520
; %bb.31:
	s_or_b64 exec, exec, s[8:9]
	s_waitcnt lgkmcnt(0)
	s_barrier
	s_and_saveexec_b64 s[8:9], s[0:1]
; %bb.32:
	ds_read_b32 v3, v7 offset:520
; %bb.33:
	s_or_b64 exec, exec, s[8:9]
	s_waitcnt lgkmcnt(0)
	ds_bpermute_b32 v4, v55, v3
	v_lshlrev_b32_e32 v2, 2, v2
	v_and_b32_e32 v2, 0x100, v2
	s_waitcnt lgkmcnt(0)
	v_add_f32_e32 v3, v3, v4
	ds_bpermute_b32 v2, v2, v3
	s_and_saveexec_b64 s[0:1], s[2:3]
	s_cbranch_execz .LBB186_46
; %bb.34:
	s_waitcnt lgkmcnt(0)
	v_add_f32_e32 v2, 0x358637bd, v2
	v_div_scale_f32 v3, s[2:3], v2, v2, 1.0
	v_rcp_f32_e32 v4, v3
	v_div_scale_f32 v5, vcc, 1.0, v2, 1.0
	s_movk_i32 s2, 0x7f
	v_fma_f32 v6, -v3, v4, 1.0
	v_fmac_f32_e32 v4, v6, v4
	v_mul_f32_e32 v6, v5, v4
	v_fma_f32 v7, -v3, v6, v5
	v_fmac_f32_e32 v6, v7, v4
	v_fma_f32 v3, -v3, v6, v5
	v_div_fmas_f32 v3, v3, v4, v6
	v_xad_u32 v4, v0, -1, s37
	v_div_fixup_f32 v2, v3, v2, 1.0
	v_cmp_lt_u32_e32 vcc, s2, v4
	s_mov_b64 s[8:9], -1
	v_mov_b32_e32 v3, v0
	s_and_saveexec_b64 s[2:3], vcc
	s_cbranch_execz .LBB186_43
; %bb.35:
	v_lshrrev_b32_e32 v4, 7, v4
	v_add_u32_e32 v6, -1, v4
	v_lshrrev_b32_e32 v5, 1, v6
	v_mov_b32_e32 v3, v2
	v_add_u32_e32 v5, 1, v5
	v_cmp_lt_u32_e32 vcc, 13, v6
	v_mov_b32_e32 v8, 0
	s_and_saveexec_b64 s[8:9], vcc
	s_cbranch_execz .LBB186_39
; %bb.36:
	v_mov_b32_e32 v7, 0x210
	v_and_b32_e32 v6, -8, v5
	v_lshl_add_u32 v7, v0, 2, v7
	s_mov_b32 s18, 0
	s_mov_b64 s[12:13], 0
.LBB186_37:                             ; =>This Inner Loop Header: Depth=1
	ds_read2st64_b32 v[8:9], v7 offset1:2
	ds_read2st64_b32 v[10:11], v7 offset0:4 offset1:6
	ds_read2st64_b32 v[12:13], v7 offset0:8 offset1:10
	ds_read2st64_b32 v[14:15], v7 offset0:12 offset1:14
	v_add_u32_e32 v6, -8, v6
	s_waitcnt lgkmcnt(3)
	v_pk_mul_f32 v[8:9], v[2:3], v[8:9]
	s_waitcnt lgkmcnt(2)
	v_pk_mul_f32 v[10:11], v[2:3], v[10:11]
	ds_write2st64_b32 v7, v8, v9 offset1:2
	ds_write2st64_b32 v7, v10, v11 offset0:4 offset1:6
	ds_read2st64_b32 v[10:11], v7 offset0:16 offset1:18
	s_waitcnt lgkmcnt(4)
	v_pk_mul_f32 v[8:9], v[2:3], v[12:13]
	ds_write2st64_b32 v7, v8, v9 offset0:8 offset1:10
	s_waitcnt lgkmcnt(4)
	v_pk_mul_f32 v[8:9], v[2:3], v[14:15]
	ds_write2st64_b32 v7, v8, v9 offset0:12 offset1:14
	ds_read2st64_b32 v[8:9], v7 offset0:20 offset1:22
	s_waitcnt lgkmcnt(3)
	v_pk_mul_f32 v[10:11], v[2:3], v[10:11]
	ds_read2st64_b32 v[12:13], v7 offset0:24 offset1:26
	ds_write2st64_b32 v7, v10, v11 offset0:16 offset1:18
	ds_read2st64_b32 v[10:11], v7 offset0:28 offset1:30
	s_waitcnt lgkmcnt(3)
	v_pk_mul_f32 v[8:9], v[2:3], v[8:9]
	ds_write2st64_b32 v7, v8, v9 offset0:20 offset1:22
	s_waitcnt lgkmcnt(3)
	v_pk_mul_f32 v[8:9], v[2:3], v[12:13]
	ds_write2st64_b32 v7, v8, v9 offset0:24 offset1:26
	s_waitcnt lgkmcnt(2)
	v_pk_mul_f32 v[8:9], v[2:3], v[10:11]
	s_add_i32 s18, s18, 16
	v_cmp_eq_u32_e32 vcc, 0, v6
	ds_write2st64_b32 v7, v8, v9 offset0:28 offset1:30
	v_add_u32_e32 v7, 0x2000, v7
	s_or_b64 s[12:13], vcc, s[12:13]
	v_mov_b32_e32 v8, s18
	s_andn2_b64 exec, exec, s[12:13]
	s_cbranch_execnz .LBB186_37
; %bb.38:
	s_or_b64 exec, exec, s[12:13]
.LBB186_39:
	s_or_b64 exec, exec, s[8:9]
	v_and_b32_e32 v5, 7, v5
	v_cmp_ne_u32_e32 vcc, 0, v5
	s_and_saveexec_b64 s[8:9], vcc
	s_cbranch_execz .LBB186_42
; %bb.40:
	v_lshlrev_b32_e32 v6, 9, v8
	s_movk_i32 s12, 0x210
	v_add3_u32 v6, v6, v32, s12
	s_mov_b64 s[12:13], 0
.LBB186_41:                             ; =>This Inner Loop Header: Depth=1
	ds_read2st64_b32 v[8:9], v6 offset1:2
	v_add_u32_e32 v5, -1, v5
	v_cmp_eq_u32_e32 vcc, 0, v5
	s_or_b64 s[12:13], vcc, s[12:13]
	s_waitcnt lgkmcnt(0)
	v_pk_mul_f32 v[8:9], v[2:3], v[8:9]
	ds_write2st64_b32 v6, v8, v9 offset1:2
	v_add_u32_e32 v6, 0x400, v6
	s_andn2_b64 exec, exec, s[12:13]
	s_cbranch_execnz .LBB186_41
.LBB186_42:
	s_or_b64 exec, exec, s[8:9]
	v_add_u32_e32 v4, 1, v4
	v_and_b32_e32 v5, 0x3fffffe, v4
	v_cmp_ne_u32_e32 vcc, v4, v5
	v_lshl_add_u32 v3, v5, 7, v0
	s_orn2_b64 s[8:9], vcc, exec
.LBB186_43:
	s_or_b64 exec, exec, s[2:3]
	s_and_b64 exec, exec, s[8:9]
	s_cbranch_execz .LBB186_46
; %bb.44:
	v_mov_b32_e32 v4, 0x210
	v_lshl_add_u32 v4, v3, 2, v4
	s_mov_b64 s[2:3], 0
.LBB186_45:                             ; =>This Inner Loop Header: Depth=1
	ds_read_b32 v5, v4
	v_add_u32_e32 v3, 0x80, v3
	v_cmp_le_i32_e32 vcc, s37, v3
	s_or_b64 s[2:3], vcc, s[2:3]
	s_waitcnt lgkmcnt(0)
	v_mul_f32_e32 v5, v2, v5
	ds_write_b32 v4, v5
	v_add_u32_e32 v4, 0x200, v4
	s_andn2_b64 exec, exec, s[2:3]
	s_cbranch_execnz .LBB186_45
.LBB186_46:
	s_or_b64 exec, exec, s[0:1]
	v_mov_b32_e32 v9, 0
	v_mov_b32_e32 v8, 0
	;; [unrolled: 1-line block ×8, first 2 shown]
	s_waitcnt lgkmcnt(0)
	s_barrier
	s_and_saveexec_b64 s[2:3], s[6:7]
	s_cbranch_execz .LBB186_68
; %bb.47:
	s_sub_i32 s18, s16, s21
	s_ashr_i32 s1, s43, 31
	s_add_u32 s0, s34, s43
	s_addc_u32 s1, s35, s1
	s_abs_i32 s19, s22
	v_cvt_f32_u32_e32 v2, s19
	v_and_b32_e32 v6, 0xfc, v32
	v_mov_b32_e32 v7, 0
	v_lshl_add_u64 v[14:15], s[0:1], 0, v[6:7]
	v_rcp_iflag_f32_e32 v2, v2
	s_sub_i32 s0, 0, s19
	s_add_i32 s22, s20, -1
	v_and_b32_e32 v6, 60, v33
	v_mul_f32_e32 v2, 0x4f7ffffe, v2
	v_cvt_u32_f32_e32 v2, v2
	v_and_b32_e32 v57, 12, v32
	s_mov_b32 s21, s17
	s_mov_b32 s34, s33
	v_mul_lo_u32 v3, s0, v2
	v_mul_hi_u32 v3, v2, v3
	s_lshl_b64 s[0:1], s[30:31], 2
	v_add_u32_e32 v58, v2, v3
	s_add_u32 s0, s28, s0
	v_lshlrev_b32_e32 v2, 4, v26
	s_addc_u32 s1, s29, s1
	v_lshl_or_b32 v2, v53, 6, v2
	v_lshl_add_u64 v[16:17], s[0:1], 0, v[6:7]
	v_add_u32_e32 v59, 0x210, v2
	s_mov_b64 s[6:7], 0
	v_mov_b32_e32 v6, v7
	v_mov_b32_e32 v12, v7
	v_mov_b32_e32 v13, v7
	v_mov_b32_e32 v10, v7
	v_mov_b32_e32 v11, v7
	v_mov_b32_e32 v8, v7
	v_mov_b32_e32 v9, v7
	s_branch .LBB186_50
.LBB186_48:                             ;   in Loop: Header=BB186_50 Depth=1
	s_or_b64 exec, exec, s[0:1]
	v_mul_f32_e32 v50, v2, v50
	v_mul_f32_e32 v44, v2, v44
	;; [unrolled: 1-line block ×7, first 2 shown]
	v_fmac_f32_e32 v50, v3, v51
	v_fmac_f32_e32 v44, v3, v45
	;; [unrolled: 1-line block ×14, first 2 shown]
	v_pk_mul_f32 v[2:3], v[2:3], v[46:47]
	v_fmac_f32_e32 v50, v5, v49
	v_fmac_f32_e32 v44, v5, v43
	;; [unrolled: 1-line block ×7, first 2 shown]
	v_pk_mul_f32 v[4:5], v[4:5], v[28:29]
	v_add_f32_e32 v2, v3, v2
	v_add_f32_e32 v2, v4, v2
	;; [unrolled: 1-line block ×11, first 2 shown]
.LBB186_49:                             ;   in Loop: Header=BB186_50 Depth=1
	s_or_b64 exec, exec, s[8:9]
	v_add_u32_e32 v53, 2, v53
	v_cmp_le_i32_e32 vcc, s20, v53
	v_lshl_add_u64 v[16:17], v[16:17], 0, 8
	v_add_u32_e32 v54, 32, v54
	s_or_b64 s[6:7], vcc, s[6:7]
	v_add_u32_e32 v59, 0x80, v59
	s_andn2_b64 exec, exec, s[6:7]
	s_cbranch_execz .LBB186_67
.LBB186_50:                             ; =>This Inner Loop Header: Depth=1
	v_mul_hi_u32 v2, v54, s42
	v_mul_lo_u32 v3, v2, s25
	v_sub_u32_e32 v3, v54, v3
	v_add_u32_e32 v4, 1, v2
	v_cmp_le_u32_e32 vcc, s25, v3
	s_nop 1
	v_cndmask_b32_e32 v2, v2, v4, vcc
	v_subrev_u32_e32 v4, s25, v3
	v_cndmask_b32_e32 v3, v3, v4, vcc
	v_add_u32_e32 v4, 1, v2
	v_cmp_le_u32_e32 vcc, s25, v3
	s_nop 1
	v_cndmask_b32_e32 v2, v2, v4, vcc
	v_xor_b32_e32 v2, s23, v2
	v_subrev_u32_e32 v2, s23, v2
	v_add_u32_e32 v3, s36, v2
	v_sub_u32_e32 v5, 0, v3
	v_ashrrev_i32_e32 v4, 31, v3
	v_max_i32_e32 v3, v3, v5
	v_mul_hi_u32 v5, v3, v58
	v_mul_lo_u32 v5, v5, s19
	v_sub_u32_e32 v3, v3, v5
	v_subrev_u32_e32 v5, s19, v3
	v_cmp_le_u32_e32 vcc, s19, v3
	v_cmp_lt_i32_e64 s[0:1], s18, v2
	s_nop 0
	v_cndmask_b32_e32 v3, v3, v5, vcc
	v_subrev_u32_e32 v5, s19, v3
	v_cmp_le_u32_e32 vcc, s19, v3
	s_nop 1
	v_cndmask_b32_e32 v3, v3, v5, vcc
	v_xor_b32_e32 v3, v3, v4
	v_sub_u32_e32 v3, v3, v4
	v_cmp_eq_u32_e32 vcc, 0, v3
	s_or_b64 s[0:1], vcc, s[0:1]
	s_and_saveexec_b64 s[8:9], s[0:1]
	s_cbranch_execz .LBB186_49
; %bb.51:                               ;   in Loop: Header=BB186_50 Depth=1
	global_load_dword v2, v[16:17], off
	s_load_dword s12, s[14:15], 0x0
	v_add_u32_e32 v60, v57, v54
	v_cmp_eq_u32_e32 vcc, s22, v53
	v_add_u32_e32 v61, 1, v60
	v_add_u32_e32 v46, 2, v60
	;; [unrolled: 1-line block ×3, first 2 shown]
	s_waitcnt vmcnt(0)
	v_mad_i64_i32 v[28:29], s[0:1], v2, s21, v[14:15]
	global_load_dword v18, v[28:29], off
	ds_read_b128 v[2:5], v59
	s_waitcnt vmcnt(0)
	v_and_b32_e32 v19, 0xffff, v18
	v_lshrrev_b32_e32 v20, 16, v18
	v_cvt_pk_f32_fp8_e32 v[18:19], v19
	v_cvt_pk_f32_fp8_e32 v[22:23], v20
	s_waitcnt lgkmcnt(0)
	v_pk_mul_f32 v[20:21], v[18:19], s[12:13] op_sel_hi:[1,0]
	v_pk_mul_f32 v[18:19], s[12:13], v[22:23] op_sel_hi:[0,1]
	s_and_saveexec_b64 s[16:17], vcc
; %bb.52:                               ;   in Loop: Header=BB186_50 Depth=1
	v_cmp_gt_i32_e64 s[0:1], s33, v60
	s_nop 1
	v_cndmask_b32_e64 v20, 0, v20, s[0:1]
	v_cmp_gt_i32_e64 s[0:1], s33, v61
	s_nop 1
	v_cndmask_b32_e64 v21, 0, v21, s[0:1]
	;; [unrolled: 3-line block ×4, first 2 shown]
; %bb.53:                               ;   in Loop: Header=BB186_50 Depth=1
	s_or_b64 exec, exec, s[16:17]
	global_load_dword v22, v[28:29], off offset:256
	s_mov_b32 s13, s12
	s_waitcnt vmcnt(0)
	v_and_b32_e32 v23, 0xffff, v22
	v_lshrrev_b32_e32 v24, 16, v22
	v_cvt_pk_f32_fp8_e32 v[22:23], v23
	v_cvt_pk_f32_fp8_e32 v[30:31], v24
	v_pk_mul_f32 v[24:25], s[12:13], v[22:23]
	v_pk_mul_f32 v[22:23], s[12:13], v[30:31]
	s_and_saveexec_b64 s[16:17], vcc
; %bb.54:                               ;   in Loop: Header=BB186_50 Depth=1
	v_cmp_gt_i32_e64 s[0:1], s33, v60
	s_nop 1
	v_cndmask_b32_e64 v24, 0, v24, s[0:1]
	v_cmp_gt_i32_e64 s[0:1], s33, v61
	s_nop 1
	v_cndmask_b32_e64 v25, 0, v25, s[0:1]
	v_cmp_gt_i32_e64 s[0:1], s33, v46
	s_nop 1
	v_cndmask_b32_e64 v22, 0, v22, s[0:1]
	v_cmp_gt_i32_e64 s[0:1], s33, v47
	s_nop 1
	v_cndmask_b32_e64 v23, 0, v23, s[0:1]
; %bb.55:                               ;   in Loop: Header=BB186_50 Depth=1
	s_or_b64 exec, exec, s[16:17]
	global_load_dword v30, v[28:29], off offset:512
	s_waitcnt vmcnt(0)
	v_and_b32_e32 v31, 0xffff, v30
	v_lshrrev_b32_e32 v32, 16, v30
	v_cvt_pk_f32_fp8_e32 v[30:31], v31
	v_cvt_pk_f32_fp8_e32 v[34:35], v32
	v_pk_mul_f32 v[32:33], s[12:13], v[30:31]
	v_pk_mul_f32 v[30:31], s[12:13], v[34:35]
	s_and_saveexec_b64 s[16:17], vcc
; %bb.56:                               ;   in Loop: Header=BB186_50 Depth=1
	v_cmp_gt_i32_e64 s[0:1], s33, v60
	s_nop 1
	v_cndmask_b32_e64 v32, 0, v32, s[0:1]
	v_cmp_gt_i32_e64 s[0:1], s33, v61
	s_nop 1
	v_cndmask_b32_e64 v33, 0, v33, s[0:1]
	v_cmp_gt_i32_e64 s[0:1], s33, v46
	s_nop 1
	v_cndmask_b32_e64 v30, 0, v30, s[0:1]
	v_cmp_gt_i32_e64 s[0:1], s33, v47
	s_nop 1
	v_cndmask_b32_e64 v31, 0, v31, s[0:1]
; %bb.57:                               ;   in Loop: Header=BB186_50 Depth=1
	s_or_b64 exec, exec, s[16:17]
	global_load_dword v34, v[28:29], off offset:768
	;; [unrolled: 24-line block ×6, first 2 shown]
	s_waitcnt vmcnt(0)
	v_and_b32_e32 v29, 0xffff, v28
	v_lshrrev_b32_e32 v46, 16, v28
	v_cvt_pk_f32_fp8_e32 v[28:29], v29
	v_cvt_pk_f32_fp8_e32 v[62:63], v46
	v_pk_mul_f32 v[46:47], s[12:13], v[28:29]
	v_pk_mul_f32 v[28:29], s[12:13], v[62:63]
	s_and_saveexec_b64 s[0:1], vcc
	s_cbranch_execz .LBB186_48
; %bb.66:                               ;   in Loop: Header=BB186_50 Depth=1
	v_cmp_gt_i32_e32 vcc, s34, v61
	v_or_b32_e32 v61, 3, v60
	s_nop 0
	v_cndmask_b32_e32 v47, 0, v47, vcc
	v_cmp_gt_i32_e32 vcc, s33, v60
	v_or_b32_e32 v60, 2, v60
	s_nop 0
	v_cndmask_b32_e32 v46, 0, v46, vcc
	v_cmp_gt_i32_e32 vcc, s34, v61
	s_nop 1
	v_cndmask_b32_e32 v29, 0, v29, vcc
	v_cmp_gt_i32_e32 vcc, s33, v60
	s_nop 1
	v_cndmask_b32_e32 v28, 0, v28, vcc
	s_branch .LBB186_48
.LBB186_67:
	s_or_b64 exec, exec, s[6:7]
.LBB186_68:
	s_or_b64 exec, exec, s[2:3]
	ds_bpermute_b32 v2, v56, v6
	ds_bpermute_b32 v3, v56, v7
	;; [unrolled: 1-line block ×6, first 2 shown]
	s_waitcnt lgkmcnt(4)
	v_pk_add_f32 v[2:3], v[6:7], v[2:3]
	ds_bpermute_b32 v16, v56, v8
	s_waitcnt lgkmcnt(3)
	v_pk_add_f32 v[10:11], v[10:11], v[14:15]
	ds_bpermute_b32 v17, v56, v9
	ds_bpermute_b32 v6, v55, v2
	;; [unrolled: 1-line block ×5, first 2 shown]
	s_waitcnt lgkmcnt(6)
	v_pk_add_f32 v[4:5], v[12:13], v[4:5]
	ds_bpermute_b32 v12, v55, v4
	ds_bpermute_b32 v13, v55, v5
	s_waitcnt lgkmcnt(6)
	v_pk_add_f32 v[8:9], v[8:9], v[16:17]
	s_waitcnt lgkmcnt(4)
	v_pk_add_f32 v[6:7], v[2:3], v[6:7]
	;; [unrolled: 2-line block ×3, first 2 shown]
	ds_bpermute_b32 v10, v55, v8
	ds_bpermute_b32 v11, v55, v9
	s_waitcnt lgkmcnt(2)
	v_pk_add_f32 v[4:5], v[4:5], v[12:13]
	v_and_b32_e32 v12, 0x3c3, v0
	v_cmp_ne_u32_e32 vcc, 64, v12
	s_waitcnt lgkmcnt(0)
	s_barrier
	s_and_saveexec_b64 s[0:1], vcc
	s_xor_b64 s[0:1], exec, s[0:1]
; %bb.69:
                                        ; implicit-def: $vgpr27
; %bb.70:
	s_or_saveexec_b64 s[0:1], s[0:1]
	v_pk_add_f32 v[8:9], v[8:9], v[10:11]
	s_xor_b64 exec, exec, s[0:1]
	s_cbranch_execz .LBB186_72
; %bb.71:
	v_add_u32_e32 v10, 0x210, v27
	ds_write2_b32 v10, v6, v7 offset1:16
	ds_write2_b32 v10, v4, v5 offset0:32 offset1:48
	ds_write2_b32 v10, v2, v3 offset0:64 offset1:80
	;; [unrolled: 1-line block ×3, first 2 shown]
.LBB186_72:
	s_or_b64 exec, exec, s[0:1]
	v_cmp_gt_u32_e32 vcc, 64, v0
	s_waitcnt lgkmcnt(0)
	s_barrier
	s_and_saveexec_b64 s[0:1], vcc
	s_cbranch_execz .LBB186_83
; %bb.73:
	v_mov_b32_e32 v0, 0x210
	v_cmp_eq_u32_e32 vcc, 0, v26
	v_lshl_add_u32 v0, v52, 2, v0
	s_and_saveexec_b64 s[2:3], vcc
	s_cbranch_execnz .LBB186_86
; %bb.74:
	s_or_b64 exec, exec, s[2:3]
	s_and_saveexec_b64 s[2:3], vcc
	s_cbranch_execnz .LBB186_87
.LBB186_75:
	s_or_b64 exec, exec, s[2:3]
	s_and_saveexec_b64 s[2:3], vcc
	s_cbranch_execnz .LBB186_88
.LBB186_76:
	s_or_b64 exec, exec, s[2:3]
	s_and_saveexec_b64 s[2:3], vcc
	s_cbranch_execnz .LBB186_89
.LBB186_77:
	s_or_b64 exec, exec, s[2:3]
	s_and_saveexec_b64 s[2:3], vcc
	s_cbranch_execnz .LBB186_90
.LBB186_78:
	s_or_b64 exec, exec, s[2:3]
	s_and_saveexec_b64 s[2:3], vcc
	s_cbranch_execnz .LBB186_91
.LBB186_79:
	s_or_b64 exec, exec, s[2:3]
	s_and_saveexec_b64 s[2:3], vcc
	s_cbranch_execnz .LBB186_92
.LBB186_80:
	s_or_b64 exec, exec, s[2:3]
	s_and_saveexec_b64 s[2:3], vcc
	s_cbranch_execz .LBB186_82
.LBB186_81:
	ds_read_b32 v0, v0 offset:448
	s_waitcnt lgkmcnt(0)
	v_add_f32_e32 v9, v9, v0
.LBB186_82:
	s_or_b64 exec, exec, s[2:3]
.LBB186_83:
	s_or_b64 exec, exec, s[0:1]
	v_cmp_eq_u32_e32 vcc, 0, v12
	s_barrier
	s_and_saveexec_b64 s[0:1], vcc
	s_cbranch_execz .LBB186_85
; %bb.84:
	s_mul_i32 s0, s10, s11
	s_mul_i32 s0, s0, s5
	s_lshl_b32 s0, s0, 7
	s_ashr_i32 s1, s0, 31
	s_lshl_b64 s[0:1], s[0:1], 2
	s_add_u32 s2, s26, s0
	s_mul_i32 s0, s11, s24
	s_addc_u32 s3, s27, s1
	s_ashr_i32 s1, s0, 31
	s_lshl_b64 s[0:1], s[0:1], 2
	s_add_u32 s2, s2, s0
	s_addc_u32 s3, s3, s1
	s_lshl_b32 s0, s4, 7
	s_ashr_i32 s1, s0, 31
	s_lshl_b64 s[0:1], s[0:1], 2
	s_add_u32 s0, s2, s0
	s_addc_u32 s1, s3, s1
	global_store_dword v1, v6, s[0:1]
	global_store_dword v1, v7, s[0:1] offset:64
	global_store_dword v1, v4, s[0:1] offset:128
	;; [unrolled: 1-line block ×7, first 2 shown]
.LBB186_85:
	s_endpgm
.LBB186_86:
	ds_read_b32 v10, v0
	s_waitcnt lgkmcnt(0)
	v_add_f32_e32 v6, v6, v10
	s_or_b64 exec, exec, s[2:3]
	s_and_saveexec_b64 s[2:3], vcc
	s_cbranch_execz .LBB186_75
.LBB186_87:
	ds_read_b32 v10, v0 offset:64
	s_waitcnt lgkmcnt(0)
	v_add_f32_e32 v7, v7, v10
	s_or_b64 exec, exec, s[2:3]
	s_and_saveexec_b64 s[2:3], vcc
	s_cbranch_execz .LBB186_76
.LBB186_88:
	ds_read_b32 v10, v0 offset:128
	s_waitcnt lgkmcnt(0)
	v_add_f32_e32 v4, v4, v10
	s_or_b64 exec, exec, s[2:3]
	s_and_saveexec_b64 s[2:3], vcc
	s_cbranch_execz .LBB186_77
.LBB186_89:
	ds_read_b32 v10, v0 offset:192
	s_waitcnt lgkmcnt(0)
	v_add_f32_e32 v5, v5, v10
	s_or_b64 exec, exec, s[2:3]
	s_and_saveexec_b64 s[2:3], vcc
	s_cbranch_execz .LBB186_78
.LBB186_90:
	ds_read_b32 v10, v0 offset:256
	s_waitcnt lgkmcnt(0)
	v_add_f32_e32 v2, v2, v10
	s_or_b64 exec, exec, s[2:3]
	s_and_saveexec_b64 s[2:3], vcc
	s_cbranch_execz .LBB186_79
.LBB186_91:
	ds_read_b32 v10, v0 offset:320
	s_waitcnt lgkmcnt(0)
	v_add_f32_e32 v3, v3, v10
	s_or_b64 exec, exec, s[2:3]
	s_and_saveexec_b64 s[2:3], vcc
	s_cbranch_execz .LBB186_80
.LBB186_92:
	ds_read_b32 v10, v0 offset:384
	s_waitcnt lgkmcnt(0)
	v_add_f32_e32 v8, v8, v10
	s_or_b64 exec, exec, s[2:3]
	s_and_saveexec_b64 s[2:3], vcc
	s_cbranch_execnz .LBB186_81
	s_branch .LBB186_82
	.section	.rodata,"a",@progbits
	.p2align	6, 0x0
	.amdhsa_kernel _ZN4vllm25paged_attention_v1_kernelIfhLi128ELi16ELi128ELNS_18Fp8KVCacheDataTypeE1ELb1EEEvPT_PKS2_PKT0_S8_ifPKiSA_iPKfiiiSC_SC_iiiii
		.amdhsa_group_segment_fixed_size 528
		.amdhsa_private_segment_fixed_size 0
		.amdhsa_kernarg_size 384
		.amdhsa_user_sgpr_count 2
		.amdhsa_user_sgpr_dispatch_ptr 0
		.amdhsa_user_sgpr_queue_ptr 0
		.amdhsa_user_sgpr_kernarg_segment_ptr 1
		.amdhsa_user_sgpr_dispatch_id 0
		.amdhsa_user_sgpr_kernarg_preload_length 0
		.amdhsa_user_sgpr_kernarg_preload_offset 0
		.amdhsa_user_sgpr_private_segment_size 0
		.amdhsa_uses_dynamic_stack 0
		.amdhsa_enable_private_segment 0
		.amdhsa_system_sgpr_workgroup_id_x 1
		.amdhsa_system_sgpr_workgroup_id_y 1
		.amdhsa_system_sgpr_workgroup_id_z 1
		.amdhsa_system_sgpr_workgroup_info 0
		.amdhsa_system_vgpr_workitem_id 0
		.amdhsa_next_free_vgpr 91
		.amdhsa_next_free_sgpr 48
		.amdhsa_accum_offset 92
		.amdhsa_reserve_vcc 1
		.amdhsa_float_round_mode_32 0
		.amdhsa_float_round_mode_16_64 0
		.amdhsa_float_denorm_mode_32 3
		.amdhsa_float_denorm_mode_16_64 3
		.amdhsa_dx10_clamp 1
		.amdhsa_ieee_mode 1
		.amdhsa_fp16_overflow 0
		.amdhsa_tg_split 0
		.amdhsa_exception_fp_ieee_invalid_op 0
		.amdhsa_exception_fp_denorm_src 0
		.amdhsa_exception_fp_ieee_div_zero 0
		.amdhsa_exception_fp_ieee_overflow 0
		.amdhsa_exception_fp_ieee_underflow 0
		.amdhsa_exception_fp_ieee_inexact 0
		.amdhsa_exception_int_div_zero 0
	.end_amdhsa_kernel
	.section	.text._ZN4vllm25paged_attention_v1_kernelIfhLi128ELi16ELi128ELNS_18Fp8KVCacheDataTypeE1ELb1EEEvPT_PKS2_PKT0_S8_ifPKiSA_iPKfiiiSC_SC_iiiii,"axG",@progbits,_ZN4vllm25paged_attention_v1_kernelIfhLi128ELi16ELi128ELNS_18Fp8KVCacheDataTypeE1ELb1EEEvPT_PKS2_PKT0_S8_ifPKiSA_iPKfiiiSC_SC_iiiii,comdat
.Lfunc_end186:
	.size	_ZN4vllm25paged_attention_v1_kernelIfhLi128ELi16ELi128ELNS_18Fp8KVCacheDataTypeE1ELb1EEEvPT_PKS2_PKT0_S8_ifPKiSA_iPKfiiiSC_SC_iiiii, .Lfunc_end186-_ZN4vllm25paged_attention_v1_kernelIfhLi128ELi16ELi128ELNS_18Fp8KVCacheDataTypeE1ELb1EEEvPT_PKS2_PKT0_S8_ifPKiSA_iPKfiiiSC_SC_iiiii
                                        ; -- End function
	.set _ZN4vllm25paged_attention_v1_kernelIfhLi128ELi16ELi128ELNS_18Fp8KVCacheDataTypeE1ELb1EEEvPT_PKS2_PKT0_S8_ifPKiSA_iPKfiiiSC_SC_iiiii.num_vgpr, 91
	.set _ZN4vllm25paged_attention_v1_kernelIfhLi128ELi16ELi128ELNS_18Fp8KVCacheDataTypeE1ELb1EEEvPT_PKS2_PKT0_S8_ifPKiSA_iPKfiiiSC_SC_iiiii.num_agpr, 0
	.set _ZN4vllm25paged_attention_v1_kernelIfhLi128ELi16ELi128ELNS_18Fp8KVCacheDataTypeE1ELb1EEEvPT_PKS2_PKT0_S8_ifPKiSA_iPKfiiiSC_SC_iiiii.numbered_sgpr, 48
	.set _ZN4vllm25paged_attention_v1_kernelIfhLi128ELi16ELi128ELNS_18Fp8KVCacheDataTypeE1ELb1EEEvPT_PKS2_PKT0_S8_ifPKiSA_iPKfiiiSC_SC_iiiii.num_named_barrier, 0
	.set _ZN4vllm25paged_attention_v1_kernelIfhLi128ELi16ELi128ELNS_18Fp8KVCacheDataTypeE1ELb1EEEvPT_PKS2_PKT0_S8_ifPKiSA_iPKfiiiSC_SC_iiiii.private_seg_size, 0
	.set _ZN4vllm25paged_attention_v1_kernelIfhLi128ELi16ELi128ELNS_18Fp8KVCacheDataTypeE1ELb1EEEvPT_PKS2_PKT0_S8_ifPKiSA_iPKfiiiSC_SC_iiiii.uses_vcc, 1
	.set _ZN4vllm25paged_attention_v1_kernelIfhLi128ELi16ELi128ELNS_18Fp8KVCacheDataTypeE1ELb1EEEvPT_PKS2_PKT0_S8_ifPKiSA_iPKfiiiSC_SC_iiiii.uses_flat_scratch, 0
	.set _ZN4vllm25paged_attention_v1_kernelIfhLi128ELi16ELi128ELNS_18Fp8KVCacheDataTypeE1ELb1EEEvPT_PKS2_PKT0_S8_ifPKiSA_iPKfiiiSC_SC_iiiii.has_dyn_sized_stack, 0
	.set _ZN4vllm25paged_attention_v1_kernelIfhLi128ELi16ELi128ELNS_18Fp8KVCacheDataTypeE1ELb1EEEvPT_PKS2_PKT0_S8_ifPKiSA_iPKfiiiSC_SC_iiiii.has_recursion, 0
	.set _ZN4vllm25paged_attention_v1_kernelIfhLi128ELi16ELi128ELNS_18Fp8KVCacheDataTypeE1ELb1EEEvPT_PKS2_PKT0_S8_ifPKiSA_iPKfiiiSC_SC_iiiii.has_indirect_call, 0
	.section	.AMDGPU.csdata,"",@progbits
; Kernel info:
; codeLenInByte = 6240
; TotalNumSgprs: 54
; NumVgprs: 91
; NumAgprs: 0
; TotalNumVgprs: 91
; ScratchSize: 0
; MemoryBound: 0
; FloatMode: 240
; IeeeMode: 1
; LDSByteSize: 528 bytes/workgroup (compile time only)
; SGPRBlocks: 6
; VGPRBlocks: 11
; NumSGPRsForWavesPerEU: 54
; NumVGPRsForWavesPerEU: 91
; AccumOffset: 92
; Occupancy: 5
; WaveLimiterHint : 1
; COMPUTE_PGM_RSRC2:SCRATCH_EN: 0
; COMPUTE_PGM_RSRC2:USER_SGPR: 2
; COMPUTE_PGM_RSRC2:TRAP_HANDLER: 0
; COMPUTE_PGM_RSRC2:TGID_X_EN: 1
; COMPUTE_PGM_RSRC2:TGID_Y_EN: 1
; COMPUTE_PGM_RSRC2:TGID_Z_EN: 1
; COMPUTE_PGM_RSRC2:TIDIG_COMP_CNT: 0
; COMPUTE_PGM_RSRC3_GFX90A:ACCUM_OFFSET: 22
; COMPUTE_PGM_RSRC3_GFX90A:TG_SPLIT: 0
	.section	.text._ZN4vllm25paged_attention_v1_kernelIfhLi192ELi16ELi128ELNS_18Fp8KVCacheDataTypeE1ELb1EEEvPT_PKS2_PKT0_S8_ifPKiSA_iPKfiiiSC_SC_iiiii,"axG",@progbits,_ZN4vllm25paged_attention_v1_kernelIfhLi192ELi16ELi128ELNS_18Fp8KVCacheDataTypeE1ELb1EEEvPT_PKS2_PKT0_S8_ifPKiSA_iPKfiiiSC_SC_iiiii,comdat
	.protected	_ZN4vllm25paged_attention_v1_kernelIfhLi192ELi16ELi128ELNS_18Fp8KVCacheDataTypeE1ELb1EEEvPT_PKS2_PKT0_S8_ifPKiSA_iPKfiiiSC_SC_iiiii ; -- Begin function _ZN4vllm25paged_attention_v1_kernelIfhLi192ELi16ELi128ELNS_18Fp8KVCacheDataTypeE1ELb1EEEvPT_PKS2_PKT0_S8_ifPKiSA_iPKfiiiSC_SC_iiiii
	.globl	_ZN4vllm25paged_attention_v1_kernelIfhLi192ELi16ELi128ELNS_18Fp8KVCacheDataTypeE1ELb1EEEvPT_PKS2_PKT0_S8_ifPKiSA_iPKfiiiSC_SC_iiiii
	.p2align	8
	.type	_ZN4vllm25paged_attention_v1_kernelIfhLi192ELi16ELi128ELNS_18Fp8KVCacheDataTypeE1ELb1EEEvPT_PKS2_PKT0_S8_ifPKiSA_iPKfiiiSC_SC_iiiii,@function
_ZN4vllm25paged_attention_v1_kernelIfhLi192ELi16ELi128ELNS_18Fp8KVCacheDataTypeE1ELb1EEEvPT_PKS2_PKT0_S8_ifPKiSA_iPKfiiiSC_SC_iiiii: ; @_ZN4vllm25paged_attention_v1_kernelIfhLi192ELi16ELi128ELNS_18Fp8KVCacheDataTypeE1ELb1EEEvPT_PKS2_PKT0_S8_ifPKiSA_iPKfiiiSC_SC_iiiii
; %bb.0:
	s_load_dword s5, s[0:1], 0x80
	s_load_dwordx2 s[6:7], s[0:1], 0x30
	s_load_dwordx2 s[36:37], s[0:1], 0x20
	s_mov_b32 s10, s3
	s_ashr_i32 s11, s3, 31
	s_lshl_b64 s[8:9], s[10:11], 2
	s_waitcnt lgkmcnt(0)
	s_add_u32 s6, s6, s8
	s_addc_u32 s7, s7, s9
	s_abs_i32 s3, s36
	v_cvt_f32_u32_e32 v1, s3
	s_sub_i32 s11, 0, s3
	s_abs_i32 s9, s5
	s_xor_b32 s8, s5, s36
	v_rcp_iflag_f32_e32 v1, v1
	s_ashr_i32 s8, s8, 31
	s_mov_b32 s44, 0
	v_mul_f32_e32 v1, 0x4f7ffffe, v1
	v_cvt_u32_f32_e32 v1, v1
	s_nop 0
	v_readfirstlane_b32 s12, v1
	s_mul_i32 s11, s11, s12
	s_mul_hi_u32 s11, s12, s11
	s_add_i32 s12, s12, s11
	s_mul_hi_u32 s11, s9, s12
	s_mul_i32 s12, s11, s3
	s_sub_i32 s9, s9, s12
	s_add_i32 s12, s11, 1
	s_sub_i32 s13, s9, s3
	s_cmp_ge_u32 s9, s3
	s_cselect_b32 s11, s12, s11
	s_cselect_b32 s9, s13, s9
	s_add_i32 s12, s11, 1
	s_cmp_ge_u32 s9, s3
	s_cselect_b32 s3, s12, s11
	s_xor_b32 s3, s3, s8
	s_sub_i32 s11, s3, s8
	s_abs_i32 s12, s11
	v_cvt_f32_u32_e32 v1, s12
	s_load_dwordx2 s[8:9], s[0:1], 0x40
	s_sub_i32 s3, 0, s12
	s_abs_i32 s13, s2
	v_rcp_iflag_f32_e32 v1, v1
	s_nop 0
	v_mul_f32_e32 v1, 0x4f7ffffe, v1
	v_cvt_u32_f32_e32 v1, v1
	s_nop 0
	v_readfirstlane_b32 s14, v1
	s_mul_i32 s3, s3, s14
	s_mul_hi_u32 s3, s14, s3
	s_add_i32 s14, s14, s3
	s_waitcnt lgkmcnt(0)
	s_cmp_eq_u64 s[8:9], 0
	s_mul_hi_u32 s14, s13, s14
	s_cbranch_scc1 .LBB187_2
; %bb.1:
	s_ashr_i32 s3, s2, 31
	s_lshl_b64 s[16:17], s[2:3], 2
	s_add_u32 s8, s8, s16
	s_addc_u32 s9, s9, s17
	s_load_dword s44, s[8:9], 0x0
.LBB187_2:
	s_load_dword s33, s[6:7], 0x0
	s_ashr_i32 s26, s11, 31
	s_load_dword s11, s[0:1], 0x88
	s_load_dwordx4 s[16:19], s[0:1], 0x48
	v_lshrrev_b32_e32 v72, 2, v0
	s_movk_i32 s3, 0xc0
	s_ashr_i32 s15, s2, 31
	v_and_b32_e32 v42, 3, v0
	s_mul_i32 s24, s2, 0xc0
	v_cmp_gt_u32_e32 vcc, s3, v0
	v_lshlrev_b32_e32 v48, 2, v0
	v_lshlrev_b32_e32 v1, 2, v72
	s_and_saveexec_b64 s[6:7], vcc
	s_cbranch_execz .LBB187_5
; %bb.3:
	s_load_dwordx2 s[8:9], s[0:1], 0x8
	s_waitcnt lgkmcnt(0)
	s_mul_i32 s20, s16, s10
	s_ashr_i32 s21, s20, 31
	s_lshl_b64 s[20:21], s[20:21], 2
	v_mad_u32_u24 v2, v42, s3, v1
	s_add_u32 s16, s8, s20
	s_addc_u32 s19, s9, s21
	s_ashr_i32 s25, s24, 31
	s_lshl_b64 s[8:9], s[24:25], 2
	s_add_u32 s8, s16, s8
	s_addc_u32 s9, s19, s9
	global_load_dword v3, v48, s[8:9]
	v_cmp_gt_u32_e32 vcc, 64, v0
	s_waitcnt vmcnt(0)
	ds_write_b32 v2, v3
	s_and_b64 exec, exec, vcc
	s_cbranch_execz .LBB187_5
; %bb.4:
	v_lshlrev_b32_e32 v3, 4, v72
	v_lshlrev_b32_e32 v4, 2, v42
	s_movk_i32 s3, 0x200
	v_or3_b32 v3, v3, v4, s3
	global_load_dword v3, v3, s[8:9]
	s_waitcnt vmcnt(0)
	ds_write_b32 v2, v3 offset:128
.LBB187_5:
	s_or_b64 exec, exec, s[6:7]
	s_mul_i32 s7, s14, s12
	s_sub_i32 s7, s13, s7
	s_xor_b32 s6, s15, s26
	s_add_i32 s8, s14, 1
	s_sub_i32 s9, s7, s12
	s_load_dwordx4 s[20:23], s[0:1], 0x68
	s_load_dword s3, s[0:1], 0x78
	s_cmp_ge_u32 s7, s12
	s_cselect_b32 s8, s8, s14
	s_cselect_b32 s7, s9, s7
	s_add_i32 s9, s8, 1
	s_cmp_ge_u32 s7, s12
	s_cselect_b32 s7, s9, s8
	s_waitcnt lgkmcnt(0)
	s_abs_i32 s25, s23
	v_cvt_f32_u32_e32 v2, s25
	s_xor_b32 s7, s7, s6
	s_sub_i32 s43, s7, s6
	s_sub_i32 s6, 0, s25
	v_rcp_iflag_f32_e32 v2, v2
	s_add_i32 s12, s33, -1
	s_abs_i32 s8, s12
	v_mul_f32_e32 v2, 0x4f7ffffe, v2
	v_cvt_u32_f32_e32 v2, v2
	s_barrier
	v_readfirstlane_b32 s42, v2
	s_mul_i32 s6, s6, s42
	s_mul_hi_u32 s6, s42, s6
	s_add_i32 s42, s42, s6
	s_cmp_lt_i32 s3, 0
	s_mul_hi_u32 s9, s8, s42
	s_cbranch_scc0 .LBB187_7
; %bb.6:
	s_mul_i32 s6, s20, s36
	s_add_i32 s6, s43, s6
	s_mul_i32 s6, s6, s3
	s_sub_i32 s36, 1, s6
	s_mov_b64 s[6:7], 0
	s_branch .LBB187_8
.LBB187_7:
	s_mov_b64 s[6:7], -1
                                        ; implicit-def: $sgpr36
.LBB187_8:
	s_load_dwordx2 s[28:29], s[0:1], 0x28
	s_ashr_i32 s16, s12, 31
	s_andn2_b64 vcc, exec, s[6:7]
	s_ashr_i32 s23, s23, 31
	s_cbranch_vccnz .LBB187_10
; %bb.9:
	s_mul_i32 s6, s5, s20
	s_add_i32 s2, s6, s2
	s_mul_i32 s2, s2, s3
	s_add_i32 s36, s2, 1
.LBB187_10:
	s_load_dword s2, s[0:1], 0x38
	s_load_dwordx2 s[26:27], s[0:1], 0x0
	s_load_dwordx2 s[34:35], s[0:1], 0x18
	s_load_dwordx4 s[12:15], s[0:1], 0x58
	s_xor_b32 s3, s16, s23
	s_waitcnt lgkmcnt(0)
	s_mul_i32 s30, s2, s10
	s_mul_i32 s2, s9, s25
	s_sub_i32 s2, s8, s2
	s_ashr_i32 s31, s30, 31
	s_add_i32 s6, s9, 1
	s_sub_i32 s7, s2, s25
	s_cmp_ge_u32 s2, s25
	s_cselect_b32 s6, s6, s9
	s_cselect_b32 s2, s7, s2
	s_add_i32 s7, s6, 1
	s_cmp_ge_u32 s2, s25
	s_cselect_b32 s2, s7, s6
	s_xor_b32 s2, s2, s3
	s_sub_i32 s16, s2, s3
	s_add_i32 s2, s33, 15
	s_ashr_i32 s3, s2, 31
	s_lshr_b32 s3, s3, 28
	s_add_i32 s2, s2, s3
	s_ashr_i32 s20, s2, 4
	v_lshrrev_b32_e32 v73, 6, v0
	v_cmp_gt_i32_e64 s[6:7], s20, v73
	v_mov_b32_e32 v43, 0xff7fffff
	s_mul_i32 s43, s43, s18
	v_lshrrev_b32_e32 v49, 4, v0
	v_lshlrev_b32_e32 v74, 4, v73
	v_mbcnt_lo_u32_b32 v50, -1, 0
	s_and_saveexec_b64 s[18:19], s[6:7]
	s_cbranch_execz .LBB187_22
; %bb.11:
	s_load_dwordx2 s[0:1], s[0:1], 0x10
	s_sub_i32 s45, s16, s21
	s_ashr_i32 s2, s43, 31
	v_bfe_u32 v51, v0, 2, 4
	v_mov_b32_e32 v3, 0
	s_waitcnt lgkmcnt(0)
	s_add_u32 s0, s0, s43
	s_addc_u32 s1, s1, s2
	s_abs_i32 s46, s22
	v_cvt_f32_u32_e32 v2, s46
	v_mbcnt_hi_u32_b32 v58, -1, v50
	v_mov_b32_e32 v43, v3
	v_cmp_eq_u32_e32 vcc, 0, v42
	v_rcp_iflag_f32_e32 v4, v2
	v_lshlrev_b32_e32 v2, 4, v51
	s_mov_b32 s47, s17
	v_mul_u32_u24_e32 v52, 0xc0, v42
	v_mul_f32_e32 v4, 0x4f7ffffe, v4
	v_cvt_u32_f32_e32 v6, v4
	v_lshl_add_u64 v[4:5], s[0:1], 0, v[2:3]
	s_sub_i32 s0, 0, s46
	v_cmp_neq_f32_e64 s[2:3], s44, 0
	v_mul_lo_u32 v2, s0, v6
	s_lshl_b64 s[0:1], s[30:31], 2
	v_mul_hi_u32 v2, v6, v2
	s_add_u32 s0, s28, s0
	v_add_u32_e32 v53, v6, v2
	v_and_b32_e32 v2, 60, v49
	s_addc_u32 s1, s29, s1
	v_lshl_add_u64 v[46:47], s[0:1], 0, v[2:3]
	v_subrev_u32_e32 v2, s33, v51
	v_add_u32_e32 v55, 1, v2
	v_lshlrev_b32_e32 v2, 2, v51
	v_lshl_or_b32 v2, v73, 6, v2
	v_add_u32_e32 v56, 0x310, v2
	v_and_b32_e32 v2, 64, v58
	v_lshl_add_u64 v[44:45], v[4:5], 0, v[42:43]
	v_lshlrev_b32_e32 v54, 4, v73
	v_mov_b32_e32 v57, 0xff7fffff
	s_mov_b64 s[38:39], 0
	v_add_u32_e32 v59, 64, v2
	v_xor_b32_e32 v60, 2, v58
	v_xor_b32_e32 v61, 1, v58
	v_mov_b32_e32 v43, 0xff7fffff
	v_mov_b32_e32 v62, v73
	s_branch .LBB187_14
.LBB187_12:                             ;   in Loop: Header=BB187_14 Depth=1
	s_or_b64 exec, exec, s[40:41]
.LBB187_13:                             ;   in Loop: Header=BB187_14 Depth=1
	s_or_b64 exec, exec, s[8:9]
	v_add_u32_e32 v62, 2, v62
	v_cmp_le_i32_e64 s[0:1], s20, v62
	v_lshl_add_u64 v[46:47], v[46:47], 0, 8
	v_add_u32_e32 v54, 32, v54
	s_or_b64 s[38:39], s[0:1], s[38:39]
	v_add_u32_e32 v56, 0x80, v56
	s_andn2_b64 exec, exec, s[38:39]
	s_cbranch_execz .LBB187_21
.LBB187_14:                             ; =>This Inner Loop Header: Depth=1
	v_mul_hi_u32 v2, v54, s42
	s_waitcnt lgkmcnt(0)
	v_mul_lo_u32 v3, v2, s25
	v_sub_u32_e32 v3, v54, v3
	v_add_u32_e32 v4, 1, v2
	v_cmp_le_u32_e64 s[0:1], s25, v3
	s_nop 1
	v_cndmask_b32_e64 v2, v2, v4, s[0:1]
	v_subrev_u32_e32 v4, s25, v3
	v_cndmask_b32_e64 v3, v3, v4, s[0:1]
	v_add_u32_e32 v4, 1, v2
	v_cmp_le_u32_e64 s[0:1], s25, v3
	s_nop 1
	v_cndmask_b32_e64 v2, v2, v4, s[0:1]
	v_xor_b32_e32 v2, s23, v2
	v_subrev_u32_e32 v2, s23, v2
	v_add_u32_e32 v3, s36, v2
	v_sub_u32_e32 v5, 0, v3
	v_ashrrev_i32_e32 v4, 31, v3
	v_max_i32_e32 v3, v3, v5
	v_mul_hi_u32 v5, v3, v53
	v_mul_lo_u32 v5, v5, s46
	v_sub_u32_e32 v3, v3, v5
	v_subrev_u32_e32 v5, s46, v3
	v_cmp_le_u32_e64 s[0:1], s46, v3
	v_cmp_ge_i32_e64 s[8:9], s45, v2
	s_nop 0
	v_cndmask_b32_e64 v3, v3, v5, s[0:1]
	v_subrev_u32_e32 v5, s46, v3
	v_cmp_le_u32_e64 s[0:1], s46, v3
	s_nop 1
	v_cndmask_b32_e64 v3, v3, v5, s[0:1]
	v_xor_b32_e32 v3, v3, v4
	v_sub_u32_e32 v3, v3, v4
	v_cmp_ne_u32_e64 s[0:1], 0, v3
	s_and_b64 s[0:1], s[0:1], s[8:9]
	s_and_saveexec_b64 s[8:9], s[0:1]
	s_xor_b64 s[0:1], exec, s[8:9]
	s_cbranch_execz .LBB187_18
; %bb.15:                               ;   in Loop: Header=BB187_14 Depth=1
	s_and_saveexec_b64 s[8:9], vcc
; %bb.16:                               ;   in Loop: Header=BB187_14 Depth=1
	ds_write_b32 v56, v57
; %bb.17:                               ;   in Loop: Header=BB187_14 Depth=1
	s_or_b64 exec, exec, s[8:9]
.LBB187_18:                             ;   in Loop: Header=BB187_14 Depth=1
	s_andn2_saveexec_b64 s[8:9], s[0:1]
	s_cbranch_execz .LBB187_13
; %bb.19:                               ;   in Loop: Header=BB187_14 Depth=1
	global_load_dword v2, v[46:47], off
	s_waitcnt vmcnt(0)
	v_mad_i64_i32 v[2:3], s[0:1], v2, s47, v[44:45]
	global_load_ubyte v30, v[2:3], off
	global_load_ubyte v31, v[2:3], off offset:4
	global_load_ubyte v32, v[2:3], off offset:8
	;; [unrolled: 1-line block ×47, first 2 shown]
	ds_read_b128 v[26:29], v52
	ds_read_b128 v[36:39], v52 offset:16
	ds_read_b128 v[6:9], v52 offset:32
	ds_read_b128 v[2:5], v52 offset:48
	s_load_dword s40, s[12:13], 0x0
	ds_read_b128 v[18:21], v52 offset:64
	ds_read_b128 v[10:13], v52 offset:80
	;; [unrolled: 1-line block ×4, first 2 shown]
	v_cmp_lt_i32_e64 s[0:1], v60, v59
	s_waitcnt vmcnt(47)
	v_cvt_f32_fp8_e32 v30, v30
	s_waitcnt vmcnt(46)
	v_cvt_f32_fp8_e32 v31, v31
	;; [unrolled: 2-line block ×5, first 2 shown]
	s_waitcnt lgkmcnt(0)
	v_mul_f32_e32 v31, s40, v31
	v_mul_f32_e32 v30, s40, v30
	;; [unrolled: 1-line block ×3, first 2 shown]
	s_waitcnt vmcnt(42)
	v_cvt_f32_fp8_e32 v35, v35
	v_mul_f32_e32 v32, s40, v32
	v_fmac_f32_e32 v106, v26, v30
	s_waitcnt vmcnt(41)
	v_cvt_f32_fp8_e32 v40, v40
	v_mul_f32_e32 v33, s40, v33
	v_fmac_f32_e32 v106, v28, v32
	s_waitcnt vmcnt(40)
	v_cvt_f32_fp8_e32 v41, v41
	v_fmac_f32_e32 v106, v29, v33
	v_mul_f32_e32 v34, s40, v34
	s_waitcnt vmcnt(39)
	v_cvt_f32_fp8_e32 v63, v63
	v_mul_f32_e32 v35, s40, v35
	v_fmac_f32_e32 v106, v36, v34
	s_waitcnt vmcnt(38)
	v_cvt_f32_fp8_e32 v64, v64
	v_mul_f32_e32 v40, s40, v40
	v_fmac_f32_e32 v106, v37, v35
	;; [unrolled: 4-line block ×3, first 2 shown]
	s_waitcnt vmcnt(36)
	v_cvt_f32_fp8_e32 v66, v66
	v_fmac_f32_e32 v106, v39, v41
	s_waitcnt vmcnt(35)
	v_cvt_f32_fp8_e32 v67, v67
	v_mul_f32_e32 v63, s40, v63
	s_waitcnt vmcnt(34)
	v_cvt_f32_fp8_e32 v68, v68
	v_mul_f32_e32 v64, s40, v64
	v_fmac_f32_e32 v106, v6, v63
	s_waitcnt vmcnt(33)
	v_cvt_f32_fp8_e32 v69, v69
	v_mul_f32_e32 v65, s40, v65
	v_fmac_f32_e32 v106, v7, v64
	;; [unrolled: 4-line block ×20, first 2 shown]
	ds_read_b128 v[30:33], v52 offset:128
	ds_read_b128 v[26:29], v52 offset:144
	s_waitcnt vmcnt(14)
	v_cvt_f32_fp8_e32 v91, v91
	v_mul_f32_e32 v87, s40, v87
	v_fmac_f32_e32 v106, v14, v86
	s_waitcnt vmcnt(13)
	v_cvt_f32_fp8_e32 v92, v92
	v_mul_f32_e32 v88, s40, v88
	v_fmac_f32_e32 v106, v15, v87
	;; [unrolled: 4-line block ×4, first 2 shown]
	s_waitcnt vmcnt(10)
	v_cvt_f32_fp8_e32 v95, v95
	v_mul_f32_e32 v91, s40, v91
	s_waitcnt lgkmcnt(1)
	v_fmac_f32_e32 v106, v30, v90
	s_waitcnt vmcnt(9)
	v_cvt_f32_fp8_e32 v96, v96
	v_mul_f32_e32 v92, s40, v92
	v_fmac_f32_e32 v106, v31, v91
	s_waitcnt vmcnt(8)
	v_cvt_f32_fp8_e32 v97, v97
	v_mul_f32_e32 v93, s40, v93
	;; [unrolled: 4-line block ×3, first 2 shown]
	v_fmac_f32_e32 v106, v33, v93
	ds_read_b128 v[38:41], v52 offset:160
	ds_read_b128 v[34:37], v52 offset:176
	s_waitcnt vmcnt(6)
	v_cvt_f32_fp8_e32 v99, v99
	v_mul_f32_e32 v95, s40, v95
	s_waitcnt lgkmcnt(2)
	v_fmac_f32_e32 v106, v26, v94
	s_waitcnt vmcnt(5)
	v_cvt_f32_fp8_e32 v100, v100
	v_mul_f32_e32 v96, s40, v96
	v_fmac_f32_e32 v106, v27, v95
	s_waitcnt vmcnt(4)
	v_cvt_f32_fp8_e32 v101, v101
	v_mul_f32_e32 v97, s40, v97
	;; [unrolled: 4-line block ×4, first 2 shown]
	s_waitcnt lgkmcnt(1)
	v_fmac_f32_e32 v106, v38, v98
	s_waitcnt vmcnt(1)
	v_cvt_f32_fp8_e32 v104, v104
	v_mul_f32_e32 v100, s40, v100
	v_fmac_f32_e32 v106, v39, v99
	s_waitcnt vmcnt(0)
	v_cvt_f32_fp8_e32 v105, v105
	v_mul_f32_e32 v101, s40, v101
	v_fmac_f32_e32 v106, v40, v100
	v_mul_f32_e32 v102, s40, v102
	v_fmac_f32_e32 v106, v41, v101
	v_mul_f32_e32 v103, s40, v103
	s_waitcnt lgkmcnt(0)
	v_fmac_f32_e32 v106, v34, v102
	v_mul_f32_e32 v104, s40, v104
	v_fmac_f32_e32 v106, v35, v103
	v_cndmask_b32_e64 v107, v58, v60, s[0:1]
	v_mul_f32_e32 v105, s40, v105
	v_fmac_f32_e32 v106, v36, v104
	v_lshlrev_b32_e32 v2, 2, v107
	v_fmac_f32_e32 v106, v37, v105
	ds_bpermute_b32 v2, v2, v106
	v_cmp_lt_i32_e64 s[0:1], v61, v59
	s_waitcnt lgkmcnt(0)
	v_add_f32_e32 v2, v106, v2
	v_cndmask_b32_e64 v3, v58, v61, s[0:1]
	v_lshlrev_b32_e32 v3, 2, v3
	ds_bpermute_b32 v3, v3, v2
	s_and_saveexec_b64 s[40:41], vcc
	s_cbranch_execz .LBB187_12
; %bb.20:                               ;   in Loop: Header=BB187_14 Depth=1
	v_add_u32_e32 v4, v55, v54
	v_cvt_f32_i32_e32 v4, v4
	s_waitcnt lgkmcnt(0)
	v_add_f32_e32 v2, v2, v3
	v_add_u32_e32 v5, v51, v54
	v_cmp_gt_i32_e64 s[0:1], s33, v5
	v_mul_f32_e32 v3, s44, v4
	v_cndmask_b32_e64 v3, 0, v3, s[2:3]
	v_fmac_f32_e32 v3, s37, v2
	v_cndmask_b32_e64 v2, 0, v3, s[0:1]
	ds_write_b32 v56, v2
	v_max_f32_e32 v2, v43, v43
	v_max_f32_e32 v2, v2, v3
	v_cndmask_b32_e64 v43, v43, v2, s[0:1]
	s_branch .LBB187_12
.LBB187_21:
	s_or_b64 exec, exec, s[38:39]
.LBB187_22:
	s_or_b64 exec, exec, s[18:19]
	v_mbcnt_hi_u32_b32 v2, -1, v50
	v_and_b32_e32 v10, 64, v2
	s_waitcnt lgkmcnt(0)
	v_add_u32_e32 v3, 64, v10
	v_xor_b32_e32 v4, 32, v2
	v_cmp_lt_i32_e32 vcc, v4, v3
	v_xor_b32_e32 v7, 16, v2
	v_max_f32_e32 v6, v43, v43
	v_cndmask_b32_e32 v4, v2, v4, vcc
	v_lshlrev_b32_e32 v4, 2, v4
	ds_bpermute_b32 v5, v4, v43
	v_cmp_lt_i32_e32 vcc, v7, v3
	v_xor_b32_e32 v8, 8, v2
	v_xor_b32_e32 v9, 4, v2
	v_and_b32_e32 v43, 63, v0
	s_waitcnt lgkmcnt(0)
	v_max_f32_e32 v5, v5, v5
	v_max_f32_e32 v6, v6, v5
	v_cndmask_b32_e32 v5, v2, v7, vcc
	v_lshlrev_b32_e32 v5, 2, v5
	ds_bpermute_b32 v7, v5, v6
	v_cmp_lt_i32_e32 vcc, v8, v3
	s_waitcnt lgkmcnt(0)
	v_max_f32_e32 v7, v7, v7
	v_max_f32_e32 v6, v6, v7
	v_cndmask_b32_e32 v7, v2, v8, vcc
	v_lshlrev_b32_e32 v8, 2, v7
	ds_bpermute_b32 v7, v8, v6
	v_cmp_lt_i32_e32 vcc, v9, v3
	s_waitcnt lgkmcnt(0)
	v_max_f32_e32 v7, v7, v7
	v_max_f32_e32 v7, v6, v7
	v_cndmask_b32_e32 v6, v2, v9, vcc
	v_lshlrev_b32_e32 v9, 2, v6
	ds_bpermute_b32 v11, v9, v7
	v_cmp_eq_u32_e32 vcc, 0, v43
	v_lshlrev_b32_e32 v6, 2, v73
	s_and_saveexec_b64 s[0:1], vcc
	s_cbranch_execz .LBB187_24
; %bb.23:
	s_waitcnt lgkmcnt(0)
	v_max_f32_e32 v11, v11, v11
	v_max_f32_e32 v7, v7, v7
	v_max_f32_e32 v7, v7, v11
	ds_write_b32 v6, v7 offset:768
.LBB187_24:
	s_or_b64 exec, exec, s[0:1]
	v_cmp_gt_u32_e64 s[0:1], 2, v43
	s_waitcnt lgkmcnt(0)
	v_mov_b32_e32 v11, 0xff7fffff
	v_lshlrev_b32_e32 v7, 2, v43
	s_barrier
	s_and_saveexec_b64 s[2:3], s[0:1]
; %bb.25:
	ds_read_b32 v11, v7 offset:768
; %bb.26:
	s_or_b64 exec, exec, s[2:3]
	v_xor_b32_e32 v12, 1, v2
	v_cmp_lt_i32_e64 s[2:3], v12, v3
	v_lshlrev_b32_e32 v10, 2, v10
	s_nop 0
	v_cndmask_b32_e64 v12, v2, v12, s[2:3]
	v_lshlrev_b32_e32 v75, 2, v12
	s_waitcnt lgkmcnt(0)
	ds_bpermute_b32 v12, v75, v11
	v_max_f32_e32 v11, v11, v11
	s_lshl_b32 s2, s20, 4
	s_min_i32 s37, s2, s33
	v_cmp_gt_i32_e64 s[2:3], s37, v0
	s_waitcnt lgkmcnt(0)
	v_max_f32_e32 v12, v12, v12
	v_max_f32_e32 v11, v11, v12
	ds_bpermute_b32 v11, v10, v11
	v_mov_b32_e32 v10, 0
	s_and_saveexec_b64 s[12:13], s[2:3]
	s_cbranch_execz .LBB187_30
; %bb.27:
	v_mov_b32_e32 v10, 0x310
	v_lshl_add_u32 v12, v0, 2, v10
	v_mov_b32_e32 v10, 0
	s_mov_b64 s[18:19], 0
	v_mov_b32_e32 v13, v0
.LBB187_28:                             ; =>This Inner Loop Header: Depth=1
	ds_read_b32 v14, v12
	v_add_u32_e32 v13, 0x80, v13
	v_cmp_le_i32_e64 s[8:9], s37, v13
	s_or_b64 s[18:19], s[8:9], s[18:19]
	s_waitcnt lgkmcnt(0)
	v_sub_f32_e32 v14, v14, v11
	v_mul_f32_e32 v14, 0x3fb8aa3b, v14
	v_exp_f32_e32 v14, v14
	ds_write_b32 v12, v14
	v_add_f32_e32 v10, v10, v14
	v_add_u32_e32 v12, 0x200, v12
	s_andn2_b64 exec, exec, s[18:19]
	s_cbranch_execnz .LBB187_28
; %bb.29:
	s_or_b64 exec, exec, s[18:19]
.LBB187_30:
	s_or_b64 exec, exec, s[12:13]
	ds_bpermute_b32 v4, v4, v10
	s_waitcnt lgkmcnt(0)
	v_add_f32_e32 v4, v10, v4
	ds_bpermute_b32 v5, v5, v4
	s_waitcnt lgkmcnt(0)
	v_add_f32_e32 v4, v4, v5
	ds_bpermute_b32 v5, v8, v4
	v_xor_b32_e32 v8, 2, v2
	v_cmp_lt_i32_e64 s[8:9], v8, v3
	s_waitcnt lgkmcnt(0)
	v_add_f32_e32 v4, v4, v5
	ds_bpermute_b32 v5, v9, v4
	v_cndmask_b32_e64 v3, v2, v8, s[8:9]
	v_lshlrev_b32_e32 v76, 2, v3
	s_waitcnt lgkmcnt(0)
	v_add_f32_e32 v4, v4, v5
	ds_bpermute_b32 v3, v76, v4
	s_waitcnt lgkmcnt(0)
	v_add_f32_e32 v3, v4, v3
	ds_bpermute_b32 v4, v75, v3
	s_waitcnt lgkmcnt(0)
	v_add_f32_e32 v3, v3, v4
	s_and_saveexec_b64 s[8:9], vcc
; %bb.31:
	ds_write_b32 v6, v3 offset:776
; %bb.32:
	s_or_b64 exec, exec, s[8:9]
	s_waitcnt lgkmcnt(0)
	s_barrier
	s_and_saveexec_b64 s[8:9], s[0:1]
; %bb.33:
	ds_read_b32 v3, v7 offset:776
; %bb.34:
	s_or_b64 exec, exec, s[8:9]
	s_waitcnt lgkmcnt(0)
	ds_bpermute_b32 v4, v75, v3
	v_lshlrev_b32_e32 v2, 2, v2
	v_and_b32_e32 v2, 0x100, v2
	s_waitcnt lgkmcnt(0)
	v_add_f32_e32 v3, v3, v4
	ds_bpermute_b32 v2, v2, v3
	s_and_saveexec_b64 s[0:1], s[2:3]
	s_cbranch_execz .LBB187_47
; %bb.35:
	s_waitcnt lgkmcnt(0)
	v_add_f32_e32 v2, 0x358637bd, v2
	v_div_scale_f32 v3, s[2:3], v2, v2, 1.0
	v_rcp_f32_e32 v4, v3
	v_div_scale_f32 v5, vcc, 1.0, v2, 1.0
	s_movk_i32 s2, 0x7f
	v_fma_f32 v6, -v3, v4, 1.0
	v_fmac_f32_e32 v4, v6, v4
	v_mul_f32_e32 v6, v5, v4
	v_fma_f32 v7, -v3, v6, v5
	v_fmac_f32_e32 v6, v7, v4
	v_fma_f32 v3, -v3, v6, v5
	v_div_fmas_f32 v3, v3, v4, v6
	v_xad_u32 v4, v0, -1, s37
	v_div_fixup_f32 v2, v3, v2, 1.0
	v_cmp_lt_u32_e32 vcc, s2, v4
	s_mov_b64 s[8:9], -1
	v_mov_b32_e32 v3, v0
	s_and_saveexec_b64 s[2:3], vcc
	s_cbranch_execz .LBB187_44
; %bb.36:
	v_lshrrev_b32_e32 v4, 7, v4
	v_add_u32_e32 v6, -1, v4
	v_lshrrev_b32_e32 v5, 1, v6
	v_mov_b32_e32 v3, v2
	v_add_u32_e32 v5, 1, v5
	v_cmp_lt_u32_e32 vcc, 13, v6
	v_mov_b32_e32 v8, 0
	s_and_saveexec_b64 s[8:9], vcc
	s_cbranch_execz .LBB187_40
; %bb.37:
	v_mov_b32_e32 v7, 0x310
	v_and_b32_e32 v6, -8, v5
	v_lshl_add_u32 v7, v0, 2, v7
	s_mov_b32 s18, 0
	s_mov_b64 s[12:13], 0
.LBB187_38:                             ; =>This Inner Loop Header: Depth=1
	ds_read2st64_b32 v[8:9], v7 offset1:2
	ds_read2st64_b32 v[10:11], v7 offset0:4 offset1:6
	ds_read2st64_b32 v[12:13], v7 offset0:8 offset1:10
	;; [unrolled: 1-line block ×3, first 2 shown]
	v_add_u32_e32 v6, -8, v6
	s_waitcnt lgkmcnt(3)
	v_pk_mul_f32 v[8:9], v[2:3], v[8:9]
	s_waitcnt lgkmcnt(2)
	v_pk_mul_f32 v[10:11], v[2:3], v[10:11]
	ds_write2st64_b32 v7, v8, v9 offset1:2
	ds_write2st64_b32 v7, v10, v11 offset0:4 offset1:6
	ds_read2st64_b32 v[10:11], v7 offset0:16 offset1:18
	s_waitcnt lgkmcnt(4)
	v_pk_mul_f32 v[8:9], v[2:3], v[12:13]
	ds_write2st64_b32 v7, v8, v9 offset0:8 offset1:10
	s_waitcnt lgkmcnt(4)
	v_pk_mul_f32 v[8:9], v[2:3], v[14:15]
	ds_write2st64_b32 v7, v8, v9 offset0:12 offset1:14
	ds_read2st64_b32 v[8:9], v7 offset0:20 offset1:22
	s_waitcnt lgkmcnt(3)
	v_pk_mul_f32 v[10:11], v[2:3], v[10:11]
	ds_read2st64_b32 v[12:13], v7 offset0:24 offset1:26
	ds_write2st64_b32 v7, v10, v11 offset0:16 offset1:18
	ds_read2st64_b32 v[10:11], v7 offset0:28 offset1:30
	s_waitcnt lgkmcnt(3)
	v_pk_mul_f32 v[8:9], v[2:3], v[8:9]
	ds_write2st64_b32 v7, v8, v9 offset0:20 offset1:22
	s_waitcnt lgkmcnt(3)
	v_pk_mul_f32 v[8:9], v[2:3], v[12:13]
	ds_write2st64_b32 v7, v8, v9 offset0:24 offset1:26
	s_waitcnt lgkmcnt(2)
	v_pk_mul_f32 v[8:9], v[2:3], v[10:11]
	s_add_i32 s18, s18, 16
	v_cmp_eq_u32_e32 vcc, 0, v6
	ds_write2st64_b32 v7, v8, v9 offset0:28 offset1:30
	v_add_u32_e32 v7, 0x2000, v7
	s_or_b64 s[12:13], vcc, s[12:13]
	v_mov_b32_e32 v8, s18
	s_andn2_b64 exec, exec, s[12:13]
	s_cbranch_execnz .LBB187_38
; %bb.39:
	s_or_b64 exec, exec, s[12:13]
.LBB187_40:
	s_or_b64 exec, exec, s[8:9]
	v_and_b32_e32 v5, 7, v5
	v_cmp_ne_u32_e32 vcc, 0, v5
	s_and_saveexec_b64 s[8:9], vcc
	s_cbranch_execz .LBB187_43
; %bb.41:
	v_lshlrev_b32_e32 v6, 9, v8
	s_movk_i32 s12, 0x310
	v_add3_u32 v6, v6, v48, s12
	s_mov_b64 s[12:13], 0
.LBB187_42:                             ; =>This Inner Loop Header: Depth=1
	ds_read2st64_b32 v[8:9], v6 offset1:2
	v_add_u32_e32 v5, -1, v5
	v_cmp_eq_u32_e32 vcc, 0, v5
	s_or_b64 s[12:13], vcc, s[12:13]
	s_waitcnt lgkmcnt(0)
	v_pk_mul_f32 v[8:9], v[2:3], v[8:9]
	ds_write2st64_b32 v6, v8, v9 offset1:2
	v_add_u32_e32 v6, 0x400, v6
	s_andn2_b64 exec, exec, s[12:13]
	s_cbranch_execnz .LBB187_42
.LBB187_43:
	s_or_b64 exec, exec, s[8:9]
	v_add_u32_e32 v4, 1, v4
	v_and_b32_e32 v5, 0x3fffffe, v4
	v_cmp_ne_u32_e32 vcc, v4, v5
	v_lshl_add_u32 v3, v5, 7, v0
	s_orn2_b64 s[8:9], vcc, exec
.LBB187_44:
	s_or_b64 exec, exec, s[2:3]
	s_and_b64 exec, exec, s[8:9]
	s_cbranch_execz .LBB187_47
; %bb.45:
	v_mov_b32_e32 v4, 0x310
	v_lshl_add_u32 v4, v3, 2, v4
	s_mov_b64 s[2:3], 0
.LBB187_46:                             ; =>This Inner Loop Header: Depth=1
	ds_read_b32 v5, v4
	v_add_u32_e32 v3, 0x80, v3
	v_cmp_le_i32_e32 vcc, s37, v3
	s_or_b64 s[2:3], vcc, s[2:3]
	s_waitcnt lgkmcnt(0)
	v_mul_f32_e32 v5, v2, v5
	ds_write_b32 v4, v5
	v_add_u32_e32 v4, 0x200, v4
	s_andn2_b64 exec, exec, s[2:3]
	s_cbranch_execnz .LBB187_46
.LBB187_47:
	s_or_b64 exec, exec, s[0:1]
	v_mov_b32_e32 v7, 0
	v_mov_b32_e32 v6, 0
	;; [unrolled: 1-line block ×12, first 2 shown]
	s_waitcnt lgkmcnt(0)
	s_barrier
	s_and_saveexec_b64 s[2:3], s[6:7]
	s_cbranch_execz .LBB187_77
; %bb.48:
	s_sub_i32 s18, s16, s21
	s_ashr_i32 s1, s43, 31
	s_add_u32 s0, s34, s43
	s_addc_u32 s1, s35, s1
	s_abs_i32 s19, s22
	v_cvt_f32_u32_e32 v2, s19
	v_and_b32_e32 v12, 0xfc, v48
	v_mov_b32_e32 v13, 0
	v_lshl_add_u64 v[18:19], s[0:1], 0, v[12:13]
	v_rcp_iflag_f32_e32 v2, v2
	s_sub_i32 s0, 0, s19
	s_add_i32 s22, s20, -1
	v_and_b32_e32 v12, 60, v49
	v_mul_f32_e32 v2, 0x4f7ffffe, v2
	v_cvt_u32_f32_e32 v2, v2
	v_and_b32_e32 v77, 12, v48
	s_mov_b32 s21, s17
	s_mov_b32 s34, s33
	v_mul_lo_u32 v3, s0, v2
	v_mul_hi_u32 v3, v2, v3
	s_lshl_b64 s[0:1], s[30:31], 2
	v_add_u32_e32 v78, v2, v3
	s_add_u32 s0, s28, s0
	v_lshlrev_b32_e32 v2, 4, v42
	s_addc_u32 s1, s29, s1
	v_lshl_or_b32 v2, v73, 6, v2
	v_lshl_add_u64 v[20:21], s[0:1], 0, v[12:13]
	v_add_u32_e32 v79, 0x310, v2
	s_mov_b64 s[6:7], 0
	v_mov_b32_e32 v12, v13
	v_mov_b32_e32 v16, v13
	;; [unrolled: 1-line block ×11, first 2 shown]
	s_branch .LBB187_51
.LBB187_49:                             ;   in Loop: Header=BB187_51 Depth=1
	s_or_b64 exec, exec, s[0:1]
	v_mul_f32_e32 v70, v2, v70
	v_mul_f32_e32 v64, v2, v64
	;; [unrolled: 1-line block ×11, first 2 shown]
	v_fmac_f32_e32 v70, v3, v71
	v_fmac_f32_e32 v64, v3, v65
	;; [unrolled: 1-line block ×22, first 2 shown]
	v_pk_mul_f32 v[2:3], v[2:3], v[66:67]
	v_fmac_f32_e32 v70, v5, v69
	v_fmac_f32_e32 v64, v5, v63
	;; [unrolled: 1-line block ×11, first 2 shown]
	v_pk_mul_f32 v[4:5], v[4:5], v[34:35]
	v_add_f32_e32 v2, v3, v2
	v_add_f32_e32 v2, v4, v2
	;; [unrolled: 1-line block ×15, first 2 shown]
.LBB187_50:                             ;   in Loop: Header=BB187_51 Depth=1
	s_or_b64 exec, exec, s[8:9]
	v_add_u32_e32 v73, 2, v73
	v_cmp_le_i32_e32 vcc, s20, v73
	v_lshl_add_u64 v[20:21], v[20:21], 0, 8
	v_add_u32_e32 v74, 32, v74
	s_or_b64 s[6:7], vcc, s[6:7]
	v_add_u32_e32 v79, 0x80, v79
	s_andn2_b64 exec, exec, s[6:7]
	s_cbranch_execz .LBB187_76
.LBB187_51:                             ; =>This Inner Loop Header: Depth=1
	v_mul_hi_u32 v2, v74, s42
	v_mul_lo_u32 v3, v2, s25
	v_sub_u32_e32 v3, v74, v3
	v_add_u32_e32 v4, 1, v2
	v_cmp_le_u32_e32 vcc, s25, v3
	s_nop 1
	v_cndmask_b32_e32 v2, v2, v4, vcc
	v_subrev_u32_e32 v4, s25, v3
	v_cndmask_b32_e32 v3, v3, v4, vcc
	v_add_u32_e32 v4, 1, v2
	v_cmp_le_u32_e32 vcc, s25, v3
	s_nop 1
	v_cndmask_b32_e32 v2, v2, v4, vcc
	v_xor_b32_e32 v2, s23, v2
	v_subrev_u32_e32 v2, s23, v2
	v_add_u32_e32 v3, s36, v2
	v_sub_u32_e32 v5, 0, v3
	v_ashrrev_i32_e32 v4, 31, v3
	v_max_i32_e32 v3, v3, v5
	v_mul_hi_u32 v5, v3, v78
	v_mul_lo_u32 v5, v5, s19
	v_sub_u32_e32 v3, v3, v5
	v_subrev_u32_e32 v5, s19, v3
	v_cmp_le_u32_e32 vcc, s19, v3
	v_cmp_lt_i32_e64 s[0:1], s18, v2
	s_nop 0
	v_cndmask_b32_e32 v3, v3, v5, vcc
	v_subrev_u32_e32 v5, s19, v3
	v_cmp_le_u32_e32 vcc, s19, v3
	s_nop 1
	v_cndmask_b32_e32 v3, v3, v5, vcc
	v_xor_b32_e32 v3, v3, v4
	v_sub_u32_e32 v3, v3, v4
	v_cmp_eq_u32_e32 vcc, 0, v3
	s_or_b64 s[0:1], vcc, s[0:1]
	s_and_saveexec_b64 s[8:9], s[0:1]
	s_cbranch_execz .LBB187_50
; %bb.52:                               ;   in Loop: Header=BB187_51 Depth=1
	global_load_dword v2, v[20:21], off
	s_load_dword s12, s[14:15], 0x0
	v_add_u32_e32 v80, v77, v74
	v_cmp_eq_u32_e32 vcc, s22, v73
	v_add_u32_e32 v81, 1, v80
	v_add_u32_e32 v66, 2, v80
	;; [unrolled: 1-line block ×3, first 2 shown]
	s_waitcnt vmcnt(0)
	v_mad_i64_i32 v[34:35], s[0:1], v2, s21, v[18:19]
	global_load_dword v22, v[34:35], off
	ds_read_b128 v[2:5], v79
	s_waitcnt vmcnt(0)
	v_and_b32_e32 v23, 0xffff, v22
	v_lshrrev_b32_e32 v24, 16, v22
	v_cvt_pk_f32_fp8_e32 v[22:23], v23
	v_cvt_pk_f32_fp8_e32 v[26:27], v24
	s_waitcnt lgkmcnt(0)
	v_pk_mul_f32 v[24:25], v[22:23], s[12:13] op_sel_hi:[1,0]
	v_pk_mul_f32 v[22:23], s[12:13], v[26:27] op_sel_hi:[0,1]
	s_and_saveexec_b64 s[16:17], vcc
; %bb.53:                               ;   in Loop: Header=BB187_51 Depth=1
	v_cmp_gt_i32_e64 s[0:1], s33, v80
	s_nop 1
	v_cndmask_b32_e64 v24, 0, v24, s[0:1]
	v_cmp_gt_i32_e64 s[0:1], s33, v81
	s_nop 1
	v_cndmask_b32_e64 v25, 0, v25, s[0:1]
	;; [unrolled: 3-line block ×4, first 2 shown]
; %bb.54:                               ;   in Loop: Header=BB187_51 Depth=1
	s_or_b64 exec, exec, s[16:17]
	global_load_dword v26, v[34:35], off offset:256
	s_mov_b32 s13, s12
	s_waitcnt vmcnt(0)
	v_and_b32_e32 v27, 0xffff, v26
	v_lshrrev_b32_e32 v28, 16, v26
	v_cvt_pk_f32_fp8_e32 v[26:27], v27
	v_cvt_pk_f32_fp8_e32 v[30:31], v28
	v_pk_mul_f32 v[28:29], s[12:13], v[26:27]
	v_pk_mul_f32 v[26:27], s[12:13], v[30:31]
	s_and_saveexec_b64 s[16:17], vcc
; %bb.55:                               ;   in Loop: Header=BB187_51 Depth=1
	v_cmp_gt_i32_e64 s[0:1], s33, v80
	s_nop 1
	v_cndmask_b32_e64 v28, 0, v28, s[0:1]
	v_cmp_gt_i32_e64 s[0:1], s33, v81
	s_nop 1
	v_cndmask_b32_e64 v29, 0, v29, s[0:1]
	v_cmp_gt_i32_e64 s[0:1], s33, v66
	s_nop 1
	v_cndmask_b32_e64 v26, 0, v26, s[0:1]
	v_cmp_gt_i32_e64 s[0:1], s33, v67
	s_nop 1
	v_cndmask_b32_e64 v27, 0, v27, s[0:1]
; %bb.56:                               ;   in Loop: Header=BB187_51 Depth=1
	s_or_b64 exec, exec, s[16:17]
	global_load_dword v30, v[34:35], off offset:512
	s_waitcnt vmcnt(0)
	v_and_b32_e32 v31, 0xffff, v30
	v_lshrrev_b32_e32 v32, 16, v30
	v_cvt_pk_f32_fp8_e32 v[30:31], v31
	v_cvt_pk_f32_fp8_e32 v[36:37], v32
	v_pk_mul_f32 v[32:33], s[12:13], v[30:31]
	v_pk_mul_f32 v[30:31], s[12:13], v[36:37]
	s_and_saveexec_b64 s[16:17], vcc
; %bb.57:                               ;   in Loop: Header=BB187_51 Depth=1
	v_cmp_gt_i32_e64 s[0:1], s33, v80
	s_nop 1
	v_cndmask_b32_e64 v32, 0, v32, s[0:1]
	v_cmp_gt_i32_e64 s[0:1], s33, v81
	s_nop 1
	v_cndmask_b32_e64 v33, 0, v33, s[0:1]
	v_cmp_gt_i32_e64 s[0:1], s33, v66
	s_nop 1
	v_cndmask_b32_e64 v30, 0, v30, s[0:1]
	v_cmp_gt_i32_e64 s[0:1], s33, v67
	s_nop 1
	v_cndmask_b32_e64 v31, 0, v31, s[0:1]
; %bb.58:                               ;   in Loop: Header=BB187_51 Depth=1
	s_or_b64 exec, exec, s[16:17]
	global_load_dword v36, v[34:35], off offset:768
	;; [unrolled: 24-line block ×10, first 2 shown]
	s_waitcnt vmcnt(0)
	v_and_b32_e32 v35, 0xffff, v34
	v_lshrrev_b32_e32 v66, 16, v34
	v_cvt_pk_f32_fp8_e32 v[34:35], v35
	v_cvt_pk_f32_fp8_e32 v[82:83], v66
	v_pk_mul_f32 v[66:67], s[12:13], v[34:35]
	v_pk_mul_f32 v[34:35], s[12:13], v[82:83]
	s_and_saveexec_b64 s[0:1], vcc
	s_cbranch_execz .LBB187_49
; %bb.75:                               ;   in Loop: Header=BB187_51 Depth=1
	v_cmp_gt_i32_e32 vcc, s34, v81
	v_or_b32_e32 v81, 3, v80
	s_nop 0
	v_cndmask_b32_e32 v67, 0, v67, vcc
	v_cmp_gt_i32_e32 vcc, s33, v80
	v_or_b32_e32 v80, 2, v80
	s_nop 0
	v_cndmask_b32_e32 v66, 0, v66, vcc
	v_cmp_gt_i32_e32 vcc, s34, v81
	s_nop 1
	v_cndmask_b32_e32 v35, 0, v35, vcc
	v_cmp_gt_i32_e32 vcc, s33, v80
	s_nop 1
	v_cndmask_b32_e32 v34, 0, v34, vcc
	s_branch .LBB187_49
.LBB187_76:
	s_or_b64 exec, exec, s[6:7]
.LBB187_77:
	s_or_b64 exec, exec, s[2:3]
	ds_bpermute_b32 v2, v76, v12
	ds_bpermute_b32 v3, v76, v13
	;; [unrolled: 1-line block ×6, first 2 shown]
	s_waitcnt lgkmcnt(4)
	v_pk_add_f32 v[2:3], v[12:13], v[2:3]
	ds_bpermute_b32 v12, v75, v2
	ds_bpermute_b32 v13, v75, v3
	ds_bpermute_b32 v20, v76, v8
	ds_bpermute_b32 v21, v76, v9
	s_waitcnt lgkmcnt(6)
	v_pk_add_f32 v[14:15], v[14:15], v[18:19]
	ds_bpermute_b32 v28, v76, v6
	s_waitcnt lgkmcnt(3)
	v_pk_add_f32 v[2:3], v[2:3], v[12:13]
	ds_bpermute_b32 v12, v76, v10
	ds_bpermute_b32 v13, v76, v11
	;; [unrolled: 1-line block ×5, first 2 shown]
	v_pk_add_f32 v[4:5], v[16:17], v[4:5]
	ds_bpermute_b32 v16, v75, v4
	ds_bpermute_b32 v17, v75, v5
	s_waitcnt lgkmcnt(5)
	v_pk_add_f32 v[22:23], v[10:11], v[12:13]
	v_pk_add_f32 v[20:21], v[8:9], v[20:21]
	ds_bpermute_b32 v24, v75, v22
	ds_bpermute_b32 v25, v75, v23
	;; [unrolled: 1-line block ×4, first 2 shown]
	s_waitcnt lgkmcnt(8)
	v_pk_add_f32 v[6:7], v[6:7], v[28:29]
	s_waitcnt lgkmcnt(6)
	v_pk_add_f32 v[10:11], v[14:15], v[18:19]
	ds_bpermute_b32 v14, v75, v6
	ds_bpermute_b32 v15, v75, v7
	s_waitcnt lgkmcnt(6)
	v_pk_add_f32 v[12:13], v[4:5], v[16:17]
	v_and_b32_e32 v16, 0x3c3, v0
	s_waitcnt lgkmcnt(4)
	v_pk_add_f32 v[8:9], v[22:23], v[24:25]
	s_waitcnt lgkmcnt(2)
	v_pk_add_f32 v[4:5], v[20:21], v[26:27]
	v_cmp_ne_u32_e32 vcc, 64, v16
	s_waitcnt lgkmcnt(0)
	s_barrier
	s_and_saveexec_b64 s[0:1], vcc
	s_xor_b64 s[0:1], exec, s[0:1]
; %bb.78:
                                        ; implicit-def: $vgpr43
; %bb.79:
	s_or_saveexec_b64 s[0:1], s[0:1]
	v_pk_add_f32 v[6:7], v[6:7], v[14:15]
	s_xor_b64 exec, exec, s[0:1]
	s_cbranch_execz .LBB187_81
; %bb.80:
	v_add_u32_e32 v14, 0x310, v43
	ds_write2_b32 v14, v2, v3 offset1:16
	ds_write2_b32 v14, v12, v13 offset0:32 offset1:48
	ds_write2_b32 v14, v10, v11 offset0:64 offset1:80
	;; [unrolled: 1-line block ×5, first 2 shown]
.LBB187_81:
	s_or_b64 exec, exec, s[0:1]
	v_cmp_gt_u32_e32 vcc, 64, v0
	s_waitcnt lgkmcnt(0)
	s_barrier
	s_and_saveexec_b64 s[0:1], vcc
	s_cbranch_execz .LBB187_96
; %bb.82:
	v_mov_b32_e32 v0, 0x310
	v_cmp_eq_u32_e32 vcc, 0, v42
	v_lshl_add_u32 v0, v72, 2, v0
	s_and_saveexec_b64 s[2:3], vcc
	s_cbranch_execnz .LBB187_99
; %bb.83:
	s_or_b64 exec, exec, s[2:3]
	s_and_saveexec_b64 s[2:3], vcc
	s_cbranch_execnz .LBB187_100
.LBB187_84:
	s_or_b64 exec, exec, s[2:3]
	s_and_saveexec_b64 s[2:3], vcc
	s_cbranch_execnz .LBB187_101
.LBB187_85:
	s_or_b64 exec, exec, s[2:3]
	s_and_saveexec_b64 s[2:3], vcc
	s_cbranch_execnz .LBB187_102
.LBB187_86:
	s_or_b64 exec, exec, s[2:3]
	s_and_saveexec_b64 s[2:3], vcc
	s_cbranch_execnz .LBB187_103
.LBB187_87:
	s_or_b64 exec, exec, s[2:3]
	s_and_saveexec_b64 s[2:3], vcc
	s_cbranch_execnz .LBB187_104
.LBB187_88:
	s_or_b64 exec, exec, s[2:3]
	s_and_saveexec_b64 s[2:3], vcc
	s_cbranch_execnz .LBB187_105
.LBB187_89:
	s_or_b64 exec, exec, s[2:3]
	s_and_saveexec_b64 s[2:3], vcc
	s_cbranch_execnz .LBB187_106
.LBB187_90:
	s_or_b64 exec, exec, s[2:3]
	s_and_saveexec_b64 s[2:3], vcc
	s_cbranch_execnz .LBB187_107
.LBB187_91:
	s_or_b64 exec, exec, s[2:3]
	s_and_saveexec_b64 s[2:3], vcc
	s_cbranch_execnz .LBB187_108
.LBB187_92:
	s_or_b64 exec, exec, s[2:3]
	s_and_saveexec_b64 s[2:3], vcc
	s_cbranch_execnz .LBB187_109
.LBB187_93:
	s_or_b64 exec, exec, s[2:3]
	s_and_saveexec_b64 s[2:3], vcc
	s_cbranch_execz .LBB187_95
.LBB187_94:
	ds_read_b32 v0, v0 offset:704
	s_waitcnt lgkmcnt(0)
	v_add_f32_e32 v7, v7, v0
.LBB187_95:
	s_or_b64 exec, exec, s[2:3]
.LBB187_96:
	s_or_b64 exec, exec, s[0:1]
	v_cmp_eq_u32_e32 vcc, 0, v16
	s_barrier
	s_and_saveexec_b64 s[0:1], vcc
	s_cbranch_execz .LBB187_98
; %bb.97:
	s_mul_i32 s0, s10, s11
	s_mul_i32 s0, s0, s5
	s_mulk_i32 s0, 0xc0
	s_ashr_i32 s1, s0, 31
	s_lshl_b64 s[0:1], s[0:1], 2
	s_add_u32 s2, s26, s0
	s_mul_i32 s0, s11, s24
	s_addc_u32 s3, s27, s1
	s_ashr_i32 s1, s0, 31
	s_lshl_b64 s[0:1], s[0:1], 2
	s_add_u32 s2, s2, s0
	s_mul_i32 s0, s4, 0xc0
	s_addc_u32 s3, s3, s1
	s_ashr_i32 s1, s0, 31
	s_lshl_b64 s[0:1], s[0:1], 2
	s_add_u32 s0, s2, s0
	s_addc_u32 s1, s3, s1
	global_store_dword v1, v2, s[0:1]
	global_store_dword v1, v3, s[0:1] offset:64
	global_store_dword v1, v12, s[0:1] offset:128
	;; [unrolled: 1-line block ×11, first 2 shown]
.LBB187_98:
	s_endpgm
.LBB187_99:
	ds_read_b32 v14, v0
	s_waitcnt lgkmcnt(0)
	v_add_f32_e32 v2, v2, v14
	s_or_b64 exec, exec, s[2:3]
	s_and_saveexec_b64 s[2:3], vcc
	s_cbranch_execz .LBB187_84
.LBB187_100:
	ds_read_b32 v14, v0 offset:64
	s_waitcnt lgkmcnt(0)
	v_add_f32_e32 v3, v3, v14
	s_or_b64 exec, exec, s[2:3]
	s_and_saveexec_b64 s[2:3], vcc
	s_cbranch_execz .LBB187_85
.LBB187_101:
	ds_read_b32 v14, v0 offset:128
	s_waitcnt lgkmcnt(0)
	v_add_f32_e32 v12, v12, v14
	s_or_b64 exec, exec, s[2:3]
	s_and_saveexec_b64 s[2:3], vcc
	s_cbranch_execz .LBB187_86
.LBB187_102:
	ds_read_b32 v14, v0 offset:192
	s_waitcnt lgkmcnt(0)
	v_add_f32_e32 v13, v13, v14
	s_or_b64 exec, exec, s[2:3]
	s_and_saveexec_b64 s[2:3], vcc
	s_cbranch_execz .LBB187_87
.LBB187_103:
	ds_read_b32 v14, v0 offset:256
	s_waitcnt lgkmcnt(0)
	v_add_f32_e32 v10, v10, v14
	s_or_b64 exec, exec, s[2:3]
	s_and_saveexec_b64 s[2:3], vcc
	s_cbranch_execz .LBB187_88
.LBB187_104:
	ds_read_b32 v14, v0 offset:320
	s_waitcnt lgkmcnt(0)
	v_add_f32_e32 v11, v11, v14
	s_or_b64 exec, exec, s[2:3]
	s_and_saveexec_b64 s[2:3], vcc
	s_cbranch_execz .LBB187_89
.LBB187_105:
	ds_read_b32 v14, v0 offset:384
	s_waitcnt lgkmcnt(0)
	v_add_f32_e32 v8, v8, v14
	s_or_b64 exec, exec, s[2:3]
	s_and_saveexec_b64 s[2:3], vcc
	s_cbranch_execz .LBB187_90
.LBB187_106:
	ds_read_b32 v14, v0 offset:448
	s_waitcnt lgkmcnt(0)
	v_add_f32_e32 v9, v9, v14
	s_or_b64 exec, exec, s[2:3]
	s_and_saveexec_b64 s[2:3], vcc
	s_cbranch_execz .LBB187_91
.LBB187_107:
	ds_read_b32 v14, v0 offset:512
	s_waitcnt lgkmcnt(0)
	v_add_f32_e32 v4, v4, v14
	s_or_b64 exec, exec, s[2:3]
	s_and_saveexec_b64 s[2:3], vcc
	s_cbranch_execz .LBB187_92
.LBB187_108:
	ds_read_b32 v14, v0 offset:576
	s_waitcnt lgkmcnt(0)
	v_add_f32_e32 v5, v5, v14
	s_or_b64 exec, exec, s[2:3]
	s_and_saveexec_b64 s[2:3], vcc
	s_cbranch_execz .LBB187_93
.LBB187_109:
	ds_read_b32 v14, v0 offset:640
	s_waitcnt lgkmcnt(0)
	v_add_f32_e32 v6, v6, v14
	s_or_b64 exec, exec, s[2:3]
	s_and_saveexec_b64 s[2:3], vcc
	s_cbranch_execnz .LBB187_94
	s_branch .LBB187_95
	.section	.rodata,"a",@progbits
	.p2align	6, 0x0
	.amdhsa_kernel _ZN4vllm25paged_attention_v1_kernelIfhLi192ELi16ELi128ELNS_18Fp8KVCacheDataTypeE1ELb1EEEvPT_PKS2_PKT0_S8_ifPKiSA_iPKfiiiSC_SC_iiiii
		.amdhsa_group_segment_fixed_size 784
		.amdhsa_private_segment_fixed_size 0
		.amdhsa_kernarg_size 384
		.amdhsa_user_sgpr_count 2
		.amdhsa_user_sgpr_dispatch_ptr 0
		.amdhsa_user_sgpr_queue_ptr 0
		.amdhsa_user_sgpr_kernarg_segment_ptr 1
		.amdhsa_user_sgpr_dispatch_id 0
		.amdhsa_user_sgpr_kernarg_preload_length 0
		.amdhsa_user_sgpr_kernarg_preload_offset 0
		.amdhsa_user_sgpr_private_segment_size 0
		.amdhsa_uses_dynamic_stack 0
		.amdhsa_enable_private_segment 0
		.amdhsa_system_sgpr_workgroup_id_x 1
		.amdhsa_system_sgpr_workgroup_id_y 1
		.amdhsa_system_sgpr_workgroup_id_z 1
		.amdhsa_system_sgpr_workgroup_info 0
		.amdhsa_system_vgpr_workitem_id 0
		.amdhsa_next_free_vgpr 108
		.amdhsa_next_free_sgpr 48
		.amdhsa_accum_offset 108
		.amdhsa_reserve_vcc 1
		.amdhsa_float_round_mode_32 0
		.amdhsa_float_round_mode_16_64 0
		.amdhsa_float_denorm_mode_32 3
		.amdhsa_float_denorm_mode_16_64 3
		.amdhsa_dx10_clamp 1
		.amdhsa_ieee_mode 1
		.amdhsa_fp16_overflow 0
		.amdhsa_tg_split 0
		.amdhsa_exception_fp_ieee_invalid_op 0
		.amdhsa_exception_fp_denorm_src 0
		.amdhsa_exception_fp_ieee_div_zero 0
		.amdhsa_exception_fp_ieee_overflow 0
		.amdhsa_exception_fp_ieee_underflow 0
		.amdhsa_exception_fp_ieee_inexact 0
		.amdhsa_exception_int_div_zero 0
	.end_amdhsa_kernel
	.section	.text._ZN4vllm25paged_attention_v1_kernelIfhLi192ELi16ELi128ELNS_18Fp8KVCacheDataTypeE1ELb1EEEvPT_PKS2_PKT0_S8_ifPKiSA_iPKfiiiSC_SC_iiiii,"axG",@progbits,_ZN4vllm25paged_attention_v1_kernelIfhLi192ELi16ELi128ELNS_18Fp8KVCacheDataTypeE1ELb1EEEvPT_PKS2_PKT0_S8_ifPKiSA_iPKfiiiSC_SC_iiiii,comdat
.Lfunc_end187:
	.size	_ZN4vllm25paged_attention_v1_kernelIfhLi192ELi16ELi128ELNS_18Fp8KVCacheDataTypeE1ELb1EEEvPT_PKS2_PKT0_S8_ifPKiSA_iPKfiiiSC_SC_iiiii, .Lfunc_end187-_ZN4vllm25paged_attention_v1_kernelIfhLi192ELi16ELi128ELNS_18Fp8KVCacheDataTypeE1ELb1EEEvPT_PKS2_PKT0_S8_ifPKiSA_iPKfiiiSC_SC_iiiii
                                        ; -- End function
	.set _ZN4vllm25paged_attention_v1_kernelIfhLi192ELi16ELi128ELNS_18Fp8KVCacheDataTypeE1ELb1EEEvPT_PKS2_PKT0_S8_ifPKiSA_iPKfiiiSC_SC_iiiii.num_vgpr, 108
	.set _ZN4vllm25paged_attention_v1_kernelIfhLi192ELi16ELi128ELNS_18Fp8KVCacheDataTypeE1ELb1EEEvPT_PKS2_PKT0_S8_ifPKiSA_iPKfiiiSC_SC_iiiii.num_agpr, 0
	.set _ZN4vllm25paged_attention_v1_kernelIfhLi192ELi16ELi128ELNS_18Fp8KVCacheDataTypeE1ELb1EEEvPT_PKS2_PKT0_S8_ifPKiSA_iPKfiiiSC_SC_iiiii.numbered_sgpr, 48
	.set _ZN4vllm25paged_attention_v1_kernelIfhLi192ELi16ELi128ELNS_18Fp8KVCacheDataTypeE1ELb1EEEvPT_PKS2_PKT0_S8_ifPKiSA_iPKfiiiSC_SC_iiiii.num_named_barrier, 0
	.set _ZN4vllm25paged_attention_v1_kernelIfhLi192ELi16ELi128ELNS_18Fp8KVCacheDataTypeE1ELb1EEEvPT_PKS2_PKT0_S8_ifPKiSA_iPKfiiiSC_SC_iiiii.private_seg_size, 0
	.set _ZN4vllm25paged_attention_v1_kernelIfhLi192ELi16ELi128ELNS_18Fp8KVCacheDataTypeE1ELb1EEEvPT_PKS2_PKT0_S8_ifPKiSA_iPKfiiiSC_SC_iiiii.uses_vcc, 1
	.set _ZN4vllm25paged_attention_v1_kernelIfhLi192ELi16ELi128ELNS_18Fp8KVCacheDataTypeE1ELb1EEEvPT_PKS2_PKT0_S8_ifPKiSA_iPKfiiiSC_SC_iiiii.uses_flat_scratch, 0
	.set _ZN4vllm25paged_attention_v1_kernelIfhLi192ELi16ELi128ELNS_18Fp8KVCacheDataTypeE1ELb1EEEvPT_PKS2_PKT0_S8_ifPKiSA_iPKfiiiSC_SC_iiiii.has_dyn_sized_stack, 0
	.set _ZN4vllm25paged_attention_v1_kernelIfhLi192ELi16ELi128ELNS_18Fp8KVCacheDataTypeE1ELb1EEEvPT_PKS2_PKT0_S8_ifPKiSA_iPKfiiiSC_SC_iiiii.has_recursion, 0
	.set _ZN4vllm25paged_attention_v1_kernelIfhLi192ELi16ELi128ELNS_18Fp8KVCacheDataTypeE1ELb1EEEvPT_PKS2_PKT0_S8_ifPKiSA_iPKfiiiSC_SC_iiiii.has_indirect_call, 0
	.section	.AMDGPU.csdata,"",@progbits
; Kernel info:
; codeLenInByte = 7704
; TotalNumSgprs: 54
; NumVgprs: 108
; NumAgprs: 0
; TotalNumVgprs: 108
; ScratchSize: 0
; MemoryBound: 0
; FloatMode: 240
; IeeeMode: 1
; LDSByteSize: 784 bytes/workgroup (compile time only)
; SGPRBlocks: 6
; VGPRBlocks: 13
; NumSGPRsForWavesPerEU: 54
; NumVGPRsForWavesPerEU: 108
; AccumOffset: 108
; Occupancy: 4
; WaveLimiterHint : 1
; COMPUTE_PGM_RSRC2:SCRATCH_EN: 0
; COMPUTE_PGM_RSRC2:USER_SGPR: 2
; COMPUTE_PGM_RSRC2:TRAP_HANDLER: 0
; COMPUTE_PGM_RSRC2:TGID_X_EN: 1
; COMPUTE_PGM_RSRC2:TGID_Y_EN: 1
; COMPUTE_PGM_RSRC2:TGID_Z_EN: 1
; COMPUTE_PGM_RSRC2:TIDIG_COMP_CNT: 0
; COMPUTE_PGM_RSRC3_GFX90A:ACCUM_OFFSET: 26
; COMPUTE_PGM_RSRC3_GFX90A:TG_SPLIT: 0
	.section	.text._ZN4vllm25paged_attention_v1_kernelIfhLi256ELi16ELi128ELNS_18Fp8KVCacheDataTypeE1ELb1EEEvPT_PKS2_PKT0_S8_ifPKiSA_iPKfiiiSC_SC_iiiii,"axG",@progbits,_ZN4vllm25paged_attention_v1_kernelIfhLi256ELi16ELi128ELNS_18Fp8KVCacheDataTypeE1ELb1EEEvPT_PKS2_PKT0_S8_ifPKiSA_iPKfiiiSC_SC_iiiii,comdat
	.protected	_ZN4vllm25paged_attention_v1_kernelIfhLi256ELi16ELi128ELNS_18Fp8KVCacheDataTypeE1ELb1EEEvPT_PKS2_PKT0_S8_ifPKiSA_iPKfiiiSC_SC_iiiii ; -- Begin function _ZN4vllm25paged_attention_v1_kernelIfhLi256ELi16ELi128ELNS_18Fp8KVCacheDataTypeE1ELb1EEEvPT_PKS2_PKT0_S8_ifPKiSA_iPKfiiiSC_SC_iiiii
	.globl	_ZN4vllm25paged_attention_v1_kernelIfhLi256ELi16ELi128ELNS_18Fp8KVCacheDataTypeE1ELb1EEEvPT_PKS2_PKT0_S8_ifPKiSA_iPKfiiiSC_SC_iiiii
	.p2align	8
	.type	_ZN4vllm25paged_attention_v1_kernelIfhLi256ELi16ELi128ELNS_18Fp8KVCacheDataTypeE1ELb1EEEvPT_PKS2_PKT0_S8_ifPKiSA_iPKfiiiSC_SC_iiiii,@function
_ZN4vllm25paged_attention_v1_kernelIfhLi256ELi16ELi128ELNS_18Fp8KVCacheDataTypeE1ELb1EEEvPT_PKS2_PKT0_S8_ifPKiSA_iPKfiiiSC_SC_iiiii: ; @_ZN4vllm25paged_attention_v1_kernelIfhLi256ELi16ELi128ELNS_18Fp8KVCacheDataTypeE1ELb1EEEvPT_PKS2_PKT0_S8_ifPKiSA_iPKfiiiSC_SC_iiiii
; %bb.0:
	s_load_dword s5, s[0:1], 0x80
	s_load_dwordx2 s[6:7], s[0:1], 0x30
	s_load_dwordx2 s[36:37], s[0:1], 0x20
	s_mov_b32 s10, s3
	s_ashr_i32 s11, s3, 31
	s_lshl_b64 s[8:9], s[10:11], 2
	s_waitcnt lgkmcnt(0)
	s_add_u32 s6, s6, s8
	s_addc_u32 s7, s7, s9
	s_abs_i32 s3, s36
	v_cvt_f32_u32_e32 v1, s3
	s_sub_i32 s11, 0, s3
	s_abs_i32 s9, s5
	s_xor_b32 s8, s5, s36
	v_rcp_iflag_f32_e32 v1, v1
	s_ashr_i32 s8, s8, 31
	s_mov_b32 s44, 0
	v_mul_f32_e32 v1, 0x4f7ffffe, v1
	v_cvt_u32_f32_e32 v1, v1
	s_nop 0
	v_readfirstlane_b32 s12, v1
	s_mul_i32 s11, s11, s12
	s_mul_hi_u32 s11, s12, s11
	s_add_i32 s12, s12, s11
	s_mul_hi_u32 s11, s9, s12
	s_mul_i32 s12, s11, s3
	s_sub_i32 s9, s9, s12
	s_add_i32 s12, s11, 1
	s_sub_i32 s13, s9, s3
	s_cmp_ge_u32 s9, s3
	s_cselect_b32 s11, s12, s11
	s_cselect_b32 s9, s13, s9
	s_add_i32 s12, s11, 1
	s_cmp_ge_u32 s9, s3
	s_cselect_b32 s3, s12, s11
	s_xor_b32 s3, s3, s8
	s_sub_i32 s11, s3, s8
	s_abs_i32 s12, s11
	v_cvt_f32_u32_e32 v1, s12
	s_load_dwordx2 s[8:9], s[0:1], 0x40
	s_sub_i32 s3, 0, s12
	s_abs_i32 s13, s2
	v_rcp_iflag_f32_e32 v1, v1
	s_nop 0
	v_mul_f32_e32 v1, 0x4f7ffffe, v1
	v_cvt_u32_f32_e32 v1, v1
	s_nop 0
	v_readfirstlane_b32 s14, v1
	s_mul_i32 s3, s3, s14
	s_mul_hi_u32 s3, s14, s3
	s_add_i32 s14, s14, s3
	s_waitcnt lgkmcnt(0)
	s_cmp_eq_u64 s[8:9], 0
	s_mul_hi_u32 s14, s13, s14
	s_cbranch_scc1 .LBB188_2
; %bb.1:
	s_ashr_i32 s3, s2, 31
	s_lshl_b64 s[16:17], s[2:3], 2
	s_add_u32 s8, s8, s16
	s_addc_u32 s9, s9, s17
	s_load_dword s44, s[8:9], 0x0
.LBB188_2:
	s_load_dword s33, s[6:7], 0x0
	s_ashr_i32 s26, s11, 31
	s_load_dword s11, s[0:1], 0x88
	s_load_dwordx4 s[16:19], s[0:1], 0x48
	v_lshrrev_b32_e32 v94, 2, v0
	s_movk_i32 s3, 0x100
	s_ashr_i32 s15, s2, 31
	v_and_b32_e32 v30, 3, v0
	s_lshl_b32 s24, s2, 8
	v_cmp_gt_u32_e32 vcc, s3, v0
	v_lshlrev_b32_e32 v38, 2, v0
	v_lshlrev_b32_e32 v1, 2, v94
	s_and_saveexec_b64 s[6:7], vcc
	s_cbranch_execz .LBB188_5
; %bb.3:
	s_load_dwordx2 s[8:9], s[0:1], 0x8
	s_waitcnt lgkmcnt(0)
	s_mul_i32 s20, s16, s10
	s_ashr_i32 s21, s20, 31
	s_lshl_b64 s[20:21], s[20:21], 2
	v_lshl_add_u32 v2, v30, 8, v1
	s_add_u32 s3, s8, s20
	s_addc_u32 s16, s9, s21
	s_ashr_i32 s25, s24, 31
	s_lshl_b64 s[8:9], s[24:25], 2
	s_add_u32 s8, s3, s8
	s_addc_u32 s9, s16, s9
	global_load_dword v3, v38, s[8:9]
	s_movk_i32 s3, 0x80
	v_cmp_gt_u32_e32 vcc, s3, v0
	s_waitcnt vmcnt(0)
	ds_write_b32 v2, v3
	s_and_b64 exec, exec, vcc
	s_cbranch_execz .LBB188_5
; %bb.4:
	v_lshlrev_b32_e32 v3, 4, v94
	v_lshlrev_b32_e32 v4, 2, v30
	s_movk_i32 s3, 0x200
	v_or3_b32 v3, v3, v4, s3
	global_load_dword v3, v3, s[8:9]
	s_waitcnt vmcnt(0)
	ds_write_b32 v2, v3 offset:128
.LBB188_5:
	s_or_b64 exec, exec, s[6:7]
	s_mul_i32 s7, s14, s12
	s_sub_i32 s7, s13, s7
	s_xor_b32 s6, s15, s26
	s_add_i32 s8, s14, 1
	s_sub_i32 s9, s7, s12
	s_load_dwordx4 s[20:23], s[0:1], 0x68
	s_load_dword s3, s[0:1], 0x78
	s_cmp_ge_u32 s7, s12
	s_cselect_b32 s8, s8, s14
	s_cselect_b32 s7, s9, s7
	s_add_i32 s9, s8, 1
	s_cmp_ge_u32 s7, s12
	s_cselect_b32 s7, s9, s8
	s_waitcnt lgkmcnt(0)
	s_abs_i32 s25, s23
	v_cvt_f32_u32_e32 v2, s25
	s_xor_b32 s7, s7, s6
	s_sub_i32 s43, s7, s6
	s_sub_i32 s6, 0, s25
	v_rcp_iflag_f32_e32 v2, v2
	s_add_i32 s12, s33, -1
	s_abs_i32 s8, s12
	v_mul_f32_e32 v2, 0x4f7ffffe, v2
	v_cvt_u32_f32_e32 v2, v2
	s_barrier
	v_readfirstlane_b32 s42, v2
	s_mul_i32 s6, s6, s42
	s_mul_hi_u32 s6, s42, s6
	s_add_i32 s42, s42, s6
	s_cmp_lt_i32 s3, 0
	s_mul_hi_u32 s9, s8, s42
	s_cbranch_scc0 .LBB188_7
; %bb.6:
	s_mul_i32 s6, s20, s36
	s_add_i32 s6, s43, s6
	s_mul_i32 s6, s6, s3
	s_sub_i32 s36, 1, s6
	s_mov_b64 s[6:7], 0
	s_branch .LBB188_8
.LBB188_7:
	s_mov_b64 s[6:7], -1
                                        ; implicit-def: $sgpr36
.LBB188_8:
	s_load_dwordx2 s[28:29], s[0:1], 0x28
	s_ashr_i32 s16, s12, 31
	s_andn2_b64 vcc, exec, s[6:7]
	s_ashr_i32 s23, s23, 31
	s_cbranch_vccnz .LBB188_10
; %bb.9:
	s_mul_i32 s6, s5, s20
	s_add_i32 s2, s6, s2
	s_mul_i32 s2, s2, s3
	s_add_i32 s36, s2, 1
.LBB188_10:
	s_load_dword s2, s[0:1], 0x38
	s_load_dwordx2 s[26:27], s[0:1], 0x0
	s_load_dwordx2 s[34:35], s[0:1], 0x18
	s_load_dwordx4 s[12:15], s[0:1], 0x58
	s_xor_b32 s3, s16, s23
	s_waitcnt lgkmcnt(0)
	s_mul_i32 s30, s2, s10
	s_mul_i32 s2, s9, s25
	s_sub_i32 s2, s8, s2
	s_ashr_i32 s31, s30, 31
	s_add_i32 s6, s9, 1
	s_sub_i32 s7, s2, s25
	s_cmp_ge_u32 s2, s25
	s_cselect_b32 s6, s6, s9
	s_cselect_b32 s2, s7, s2
	s_add_i32 s7, s6, 1
	s_cmp_ge_u32 s2, s25
	s_cselect_b32 s2, s7, s6
	s_xor_b32 s2, s2, s3
	s_sub_i32 s16, s2, s3
	s_add_i32 s2, s33, 15
	s_ashr_i32 s3, s2, 31
	s_lshr_b32 s3, s3, 28
	s_add_i32 s2, s2, s3
	s_ashr_i32 s20, s2, 4
	v_lshrrev_b32_e32 v95, 6, v0
	v_cmp_gt_i32_e64 s[6:7], s20, v95
	v_mov_b32_e32 v31, 0xff7fffff
	s_mul_i32 s43, s43, s18
	v_lshrrev_b32_e32 v39, 4, v0
	v_lshlrev_b32_e32 v96, 4, v95
	v_mbcnt_lo_u32_b32 v40, -1, 0
	s_and_saveexec_b64 s[18:19], s[6:7]
	s_cbranch_execz .LBB188_22
; %bb.11:
	s_load_dwordx2 s[0:1], s[0:1], 0x10
	s_sub_i32 s45, s16, s21
	s_ashr_i32 s2, s43, 31
	v_bfe_u32 v41, v0, 2, 4
	v_mov_b32_e32 v3, 0
	s_waitcnt lgkmcnt(0)
	s_add_u32 s0, s0, s43
	s_addc_u32 s1, s1, s2
	s_abs_i32 s46, s22
	v_cvt_f32_u32_e32 v2, s46
	v_mbcnt_hi_u32_b32 v48, -1, v40
	v_mov_b32_e32 v31, v3
	v_cmp_eq_u32_e32 vcc, 0, v30
	v_rcp_iflag_f32_e32 v4, v2
	v_lshlrev_b32_e32 v2, 4, v41
	s_mov_b32 s47, s17
	v_lshlrev_b32_e32 v42, 8, v30
	v_mul_f32_e32 v4, 0x4f7ffffe, v4
	v_cvt_u32_f32_e32 v6, v4
	v_lshl_add_u64 v[4:5], s[0:1], 0, v[2:3]
	s_sub_i32 s0, 0, s46
	v_cmp_neq_f32_e64 s[2:3], s44, 0
	v_mul_lo_u32 v2, s0, v6
	s_lshl_b64 s[0:1], s[30:31], 2
	v_mul_hi_u32 v2, v6, v2
	s_add_u32 s0, s28, s0
	v_add_u32_e32 v43, v6, v2
	v_and_b32_e32 v2, 60, v39
	s_addc_u32 s1, s29, s1
	v_lshl_add_u64 v[34:35], s[0:1], 0, v[2:3]
	v_subrev_u32_e32 v2, s33, v41
	v_add_u32_e32 v45, 1, v2
	v_lshlrev_b32_e32 v2, 2, v41
	v_lshl_or_b32 v2, v95, 6, v2
	v_add_u32_e32 v46, 0x410, v2
	v_and_b32_e32 v2, 64, v48
	v_lshl_add_u64 v[32:33], v[4:5], 0, v[30:31]
	v_lshlrev_b32_e32 v44, 4, v95
	v_mov_b32_e32 v47, 0xff7fffff
	s_mov_b64 s[38:39], 0
	v_add_u32_e32 v49, 64, v2
	v_xor_b32_e32 v50, 2, v48
	v_xor_b32_e32 v51, 1, v48
	v_mov_b32_e32 v31, 0xff7fffff
	v_mov_b32_e32 v52, v95
	s_branch .LBB188_14
.LBB188_12:                             ;   in Loop: Header=BB188_14 Depth=1
	s_or_b64 exec, exec, s[40:41]
.LBB188_13:                             ;   in Loop: Header=BB188_14 Depth=1
	s_or_b64 exec, exec, s[8:9]
	v_add_u32_e32 v52, 2, v52
	v_cmp_le_i32_e64 s[0:1], s20, v52
	v_lshl_add_u64 v[34:35], v[34:35], 0, 8
	v_add_u32_e32 v44, 32, v44
	s_or_b64 s[38:39], s[0:1], s[38:39]
	v_add_u32_e32 v46, 0x80, v46
	s_andn2_b64 exec, exec, s[38:39]
	s_cbranch_execz .LBB188_21
.LBB188_14:                             ; =>This Inner Loop Header: Depth=1
	v_mul_hi_u32 v2, v44, s42
	s_waitcnt lgkmcnt(0)
	v_mul_lo_u32 v3, v2, s25
	v_sub_u32_e32 v3, v44, v3
	v_add_u32_e32 v4, 1, v2
	v_cmp_le_u32_e64 s[0:1], s25, v3
	s_nop 1
	v_cndmask_b32_e64 v2, v2, v4, s[0:1]
	v_subrev_u32_e32 v4, s25, v3
	v_cndmask_b32_e64 v3, v3, v4, s[0:1]
	v_add_u32_e32 v4, 1, v2
	v_cmp_le_u32_e64 s[0:1], s25, v3
	s_nop 1
	v_cndmask_b32_e64 v2, v2, v4, s[0:1]
	v_xor_b32_e32 v2, s23, v2
	v_subrev_u32_e32 v2, s23, v2
	v_add_u32_e32 v3, s36, v2
	v_sub_u32_e32 v5, 0, v3
	v_ashrrev_i32_e32 v4, 31, v3
	v_max_i32_e32 v3, v3, v5
	v_mul_hi_u32 v5, v3, v43
	v_mul_lo_u32 v5, v5, s46
	v_sub_u32_e32 v3, v3, v5
	v_subrev_u32_e32 v5, s46, v3
	v_cmp_le_u32_e64 s[0:1], s46, v3
	v_cmp_ge_i32_e64 s[8:9], s45, v2
	s_nop 0
	v_cndmask_b32_e64 v3, v3, v5, s[0:1]
	v_subrev_u32_e32 v5, s46, v3
	v_cmp_le_u32_e64 s[0:1], s46, v3
	s_nop 1
	v_cndmask_b32_e64 v3, v3, v5, s[0:1]
	v_xor_b32_e32 v3, v3, v4
	v_sub_u32_e32 v3, v3, v4
	v_cmp_ne_u32_e64 s[0:1], 0, v3
	s_and_b64 s[0:1], s[0:1], s[8:9]
	s_and_saveexec_b64 s[8:9], s[0:1]
	s_xor_b64 s[0:1], exec, s[8:9]
	s_cbranch_execz .LBB188_18
; %bb.15:                               ;   in Loop: Header=BB188_14 Depth=1
	s_and_saveexec_b64 s[8:9], vcc
; %bb.16:                               ;   in Loop: Header=BB188_14 Depth=1
	ds_write_b32 v46, v47
; %bb.17:                               ;   in Loop: Header=BB188_14 Depth=1
	s_or_b64 exec, exec, s[8:9]
.LBB188_18:                             ;   in Loop: Header=BB188_14 Depth=1
	s_andn2_saveexec_b64 s[8:9], s[0:1]
	s_cbranch_execz .LBB188_13
; %bb.19:                               ;   in Loop: Header=BB188_14 Depth=1
	global_load_dword v2, v[34:35], off
	s_waitcnt vmcnt(0)
	v_mad_i64_i32 v[36:37], s[0:1], v2, s47, v[32:33]
	global_load_ubyte v14, v[36:37], off
	global_load_ubyte v15, v[36:37], off offset:4
	global_load_ubyte v16, v[36:37], off offset:8
	;; [unrolled: 1-line block ×15, first 2 shown]
	ds_read_b128 v[2:5], v42
	ds_read_b128 v[26:29], v42 offset:16
	ds_read_b128 v[22:25], v42 offset:32
	;; [unrolled: 1-line block ×5, first 2 shown]
	s_load_dword s40, s[12:13], 0x0
	global_load_ubyte v58, v[36:37], off offset:1024
	global_load_ubyte v63, v[36:37], off offset:1028
	;; [unrolled: 1-line block ×4, first 2 shown]
	v_cmp_lt_i32_e64 s[0:1], v50, v49
	s_waitcnt vmcnt(19)
	v_cvt_f32_fp8_e32 v14, v14
	s_waitcnt vmcnt(18)
	v_cvt_f32_fp8_e32 v15, v15
	;; [unrolled: 2-line block ×4, first 2 shown]
	s_waitcnt lgkmcnt(0)
	v_mul_f32_e32 v14, s40, v14
	v_mul_f32_e32 v15, s40, v15
	v_mul_f32_e32 v53, v3, v15
	v_mul_f32_e32 v16, s40, v16
	v_fmac_f32_e32 v53, v2, v14
	v_mul_f32_e32 v17, s40, v17
	v_fmac_f32_e32 v53, v4, v16
	v_fmac_f32_e32 v53, v5, v17
	ds_read_b128 v[14:17], v42 offset:96
	ds_read_b128 v[2:5], v42 offset:112
	global_load_ubyte v71, v[36:37], off offset:1280
	global_load_ubyte v72, v[36:37], off offset:1284
	;; [unrolled: 1-line block ×12, first 2 shown]
	s_waitcnt vmcnt(27)
	v_cvt_f32_fp8_e32 v66, v66
	s_waitcnt vmcnt(26)
	v_cvt_f32_fp8_e32 v67, v67
	;; [unrolled: 2-line block ×4, first 2 shown]
	v_mul_f32_e32 v66, s40, v66
	v_mul_f32_e32 v67, s40, v67
	v_fmac_f32_e32 v53, v26, v66
	v_mul_f32_e32 v68, s40, v68
	v_fmac_f32_e32 v53, v27, v67
	s_waitcnt vmcnt(23)
	v_cvt_f32_fp8_e32 v26, v59
	v_mul_f32_e32 v69, s40, v69
	v_fmac_f32_e32 v53, v28, v68
	s_waitcnt vmcnt(22)
	v_cvt_f32_fp8_e32 v27, v60
	v_fmac_f32_e32 v53, v29, v69
	s_waitcnt vmcnt(21)
	v_cvt_f32_fp8_e32 v28, v61
	global_load_ubyte v83, v[36:37], off offset:2048
	global_load_ubyte v84, v[36:37], off offset:2052
	;; [unrolled: 1-line block ×8, first 2 shown]
	s_waitcnt vmcnt(28)
	v_cvt_f32_fp8_e32 v29, v62
	v_mul_f32_e32 v26, s40, v26
	v_mul_f32_e32 v27, s40, v27
	v_fmac_f32_e32 v53, v22, v26
	s_waitcnt vmcnt(27)
	v_cvt_f32_fp8_e32 v22, v54
	v_mul_f32_e32 v28, s40, v28
	v_fmac_f32_e32 v53, v23, v27
	s_waitcnt vmcnt(26)
	v_cvt_f32_fp8_e32 v23, v55
	;; [unrolled: 4-line block ×3, first 2 shown]
	v_fmac_f32_e32 v53, v25, v29
	s_waitcnt vmcnt(24)
	v_cvt_f32_fp8_e32 v25, v57
	v_mul_f32_e32 v22, s40, v22
	v_mul_f32_e32 v23, s40, v23
	v_fmac_f32_e32 v53, v18, v22
	v_mul_f32_e32 v24, s40, v24
	v_fmac_f32_e32 v53, v19, v23
	s_waitcnt vmcnt(23)
	v_cvt_f32_fp8_e32 v18, v58
	v_mul_f32_e32 v25, s40, v25
	v_fmac_f32_e32 v53, v20, v24
	s_waitcnt vmcnt(22)
	v_cvt_f32_fp8_e32 v19, v63
	v_fmac_f32_e32 v53, v21, v25
	global_load_ubyte v86, v[36:37], off offset:2560
	global_load_ubyte v87, v[36:37], off offset:2564
	;; [unrolled: 1-line block ×8, first 2 shown]
	s_waitcnt vmcnt(29)
	v_cvt_f32_fp8_e32 v20, v64
	s_waitcnt vmcnt(28)
	v_cvt_f32_fp8_e32 v21, v65
	v_mul_f32_e32 v18, s40, v18
	v_mul_f32_e32 v19, s40, v19
	v_fmac_f32_e32 v53, v10, v18
	v_mul_f32_e32 v20, s40, v20
	v_fmac_f32_e32 v53, v11, v19
	v_mul_f32_e32 v21, s40, v21
	v_fmac_f32_e32 v53, v12, v20
	v_fmac_f32_e32 v53, v13, v21
	global_load_ubyte v55, v[36:37], off offset:3072
	global_load_ubyte v56, v[36:37], off offset:3076
	;; [unrolled: 1-line block ×12, first 2 shown]
	s_waitcnt vmcnt(39)
	v_cvt_f32_fp8_e32 v10, v71
	s_waitcnt vmcnt(38)
	v_cvt_f32_fp8_e32 v11, v72
	;; [unrolled: 2-line block ×4, first 2 shown]
	v_mul_f32_e32 v10, s40, v10
	v_mul_f32_e32 v11, s40, v11
	v_fmac_f32_e32 v53, v6, v10
	s_waitcnt vmcnt(35)
	v_cvt_f32_fp8_e32 v6, v75
	v_mul_f32_e32 v12, s40, v12
	v_fmac_f32_e32 v53, v7, v11
	s_waitcnt vmcnt(34)
	v_cvt_f32_fp8_e32 v7, v76
	;; [unrolled: 4-line block ×3, first 2 shown]
	v_fmac_f32_e32 v53, v9, v13
	s_waitcnt vmcnt(32)
	v_cvt_f32_fp8_e32 v9, v78
	v_mul_f32_e32 v6, s40, v6
	v_mul_f32_e32 v7, s40, v7
	s_waitcnt lgkmcnt(1)
	v_fmac_f32_e32 v53, v14, v6
	v_mul_f32_e32 v8, s40, v8
	v_fmac_f32_e32 v53, v15, v7
	v_mul_f32_e32 v9, s40, v9
	v_fmac_f32_e32 v53, v16, v8
	v_fmac_f32_e32 v53, v17, v9
	ds_read_b128 v[10:13], v42 offset:128
	ds_read_b128 v[6:9], v42 offset:144
	global_load_ubyte v63, v[36:37], off offset:3840
	global_load_ubyte v64, v[36:37], off offset:3844
	;; [unrolled: 1-line block ×3, first 2 shown]
	s_nop 0
	global_load_ubyte v36, v[36:37], off offset:3852
	s_waitcnt vmcnt(35)
	v_cvt_f32_fp8_e32 v14, v79
	s_waitcnt vmcnt(34)
	v_cvt_f32_fp8_e32 v15, v80
	;; [unrolled: 2-line block ×5, first 2 shown]
	v_mul_f32_e32 v14, s40, v14
	s_waitcnt vmcnt(30)
	v_cvt_f32_fp8_e32 v19, v84
	v_mul_f32_e32 v15, s40, v15
	s_waitcnt lgkmcnt(2)
	v_fmac_f32_e32 v53, v2, v14
	v_mul_f32_e32 v16, s40, v16
	v_fmac_f32_e32 v53, v3, v15
	s_waitcnt vmcnt(29)
	v_cvt_f32_fp8_e32 v37, v85
	v_mul_f32_e32 v17, s40, v17
	v_fmac_f32_e32 v53, v4, v16
	v_fmac_f32_e32 v53, v5, v17
	v_mul_f32_e32 v18, s40, v18
	v_mul_f32_e32 v19, s40, v19
	s_waitcnt lgkmcnt(1)
	v_fmac_f32_e32 v53, v10, v18
	v_fmac_f32_e32 v53, v11, v19
	v_mul_f32_e32 v10, s40, v37
	s_waitcnt vmcnt(28)
	v_cvt_f32_fp8_e32 v11, v66
	v_fmac_f32_e32 v53, v12, v10
	s_waitcnt vmcnt(27)
	v_cvt_f32_fp8_e32 v12, v67
	s_waitcnt vmcnt(26)
	v_cvt_f32_fp8_e32 v37, v68
	;; [unrolled: 2-line block ×4, first 2 shown]
	v_mul_f32_e32 v11, s40, v11
	s_waitcnt vmcnt(23)
	v_cvt_f32_fp8_e32 v68, v86
	v_mul_f32_e32 v12, s40, v12
	v_fmac_f32_e32 v53, v13, v11
	ds_read_b128 v[14:17], v42 offset:160
	ds_read_b128 v[2:5], v42 offset:176
	s_waitcnt vmcnt(22)
	v_cvt_f32_fp8_e32 v69, v87
	v_mul_f32_e32 v37, s40, v37
	s_waitcnt lgkmcnt(2)
	v_fmac_f32_e32 v53, v6, v12
	s_waitcnt vmcnt(21)
	v_cvt_f32_fp8_e32 v70, v88
	v_mul_f32_e32 v66, s40, v66
	v_fmac_f32_e32 v53, v7, v37
	v_mul_f32_e32 v67, s40, v67
	s_waitcnt vmcnt(20)
	v_cvt_f32_fp8_e32 v26, v26
	v_fmac_f32_e32 v53, v8, v66
	v_mul_f32_e32 v68, s40, v68
	s_waitcnt vmcnt(19)
	v_cvt_f32_fp8_e32 v22, v22
	;; [unrolled: 4-line block ×3, first 2 shown]
	s_waitcnt lgkmcnt(1)
	v_fmac_f32_e32 v53, v14, v68
	v_mul_f32_e32 v70, s40, v70
	s_waitcnt vmcnt(17)
	v_cvt_f32_fp8_e32 v24, v24
	v_fmac_f32_e32 v53, v15, v69
	v_mul_f32_e32 v26, s40, v26
	s_waitcnt vmcnt(16)
	v_cvt_f32_fp8_e32 v25, v25
	v_fmac_f32_e32 v53, v16, v70
	ds_read_b128 v[18:21], v42 offset:192
	v_mul_f32_e32 v22, s40, v22
	s_waitcnt vmcnt(15)
	v_cvt_f32_fp8_e32 v55, v55
	v_fmac_f32_e32 v53, v17, v26
	v_mul_f32_e32 v23, s40, v23
	s_waitcnt vmcnt(14)
	v_cvt_f32_fp8_e32 v56, v56
	s_waitcnt lgkmcnt(1)
	v_fmac_f32_e32 v53, v2, v22
	v_mul_f32_e32 v24, s40, v24
	s_waitcnt vmcnt(13)
	v_cvt_f32_fp8_e32 v57, v57
	v_fmac_f32_e32 v53, v3, v23
	v_mul_f32_e32 v25, s40, v25
	s_waitcnt vmcnt(12)
	v_cvt_f32_fp8_e32 v58, v58
	v_fmac_f32_e32 v53, v4, v24
	v_mul_f32_e32 v55, s40, v55
	s_waitcnt vmcnt(11)
	v_cvt_f32_fp8_e32 v27, v27
	v_fmac_f32_e32 v53, v5, v25
	ds_read_b128 v[2:5], v42 offset:208
	v_mul_f32_e32 v56, s40, v56
	s_waitcnt vmcnt(10)
	v_cvt_f32_fp8_e32 v28, v28
	s_waitcnt lgkmcnt(1)
	v_fmac_f32_e32 v53, v18, v55
	v_mul_f32_e32 v57, s40, v57
	s_waitcnt vmcnt(9)
	v_cvt_f32_fp8_e32 v29, v29
	v_fmac_f32_e32 v53, v19, v56
	v_mul_f32_e32 v58, s40, v58
	s_waitcnt vmcnt(8)
	v_cvt_f32_fp8_e32 v54, v54
	v_fmac_f32_e32 v53, v57, v20
	v_mul_f32_e32 v27, s40, v27
	s_waitcnt vmcnt(7)
	v_cvt_f32_fp8_e32 v59, v59
	v_fmac_f32_e32 v53, v58, v21
	ds_read_b128 v[6:9], v42 offset:224
	;; [unrolled: 18-line block ×3, first 2 shown]
	v_mul_f32_e32 v60, s40, v60
	s_waitcnt vmcnt(2)
	v_cvt_f32_fp8_e32 v64, v64
	s_waitcnt lgkmcnt(1)
	v_fmac_f32_e32 v53, v59, v6
	v_mul_f32_e32 v61, s40, v61
	s_waitcnt vmcnt(1)
	v_cvt_f32_fp8_e32 v65, v65
	v_fmac_f32_e32 v53, v60, v7
	v_mul_f32_e32 v62, s40, v62
	s_waitcnt vmcnt(0)
	v_cvt_f32_fp8_e32 v36, v36
	v_fmac_f32_e32 v53, v61, v8
	v_mul_f32_e32 v63, s40, v63
	v_fmac_f32_e32 v53, v62, v9
	v_mul_f32_e32 v64, s40, v64
	s_waitcnt lgkmcnt(0)
	v_fmac_f32_e32 v53, v63, v2
	v_mul_f32_e32 v65, s40, v65
	v_fmac_f32_e32 v53, v64, v3
	v_cndmask_b32_e64 v10, v48, v50, s[0:1]
	v_mul_f32_e32 v36, s40, v36
	v_fmac_f32_e32 v53, v65, v4
	v_lshlrev_b32_e32 v10, 2, v10
	v_fmac_f32_e32 v53, v36, v5
	ds_bpermute_b32 v2, v10, v53
	v_cmp_lt_i32_e64 s[0:1], v51, v49
	s_waitcnt lgkmcnt(0)
	v_add_f32_e32 v2, v53, v2
	v_cndmask_b32_e64 v3, v48, v51, s[0:1]
	v_lshlrev_b32_e32 v3, 2, v3
	ds_bpermute_b32 v3, v3, v2
	s_and_saveexec_b64 s[40:41], vcc
	s_cbranch_execz .LBB188_12
; %bb.20:                               ;   in Loop: Header=BB188_14 Depth=1
	v_add_u32_e32 v4, v45, v44
	v_cvt_f32_i32_e32 v4, v4
	s_waitcnt lgkmcnt(0)
	v_add_f32_e32 v2, v2, v3
	v_add_u32_e32 v5, v41, v44
	v_cmp_gt_i32_e64 s[0:1], s33, v5
	v_mul_f32_e32 v3, s44, v4
	v_cndmask_b32_e64 v3, 0, v3, s[2:3]
	v_fmac_f32_e32 v3, s37, v2
	v_cndmask_b32_e64 v2, 0, v3, s[0:1]
	ds_write_b32 v46, v2
	v_max_f32_e32 v2, v31, v31
	v_max_f32_e32 v2, v2, v3
	v_cndmask_b32_e64 v31, v31, v2, s[0:1]
	s_branch .LBB188_12
.LBB188_21:
	s_or_b64 exec, exec, s[38:39]
.LBB188_22:
	s_or_b64 exec, exec, s[18:19]
	v_mbcnt_hi_u32_b32 v2, -1, v40
	v_and_b32_e32 v10, 64, v2
	s_waitcnt lgkmcnt(0)
	v_add_u32_e32 v3, 64, v10
	v_xor_b32_e32 v4, 32, v2
	v_cmp_lt_i32_e32 vcc, v4, v3
	v_xor_b32_e32 v7, 16, v2
	v_max_f32_e32 v6, v31, v31
	v_cndmask_b32_e32 v4, v2, v4, vcc
	v_lshlrev_b32_e32 v4, 2, v4
	ds_bpermute_b32 v5, v4, v31
	v_cmp_lt_i32_e32 vcc, v7, v3
	v_xor_b32_e32 v8, 8, v2
	v_xor_b32_e32 v9, 4, v2
	v_and_b32_e32 v31, 63, v0
	s_waitcnt lgkmcnt(0)
	v_max_f32_e32 v5, v5, v5
	v_max_f32_e32 v6, v6, v5
	v_cndmask_b32_e32 v5, v2, v7, vcc
	v_lshlrev_b32_e32 v5, 2, v5
	ds_bpermute_b32 v7, v5, v6
	v_cmp_lt_i32_e32 vcc, v8, v3
	s_waitcnt lgkmcnt(0)
	v_max_f32_e32 v7, v7, v7
	v_max_f32_e32 v6, v6, v7
	v_cndmask_b32_e32 v7, v2, v8, vcc
	v_lshlrev_b32_e32 v8, 2, v7
	ds_bpermute_b32 v7, v8, v6
	v_cmp_lt_i32_e32 vcc, v9, v3
	s_waitcnt lgkmcnt(0)
	v_max_f32_e32 v7, v7, v7
	v_max_f32_e32 v7, v6, v7
	v_cndmask_b32_e32 v6, v2, v9, vcc
	v_lshlrev_b32_e32 v9, 2, v6
	ds_bpermute_b32 v11, v9, v7
	v_cmp_eq_u32_e32 vcc, 0, v31
	v_lshlrev_b32_e32 v6, 2, v95
	s_and_saveexec_b64 s[0:1], vcc
	s_cbranch_execz .LBB188_24
; %bb.23:
	s_waitcnt lgkmcnt(0)
	v_max_f32_e32 v11, v11, v11
	v_max_f32_e32 v7, v7, v7
	;; [unrolled: 1-line block ×3, first 2 shown]
	ds_write_b32 v6, v7 offset:1024
.LBB188_24:
	s_or_b64 exec, exec, s[0:1]
	v_cmp_gt_u32_e64 s[0:1], 2, v31
	s_waitcnt lgkmcnt(0)
	v_mov_b32_e32 v11, 0xff7fffff
	v_lshlrev_b32_e32 v7, 2, v31
	s_barrier
	s_and_saveexec_b64 s[2:3], s[0:1]
; %bb.25:
	ds_read_b32 v11, v7 offset:1024
; %bb.26:
	s_or_b64 exec, exec, s[2:3]
	v_xor_b32_e32 v12, 1, v2
	v_cmp_lt_i32_e64 s[2:3], v12, v3
	v_lshlrev_b32_e32 v10, 2, v10
	s_nop 0
	v_cndmask_b32_e64 v12, v2, v12, s[2:3]
	v_lshlrev_b32_e32 v97, 2, v12
	s_waitcnt lgkmcnt(0)
	ds_bpermute_b32 v12, v97, v11
	v_max_f32_e32 v11, v11, v11
	s_lshl_b32 s2, s20, 4
	s_min_i32 s37, s2, s33
	v_cmp_gt_i32_e64 s[2:3], s37, v0
	s_waitcnt lgkmcnt(0)
	v_max_f32_e32 v12, v12, v12
	v_max_f32_e32 v11, v11, v12
	ds_bpermute_b32 v11, v10, v11
	v_mov_b32_e32 v10, 0
	s_and_saveexec_b64 s[12:13], s[2:3]
	s_cbranch_execz .LBB188_30
; %bb.27:
	v_mov_b32_e32 v10, 0x410
	v_lshl_add_u32 v12, v0, 2, v10
	v_mov_b32_e32 v10, 0
	s_mov_b64 s[18:19], 0
	v_mov_b32_e32 v13, v0
.LBB188_28:                             ; =>This Inner Loop Header: Depth=1
	ds_read_b32 v14, v12
	v_add_u32_e32 v13, 0x80, v13
	v_cmp_le_i32_e64 s[8:9], s37, v13
	s_or_b64 s[18:19], s[8:9], s[18:19]
	s_waitcnt lgkmcnt(0)
	v_sub_f32_e32 v14, v14, v11
	v_mul_f32_e32 v14, 0x3fb8aa3b, v14
	v_exp_f32_e32 v14, v14
	ds_write_b32 v12, v14
	v_add_f32_e32 v10, v10, v14
	v_add_u32_e32 v12, 0x200, v12
	s_andn2_b64 exec, exec, s[18:19]
	s_cbranch_execnz .LBB188_28
; %bb.29:
	s_or_b64 exec, exec, s[18:19]
.LBB188_30:
	s_or_b64 exec, exec, s[12:13]
	ds_bpermute_b32 v4, v4, v10
	s_waitcnt lgkmcnt(0)
	v_add_f32_e32 v4, v10, v4
	ds_bpermute_b32 v5, v5, v4
	s_waitcnt lgkmcnt(0)
	v_add_f32_e32 v4, v4, v5
	ds_bpermute_b32 v5, v8, v4
	v_xor_b32_e32 v8, 2, v2
	v_cmp_lt_i32_e64 s[8:9], v8, v3
	s_waitcnt lgkmcnt(0)
	v_add_f32_e32 v4, v4, v5
	ds_bpermute_b32 v5, v9, v4
	v_cndmask_b32_e64 v3, v2, v8, s[8:9]
	v_lshlrev_b32_e32 v98, 2, v3
	s_waitcnt lgkmcnt(0)
	v_add_f32_e32 v4, v4, v5
	ds_bpermute_b32 v3, v98, v4
	s_waitcnt lgkmcnt(0)
	v_add_f32_e32 v3, v4, v3
	ds_bpermute_b32 v4, v97, v3
	s_waitcnt lgkmcnt(0)
	v_add_f32_e32 v3, v3, v4
	s_and_saveexec_b64 s[8:9], vcc
; %bb.31:
	ds_write_b32 v6, v3 offset:1032
; %bb.32:
	s_or_b64 exec, exec, s[8:9]
	s_waitcnt lgkmcnt(0)
	s_barrier
	s_and_saveexec_b64 s[8:9], s[0:1]
; %bb.33:
	ds_read_b32 v3, v7 offset:1032
; %bb.34:
	s_or_b64 exec, exec, s[8:9]
	s_waitcnt lgkmcnt(0)
	ds_bpermute_b32 v4, v97, v3
	v_lshlrev_b32_e32 v2, 2, v2
	v_and_b32_e32 v2, 0x100, v2
	s_waitcnt lgkmcnt(0)
	v_add_f32_e32 v3, v3, v4
	ds_bpermute_b32 v2, v2, v3
	s_and_saveexec_b64 s[0:1], s[2:3]
	s_cbranch_execz .LBB188_47
; %bb.35:
	s_waitcnt lgkmcnt(0)
	v_add_f32_e32 v2, 0x358637bd, v2
	v_div_scale_f32 v3, s[2:3], v2, v2, 1.0
	v_rcp_f32_e32 v4, v3
	v_div_scale_f32 v5, vcc, 1.0, v2, 1.0
	s_movk_i32 s2, 0x7f
	v_fma_f32 v6, -v3, v4, 1.0
	v_fmac_f32_e32 v4, v6, v4
	v_mul_f32_e32 v6, v5, v4
	v_fma_f32 v7, -v3, v6, v5
	v_fmac_f32_e32 v6, v7, v4
	v_fma_f32 v3, -v3, v6, v5
	v_div_fmas_f32 v3, v3, v4, v6
	v_xad_u32 v4, v0, -1, s37
	v_div_fixup_f32 v2, v3, v2, 1.0
	v_cmp_lt_u32_e32 vcc, s2, v4
	s_mov_b64 s[8:9], -1
	v_mov_b32_e32 v3, v0
	s_and_saveexec_b64 s[2:3], vcc
	s_cbranch_execz .LBB188_44
; %bb.36:
	v_lshrrev_b32_e32 v4, 7, v4
	v_add_u32_e32 v6, -1, v4
	v_lshrrev_b32_e32 v5, 1, v6
	v_mov_b32_e32 v3, v2
	v_add_u32_e32 v5, 1, v5
	v_cmp_lt_u32_e32 vcc, 13, v6
	v_mov_b32_e32 v8, 0
	s_and_saveexec_b64 s[8:9], vcc
	s_cbranch_execz .LBB188_40
; %bb.37:
	v_mov_b32_e32 v7, 0x410
	v_and_b32_e32 v6, -8, v5
	v_lshl_add_u32 v7, v0, 2, v7
	s_mov_b32 s18, 0
	s_mov_b64 s[12:13], 0
.LBB188_38:                             ; =>This Inner Loop Header: Depth=1
	ds_read2st64_b32 v[8:9], v7 offset1:2
	ds_read2st64_b32 v[10:11], v7 offset0:4 offset1:6
	ds_read2st64_b32 v[12:13], v7 offset0:8 offset1:10
	;; [unrolled: 1-line block ×3, first 2 shown]
	v_add_u32_e32 v6, -8, v6
	s_waitcnt lgkmcnt(3)
	v_pk_mul_f32 v[8:9], v[2:3], v[8:9]
	s_waitcnt lgkmcnt(2)
	v_pk_mul_f32 v[10:11], v[2:3], v[10:11]
	ds_write2st64_b32 v7, v8, v9 offset1:2
	ds_write2st64_b32 v7, v10, v11 offset0:4 offset1:6
	ds_read2st64_b32 v[10:11], v7 offset0:16 offset1:18
	s_waitcnt lgkmcnt(4)
	v_pk_mul_f32 v[8:9], v[2:3], v[12:13]
	ds_write2st64_b32 v7, v8, v9 offset0:8 offset1:10
	s_waitcnt lgkmcnt(4)
	v_pk_mul_f32 v[8:9], v[2:3], v[14:15]
	ds_write2st64_b32 v7, v8, v9 offset0:12 offset1:14
	ds_read2st64_b32 v[8:9], v7 offset0:20 offset1:22
	s_waitcnt lgkmcnt(3)
	v_pk_mul_f32 v[10:11], v[2:3], v[10:11]
	ds_read2st64_b32 v[12:13], v7 offset0:24 offset1:26
	ds_write2st64_b32 v7, v10, v11 offset0:16 offset1:18
	ds_read2st64_b32 v[10:11], v7 offset0:28 offset1:30
	s_waitcnt lgkmcnt(3)
	v_pk_mul_f32 v[8:9], v[2:3], v[8:9]
	ds_write2st64_b32 v7, v8, v9 offset0:20 offset1:22
	s_waitcnt lgkmcnt(3)
	v_pk_mul_f32 v[8:9], v[2:3], v[12:13]
	ds_write2st64_b32 v7, v8, v9 offset0:24 offset1:26
	s_waitcnt lgkmcnt(2)
	v_pk_mul_f32 v[8:9], v[2:3], v[10:11]
	s_add_i32 s18, s18, 16
	v_cmp_eq_u32_e32 vcc, 0, v6
	ds_write2st64_b32 v7, v8, v9 offset0:28 offset1:30
	v_add_u32_e32 v7, 0x2000, v7
	s_or_b64 s[12:13], vcc, s[12:13]
	v_mov_b32_e32 v8, s18
	s_andn2_b64 exec, exec, s[12:13]
	s_cbranch_execnz .LBB188_38
; %bb.39:
	s_or_b64 exec, exec, s[12:13]
.LBB188_40:
	s_or_b64 exec, exec, s[8:9]
	v_and_b32_e32 v5, 7, v5
	v_cmp_ne_u32_e32 vcc, 0, v5
	s_and_saveexec_b64 s[8:9], vcc
	s_cbranch_execz .LBB188_43
; %bb.41:
	v_lshlrev_b32_e32 v6, 9, v8
	s_movk_i32 s12, 0x410
	v_add3_u32 v6, v6, v38, s12
	s_mov_b64 s[12:13], 0
.LBB188_42:                             ; =>This Inner Loop Header: Depth=1
	ds_read2st64_b32 v[8:9], v6 offset1:2
	v_add_u32_e32 v5, -1, v5
	v_cmp_eq_u32_e32 vcc, 0, v5
	s_or_b64 s[12:13], vcc, s[12:13]
	s_waitcnt lgkmcnt(0)
	v_pk_mul_f32 v[8:9], v[2:3], v[8:9]
	ds_write2st64_b32 v6, v8, v9 offset1:2
	v_add_u32_e32 v6, 0x400, v6
	s_andn2_b64 exec, exec, s[12:13]
	s_cbranch_execnz .LBB188_42
.LBB188_43:
	s_or_b64 exec, exec, s[8:9]
	v_add_u32_e32 v4, 1, v4
	v_and_b32_e32 v5, 0x3fffffe, v4
	v_cmp_ne_u32_e32 vcc, v4, v5
	v_lshl_add_u32 v3, v5, 7, v0
	s_orn2_b64 s[8:9], vcc, exec
.LBB188_44:
	s_or_b64 exec, exec, s[2:3]
	s_and_b64 exec, exec, s[8:9]
	s_cbranch_execz .LBB188_47
; %bb.45:
	v_mov_b32_e32 v4, 0x410
	v_lshl_add_u32 v4, v3, 2, v4
	s_mov_b64 s[2:3], 0
.LBB188_46:                             ; =>This Inner Loop Header: Depth=1
	ds_read_b32 v5, v4
	v_add_u32_e32 v3, 0x80, v3
	v_cmp_le_i32_e32 vcc, s37, v3
	s_or_b64 s[2:3], vcc, s[2:3]
	s_waitcnt lgkmcnt(0)
	v_mul_f32_e32 v5, v2, v5
	ds_write_b32 v4, v5
	v_add_u32_e32 v4, 0x200, v4
	s_andn2_b64 exec, exec, s[2:3]
	s_cbranch_execnz .LBB188_46
.LBB188_47:
	s_or_b64 exec, exec, s[0:1]
	v_mov_b32_e32 v7, 0
	v_mov_b32_e32 v6, 0
	v_mov_b32_e32 v9, 0
	v_mov_b32_e32 v8, 0
	v_mov_b32_e32 v11, 0
	v_mov_b32_e32 v10, 0
	v_mov_b32_e32 v13, 0
	v_mov_b32_e32 v12, 0
	v_mov_b32_e32 v15, 0
	v_mov_b32_e32 v14, 0
	v_mov_b32_e32 v17, 0
	v_mov_b32_e32 v16, 0
	v_mov_b32_e32 v19, 0
	v_mov_b32_e32 v18, 0
	v_mov_b32_e32 v21, 0
	v_mov_b32_e32 v20, 0
	s_waitcnt lgkmcnt(0)
	s_barrier
	s_and_saveexec_b64 s[2:3], s[6:7]
	s_cbranch_execz .LBB188_85
; %bb.48:
	s_sub_i32 s21, s16, s21
	s_ashr_i32 s0, s43, 31
	s_add_u32 s6, s34, s43
	s_addc_u32 s7, s35, s0
	s_abs_i32 s22, s22
	v_cvt_f32_u32_e32 v2, s22
	s_sub_i32 s0, 0, s22
	s_add_i32 s35, s20, -1
	v_mov_b32_e32 v23, 0
	v_rcp_iflag_f32_e32 v2, v2
	v_and_b32_e32 v99, 12, v38
	s_mov_b32 s34, s17
	v_and_b32_e32 v22, 0xfc, v38
	v_mul_f32_e32 v2, 0x4f7ffffe, v2
	v_cvt_u32_f32_e32 v2, v2
	v_or_b32_e32 v24, 0xf00, v38
	v_mov_b32_e32 v25, v23
	s_mov_b32 s37, s33
	v_mul_lo_u32 v3, s0, v2
	s_lshl_b64 s[0:1], s[30:31], 2
	v_mul_hi_u32 v3, v2, v3
	s_add_u32 s0, s28, s0
	v_add_u32_e32 v100, v2, v3
	v_and_b32_e32 v2, 60, v39
	v_mov_b32_e32 v3, v23
	s_addc_u32 s1, s29, s1
	v_lshl_add_u64 v[26:27], s[0:1], 0, v[2:3]
	v_lshlrev_b32_e32 v2, 4, v30
	v_lshl_or_b32 v2, v95, 6, v2
	v_add_u32_e32 v101, 0x410, v2
	s_mov_b64 s[8:9], 0
	v_mov_b32_e32 v20, v23
	v_mov_b32_e32 v21, v23
	;; [unrolled: 1-line block ×16, first 2 shown]
	s_branch .LBB188_51
.LBB188_49:                             ;   in Loop: Header=BB188_51 Depth=1
	s_or_b64 exec, exec, s[0:1]
	v_mul_f32_e32 v92, v2, v92
	v_mul_f32_e32 v88, v2, v88
	;; [unrolled: 1-line block ×15, first 2 shown]
	v_fmac_f32_e32 v92, v3, v93
	v_fmac_f32_e32 v88, v3, v89
	;; [unrolled: 1-line block ×30, first 2 shown]
	v_pk_mul_f32 v[2:3], v[2:3], v[48:49]
	v_fmac_f32_e32 v92, v5, v91
	v_fmac_f32_e32 v88, v5, v87
	;; [unrolled: 1-line block ×15, first 2 shown]
	v_pk_mul_f32 v[4:5], v[4:5], v[42:43]
	v_add_f32_e32 v2, v3, v2
	v_add_f32_e32 v2, v4, v2
	;; [unrolled: 1-line block ×19, first 2 shown]
.LBB188_50:                             ;   in Loop: Header=BB188_51 Depth=1
	s_or_b64 exec, exec, s[12:13]
	v_add_u32_e32 v95, 2, v95
	v_cmp_le_i32_e32 vcc, s20, v95
	v_lshl_add_u64 v[26:27], v[26:27], 0, 8
	v_add_u32_e32 v96, 32, v96
	s_or_b64 s[8:9], vcc, s[8:9]
	v_add_u32_e32 v101, 0x80, v101
	s_andn2_b64 exec, exec, s[8:9]
	s_cbranch_execz .LBB188_84
.LBB188_51:                             ; =>This Inner Loop Header: Depth=1
	v_mul_hi_u32 v2, v96, s42
	v_mul_lo_u32 v3, v2, s25
	v_sub_u32_e32 v3, v96, v3
	v_add_u32_e32 v4, 1, v2
	v_cmp_le_u32_e32 vcc, s25, v3
	s_nop 1
	v_cndmask_b32_e32 v2, v2, v4, vcc
	v_subrev_u32_e32 v4, s25, v3
	v_cndmask_b32_e32 v3, v3, v4, vcc
	v_add_u32_e32 v4, 1, v2
	v_cmp_le_u32_e32 vcc, s25, v3
	s_nop 1
	v_cndmask_b32_e32 v2, v2, v4, vcc
	v_xor_b32_e32 v2, s23, v2
	v_subrev_u32_e32 v2, s23, v2
	v_add_u32_e32 v3, s36, v2
	v_sub_u32_e32 v5, 0, v3
	v_ashrrev_i32_e32 v4, 31, v3
	v_max_i32_e32 v3, v3, v5
	v_mul_hi_u32 v5, v3, v100
	v_mul_lo_u32 v5, v5, s22
	v_sub_u32_e32 v3, v3, v5
	v_subrev_u32_e32 v5, s22, v3
	v_cmp_le_u32_e32 vcc, s22, v3
	v_cmp_lt_i32_e64 s[0:1], s21, v2
	s_nop 0
	v_cndmask_b32_e32 v3, v3, v5, vcc
	v_subrev_u32_e32 v5, s22, v3
	v_cmp_le_u32_e32 vcc, s22, v3
	s_nop 1
	v_cndmask_b32_e32 v3, v3, v5, vcc
	v_xor_b32_e32 v3, v3, v4
	v_sub_u32_e32 v3, v3, v4
	v_cmp_eq_u32_e32 vcc, 0, v3
	s_or_b64 s[0:1], vcc, s[0:1]
	s_and_saveexec_b64 s[12:13], s[0:1]
	s_cbranch_execz .LBB188_50
; %bb.52:                               ;   in Loop: Header=BB188_51 Depth=1
	global_load_dword v4, v[26:27], off
	v_mov_b64_e32 v[2:3], s[6:7]
	s_load_dword s16, s[14:15], 0x0
	v_add_u32_e32 v102, v99, v96
	v_cmp_eq_u32_e32 vcc, s35, v95
	v_add_u32_e32 v103, 1, v102
	v_add_u32_e32 v104, 2, v102
	;; [unrolled: 1-line block ×3, first 2 shown]
	s_waitcnt vmcnt(0)
	v_mad_i64_i32 v[42:43], s[0:1], v4, s34, v[2:3]
	v_lshl_add_u64 v[48:49], v[42:43], 0, v[22:23]
	global_load_dword v28, v[48:49], off
	ds_read_b128 v[2:5], v101
	s_waitcnt vmcnt(0)
	v_and_b32_e32 v29, 0xffff, v28
	v_lshrrev_b32_e32 v32, 16, v28
	v_cvt_pk_f32_fp8_e32 v[28:29], v29
	v_cvt_pk_f32_fp8_e32 v[34:35], v32
	s_waitcnt lgkmcnt(0)
	v_pk_mul_f32 v[32:33], v[28:29], s[16:17] op_sel_hi:[1,0]
	v_pk_mul_f32 v[28:29], s[16:17], v[34:35] op_sel_hi:[0,1]
	s_and_saveexec_b64 s[18:19], vcc
; %bb.53:                               ;   in Loop: Header=BB188_51 Depth=1
	v_cmp_gt_i32_e64 s[0:1], s33, v102
	s_nop 1
	v_cndmask_b32_e64 v32, 0, v32, s[0:1]
	v_cmp_gt_i32_e64 s[0:1], s33, v103
	s_nop 1
	v_cndmask_b32_e64 v33, 0, v33, s[0:1]
	v_cmp_gt_i32_e64 s[0:1], s33, v104
	s_nop 1
	v_cndmask_b32_e64 v28, 0, v28, s[0:1]
	v_cmp_gt_i32_e64 s[0:1], s33, v105
	s_nop 1
	v_cndmask_b32_e64 v29, 0, v29, s[0:1]
; %bb.54:                               ;   in Loop: Header=BB188_51 Depth=1
	s_or_b64 exec, exec, s[18:19]
	global_load_dword v34, v[48:49], off offset:256
	s_mov_b32 s17, s16
	s_waitcnt vmcnt(0)
	v_and_b32_e32 v35, 0xffff, v34
	v_lshrrev_b32_e32 v36, 16, v34
	v_cvt_pk_f32_fp8_e32 v[34:35], v35
	v_cvt_pk_f32_fp8_e32 v[38:39], v36
	v_pk_mul_f32 v[36:37], s[16:17], v[34:35]
	v_pk_mul_f32 v[34:35], s[16:17], v[38:39]
	s_and_saveexec_b64 s[18:19], vcc
; %bb.55:                               ;   in Loop: Header=BB188_51 Depth=1
	v_cmp_gt_i32_e64 s[0:1], s33, v102
	s_nop 1
	v_cndmask_b32_e64 v36, 0, v36, s[0:1]
	v_cmp_gt_i32_e64 s[0:1], s33, v103
	s_nop 1
	v_cndmask_b32_e64 v37, 0, v37, s[0:1]
	v_cmp_gt_i32_e64 s[0:1], s33, v104
	s_nop 1
	v_cndmask_b32_e64 v34, 0, v34, s[0:1]
	v_cmp_gt_i32_e64 s[0:1], s33, v105
	s_nop 1
	v_cndmask_b32_e64 v35, 0, v35, s[0:1]
; %bb.56:                               ;   in Loop: Header=BB188_51 Depth=1
	s_or_b64 exec, exec, s[18:19]
	global_load_dword v38, v[48:49], off offset:512
	s_waitcnt vmcnt(0)
	v_and_b32_e32 v39, 0xffff, v38
	v_lshrrev_b32_e32 v40, 16, v38
	v_cvt_pk_f32_fp8_e32 v[38:39], v39
	v_cvt_pk_f32_fp8_e32 v[44:45], v40
	v_pk_mul_f32 v[40:41], s[16:17], v[38:39]
	v_pk_mul_f32 v[38:39], s[16:17], v[44:45]
	s_and_saveexec_b64 s[18:19], vcc
; %bb.57:                               ;   in Loop: Header=BB188_51 Depth=1
	v_cmp_gt_i32_e64 s[0:1], s33, v102
	s_nop 1
	v_cndmask_b32_e64 v40, 0, v40, s[0:1]
	v_cmp_gt_i32_e64 s[0:1], s33, v103
	s_nop 1
	v_cndmask_b32_e64 v41, 0, v41, s[0:1]
	v_cmp_gt_i32_e64 s[0:1], s33, v104
	s_nop 1
	v_cndmask_b32_e64 v38, 0, v38, s[0:1]
	v_cmp_gt_i32_e64 s[0:1], s33, v105
	s_nop 1
	v_cndmask_b32_e64 v39, 0, v39, s[0:1]
; %bb.58:                               ;   in Loop: Header=BB188_51 Depth=1
	s_or_b64 exec, exec, s[18:19]
	global_load_dword v44, v[48:49], off offset:768
	;; [unrolled: 24-line block ×13, first 2 shown]
	s_waitcnt vmcnt(0)
	v_and_b32_e32 v49, 0xffff, v48
	v_lshrrev_b32_e32 v90, 16, v48
	v_cvt_pk_f32_fp8_e32 v[48:49], v49
	v_cvt_pk_f32_fp8_e32 v[90:91], v90
	v_pk_mul_f32 v[92:93], s[16:17], v[48:49]
	v_pk_mul_f32 v[90:91], s[16:17], v[90:91]
	s_and_saveexec_b64 s[18:19], vcc
; %bb.81:                               ;   in Loop: Header=BB188_51 Depth=1
	v_cmp_gt_i32_e64 s[0:1], s33, v102
	s_nop 1
	v_cndmask_b32_e64 v92, 0, v92, s[0:1]
	v_cmp_gt_i32_e64 s[0:1], s33, v103
	s_nop 1
	v_cndmask_b32_e64 v93, 0, v93, s[0:1]
	;; [unrolled: 3-line block ×4, first 2 shown]
; %bb.82:                               ;   in Loop: Header=BB188_51 Depth=1
	s_or_b64 exec, exec, s[18:19]
	v_lshl_add_u64 v[42:43], v[42:43], 0, v[24:25]
	global_load_dword v42, v[42:43], off
	s_waitcnt vmcnt(0)
	v_and_b32_e32 v43, 0xffff, v42
	v_lshrrev_b32_e32 v48, 16, v42
	v_cvt_pk_f32_fp8_e32 v[42:43], v43
	v_cvt_pk_f32_fp8_e32 v[104:105], v48
	v_pk_mul_f32 v[48:49], s[16:17], v[42:43]
	v_pk_mul_f32 v[42:43], s[16:17], v[104:105]
	s_and_saveexec_b64 s[0:1], vcc
	s_cbranch_execz .LBB188_49
; %bb.83:                               ;   in Loop: Header=BB188_51 Depth=1
	v_cmp_gt_i32_e32 vcc, s37, v103
	v_or_b32_e32 v103, 3, v102
	s_nop 0
	v_cndmask_b32_e32 v49, 0, v49, vcc
	v_cmp_gt_i32_e32 vcc, s33, v102
	v_or_b32_e32 v102, 2, v102
	s_nop 0
	v_cndmask_b32_e32 v48, 0, v48, vcc
	v_cmp_gt_i32_e32 vcc, s37, v103
	s_nop 1
	v_cndmask_b32_e32 v43, 0, v43, vcc
	v_cmp_gt_i32_e32 vcc, s33, v102
	s_nop 1
	v_cndmask_b32_e32 v42, 0, v42, vcc
	s_branch .LBB188_49
.LBB188_84:
	s_or_b64 exec, exec, s[8:9]
.LBB188_85:
	s_or_b64 exec, exec, s[2:3]
	ds_bpermute_b32 v4, v98, v18
	ds_bpermute_b32 v5, v98, v19
	;; [unrolled: 1-line block ×6, first 2 shown]
	s_waitcnt lgkmcnt(4)
	v_pk_add_f32 v[4:5], v[18:19], v[4:5]
	ds_bpermute_b32 v18, v97, v4
	ds_bpermute_b32 v19, v97, v5
	s_waitcnt lgkmcnt(4)
	v_pk_add_f32 v[2:3], v[20:21], v[2:3]
	ds_bpermute_b32 v20, v97, v2
	ds_bpermute_b32 v21, v97, v3
	s_waitcnt lgkmcnt(4)
	v_pk_add_f32 v[16:17], v[16:17], v[22:23]
	s_waitcnt lgkmcnt(2)
	v_pk_add_f32 v[4:5], v[4:5], v[18:19]
	ds_bpermute_b32 v18, v98, v12
	ds_bpermute_b32 v19, v98, v13
	;; [unrolled: 1-line block ×4, first 2 shown]
	s_waitcnt lgkmcnt(4)
	v_pk_add_f32 v[2:3], v[2:3], v[20:21]
	ds_bpermute_b32 v20, v97, v16
	s_waitcnt lgkmcnt(3)
	v_pk_add_f32 v[12:13], v[12:13], v[18:19]
	ds_bpermute_b32 v18, v98, v10
	ds_bpermute_b32 v19, v98, v11
	;; [unrolled: 1-line block ×6, first 2 shown]
	s_waitcnt lgkmcnt(4)
	v_pk_add_f32 v[10:11], v[10:11], v[18:19]
	ds_bpermute_b32 v27, v98, v7
	ds_bpermute_b32 v18, v97, v10
	;; [unrolled: 1-line block ×3, first 2 shown]
	v_pk_add_f32 v[14:15], v[14:15], v[22:23]
	s_waitcnt lgkmcnt(6)
	v_pk_add_f32 v[16:17], v[16:17], v[20:21]
	ds_bpermute_b32 v20, v97, v14
	ds_bpermute_b32 v21, v97, v15
	s_waitcnt lgkmcnt(6)
	v_pk_add_f32 v[8:9], v[8:9], v[24:25]
	ds_bpermute_b32 v22, v97, v12
	ds_bpermute_b32 v23, v97, v13
	ds_bpermute_b32 v24, v97, v8
	ds_bpermute_b32 v25, v97, v9
	s_waitcnt lgkmcnt(8)
	v_pk_add_f32 v[6:7], v[6:7], v[26:27]
	s_waitcnt lgkmcnt(6)
	v_pk_add_f32 v[10:11], v[10:11], v[18:19]
	ds_bpermute_b32 v18, v97, v6
	ds_bpermute_b32 v19, v97, v7
	s_waitcnt lgkmcnt(6)
	v_pk_add_f32 v[14:15], v[14:15], v[20:21]
	v_and_b32_e32 v20, 0x3c3, v0
	s_waitcnt lgkmcnt(4)
	v_pk_add_f32 v[12:13], v[12:13], v[22:23]
	s_waitcnt lgkmcnt(2)
	v_pk_add_f32 v[8:9], v[8:9], v[24:25]
	v_cmp_ne_u32_e32 vcc, 64, v20
	s_waitcnt lgkmcnt(0)
	s_barrier
	s_and_saveexec_b64 s[0:1], vcc
	s_xor_b64 s[0:1], exec, s[0:1]
; %bb.86:
                                        ; implicit-def: $vgpr31
; %bb.87:
	s_or_saveexec_b64 s[0:1], s[0:1]
	v_pk_add_f32 v[6:7], v[6:7], v[18:19]
	s_xor_b64 exec, exec, s[0:1]
	s_cbranch_execz .LBB188_89
; %bb.88:
	v_add_u32_e32 v18, 0x410, v31
	ds_write2_b32 v18, v2, v3 offset1:16
	ds_write2_b32 v18, v4, v5 offset0:32 offset1:48
	ds_write2_b32 v18, v16, v17 offset0:64 offset1:80
	ds_write2_b32 v18, v14, v15 offset0:96 offset1:112
	ds_write2_b32 v18, v12, v13 offset0:128 offset1:144
	ds_write2_b32 v18, v10, v11 offset0:160 offset1:176
	ds_write2_b32 v18, v8, v9 offset0:192 offset1:208
	ds_write2_b32 v18, v6, v7 offset0:224 offset1:240
.LBB188_89:
	s_or_b64 exec, exec, s[0:1]
	v_cmp_gt_u32_e32 vcc, 64, v0
	s_waitcnt lgkmcnt(0)
	s_barrier
	s_and_saveexec_b64 s[0:1], vcc
	s_cbranch_execz .LBB188_108
; %bb.90:
	v_mov_b32_e32 v0, 0x410
	v_cmp_eq_u32_e32 vcc, 0, v30
	v_lshl_add_u32 v0, v94, 2, v0
	s_and_saveexec_b64 s[2:3], vcc
	s_cbranch_execnz .LBB188_111
; %bb.91:
	s_or_b64 exec, exec, s[2:3]
	s_and_saveexec_b64 s[2:3], vcc
	s_cbranch_execnz .LBB188_112
.LBB188_92:
	s_or_b64 exec, exec, s[2:3]
	s_and_saveexec_b64 s[2:3], vcc
	s_cbranch_execnz .LBB188_113
.LBB188_93:
	s_or_b64 exec, exec, s[2:3]
	s_and_saveexec_b64 s[2:3], vcc
	s_cbranch_execnz .LBB188_114
.LBB188_94:
	s_or_b64 exec, exec, s[2:3]
	s_and_saveexec_b64 s[2:3], vcc
	s_cbranch_execnz .LBB188_115
.LBB188_95:
	s_or_b64 exec, exec, s[2:3]
	s_and_saveexec_b64 s[2:3], vcc
	s_cbranch_execnz .LBB188_116
.LBB188_96:
	s_or_b64 exec, exec, s[2:3]
	s_and_saveexec_b64 s[2:3], vcc
	s_cbranch_execnz .LBB188_117
.LBB188_97:
	s_or_b64 exec, exec, s[2:3]
	s_and_saveexec_b64 s[2:3], vcc
	s_cbranch_execnz .LBB188_118
.LBB188_98:
	s_or_b64 exec, exec, s[2:3]
	s_and_saveexec_b64 s[2:3], vcc
	s_cbranch_execnz .LBB188_119
.LBB188_99:
	s_or_b64 exec, exec, s[2:3]
	s_and_saveexec_b64 s[2:3], vcc
	s_cbranch_execnz .LBB188_120
.LBB188_100:
	s_or_b64 exec, exec, s[2:3]
	s_and_saveexec_b64 s[2:3], vcc
	s_cbranch_execnz .LBB188_121
.LBB188_101:
	s_or_b64 exec, exec, s[2:3]
	s_and_saveexec_b64 s[2:3], vcc
	s_cbranch_execnz .LBB188_122
.LBB188_102:
	s_or_b64 exec, exec, s[2:3]
	s_and_saveexec_b64 s[2:3], vcc
	s_cbranch_execnz .LBB188_123
.LBB188_103:
	s_or_b64 exec, exec, s[2:3]
	s_and_saveexec_b64 s[2:3], vcc
	s_cbranch_execnz .LBB188_124
.LBB188_104:
	s_or_b64 exec, exec, s[2:3]
	s_and_saveexec_b64 s[2:3], vcc
	s_cbranch_execnz .LBB188_125
.LBB188_105:
	s_or_b64 exec, exec, s[2:3]
	s_and_saveexec_b64 s[2:3], vcc
	s_cbranch_execz .LBB188_107
.LBB188_106:
	ds_read_b32 v0, v0 offset:960
	s_waitcnt lgkmcnt(0)
	v_add_f32_e32 v7, v7, v0
.LBB188_107:
	s_or_b64 exec, exec, s[2:3]
.LBB188_108:
	s_or_b64 exec, exec, s[0:1]
	v_cmp_eq_u32_e32 vcc, 0, v20
	s_barrier
	s_and_saveexec_b64 s[0:1], vcc
	s_cbranch_execz .LBB188_110
; %bb.109:
	s_mul_i32 s0, s10, s11
	s_mul_i32 s0, s0, s5
	s_lshl_b32 s0, s0, 8
	s_ashr_i32 s1, s0, 31
	s_lshl_b64 s[0:1], s[0:1], 2
	s_add_u32 s2, s26, s0
	s_mul_i32 s0, s11, s24
	s_addc_u32 s3, s27, s1
	s_ashr_i32 s1, s0, 31
	s_lshl_b64 s[0:1], s[0:1], 2
	s_add_u32 s2, s2, s0
	s_addc_u32 s3, s3, s1
	s_lshl_b32 s0, s4, 8
	s_ashr_i32 s1, s0, 31
	s_lshl_b64 s[0:1], s[0:1], 2
	s_add_u32 s0, s2, s0
	s_addc_u32 s1, s3, s1
	global_store_dword v1, v2, s[0:1]
	global_store_dword v1, v3, s[0:1] offset:64
	global_store_dword v1, v4, s[0:1] offset:128
	;; [unrolled: 1-line block ×15, first 2 shown]
.LBB188_110:
	s_endpgm
.LBB188_111:
	ds_read_b32 v18, v0
	s_waitcnt lgkmcnt(0)
	v_add_f32_e32 v2, v2, v18
	s_or_b64 exec, exec, s[2:3]
	s_and_saveexec_b64 s[2:3], vcc
	s_cbranch_execz .LBB188_92
.LBB188_112:
	ds_read_b32 v18, v0 offset:64
	s_waitcnt lgkmcnt(0)
	v_add_f32_e32 v3, v3, v18
	s_or_b64 exec, exec, s[2:3]
	s_and_saveexec_b64 s[2:3], vcc
	s_cbranch_execz .LBB188_93
.LBB188_113:
	ds_read_b32 v18, v0 offset:128
	s_waitcnt lgkmcnt(0)
	v_add_f32_e32 v4, v4, v18
	s_or_b64 exec, exec, s[2:3]
	s_and_saveexec_b64 s[2:3], vcc
	s_cbranch_execz .LBB188_94
.LBB188_114:
	ds_read_b32 v18, v0 offset:192
	s_waitcnt lgkmcnt(0)
	v_add_f32_e32 v5, v5, v18
	s_or_b64 exec, exec, s[2:3]
	s_and_saveexec_b64 s[2:3], vcc
	s_cbranch_execz .LBB188_95
.LBB188_115:
	ds_read_b32 v18, v0 offset:256
	s_waitcnt lgkmcnt(0)
	v_add_f32_e32 v16, v16, v18
	s_or_b64 exec, exec, s[2:3]
	s_and_saveexec_b64 s[2:3], vcc
	s_cbranch_execz .LBB188_96
.LBB188_116:
	ds_read_b32 v18, v0 offset:320
	s_waitcnt lgkmcnt(0)
	v_add_f32_e32 v17, v17, v18
	s_or_b64 exec, exec, s[2:3]
	s_and_saveexec_b64 s[2:3], vcc
	s_cbranch_execz .LBB188_97
.LBB188_117:
	ds_read_b32 v18, v0 offset:384
	s_waitcnt lgkmcnt(0)
	v_add_f32_e32 v14, v14, v18
	s_or_b64 exec, exec, s[2:3]
	s_and_saveexec_b64 s[2:3], vcc
	s_cbranch_execz .LBB188_98
.LBB188_118:
	ds_read_b32 v18, v0 offset:448
	s_waitcnt lgkmcnt(0)
	v_add_f32_e32 v15, v15, v18
	s_or_b64 exec, exec, s[2:3]
	s_and_saveexec_b64 s[2:3], vcc
	s_cbranch_execz .LBB188_99
.LBB188_119:
	ds_read_b32 v18, v0 offset:512
	s_waitcnt lgkmcnt(0)
	v_add_f32_e32 v12, v12, v18
	s_or_b64 exec, exec, s[2:3]
	s_and_saveexec_b64 s[2:3], vcc
	s_cbranch_execz .LBB188_100
.LBB188_120:
	ds_read_b32 v18, v0 offset:576
	s_waitcnt lgkmcnt(0)
	v_add_f32_e32 v13, v13, v18
	s_or_b64 exec, exec, s[2:3]
	s_and_saveexec_b64 s[2:3], vcc
	s_cbranch_execz .LBB188_101
.LBB188_121:
	ds_read_b32 v18, v0 offset:640
	s_waitcnt lgkmcnt(0)
	v_add_f32_e32 v10, v10, v18
	s_or_b64 exec, exec, s[2:3]
	s_and_saveexec_b64 s[2:3], vcc
	s_cbranch_execz .LBB188_102
.LBB188_122:
	ds_read_b32 v18, v0 offset:704
	s_waitcnt lgkmcnt(0)
	v_add_f32_e32 v11, v11, v18
	s_or_b64 exec, exec, s[2:3]
	s_and_saveexec_b64 s[2:3], vcc
	s_cbranch_execz .LBB188_103
.LBB188_123:
	ds_read_b32 v18, v0 offset:768
	s_waitcnt lgkmcnt(0)
	v_add_f32_e32 v8, v8, v18
	s_or_b64 exec, exec, s[2:3]
	s_and_saveexec_b64 s[2:3], vcc
	s_cbranch_execz .LBB188_104
.LBB188_124:
	ds_read_b32 v18, v0 offset:832
	s_waitcnt lgkmcnt(0)
	v_add_f32_e32 v9, v9, v18
	s_or_b64 exec, exec, s[2:3]
	s_and_saveexec_b64 s[2:3], vcc
	s_cbranch_execz .LBB188_105
.LBB188_125:
	ds_read_b32 v18, v0 offset:896
	s_waitcnt lgkmcnt(0)
	v_add_f32_e32 v6, v6, v18
	s_or_b64 exec, exec, s[2:3]
	s_and_saveexec_b64 s[2:3], vcc
	s_cbranch_execnz .LBB188_106
	s_branch .LBB188_107
	.section	.rodata,"a",@progbits
	.p2align	6, 0x0
	.amdhsa_kernel _ZN4vllm25paged_attention_v1_kernelIfhLi256ELi16ELi128ELNS_18Fp8KVCacheDataTypeE1ELb1EEEvPT_PKS2_PKT0_S8_ifPKiSA_iPKfiiiSC_SC_iiiii
		.amdhsa_group_segment_fixed_size 1040
		.amdhsa_private_segment_fixed_size 0
		.amdhsa_kernarg_size 384
		.amdhsa_user_sgpr_count 2
		.amdhsa_user_sgpr_dispatch_ptr 0
		.amdhsa_user_sgpr_queue_ptr 0
		.amdhsa_user_sgpr_kernarg_segment_ptr 1
		.amdhsa_user_sgpr_dispatch_id 0
		.amdhsa_user_sgpr_kernarg_preload_length 0
		.amdhsa_user_sgpr_kernarg_preload_offset 0
		.amdhsa_user_sgpr_private_segment_size 0
		.amdhsa_uses_dynamic_stack 0
		.amdhsa_enable_private_segment 0
		.amdhsa_system_sgpr_workgroup_id_x 1
		.amdhsa_system_sgpr_workgroup_id_y 1
		.amdhsa_system_sgpr_workgroup_id_z 1
		.amdhsa_system_sgpr_workgroup_info 0
		.amdhsa_system_vgpr_workitem_id 0
		.amdhsa_next_free_vgpr 106
		.amdhsa_next_free_sgpr 48
		.amdhsa_accum_offset 108
		.amdhsa_reserve_vcc 1
		.amdhsa_float_round_mode_32 0
		.amdhsa_float_round_mode_16_64 0
		.amdhsa_float_denorm_mode_32 3
		.amdhsa_float_denorm_mode_16_64 3
		.amdhsa_dx10_clamp 1
		.amdhsa_ieee_mode 1
		.amdhsa_fp16_overflow 0
		.amdhsa_tg_split 0
		.amdhsa_exception_fp_ieee_invalid_op 0
		.amdhsa_exception_fp_denorm_src 0
		.amdhsa_exception_fp_ieee_div_zero 0
		.amdhsa_exception_fp_ieee_overflow 0
		.amdhsa_exception_fp_ieee_underflow 0
		.amdhsa_exception_fp_ieee_inexact 0
		.amdhsa_exception_int_div_zero 0
	.end_amdhsa_kernel
	.section	.text._ZN4vllm25paged_attention_v1_kernelIfhLi256ELi16ELi128ELNS_18Fp8KVCacheDataTypeE1ELb1EEEvPT_PKS2_PKT0_S8_ifPKiSA_iPKfiiiSC_SC_iiiii,"axG",@progbits,_ZN4vllm25paged_attention_v1_kernelIfhLi256ELi16ELi128ELNS_18Fp8KVCacheDataTypeE1ELb1EEEvPT_PKS2_PKT0_S8_ifPKiSA_iPKfiiiSC_SC_iiiii,comdat
.Lfunc_end188:
	.size	_ZN4vllm25paged_attention_v1_kernelIfhLi256ELi16ELi128ELNS_18Fp8KVCacheDataTypeE1ELb1EEEvPT_PKS2_PKT0_S8_ifPKiSA_iPKfiiiSC_SC_iiiii, .Lfunc_end188-_ZN4vllm25paged_attention_v1_kernelIfhLi256ELi16ELi128ELNS_18Fp8KVCacheDataTypeE1ELb1EEEvPT_PKS2_PKT0_S8_ifPKiSA_iPKfiiiSC_SC_iiiii
                                        ; -- End function
	.set _ZN4vllm25paged_attention_v1_kernelIfhLi256ELi16ELi128ELNS_18Fp8KVCacheDataTypeE1ELb1EEEvPT_PKS2_PKT0_S8_ifPKiSA_iPKfiiiSC_SC_iiiii.num_vgpr, 106
	.set _ZN4vllm25paged_attention_v1_kernelIfhLi256ELi16ELi128ELNS_18Fp8KVCacheDataTypeE1ELb1EEEvPT_PKS2_PKT0_S8_ifPKiSA_iPKfiiiSC_SC_iiiii.num_agpr, 0
	.set _ZN4vllm25paged_attention_v1_kernelIfhLi256ELi16ELi128ELNS_18Fp8KVCacheDataTypeE1ELb1EEEvPT_PKS2_PKT0_S8_ifPKiSA_iPKfiiiSC_SC_iiiii.numbered_sgpr, 48
	.set _ZN4vllm25paged_attention_v1_kernelIfhLi256ELi16ELi128ELNS_18Fp8KVCacheDataTypeE1ELb1EEEvPT_PKS2_PKT0_S8_ifPKiSA_iPKfiiiSC_SC_iiiii.num_named_barrier, 0
	.set _ZN4vllm25paged_attention_v1_kernelIfhLi256ELi16ELi128ELNS_18Fp8KVCacheDataTypeE1ELb1EEEvPT_PKS2_PKT0_S8_ifPKiSA_iPKfiiiSC_SC_iiiii.private_seg_size, 0
	.set _ZN4vllm25paged_attention_v1_kernelIfhLi256ELi16ELi128ELNS_18Fp8KVCacheDataTypeE1ELb1EEEvPT_PKS2_PKT0_S8_ifPKiSA_iPKfiiiSC_SC_iiiii.uses_vcc, 1
	.set _ZN4vllm25paged_attention_v1_kernelIfhLi256ELi16ELi128ELNS_18Fp8KVCacheDataTypeE1ELb1EEEvPT_PKS2_PKT0_S8_ifPKiSA_iPKfiiiSC_SC_iiiii.uses_flat_scratch, 0
	.set _ZN4vllm25paged_attention_v1_kernelIfhLi256ELi16ELi128ELNS_18Fp8KVCacheDataTypeE1ELb1EEEvPT_PKS2_PKT0_S8_ifPKiSA_iPKfiiiSC_SC_iiiii.has_dyn_sized_stack, 0
	.set _ZN4vllm25paged_attention_v1_kernelIfhLi256ELi16ELi128ELNS_18Fp8KVCacheDataTypeE1ELb1EEEvPT_PKS2_PKT0_S8_ifPKiSA_iPKfiiiSC_SC_iiiii.has_recursion, 0
	.set _ZN4vllm25paged_attention_v1_kernelIfhLi256ELi16ELi128ELNS_18Fp8KVCacheDataTypeE1ELb1EEEvPT_PKS2_PKT0_S8_ifPKiSA_iPKfiiiSC_SC_iiiii.has_indirect_call, 0
	.section	.AMDGPU.csdata,"",@progbits
; Kernel info:
; codeLenInByte = 9152
; TotalNumSgprs: 54
; NumVgprs: 106
; NumAgprs: 0
; TotalNumVgprs: 106
; ScratchSize: 0
; MemoryBound: 0
; FloatMode: 240
; IeeeMode: 1
; LDSByteSize: 1040 bytes/workgroup (compile time only)
; SGPRBlocks: 6
; VGPRBlocks: 13
; NumSGPRsForWavesPerEU: 54
; NumVGPRsForWavesPerEU: 106
; AccumOffset: 108
; Occupancy: 4
; WaveLimiterHint : 1
; COMPUTE_PGM_RSRC2:SCRATCH_EN: 0
; COMPUTE_PGM_RSRC2:USER_SGPR: 2
; COMPUTE_PGM_RSRC2:TRAP_HANDLER: 0
; COMPUTE_PGM_RSRC2:TGID_X_EN: 1
; COMPUTE_PGM_RSRC2:TGID_Y_EN: 1
; COMPUTE_PGM_RSRC2:TGID_Z_EN: 1
; COMPUTE_PGM_RSRC2:TIDIG_COMP_CNT: 0
; COMPUTE_PGM_RSRC3_GFX90A:ACCUM_OFFSET: 26
; COMPUTE_PGM_RSRC3_GFX90A:TG_SPLIT: 0
	.section	.text._ZN4vllm25paged_attention_v1_kernelIfhLi32ELi16ELi128ELNS_18Fp8KVCacheDataTypeE1ELb0EEEvPT_PKS2_PKT0_S8_ifPKiSA_iPKfiiiSC_SC_iiiii,"axG",@progbits,_ZN4vllm25paged_attention_v1_kernelIfhLi32ELi16ELi128ELNS_18Fp8KVCacheDataTypeE1ELb0EEEvPT_PKS2_PKT0_S8_ifPKiSA_iPKfiiiSC_SC_iiiii,comdat
	.protected	_ZN4vllm25paged_attention_v1_kernelIfhLi32ELi16ELi128ELNS_18Fp8KVCacheDataTypeE1ELb0EEEvPT_PKS2_PKT0_S8_ifPKiSA_iPKfiiiSC_SC_iiiii ; -- Begin function _ZN4vllm25paged_attention_v1_kernelIfhLi32ELi16ELi128ELNS_18Fp8KVCacheDataTypeE1ELb0EEEvPT_PKS2_PKT0_S8_ifPKiSA_iPKfiiiSC_SC_iiiii
	.globl	_ZN4vllm25paged_attention_v1_kernelIfhLi32ELi16ELi128ELNS_18Fp8KVCacheDataTypeE1ELb0EEEvPT_PKS2_PKT0_S8_ifPKiSA_iPKfiiiSC_SC_iiiii
	.p2align	8
	.type	_ZN4vllm25paged_attention_v1_kernelIfhLi32ELi16ELi128ELNS_18Fp8KVCacheDataTypeE1ELb0EEEvPT_PKS2_PKT0_S8_ifPKiSA_iPKfiiiSC_SC_iiiii,@function
_ZN4vllm25paged_attention_v1_kernelIfhLi32ELi16ELi128ELNS_18Fp8KVCacheDataTypeE1ELb0EEEvPT_PKS2_PKT0_S8_ifPKiSA_iPKfiiiSC_SC_iiiii: ; @_ZN4vllm25paged_attention_v1_kernelIfhLi32ELi16ELi128ELNS_18Fp8KVCacheDataTypeE1ELb0EEEvPT_PKS2_PKT0_S8_ifPKiSA_iPKfiiiSC_SC_iiiii
; %bb.0:
	s_load_dword s5, s[0:1], 0x80
	s_load_dwordx2 s[6:7], s[0:1], 0x30
	s_load_dwordx2 s[28:29], s[0:1], 0x20
	s_mov_b32 s16, s3
	s_ashr_i32 s17, s3, 31
	s_lshl_b64 s[8:9], s[16:17], 2
	s_waitcnt lgkmcnt(0)
	s_add_u32 s6, s6, s8
	s_addc_u32 s7, s7, s9
	s_abs_i32 s3, s28
	v_cvt_f32_u32_e32 v1, s3
	s_sub_i32 s10, 0, s3
	s_abs_i32 s9, s5
	s_xor_b32 s8, s5, s28
	v_rcp_iflag_f32_e32 v1, v1
	s_ashr_i32 s8, s8, 31
	s_mov_b32 s28, 0
	v_mul_f32_e32 v1, 0x4f7ffffe, v1
	v_cvt_u32_f32_e32 v1, v1
	s_nop 0
	v_readfirstlane_b32 s11, v1
	s_mul_i32 s10, s10, s11
	s_mul_hi_u32 s10, s11, s10
	s_add_i32 s11, s11, s10
	s_mul_hi_u32 s10, s9, s11
	s_mul_i32 s11, s10, s3
	s_sub_i32 s9, s9, s11
	s_add_i32 s11, s10, 1
	s_sub_i32 s12, s9, s3
	s_cmp_ge_u32 s9, s3
	s_cselect_b32 s10, s11, s10
	s_cselect_b32 s9, s12, s9
	s_add_i32 s11, s10, 1
	s_cmp_ge_u32 s9, s3
	s_cselect_b32 s3, s11, s10
	s_xor_b32 s3, s3, s8
	s_sub_i32 s12, s3, s8
	s_abs_i32 s10, s12
	v_cvt_f32_u32_e32 v1, s10
	s_load_dwordx2 s[8:9], s[0:1], 0x40
	s_sub_i32 s3, 0, s10
	s_abs_i32 s11, s2
	v_rcp_iflag_f32_e32 v1, v1
	s_nop 0
	v_mul_f32_e32 v1, 0x4f7ffffe, v1
	v_cvt_u32_f32_e32 v1, v1
	s_nop 0
	v_readfirstlane_b32 s13, v1
	s_mul_i32 s3, s3, s13
	s_mul_hi_u32 s3, s13, s3
	s_add_i32 s13, s13, s3
	s_waitcnt lgkmcnt(0)
	s_cmp_eq_u64 s[8:9], 0
	s_mul_hi_u32 s20, s11, s13
	s_cbranch_scc1 .LBB189_2
; %bb.1:
	s_ashr_i32 s3, s2, 31
	s_lshl_b64 s[14:15], s[2:3], 2
	s_add_u32 s8, s8, s14
	s_addc_u32 s9, s9, s15
	s_load_dword s28, s[8:9], 0x0
.LBB189_2:
	s_load_dword s17, s[6:7], 0x0
	s_ashr_i32 s7, s12, 31
	s_load_dwordx4 s[12:15], s[0:1], 0x48
	v_lshrrev_b32_e32 v22, 2, v0
	s_ashr_i32 s6, s2, 31
	v_and_b32_e32 v10, 3, v0
	s_lshl_b32 s18, s2, 5
	v_cmp_gt_u32_e32 vcc, 32, v0
	v_lshlrev_b32_e32 v16, 2, v0
	v_lshlrev_b32_e32 v1, 2, v22
	s_and_saveexec_b64 s[2:3], vcc
	s_cbranch_execz .LBB189_4
; %bb.3:
	s_load_dwordx2 s[8:9], s[0:1], 0x8
	s_waitcnt lgkmcnt(0)
	s_mul_i32 s22, s12, s16
	s_ashr_i32 s23, s22, 31
	s_lshl_b64 s[22:23], s[22:23], 2
	v_lshl_add_u32 v3, v10, 5, v1
	s_add_u32 s12, s8, s22
	s_addc_u32 s15, s9, s23
	s_ashr_i32 s19, s18, 31
	s_lshl_b64 s[8:9], s[18:19], 2
	s_add_u32 s8, s12, s8
	s_addc_u32 s9, s15, s9
	global_load_dword v2, v16, s[8:9]
	s_waitcnt vmcnt(0)
	ds_write_b32 v3, v2
.LBB189_4:
	s_or_b64 exec, exec, s[2:3]
	s_waitcnt lgkmcnt(0)
	s_add_i32 s3, s17, 15
	s_ashr_i32 s8, s3, 31
	s_lshr_b32 s8, s8, 28
	s_add_i32 s3, s3, s8
	s_ashr_i32 s19, s3, 4
	s_xor_b32 s3, s6, s7
	s_mul_i32 s6, s20, s10
	s_sub_i32 s6, s11, s6
	s_add_i32 s7, s20, 1
	s_sub_i32 s8, s6, s10
	s_load_dwordx2 s[22:23], s[0:1], 0x28
	s_load_dword s2, s[0:1], 0x38
	s_cmp_ge_u32 s6, s10
	s_cselect_b32 s7, s7, s20
	s_cselect_b32 s6, s8, s6
	s_add_i32 s8, s7, 1
	s_cmp_ge_u32 s6, s10
	s_cselect_b32 s6, s8, s7
	v_lshrrev_b32_e32 v23, 6, v0
	s_xor_b32 s6, s6, s3
	s_waitcnt lgkmcnt(0)
	s_mul_i32 s24, s2, s16
	s_sub_i32 s33, s6, s3
	s_ashr_i32 s25, s24, 31
	v_cmp_gt_i32_e64 s[2:3], s19, v23
	v_cmp_le_i32_e32 vcc, s19, v23
	v_mbcnt_lo_u32_b32 v12, -1, 0
	s_barrier
                                        ; implicit-def: $vgpr18
                                        ; implicit-def: $vgpr20
                                        ; implicit-def: $vgpr19
	s_and_saveexec_b64 s[6:7], vcc
	s_xor_b64 s[6:7], exec, s[6:7]
; %bb.5:
	v_mbcnt_hi_u32_b32 v18, -1, v12
	v_and_b32_e32 v20, 64, v18
	v_add_u32_e32 v19, 64, v20
                                        ; implicit-def: $vgpr12
; %bb.6:
	s_or_saveexec_b64 s[30:31], s[6:7]
	s_load_dwordx2 s[20:21], s[0:1], 0x0
	s_load_dwordx2 s[26:27], s[0:1], 0x18
	s_load_dword s12, s[0:1], 0x88
	s_load_dwordx4 s[8:11], s[0:1], 0x58
	v_mov_b32_e32 v11, 0xff7fffff
	s_mul_i32 s33, s33, s14
	v_lshrrev_b32_e32 v17, 4, v0
	s_xor_b64 exec, exec, s[30:31]
	s_cbranch_execz .LBB189_12
; %bb.7:
	v_mbcnt_hi_u32_b32 v18, -1, v12
	s_load_dwordx2 s[0:1], s[0:1], 0x10
	v_and_b32_e32 v20, 64, v18
	v_add_u32_e32 v19, 64, v20
	v_xor_b32_e32 v11, 2, v18
	v_cmp_lt_i32_e32 vcc, v11, v19
	s_ashr_i32 s6, s33, 31
	v_bfe_u32 v28, v0, 2, 4
	v_cndmask_b32_e32 v11, v18, v11, vcc
	v_lshlrev_b32_e32 v21, 2, v11
	v_xor_b32_e32 v11, 1, v18
	s_waitcnt lgkmcnt(0)
	s_add_u32 s0, s0, s33
	v_lshlrev_b32_e32 v6, 5, v10
	v_cmp_lt_i32_e32 vcc, v11, v19
	v_lshlrev_b32_e32 v14, 4, v28
	s_addc_u32 s1, s1, s6
	v_mov_b32_e32 v15, 0
	ds_read_b128 v[2:5], v6
	ds_read_b128 v[6:9], v6 offset:16
	v_cndmask_b32_e32 v11, v18, v11, vcc
	s_load_dword s35, s[8:9], 0x0
	v_lshl_add_u64 v[26:27], s[0:1], 0, v[14:15]
	v_lshlrev_b32_e32 v24, 2, v11
	v_mov_b32_e32 v11, v15
	s_sub_i32 s36, 1, s17
	s_lshl_b64 s[6:7], s[24:25], 2
	v_lshl_add_u64 v[12:13], v[26:27], 0, v[10:11]
	v_lshlrev_b32_e32 v11, 2, v28
	s_add_u32 s6, s22, s6
	v_lshl_or_b32 v11, v23, 6, v11
	v_and_b32_e32 v14, 60, v17
	s_addc_u32 s7, s23, s7
	s_mov_b32 s34, s13
	v_cmp_eq_u32_e32 vcc, 0, v10
	v_cmp_neq_f32_e64 s[0:1], s28, 0
	v_lshl_or_b32 v25, v23, 4, v28
	v_add_u32_e32 v26, 0x90, v11
	v_lshl_add_u64 v[14:15], s[6:7], 0, v[14:15]
	v_mov_b32_e32 v11, 0xff7fffff
	s_mov_b64 s[8:9], 0
	v_mov_b32_e32 v27, v23
	s_branch .LBB189_9
.LBB189_8:                              ;   in Loop: Header=BB189_9 Depth=1
	s_or_b64 exec, exec, s[14:15]
	v_add_u32_e32 v27, 2, v27
	v_cmp_le_i32_e64 s[6:7], s19, v27
	v_add_u32_e32 v25, 32, v25
	v_add_u32_e32 v26, 0x80, v26
	s_or_b64 s[8:9], s[6:7], s[8:9]
	v_lshl_add_u64 v[14:15], v[14:15], 0, 8
	s_andn2_b64 exec, exec, s[8:9]
	s_cbranch_execz .LBB189_11
.LBB189_9:                              ; =>This Inner Loop Header: Depth=1
	global_load_dword v28, v[14:15], off
	s_waitcnt vmcnt(0) lgkmcnt(0)
	v_mad_i64_i32 v[28:29], s[6:7], v28, s34, v[12:13]
	global_load_ubyte v30, v[28:29], off
	global_load_ubyte v31, v[28:29], off offset:4
	global_load_ubyte v32, v[28:29], off offset:8
	;; [unrolled: 1-line block ×7, first 2 shown]
	s_waitcnt vmcnt(7)
	v_cvt_f32_fp8_e32 v28, v30
	s_waitcnt vmcnt(6)
	v_cvt_f32_fp8_e32 v29, v31
	;; [unrolled: 2-line block ×5, first 2 shown]
	s_waitcnt lgkmcnt(0)
	v_mul_f32_e32 v29, s35, v29
	s_waitcnt vmcnt(2)
	v_cvt_f32_fp8_e32 v33, v35
	v_mul_f32_e32 v28, s35, v28
	v_mul_f32_e32 v29, v3, v29
	s_waitcnt vmcnt(1)
	v_cvt_f32_fp8_e32 v34, v36
	v_mul_f32_e32 v30, s35, v30
	v_fmac_f32_e32 v29, v2, v28
	s_waitcnt vmcnt(0)
	v_cvt_f32_fp8_e32 v35, v37
	v_mul_f32_e32 v31, s35, v31
	v_fmac_f32_e32 v29, v4, v30
	v_mul_f32_e32 v32, s35, v32
	v_fmac_f32_e32 v29, v5, v31
	;; [unrolled: 2-line block ×5, first 2 shown]
	v_fmac_f32_e32 v29, v9, v35
	ds_bpermute_b32 v28, v21, v29
	s_waitcnt lgkmcnt(0)
	v_add_f32_e32 v28, v29, v28
	ds_bpermute_b32 v29, v24, v28
	s_and_saveexec_b64 s[14:15], vcc
	s_cbranch_execz .LBB189_8
; %bb.10:                               ;   in Loop: Header=BB189_9 Depth=1
	v_add_u32_e32 v30, s36, v25
	v_cvt_f32_i32_e32 v30, v30
	s_waitcnt lgkmcnt(0)
	v_add_f32_e32 v28, v28, v29
	v_cmp_gt_i32_e64 s[6:7], s17, v25
	v_max_f32_e32 v29, v11, v11
	v_mul_f32_e32 v30, s28, v30
	v_cndmask_b32_e64 v30, 0, v30, s[0:1]
	v_fmac_f32_e32 v30, s29, v28
	v_cndmask_b32_e64 v28, 0, v30, s[6:7]
	ds_write_b32 v26, v28
	v_max_f32_e32 v28, v29, v30
	v_cndmask_b32_e64 v11, v11, v28, s[6:7]
	s_branch .LBB189_8
.LBB189_11:
	s_or_b64 exec, exec, s[8:9]
.LBB189_12:
	s_or_b64 exec, exec, s[30:31]
	v_xor_b32_e32 v2, 32, v18
	v_cmp_lt_i32_e32 vcc, v2, v19
	v_xor_b32_e32 v5, 16, v18
	v_max_f32_e32 v4, v11, v11
	v_cndmask_b32_e32 v2, v18, v2, vcc
	v_lshlrev_b32_e32 v2, 2, v2
	ds_bpermute_b32 v3, v2, v11
	v_cmp_lt_i32_e32 vcc, v5, v19
	v_xor_b32_e32 v6, 8, v18
	v_xor_b32_e32 v7, 4, v18
	v_and_b32_e32 v11, 63, v0
	s_waitcnt lgkmcnt(0)
	v_max_f32_e32 v3, v3, v3
	v_max_f32_e32 v4, v4, v3
	v_cndmask_b32_e32 v3, v18, v5, vcc
	v_lshlrev_b32_e32 v3, 2, v3
	ds_bpermute_b32 v5, v3, v4
	v_cmp_lt_i32_e32 vcc, v6, v19
	s_waitcnt lgkmcnt(0)
	v_max_f32_e32 v5, v5, v5
	v_max_f32_e32 v4, v4, v5
	v_cndmask_b32_e32 v5, v18, v6, vcc
	v_lshlrev_b32_e32 v6, 2, v5
	ds_bpermute_b32 v5, v6, v4
	v_cmp_lt_i32_e32 vcc, v7, v19
	s_waitcnt lgkmcnt(0)
	v_max_f32_e32 v5, v5, v5
	v_max_f32_e32 v5, v4, v5
	v_cndmask_b32_e32 v4, v18, v7, vcc
	v_lshlrev_b32_e32 v7, 2, v4
	ds_bpermute_b32 v8, v7, v5
	v_cmp_eq_u32_e32 vcc, 0, v11
	v_lshlrev_b32_e32 v4, 2, v23
	s_and_saveexec_b64 s[0:1], vcc
	s_cbranch_execz .LBB189_14
; %bb.13:
	s_waitcnt lgkmcnt(0)
	v_max_f32_e32 v8, v8, v8
	v_max_f32_e32 v5, v5, v5
	;; [unrolled: 1-line block ×3, first 2 shown]
	ds_write_b32 v4, v5 offset:128
.LBB189_14:
	s_or_b64 exec, exec, s[0:1]
	v_cmp_gt_u32_e64 s[0:1], 2, v11
	s_waitcnt lgkmcnt(0)
	v_mov_b32_e32 v8, 0xff7fffff
	v_lshlrev_b32_e32 v5, 2, v11
	s_barrier
	s_and_saveexec_b64 s[6:7], s[0:1]
; %bb.15:
	ds_read_b32 v8, v5 offset:128
; %bb.16:
	s_or_b64 exec, exec, s[6:7]
	v_xor_b32_e32 v9, 1, v18
	v_cmp_lt_i32_e64 s[6:7], v9, v19
	s_nop 1
	v_cndmask_b32_e64 v9, v18, v9, s[6:7]
	v_lshlrev_b32_e32 v24, 2, v9
	s_waitcnt lgkmcnt(0)
	ds_bpermute_b32 v9, v24, v8
	v_max_f32_e32 v8, v8, v8
	s_lshl_b32 s6, s19, 4
	s_min_i32 s30, s6, s17
	v_cmp_gt_i32_e64 s[6:7], s30, v0
	s_waitcnt lgkmcnt(0)
	v_max_f32_e32 v9, v9, v9
	v_max_f32_e32 v8, v8, v9
	v_lshlrev_b32_e32 v9, 2, v20
	ds_bpermute_b32 v9, v9, v8
	v_mov_b32_e32 v8, 0
	s_and_saveexec_b64 s[14:15], s[6:7]
	s_cbranch_execz .LBB189_20
; %bb.17:
	v_mov_b32_e32 v8, 0x90
	v_lshl_add_u32 v12, v0, 2, v8
	v_mov_b32_e32 v8, 0
	s_mov_b64 s[28:29], 0
	v_mov_b32_e32 v13, v0
.LBB189_18:                             ; =>This Inner Loop Header: Depth=1
	ds_read_b32 v14, v12
	v_add_u32_e32 v13, 0x80, v13
	v_cmp_le_i32_e64 s[8:9], s30, v13
	s_or_b64 s[28:29], s[8:9], s[28:29]
	s_waitcnt lgkmcnt(0)
	v_sub_f32_e32 v14, v14, v9
	v_mul_f32_e32 v14, 0x3fb8aa3b, v14
	v_exp_f32_e32 v14, v14
	ds_write_b32 v12, v14
	v_add_f32_e32 v8, v8, v14
	v_add_u32_e32 v12, 0x200, v12
	s_andn2_b64 exec, exec, s[28:29]
	s_cbranch_execnz .LBB189_18
; %bb.19:
	s_or_b64 exec, exec, s[28:29]
.LBB189_20:
	s_or_b64 exec, exec, s[14:15]
	ds_bpermute_b32 v2, v2, v8
	s_waitcnt lgkmcnt(0)
	v_add_f32_e32 v2, v8, v2
	ds_bpermute_b32 v3, v3, v2
	s_waitcnt lgkmcnt(0)
	v_add_f32_e32 v2, v2, v3
	ds_bpermute_b32 v3, v6, v2
	v_xor_b32_e32 v6, 2, v18
	v_cmp_lt_i32_e64 s[8:9], v6, v19
	s_waitcnt lgkmcnt(0)
	v_add_f32_e32 v2, v2, v3
	ds_bpermute_b32 v3, v7, v2
	v_cndmask_b32_e64 v6, v18, v6, s[8:9]
	v_lshlrev_b32_e32 v25, 2, v6
	s_waitcnt lgkmcnt(0)
	v_add_f32_e32 v2, v2, v3
	ds_bpermute_b32 v3, v25, v2
	s_waitcnt lgkmcnt(0)
	v_add_f32_e32 v2, v2, v3
	ds_bpermute_b32 v3, v24, v2
	s_waitcnt lgkmcnt(0)
	v_add_f32_e32 v2, v2, v3
	s_and_saveexec_b64 s[8:9], vcc
; %bb.21:
	ds_write_b32 v4, v2 offset:136
; %bb.22:
	s_or_b64 exec, exec, s[8:9]
	s_waitcnt lgkmcnt(0)
	s_barrier
	s_and_saveexec_b64 s[8:9], s[0:1]
; %bb.23:
	ds_read_b32 v2, v5 offset:136
; %bb.24:
	s_or_b64 exec, exec, s[8:9]
	s_waitcnt lgkmcnt(0)
	ds_bpermute_b32 v3, v24, v2
	v_lshlrev_b32_e32 v4, 2, v18
	s_waitcnt lgkmcnt(0)
	v_add_f32_e32 v2, v2, v3
	v_and_b32_e32 v3, 0xffffff00, v4
	ds_bpermute_b32 v2, v3, v2
	s_and_saveexec_b64 s[0:1], s[6:7]
	s_cbranch_execz .LBB189_37
; %bb.25:
	s_waitcnt lgkmcnt(0)
	v_add_f32_e32 v2, 0x358637bd, v2
	v_div_scale_f32 v3, s[6:7], v2, v2, 1.0
	v_rcp_f32_e32 v4, v3
	v_div_scale_f32 v5, vcc, 1.0, v2, 1.0
	s_movk_i32 s6, 0x7f
	v_fma_f32 v6, -v3, v4, 1.0
	v_fmac_f32_e32 v4, v6, v4
	v_mul_f32_e32 v6, v5, v4
	v_fma_f32 v7, -v3, v6, v5
	v_fmac_f32_e32 v6, v7, v4
	v_fma_f32 v3, -v3, v6, v5
	v_div_fmas_f32 v3, v3, v4, v6
	v_xad_u32 v4, v0, -1, s30
	v_div_fixup_f32 v2, v3, v2, 1.0
	v_cmp_lt_u32_e32 vcc, s6, v4
	s_mov_b64 s[8:9], -1
	v_mov_b32_e32 v3, v0
	s_and_saveexec_b64 s[6:7], vcc
	s_cbranch_execz .LBB189_34
; %bb.26:
	v_lshrrev_b32_e32 v4, 7, v4
	v_add_u32_e32 v6, -1, v4
	v_lshrrev_b32_e32 v5, 1, v6
	v_mov_b32_e32 v3, v2
	v_add_u32_e32 v5, 1, v5
	v_cmp_lt_u32_e32 vcc, 13, v6
	v_mov_b32_e32 v8, 0
	s_and_saveexec_b64 s[8:9], vcc
	s_cbranch_execz .LBB189_30
; %bb.27:
	v_mov_b32_e32 v7, 0x90
	v_and_b32_e32 v6, -8, v5
	v_lshl_add_u32 v7, v0, 2, v7
	s_mov_b32 s28, 0
	s_mov_b64 s[14:15], 0
.LBB189_28:                             ; =>This Inner Loop Header: Depth=1
	ds_read2st64_b32 v[8:9], v7 offset1:2
	ds_read2st64_b32 v[12:13], v7 offset0:4 offset1:6
	ds_read2st64_b32 v[14:15], v7 offset0:8 offset1:10
	;; [unrolled: 1-line block ×3, first 2 shown]
	v_add_u32_e32 v6, -8, v6
	s_waitcnt lgkmcnt(3)
	v_pk_mul_f32 v[8:9], v[2:3], v[8:9]
	s_waitcnt lgkmcnt(2)
	v_pk_mul_f32 v[12:13], v[2:3], v[12:13]
	ds_write2st64_b32 v7, v8, v9 offset1:2
	ds_write2st64_b32 v7, v12, v13 offset0:4 offset1:6
	ds_read2st64_b32 v[12:13], v7 offset0:16 offset1:18
	s_waitcnt lgkmcnt(4)
	v_pk_mul_f32 v[8:9], v[2:3], v[14:15]
	ds_write2st64_b32 v7, v8, v9 offset0:8 offset1:10
	s_waitcnt lgkmcnt(4)
	v_pk_mul_f32 v[8:9], v[2:3], v[18:19]
	ds_write2st64_b32 v7, v8, v9 offset0:12 offset1:14
	ds_read2st64_b32 v[8:9], v7 offset0:20 offset1:22
	s_waitcnt lgkmcnt(3)
	v_pk_mul_f32 v[12:13], v[2:3], v[12:13]
	ds_read2st64_b32 v[14:15], v7 offset0:24 offset1:26
	ds_write2st64_b32 v7, v12, v13 offset0:16 offset1:18
	ds_read2st64_b32 v[12:13], v7 offset0:28 offset1:30
	s_waitcnt lgkmcnt(3)
	v_pk_mul_f32 v[8:9], v[2:3], v[8:9]
	ds_write2st64_b32 v7, v8, v9 offset0:20 offset1:22
	s_waitcnt lgkmcnt(3)
	v_pk_mul_f32 v[8:9], v[2:3], v[14:15]
	ds_write2st64_b32 v7, v8, v9 offset0:24 offset1:26
	s_waitcnt lgkmcnt(2)
	v_pk_mul_f32 v[8:9], v[2:3], v[12:13]
	s_add_i32 s28, s28, 16
	v_cmp_eq_u32_e32 vcc, 0, v6
	ds_write2st64_b32 v7, v8, v9 offset0:28 offset1:30
	v_add_u32_e32 v7, 0x2000, v7
	s_or_b64 s[14:15], vcc, s[14:15]
	v_mov_b32_e32 v8, s28
	s_andn2_b64 exec, exec, s[14:15]
	s_cbranch_execnz .LBB189_28
; %bb.29:
	s_or_b64 exec, exec, s[14:15]
.LBB189_30:
	s_or_b64 exec, exec, s[8:9]
	v_and_b32_e32 v5, 7, v5
	v_cmp_ne_u32_e32 vcc, 0, v5
	s_and_saveexec_b64 s[8:9], vcc
	s_cbranch_execz .LBB189_33
; %bb.31:
	v_lshlrev_b32_e32 v6, 9, v8
	s_movk_i32 s14, 0x90
	v_add3_u32 v6, v6, v16, s14
	s_mov_b64 s[14:15], 0
.LBB189_32:                             ; =>This Inner Loop Header: Depth=1
	ds_read2st64_b32 v[8:9], v6 offset1:2
	v_add_u32_e32 v5, -1, v5
	v_cmp_eq_u32_e32 vcc, 0, v5
	s_or_b64 s[14:15], vcc, s[14:15]
	s_waitcnt lgkmcnt(0)
	v_pk_mul_f32 v[8:9], v[2:3], v[8:9]
	ds_write2st64_b32 v6, v8, v9 offset1:2
	v_add_u32_e32 v6, 0x400, v6
	s_andn2_b64 exec, exec, s[14:15]
	s_cbranch_execnz .LBB189_32
.LBB189_33:
	s_or_b64 exec, exec, s[8:9]
	v_add_u32_e32 v4, 1, v4
	v_and_b32_e32 v5, 0x3fffffe, v4
	v_cmp_ne_u32_e32 vcc, v4, v5
	v_lshl_add_u32 v3, v5, 7, v0
	s_orn2_b64 s[8:9], vcc, exec
.LBB189_34:
	s_or_b64 exec, exec, s[6:7]
	s_and_b64 exec, exec, s[8:9]
	s_cbranch_execz .LBB189_37
; %bb.35:
	v_mov_b32_e32 v4, 0x90
	v_lshl_add_u32 v4, v3, 2, v4
	s_mov_b64 s[6:7], 0
.LBB189_36:                             ; =>This Inner Loop Header: Depth=1
	ds_read_b32 v5, v4
	v_add_u32_e32 v3, 0x80, v3
	v_cmp_le_i32_e32 vcc, s30, v3
	s_or_b64 s[6:7], vcc, s[6:7]
	s_waitcnt lgkmcnt(0)
	v_mul_f32_e32 v5, v2, v5
	ds_write_b32 v4, v5
	v_add_u32_e32 v4, 0x200, v4
	s_andn2_b64 exec, exec, s[6:7]
	s_cbranch_execnz .LBB189_36
.LBB189_37:
	s_or_b64 exec, exec, s[0:1]
	v_mov_b32_e32 v7, 0
	v_mov_b32_e32 v6, 0
	s_waitcnt lgkmcnt(0)
	s_barrier
	s_and_saveexec_b64 s[6:7], s[2:3]
	s_cbranch_execz .LBB189_45
; %bb.38:
	s_ashr_i32 s1, s33, 31
	s_load_dword s2, s[10:11], 0x0
	s_add_u32 s0, s26, s33
	s_addc_u32 s1, s27, s1
	v_and_b32_e32 v6, 0xfc, v16
	v_mov_b32_e32 v7, 0
	v_and_b32_e32 v2, 12, v16
	s_add_i32 s14, s19, -1
	v_lshl_add_u64 v[8:9], s[0:1], 0, v[6:7]
	s_lshl_b64 s[0:1], s[24:25], 2
	v_lshl_or_b32 v26, v23, 4, v2
	v_lshlrev_b32_e32 v2, 4, v10
	s_add_u32 s0, s22, s0
	v_lshl_or_b32 v2, v23, 6, v2
	v_and_b32_e32 v6, 60, v17
	s_addc_u32 s1, s23, s1
	s_waitcnt lgkmcnt(0)
	s_mov_b32 s3, s2
	s_mov_b32 s15, s17
	v_add_u32_e32 v27, 0x90, v2
	v_lshl_add_u64 v[12:13], s[0:1], 0, v[6:7]
	s_mov_b64 s[8:9], 0
	v_mov_b32_e32 v6, v7
	s_branch .LBB189_40
.LBB189_39:                             ;   in Loop: Header=BB189_40 Depth=1
	s_or_b64 exec, exec, s[0:1]
	s_waitcnt lgkmcnt(0)
	v_mul_f32_e32 v16, v2, v16
	v_fmac_f32_e32 v16, v3, v17
	v_fmac_f32_e32 v16, v4, v14
	v_pk_mul_f32 v[2:3], v[2:3], v[20:21]
	v_fmac_f32_e32 v16, v5, v15
	v_pk_mul_f32 v[4:5], v[4:5], v[18:19]
	v_add_f32_e32 v2, v3, v2
	v_add_f32_e32 v2, v4, v2
	v_add_u32_e32 v23, 2, v23
	v_add_f32_e32 v2, v5, v2
	v_cmp_le_i32_e32 vcc, s19, v23
	v_add_f32_e32 v6, v6, v16
	v_add_f32_e32 v7, v7, v2
	v_add_u32_e32 v26, 32, v26
	v_add_u32_e32 v27, 0x80, v27
	s_or_b64 s[8:9], vcc, s[8:9]
	v_lshl_add_u64 v[12:13], v[12:13], 0, 8
	s_andn2_b64 exec, exec, s[8:9]
	s_cbranch_execz .LBB189_44
.LBB189_40:                             ; =>This Inner Loop Header: Depth=1
	global_load_dword v2, v[12:13], off
	v_cmp_eq_u32_e32 vcc, s14, v23
	v_add_u32_e32 v28, 1, v26
	s_waitcnt vmcnt(0)
	v_mad_i64_i32 v[18:19], s[0:1], v2, s13, v[8:9]
	global_load_dword v2, v[18:19], off
	s_waitcnt vmcnt(0)
	v_and_b32_e32 v3, 0xffff, v2
	v_lshrrev_b32_e32 v2, 16, v2
	v_cvt_pk_f32_fp8_e32 v[14:15], v3
	v_cvt_pk_f32_fp8_e32 v[20:21], v2
	ds_read_b128 v[2:5], v27
	v_pk_mul_f32 v[16:17], s[2:3], v[14:15]
	v_pk_mul_f32 v[14:15], s[2:3], v[20:21]
	s_and_saveexec_b64 s[10:11], vcc
	s_cbranch_execz .LBB189_42
; %bb.41:                               ;   in Loop: Header=BB189_40 Depth=1
	v_cmp_gt_i32_e64 s[0:1], s17, v26
	v_add_u32_e32 v20, 2, v26
	s_nop 0
	v_cndmask_b32_e64 v16, 0, v16, s[0:1]
	v_cmp_gt_i32_e64 s[0:1], s17, v28
	s_nop 1
	v_cndmask_b32_e64 v17, 0, v17, s[0:1]
	v_cmp_gt_i32_e64 s[0:1], s17, v20
	v_add_u32_e32 v20, 3, v26
	s_nop 0
	v_cndmask_b32_e64 v14, 0, v14, s[0:1]
	v_cmp_gt_i32_e64 s[0:1], s17, v20
	s_nop 1
	v_cndmask_b32_e64 v15, 0, v15, s[0:1]
.LBB189_42:                             ;   in Loop: Header=BB189_40 Depth=1
	s_or_b64 exec, exec, s[10:11]
	global_load_dword v18, v[18:19], off offset:256
	s_waitcnt vmcnt(0)
	v_and_b32_e32 v19, 0xffff, v18
	v_lshrrev_b32_e32 v20, 16, v18
	v_cvt_pk_f32_fp8_e32 v[18:19], v19
	v_cvt_pk_f32_fp8_e32 v[30:31], v20
	v_pk_mul_f32 v[20:21], s[2:3], v[18:19]
	v_pk_mul_f32 v[18:19], s[2:3], v[30:31]
	s_and_saveexec_b64 s[0:1], vcc
	s_cbranch_execz .LBB189_39
; %bb.43:                               ;   in Loop: Header=BB189_40 Depth=1
	v_cmp_gt_i32_e32 vcc, s15, v28
	v_or_b32_e32 v28, 3, v26
	v_or_b32_e32 v29, 2, v26
	v_cndmask_b32_e32 v21, 0, v21, vcc
	v_cmp_gt_i32_e32 vcc, s17, v26
	s_nop 1
	v_cndmask_b32_e32 v20, 0, v20, vcc
	v_cmp_gt_i32_e32 vcc, s15, v28
	s_nop 1
	;; [unrolled: 3-line block ×3, first 2 shown]
	v_cndmask_b32_e32 v18, 0, v18, vcc
	s_branch .LBB189_39
.LBB189_44:
	s_or_b64 exec, exec, s[8:9]
.LBB189_45:
	s_or_b64 exec, exec, s[6:7]
	ds_bpermute_b32 v2, v25, v6
	ds_bpermute_b32 v3, v25, v7
	v_and_b32_e32 v4, 0x3c3, v0
	v_cmp_eq_u32_e32 vcc, 64, v4
	s_waitcnt lgkmcnt(0)
	s_barrier
	v_pk_add_f32 v[2:3], v[6:7], v[2:3]
	ds_bpermute_b32 v6, v24, v2
	ds_bpermute_b32 v7, v24, v3
	s_waitcnt lgkmcnt(0)
	v_pk_add_f32 v[2:3], v[2:3], v[6:7]
	s_and_saveexec_b64 s[0:1], vcc
; %bb.46:
	v_add_u32_e32 v5, 0x90, v11
	ds_write2_b32 v5, v2, v3 offset1:16
; %bb.47:
	s_or_b64 exec, exec, s[0:1]
	v_cmp_gt_u32_e32 vcc, 64, v0
	s_waitcnt lgkmcnt(0)
	s_barrier
	s_and_saveexec_b64 s[0:1], vcc
	s_cbranch_execz .LBB189_53
; %bb.48:
	v_mov_b32_e32 v0, 0x90
	v_cmp_eq_u32_e32 vcc, 0, v10
	v_lshl_add_u32 v0, v22, 2, v0
	s_and_saveexec_b64 s[2:3], vcc
	s_cbranch_execz .LBB189_50
; %bb.49:
	ds_read_b32 v5, v0
	s_waitcnt lgkmcnt(0)
	v_add_f32_e32 v2, v2, v5
.LBB189_50:
	s_or_b64 exec, exec, s[2:3]
	s_and_saveexec_b64 s[2:3], vcc
	s_cbranch_execz .LBB189_52
; %bb.51:
	ds_read_b32 v0, v0 offset:64
	s_waitcnt lgkmcnt(0)
	v_add_f32_e32 v3, v3, v0
.LBB189_52:
	s_or_b64 exec, exec, s[2:3]
.LBB189_53:
	s_or_b64 exec, exec, s[0:1]
	v_cmp_eq_u32_e32 vcc, 0, v4
	s_barrier
	s_and_saveexec_b64 s[0:1], vcc
	s_cbranch_execz .LBB189_55
; %bb.54:
	s_mul_i32 s0, s16, s12
	s_mul_i32 s0, s0, s5
	s_lshl_b32 s0, s0, 5
	s_ashr_i32 s1, s0, 31
	s_lshl_b64 s[0:1], s[0:1], 2
	s_add_u32 s2, s20, s0
	s_mul_i32 s0, s12, s18
	s_addc_u32 s3, s21, s1
	s_ashr_i32 s1, s0, 31
	s_lshl_b64 s[0:1], s[0:1], 2
	s_add_u32 s2, s2, s0
	s_addc_u32 s3, s3, s1
	s_lshl_b32 s0, s4, 5
	s_ashr_i32 s1, s0, 31
	s_lshl_b64 s[0:1], s[0:1], 2
	s_add_u32 s0, s2, s0
	s_addc_u32 s1, s3, s1
	global_store_dword v1, v2, s[0:1]
	global_store_dword v1, v3, s[0:1] offset:64
.LBB189_55:
	s_endpgm
	.section	.rodata,"a",@progbits
	.p2align	6, 0x0
	.amdhsa_kernel _ZN4vllm25paged_attention_v1_kernelIfhLi32ELi16ELi128ELNS_18Fp8KVCacheDataTypeE1ELb0EEEvPT_PKS2_PKT0_S8_ifPKiSA_iPKfiiiSC_SC_iiiii
		.amdhsa_group_segment_fixed_size 144
		.amdhsa_private_segment_fixed_size 0
		.amdhsa_kernarg_size 384
		.amdhsa_user_sgpr_count 2
		.amdhsa_user_sgpr_dispatch_ptr 0
		.amdhsa_user_sgpr_queue_ptr 0
		.amdhsa_user_sgpr_kernarg_segment_ptr 1
		.amdhsa_user_sgpr_dispatch_id 0
		.amdhsa_user_sgpr_kernarg_preload_length 0
		.amdhsa_user_sgpr_kernarg_preload_offset 0
		.amdhsa_user_sgpr_private_segment_size 0
		.amdhsa_uses_dynamic_stack 0
		.amdhsa_enable_private_segment 0
		.amdhsa_system_sgpr_workgroup_id_x 1
		.amdhsa_system_sgpr_workgroup_id_y 1
		.amdhsa_system_sgpr_workgroup_id_z 1
		.amdhsa_system_sgpr_workgroup_info 0
		.amdhsa_system_vgpr_workitem_id 0
		.amdhsa_next_free_vgpr 38
		.amdhsa_next_free_sgpr 37
		.amdhsa_accum_offset 40
		.amdhsa_reserve_vcc 1
		.amdhsa_float_round_mode_32 0
		.amdhsa_float_round_mode_16_64 0
		.amdhsa_float_denorm_mode_32 3
		.amdhsa_float_denorm_mode_16_64 3
		.amdhsa_dx10_clamp 1
		.amdhsa_ieee_mode 1
		.amdhsa_fp16_overflow 0
		.amdhsa_tg_split 0
		.amdhsa_exception_fp_ieee_invalid_op 0
		.amdhsa_exception_fp_denorm_src 0
		.amdhsa_exception_fp_ieee_div_zero 0
		.amdhsa_exception_fp_ieee_overflow 0
		.amdhsa_exception_fp_ieee_underflow 0
		.amdhsa_exception_fp_ieee_inexact 0
		.amdhsa_exception_int_div_zero 0
	.end_amdhsa_kernel
	.section	.text._ZN4vllm25paged_attention_v1_kernelIfhLi32ELi16ELi128ELNS_18Fp8KVCacheDataTypeE1ELb0EEEvPT_PKS2_PKT0_S8_ifPKiSA_iPKfiiiSC_SC_iiiii,"axG",@progbits,_ZN4vllm25paged_attention_v1_kernelIfhLi32ELi16ELi128ELNS_18Fp8KVCacheDataTypeE1ELb0EEEvPT_PKS2_PKT0_S8_ifPKiSA_iPKfiiiSC_SC_iiiii,comdat
.Lfunc_end189:
	.size	_ZN4vllm25paged_attention_v1_kernelIfhLi32ELi16ELi128ELNS_18Fp8KVCacheDataTypeE1ELb0EEEvPT_PKS2_PKT0_S8_ifPKiSA_iPKfiiiSC_SC_iiiii, .Lfunc_end189-_ZN4vllm25paged_attention_v1_kernelIfhLi32ELi16ELi128ELNS_18Fp8KVCacheDataTypeE1ELb0EEEvPT_PKS2_PKT0_S8_ifPKiSA_iPKfiiiSC_SC_iiiii
                                        ; -- End function
	.set _ZN4vllm25paged_attention_v1_kernelIfhLi32ELi16ELi128ELNS_18Fp8KVCacheDataTypeE1ELb0EEEvPT_PKS2_PKT0_S8_ifPKiSA_iPKfiiiSC_SC_iiiii.num_vgpr, 38
	.set _ZN4vllm25paged_attention_v1_kernelIfhLi32ELi16ELi128ELNS_18Fp8KVCacheDataTypeE1ELb0EEEvPT_PKS2_PKT0_S8_ifPKiSA_iPKfiiiSC_SC_iiiii.num_agpr, 0
	.set _ZN4vllm25paged_attention_v1_kernelIfhLi32ELi16ELi128ELNS_18Fp8KVCacheDataTypeE1ELb0EEEvPT_PKS2_PKT0_S8_ifPKiSA_iPKfiiiSC_SC_iiiii.numbered_sgpr, 37
	.set _ZN4vllm25paged_attention_v1_kernelIfhLi32ELi16ELi128ELNS_18Fp8KVCacheDataTypeE1ELb0EEEvPT_PKS2_PKT0_S8_ifPKiSA_iPKfiiiSC_SC_iiiii.num_named_barrier, 0
	.set _ZN4vllm25paged_attention_v1_kernelIfhLi32ELi16ELi128ELNS_18Fp8KVCacheDataTypeE1ELb0EEEvPT_PKS2_PKT0_S8_ifPKiSA_iPKfiiiSC_SC_iiiii.private_seg_size, 0
	.set _ZN4vllm25paged_attention_v1_kernelIfhLi32ELi16ELi128ELNS_18Fp8KVCacheDataTypeE1ELb0EEEvPT_PKS2_PKT0_S8_ifPKiSA_iPKfiiiSC_SC_iiiii.uses_vcc, 1
	.set _ZN4vllm25paged_attention_v1_kernelIfhLi32ELi16ELi128ELNS_18Fp8KVCacheDataTypeE1ELb0EEEvPT_PKS2_PKT0_S8_ifPKiSA_iPKfiiiSC_SC_iiiii.uses_flat_scratch, 0
	.set _ZN4vllm25paged_attention_v1_kernelIfhLi32ELi16ELi128ELNS_18Fp8KVCacheDataTypeE1ELb0EEEvPT_PKS2_PKT0_S8_ifPKiSA_iPKfiiiSC_SC_iiiii.has_dyn_sized_stack, 0
	.set _ZN4vllm25paged_attention_v1_kernelIfhLi32ELi16ELi128ELNS_18Fp8KVCacheDataTypeE1ELb0EEEvPT_PKS2_PKT0_S8_ifPKiSA_iPKfiiiSC_SC_iiiii.has_recursion, 0
	.set _ZN4vllm25paged_attention_v1_kernelIfhLi32ELi16ELi128ELNS_18Fp8KVCacheDataTypeE1ELb0EEEvPT_PKS2_PKT0_S8_ifPKiSA_iPKfiiiSC_SC_iiiii.has_indirect_call, 0
	.section	.AMDGPU.csdata,"",@progbits
; Kernel info:
; codeLenInByte = 3388
; TotalNumSgprs: 43
; NumVgprs: 38
; NumAgprs: 0
; TotalNumVgprs: 38
; ScratchSize: 0
; MemoryBound: 0
; FloatMode: 240
; IeeeMode: 1
; LDSByteSize: 144 bytes/workgroup (compile time only)
; SGPRBlocks: 5
; VGPRBlocks: 4
; NumSGPRsForWavesPerEU: 43
; NumVGPRsForWavesPerEU: 38
; AccumOffset: 40
; Occupancy: 8
; WaveLimiterHint : 1
; COMPUTE_PGM_RSRC2:SCRATCH_EN: 0
; COMPUTE_PGM_RSRC2:USER_SGPR: 2
; COMPUTE_PGM_RSRC2:TRAP_HANDLER: 0
; COMPUTE_PGM_RSRC2:TGID_X_EN: 1
; COMPUTE_PGM_RSRC2:TGID_Y_EN: 1
; COMPUTE_PGM_RSRC2:TGID_Z_EN: 1
; COMPUTE_PGM_RSRC2:TIDIG_COMP_CNT: 0
; COMPUTE_PGM_RSRC3_GFX90A:ACCUM_OFFSET: 9
; COMPUTE_PGM_RSRC3_GFX90A:TG_SPLIT: 0
	.section	.text._ZN4vllm25paged_attention_v1_kernelIfhLi64ELi16ELi128ELNS_18Fp8KVCacheDataTypeE1ELb0EEEvPT_PKS2_PKT0_S8_ifPKiSA_iPKfiiiSC_SC_iiiii,"axG",@progbits,_ZN4vllm25paged_attention_v1_kernelIfhLi64ELi16ELi128ELNS_18Fp8KVCacheDataTypeE1ELb0EEEvPT_PKS2_PKT0_S8_ifPKiSA_iPKfiiiSC_SC_iiiii,comdat
	.protected	_ZN4vllm25paged_attention_v1_kernelIfhLi64ELi16ELi128ELNS_18Fp8KVCacheDataTypeE1ELb0EEEvPT_PKS2_PKT0_S8_ifPKiSA_iPKfiiiSC_SC_iiiii ; -- Begin function _ZN4vllm25paged_attention_v1_kernelIfhLi64ELi16ELi128ELNS_18Fp8KVCacheDataTypeE1ELb0EEEvPT_PKS2_PKT0_S8_ifPKiSA_iPKfiiiSC_SC_iiiii
	.globl	_ZN4vllm25paged_attention_v1_kernelIfhLi64ELi16ELi128ELNS_18Fp8KVCacheDataTypeE1ELb0EEEvPT_PKS2_PKT0_S8_ifPKiSA_iPKfiiiSC_SC_iiiii
	.p2align	8
	.type	_ZN4vllm25paged_attention_v1_kernelIfhLi64ELi16ELi128ELNS_18Fp8KVCacheDataTypeE1ELb0EEEvPT_PKS2_PKT0_S8_ifPKiSA_iPKfiiiSC_SC_iiiii,@function
_ZN4vllm25paged_attention_v1_kernelIfhLi64ELi16ELi128ELNS_18Fp8KVCacheDataTypeE1ELb0EEEvPT_PKS2_PKT0_S8_ifPKiSA_iPKfiiiSC_SC_iiiii: ; @_ZN4vllm25paged_attention_v1_kernelIfhLi64ELi16ELi128ELNS_18Fp8KVCacheDataTypeE1ELb0EEEvPT_PKS2_PKT0_S8_ifPKiSA_iPKfiiiSC_SC_iiiii
; %bb.0:
	s_load_dword s5, s[0:1], 0x80
	s_load_dwordx2 s[6:7], s[0:1], 0x30
	s_load_dwordx2 s[10:11], s[0:1], 0x20
	s_mov_b32 s20, s3
	s_ashr_i32 s21, s3, 31
	s_lshl_b64 s[8:9], s[20:21], 2
	s_waitcnt lgkmcnt(0)
	s_add_u32 s6, s6, s8
	s_addc_u32 s7, s7, s9
	s_abs_i32 s3, s10
	v_cvt_f32_u32_e32 v1, s3
	s_xor_b32 s8, s5, s10
	s_sub_i32 s10, 0, s3
	s_abs_i32 s9, s5
	v_rcp_iflag_f32_e32 v1, v1
	s_ashr_i32 s8, s8, 31
	v_mul_f32_e32 v1, 0x4f7ffffe, v1
	v_cvt_u32_f32_e32 v1, v1
	s_nop 0
	v_readfirstlane_b32 s12, v1
	s_mul_i32 s10, s10, s12
	s_mul_hi_u32 s10, s12, s10
	s_add_i32 s12, s12, s10
	s_mul_hi_u32 s10, s9, s12
	s_mul_i32 s12, s10, s3
	s_sub_i32 s9, s9, s12
	s_add_i32 s12, s10, 1
	s_sub_i32 s13, s9, s3
	s_cmp_ge_u32 s9, s3
	s_cselect_b32 s10, s12, s10
	s_cselect_b32 s9, s13, s9
	s_add_i32 s12, s10, 1
	s_cmp_ge_u32 s9, s3
	s_cselect_b32 s3, s12, s10
	s_xor_b32 s3, s3, s8
	s_sub_i32 s12, s3, s8
	s_abs_i32 s16, s12
	v_cvt_f32_u32_e32 v1, s16
	s_load_dwordx2 s[8:9], s[0:1], 0x40
	s_sub_i32 s3, 0, s16
	s_abs_i32 s17, s2
	v_rcp_iflag_f32_e32 v1, v1
	s_mov_b32 s10, 0
	v_mul_f32_e32 v1, 0x4f7ffffe, v1
	v_cvt_u32_f32_e32 v1, v1
	s_nop 0
	v_readfirstlane_b32 s13, v1
	s_mul_i32 s3, s3, s13
	s_mul_hi_u32 s3, s13, s3
	s_add_i32 s13, s13, s3
	s_waitcnt lgkmcnt(0)
	s_cmp_eq_u64 s[8:9], 0
	s_mul_hi_u32 s18, s17, s13
	s_cbranch_scc1 .LBB190_2
; %bb.1:
	s_ashr_i32 s3, s2, 31
	s_lshl_b64 s[14:15], s[2:3], 2
	s_add_u32 s8, s8, s14
	s_addc_u32 s9, s9, s15
	s_load_dword s10, s[8:9], 0x0
.LBB190_2:
	s_load_dword s33, s[6:7], 0x0
	s_ashr_i32 s7, s12, 31
	s_load_dwordx4 s[12:15], s[0:1], 0x48
	v_lshrrev_b32_e32 v33, 2, v0
	s_ashr_i32 s6, s2, 31
	v_and_b32_e32 v18, 3, v0
	s_lshl_b32 s22, s2, 6
	v_cmp_gt_u32_e64 s[8:9], 64, v0
	v_lshlrev_b32_e32 v24, 2, v0
	v_lshlrev_b32_e32 v32, 2, v33
	s_and_saveexec_b64 s[2:3], s[8:9]
	s_cbranch_execz .LBB190_4
; %bb.3:
	s_load_dwordx2 s[24:25], s[0:1], 0x8
	s_waitcnt lgkmcnt(0)
	s_mul_i32 s26, s12, s20
	s_ashr_i32 s27, s26, 31
	s_lshl_b64 s[26:27], s[26:27], 2
	v_lshl_add_u32 v2, v18, 6, v32
	s_add_u32 s12, s24, s26
	s_addc_u32 s15, s25, s27
	s_ashr_i32 s23, s22, 31
	s_lshl_b64 s[24:25], s[22:23], 2
	s_add_u32 s24, s12, s24
	s_addc_u32 s25, s15, s25
	global_load_dword v1, v24, s[24:25]
	s_waitcnt vmcnt(0)
	ds_write_b32 v2, v1
.LBB190_4:
	s_or_b64 exec, exec, s[2:3]
	s_waitcnt lgkmcnt(0)
	s_add_i32 s3, s33, 15
	s_ashr_i32 s12, s3, 31
	s_lshr_b32 s12, s12, 28
	s_add_i32 s3, s3, s12
	s_ashr_i32 s23, s3, 4
	s_xor_b32 s3, s6, s7
	s_mul_i32 s6, s18, s16
	s_sub_i32 s6, s17, s6
	s_add_i32 s7, s18, 1
	s_sub_i32 s12, s6, s16
	s_load_dwordx2 s[26:27], s[0:1], 0x28
	s_load_dword s2, s[0:1], 0x38
	s_cmp_ge_u32 s6, s16
	s_cselect_b32 s7, s7, s18
	s_cselect_b32 s6, s12, s6
	s_add_i32 s12, s7, 1
	s_cmp_ge_u32 s6, s16
	s_cselect_b32 s6, s12, s7
	v_lshrrev_b32_e32 v1, 6, v0
	s_xor_b32 s6, s6, s3
	s_waitcnt lgkmcnt(0)
	s_mul_i32 s28, s2, s20
	s_sub_i32 s12, s6, s3
	s_ashr_i32 s29, s28, 31
	v_cmp_gt_i32_e64 s[2:3], s23, v1
	v_cmp_le_i32_e32 vcc, s23, v1
	v_mbcnt_lo_u32_b32 v20, -1, 0
	s_barrier
                                        ; implicit-def: $vgpr26
                                        ; implicit-def: $vgpr28
                                        ; implicit-def: $vgpr27
	s_and_saveexec_b64 s[6:7], vcc
	s_xor_b64 s[6:7], exec, s[6:7]
; %bb.5:
	v_mbcnt_hi_u32_b32 v26, -1, v20
	v_and_b32_e32 v28, 64, v26
	v_add_u32_e32 v27, 64, v28
                                        ; implicit-def: $vgpr20
; %bb.6:
	s_or_saveexec_b64 s[34:35], s[6:7]
	s_load_dwordx2 s[24:25], s[0:1], 0x0
	s_load_dwordx2 s[30:31], s[0:1], 0x18
	s_load_dword s21, s[0:1], 0x88
	s_load_dwordx4 s[16:19], s[0:1], 0x58
	v_mov_b32_e32 v19, 0xff7fffff
	s_mul_i32 s12, s12, s14
	v_lshrrev_b32_e32 v25, 4, v0
	s_xor_b64 exec, exec, s[34:35]
	s_cbranch_execz .LBB190_12
; %bb.7:
	v_mbcnt_hi_u32_b32 v26, -1, v20
	s_load_dwordx2 s[0:1], s[0:1], 0x10
	v_and_b32_e32 v28, 64, v26
	v_add_u32_e32 v27, 64, v28
	v_xor_b32_e32 v19, 2, v26
	v_cmp_lt_i32_e32 vcc, v19, v27
	v_lshlrev_b32_e32 v14, 6, v18
	s_ashr_i32 s6, s12, 31
	v_cndmask_b32_e32 v19, v26, v19, vcc
	ds_read_b128 v[2:5], v14
	ds_read_b128 v[6:9], v14 offset:16
	ds_read_b128 v[10:13], v14 offset:32
	;; [unrolled: 1-line block ×3, first 2 shown]
	v_lshlrev_b32_e32 v29, 2, v19
	v_xor_b32_e32 v19, 1, v26
	v_bfe_u32 v36, v0, 2, 4
	s_waitcnt lgkmcnt(0)
	s_add_u32 s0, s0, s12
	v_cmp_lt_i32_e32 vcc, v19, v27
	v_lshlrev_b32_e32 v22, 4, v36
	s_addc_u32 s1, s1, s6
	v_mov_b32_e32 v23, 0
	v_cndmask_b32_e32 v19, v26, v19, vcc
	s_load_dword s37, s[16:17], 0x0
	v_lshl_add_u64 v[34:35], s[0:1], 0, v[22:23]
	v_lshlrev_b32_e32 v30, 2, v19
	v_mov_b32_e32 v19, v23
	s_sub_i32 s38, 1, s33
	s_lshl_b64 s[6:7], s[28:29], 2
	v_lshl_add_u64 v[20:21], v[34:35], 0, v[18:19]
	v_lshlrev_b32_e32 v19, 2, v36
	s_add_u32 s6, s26, s6
	v_lshl_or_b32 v19, v1, 6, v19
	v_and_b32_e32 v22, 60, v25
	s_addc_u32 s7, s27, s7
	s_mov_b32 s36, s13
	v_cmp_eq_u32_e32 vcc, 0, v18
	v_cmp_neq_f32_e64 s[0:1], s10, 0
	v_lshl_or_b32 v31, v1, 4, v36
	v_add_u32_e32 v34, 0x110, v19
	v_lshl_add_u64 v[22:23], s[6:7], 0, v[22:23]
	v_mov_b32_e32 v19, 0xff7fffff
	s_mov_b64 s[14:15], 0
	v_mov_b32_e32 v35, v1
	s_branch .LBB190_9
.LBB190_8:                              ;   in Loop: Header=BB190_9 Depth=1
	s_or_b64 exec, exec, s[16:17]
	v_add_u32_e32 v35, 2, v35
	v_cmp_le_i32_e64 s[6:7], s23, v35
	v_add_u32_e32 v31, 32, v31
	v_add_u32_e32 v34, 0x80, v34
	s_or_b64 s[14:15], s[6:7], s[14:15]
	v_lshl_add_u64 v[22:23], v[22:23], 0, 8
	s_andn2_b64 exec, exec, s[14:15]
	s_cbranch_execz .LBB190_11
.LBB190_9:                              ; =>This Inner Loop Header: Depth=1
	global_load_dword v36, v[22:23], off
	s_waitcnt vmcnt(0) lgkmcnt(0)
	v_mad_i64_i32 v[36:37], s[6:7], v36, s36, v[20:21]
	global_load_ubyte v38, v[36:37], off
	global_load_ubyte v39, v[36:37], off offset:4
	global_load_ubyte v40, v[36:37], off offset:8
	;; [unrolled: 1-line block ×14, first 2 shown]
	s_nop 0
	global_load_ubyte v36, v[36:37], off offset:780
	s_waitcnt vmcnt(15)
	v_cvt_f32_fp8_e32 v37, v38
	s_waitcnt vmcnt(14)
	v_cvt_f32_fp8_e32 v38, v39
	;; [unrolled: 2-line block ×5, first 2 shown]
	s_waitcnt lgkmcnt(0)
	v_mul_f32_e32 v38, s37, v38
	s_waitcnt vmcnt(10)
	v_cvt_f32_fp8_e32 v42, v43
	v_mul_f32_e32 v37, s37, v37
	v_mul_f32_e32 v38, v3, v38
	s_waitcnt vmcnt(9)
	v_cvt_f32_fp8_e32 v43, v44
	v_mul_f32_e32 v39, s37, v39
	v_fmac_f32_e32 v38, v2, v37
	s_waitcnt vmcnt(8)
	v_cvt_f32_fp8_e32 v44, v45
	v_mul_f32_e32 v40, s37, v40
	v_fmac_f32_e32 v38, v4, v39
	;; [unrolled: 4-line block ×10, first 2 shown]
	v_mul_f32_e32 v49, s37, v49
	v_fmac_f32_e32 v38, v13, v48
	v_mul_f32_e32 v50, s37, v50
	v_fmac_f32_e32 v38, v14, v49
	;; [unrolled: 2-line block ×4, first 2 shown]
	v_fmac_f32_e32 v38, v17, v36
	ds_bpermute_b32 v36, v29, v38
	s_waitcnt lgkmcnt(0)
	v_add_f32_e32 v36, v38, v36
	ds_bpermute_b32 v37, v30, v36
	s_and_saveexec_b64 s[16:17], vcc
	s_cbranch_execz .LBB190_8
; %bb.10:                               ;   in Loop: Header=BB190_9 Depth=1
	v_add_u32_e32 v38, s38, v31
	v_cvt_f32_i32_e32 v38, v38
	s_waitcnt lgkmcnt(0)
	v_add_f32_e32 v36, v36, v37
	v_cmp_gt_i32_e64 s[6:7], s33, v31
	v_max_f32_e32 v37, v19, v19
	v_mul_f32_e32 v38, s10, v38
	v_cndmask_b32_e64 v38, 0, v38, s[0:1]
	v_fmac_f32_e32 v38, s11, v36
	v_cndmask_b32_e64 v36, 0, v38, s[6:7]
	ds_write_b32 v34, v36
	v_max_f32_e32 v36, v37, v38
	v_cndmask_b32_e64 v19, v19, v36, s[6:7]
	s_branch .LBB190_8
.LBB190_11:
	s_or_b64 exec, exec, s[14:15]
.LBB190_12:
	s_or_b64 exec, exec, s[34:35]
	v_xor_b32_e32 v2, 32, v26
	v_cmp_lt_i32_e32 vcc, v2, v27
	v_xor_b32_e32 v5, 16, v26
	v_max_f32_e32 v4, v19, v19
	v_cndmask_b32_e32 v2, v26, v2, vcc
	v_lshlrev_b32_e32 v2, 2, v2
	ds_bpermute_b32 v3, v2, v19
	v_cmp_lt_i32_e32 vcc, v5, v27
	v_xor_b32_e32 v6, 8, v26
	v_xor_b32_e32 v7, 4, v26
	v_and_b32_e32 v19, 63, v0
	s_waitcnt lgkmcnt(0)
	v_max_f32_e32 v3, v3, v3
	v_max_f32_e32 v4, v4, v3
	v_cndmask_b32_e32 v3, v26, v5, vcc
	v_lshlrev_b32_e32 v3, 2, v3
	ds_bpermute_b32 v5, v3, v4
	v_cmp_lt_i32_e32 vcc, v6, v27
	s_waitcnt lgkmcnt(0)
	v_max_f32_e32 v5, v5, v5
	v_max_f32_e32 v4, v4, v5
	v_cndmask_b32_e32 v5, v26, v6, vcc
	v_lshlrev_b32_e32 v6, 2, v5
	ds_bpermute_b32 v5, v6, v4
	v_cmp_lt_i32_e32 vcc, v7, v27
	s_waitcnt lgkmcnt(0)
	v_max_f32_e32 v5, v5, v5
	v_max_f32_e32 v5, v4, v5
	v_cndmask_b32_e32 v4, v26, v7, vcc
	v_lshlrev_b32_e32 v7, 2, v4
	ds_bpermute_b32 v8, v7, v5
	v_cmp_eq_u32_e32 vcc, 0, v19
	v_lshlrev_b32_e32 v4, 2, v1
	s_and_saveexec_b64 s[0:1], vcc
	s_cbranch_execz .LBB190_14
; %bb.13:
	s_waitcnt lgkmcnt(0)
	v_max_f32_e32 v8, v8, v8
	v_max_f32_e32 v5, v5, v5
	;; [unrolled: 1-line block ×3, first 2 shown]
	ds_write_b32 v4, v5 offset:256
.LBB190_14:
	s_or_b64 exec, exec, s[0:1]
	v_cmp_gt_u32_e64 s[0:1], 2, v19
	s_waitcnt lgkmcnt(0)
	v_mov_b32_e32 v8, 0xff7fffff
	v_lshlrev_b32_e32 v5, 2, v19
	s_barrier
	s_and_saveexec_b64 s[6:7], s[0:1]
; %bb.15:
	ds_read_b32 v8, v5 offset:256
; %bb.16:
	s_or_b64 exec, exec, s[6:7]
	v_xor_b32_e32 v9, 1, v26
	v_cmp_lt_i32_e64 s[6:7], v9, v27
	s_nop 1
	v_cndmask_b32_e64 v9, v26, v9, s[6:7]
	v_lshlrev_b32_e32 v34, 2, v9
	s_waitcnt lgkmcnt(0)
	ds_bpermute_b32 v9, v34, v8
	v_max_f32_e32 v8, v8, v8
	s_lshl_b32 s6, s23, 4
	s_min_i32 s34, s6, s33
	v_cmp_gt_i32_e64 s[6:7], s34, v0
	s_waitcnt lgkmcnt(0)
	v_max_f32_e32 v9, v9, v9
	v_max_f32_e32 v8, v8, v9
	v_lshlrev_b32_e32 v9, 2, v28
	ds_bpermute_b32 v9, v9, v8
	v_mov_b32_e32 v8, 0
	s_and_saveexec_b64 s[14:15], s[6:7]
	s_cbranch_execz .LBB190_20
; %bb.17:
	v_mov_b32_e32 v8, 0x110
	v_lshl_add_u32 v10, v0, 2, v8
	v_mov_b32_e32 v8, 0
	s_mov_b64 s[16:17], 0
	v_mov_b32_e32 v11, v0
.LBB190_18:                             ; =>This Inner Loop Header: Depth=1
	ds_read_b32 v12, v10
	v_add_u32_e32 v11, 0x80, v11
	v_cmp_le_i32_e64 s[10:11], s34, v11
	s_or_b64 s[16:17], s[10:11], s[16:17]
	s_waitcnt lgkmcnt(0)
	v_sub_f32_e32 v12, v12, v9
	v_mul_f32_e32 v12, 0x3fb8aa3b, v12
	v_exp_f32_e32 v12, v12
	ds_write_b32 v10, v12
	v_add_f32_e32 v8, v8, v12
	v_add_u32_e32 v10, 0x200, v10
	s_andn2_b64 exec, exec, s[16:17]
	s_cbranch_execnz .LBB190_18
; %bb.19:
	s_or_b64 exec, exec, s[16:17]
.LBB190_20:
	s_or_b64 exec, exec, s[14:15]
	ds_bpermute_b32 v2, v2, v8
	s_waitcnt lgkmcnt(0)
	v_add_f32_e32 v2, v8, v2
	ds_bpermute_b32 v3, v3, v2
	s_waitcnt lgkmcnt(0)
	v_add_f32_e32 v2, v2, v3
	ds_bpermute_b32 v3, v6, v2
	v_xor_b32_e32 v6, 2, v26
	v_cmp_lt_i32_e64 s[10:11], v6, v27
	s_waitcnt lgkmcnt(0)
	v_add_f32_e32 v2, v2, v3
	ds_bpermute_b32 v3, v7, v2
	v_cndmask_b32_e64 v6, v26, v6, s[10:11]
	v_lshlrev_b32_e32 v35, 2, v6
	s_waitcnt lgkmcnt(0)
	v_add_f32_e32 v2, v2, v3
	ds_bpermute_b32 v3, v35, v2
	s_waitcnt lgkmcnt(0)
	v_add_f32_e32 v2, v2, v3
	ds_bpermute_b32 v3, v34, v2
	s_waitcnt lgkmcnt(0)
	v_add_f32_e32 v2, v2, v3
	s_and_saveexec_b64 s[10:11], vcc
; %bb.21:
	ds_write_b32 v4, v2 offset:264
; %bb.22:
	s_or_b64 exec, exec, s[10:11]
	s_waitcnt lgkmcnt(0)
	s_barrier
	s_and_saveexec_b64 s[10:11], s[0:1]
; %bb.23:
	ds_read_b32 v2, v5 offset:264
; %bb.24:
	s_or_b64 exec, exec, s[10:11]
	s_waitcnt lgkmcnt(0)
	ds_bpermute_b32 v3, v34, v2
	v_lshlrev_b32_e32 v4, 2, v26
	s_waitcnt lgkmcnt(0)
	v_add_f32_e32 v2, v2, v3
	v_and_b32_e32 v3, 0xffffff00, v4
	ds_bpermute_b32 v2, v3, v2
	s_and_saveexec_b64 s[0:1], s[6:7]
	s_cbranch_execz .LBB190_37
; %bb.25:
	s_waitcnt lgkmcnt(0)
	v_add_f32_e32 v2, 0x358637bd, v2
	v_div_scale_f32 v3, s[6:7], v2, v2, 1.0
	v_rcp_f32_e32 v4, v3
	v_div_scale_f32 v5, vcc, 1.0, v2, 1.0
	s_movk_i32 s6, 0x7f
	v_fma_f32 v6, -v3, v4, 1.0
	v_fmac_f32_e32 v4, v6, v4
	v_mul_f32_e32 v6, v5, v4
	v_fma_f32 v7, -v3, v6, v5
	v_fmac_f32_e32 v6, v7, v4
	v_fma_f32 v3, -v3, v6, v5
	v_div_fmas_f32 v3, v3, v4, v6
	v_xad_u32 v4, v0, -1, s34
	v_div_fixup_f32 v2, v3, v2, 1.0
	v_cmp_lt_u32_e32 vcc, s6, v4
	s_mov_b64 s[10:11], -1
	v_mov_b32_e32 v3, v0
	s_and_saveexec_b64 s[6:7], vcc
	s_cbranch_execz .LBB190_34
; %bb.26:
	v_lshrrev_b32_e32 v4, 7, v4
	v_add_u32_e32 v6, -1, v4
	v_lshrrev_b32_e32 v5, 1, v6
	v_mov_b32_e32 v3, v2
	v_add_u32_e32 v5, 1, v5
	v_cmp_lt_u32_e32 vcc, 13, v6
	v_mov_b32_e32 v8, 0
	s_and_saveexec_b64 s[10:11], vcc
	s_cbranch_execz .LBB190_30
; %bb.27:
	v_mov_b32_e32 v7, 0x110
	v_and_b32_e32 v6, -8, v5
	v_lshl_add_u32 v7, v0, 2, v7
	s_mov_b32 s16, 0
	s_mov_b64 s[14:15], 0
.LBB190_28:                             ; =>This Inner Loop Header: Depth=1
	ds_read2st64_b32 v[8:9], v7 offset1:2
	ds_read2st64_b32 v[10:11], v7 offset0:4 offset1:6
	ds_read2st64_b32 v[12:13], v7 offset0:8 offset1:10
	ds_read2st64_b32 v[14:15], v7 offset0:12 offset1:14
	v_add_u32_e32 v6, -8, v6
	s_waitcnt lgkmcnt(3)
	v_pk_mul_f32 v[8:9], v[2:3], v[8:9]
	s_waitcnt lgkmcnt(2)
	v_pk_mul_f32 v[10:11], v[2:3], v[10:11]
	ds_write2st64_b32 v7, v8, v9 offset1:2
	ds_write2st64_b32 v7, v10, v11 offset0:4 offset1:6
	ds_read2st64_b32 v[10:11], v7 offset0:16 offset1:18
	s_waitcnt lgkmcnt(4)
	v_pk_mul_f32 v[8:9], v[2:3], v[12:13]
	ds_write2st64_b32 v7, v8, v9 offset0:8 offset1:10
	s_waitcnt lgkmcnt(4)
	v_pk_mul_f32 v[8:9], v[2:3], v[14:15]
	ds_write2st64_b32 v7, v8, v9 offset0:12 offset1:14
	ds_read2st64_b32 v[8:9], v7 offset0:20 offset1:22
	s_waitcnt lgkmcnt(3)
	v_pk_mul_f32 v[10:11], v[2:3], v[10:11]
	ds_read2st64_b32 v[12:13], v7 offset0:24 offset1:26
	ds_write2st64_b32 v7, v10, v11 offset0:16 offset1:18
	ds_read2st64_b32 v[10:11], v7 offset0:28 offset1:30
	s_waitcnt lgkmcnt(3)
	v_pk_mul_f32 v[8:9], v[2:3], v[8:9]
	ds_write2st64_b32 v7, v8, v9 offset0:20 offset1:22
	s_waitcnt lgkmcnt(3)
	v_pk_mul_f32 v[8:9], v[2:3], v[12:13]
	ds_write2st64_b32 v7, v8, v9 offset0:24 offset1:26
	s_waitcnt lgkmcnt(2)
	v_pk_mul_f32 v[8:9], v[2:3], v[10:11]
	s_add_i32 s16, s16, 16
	v_cmp_eq_u32_e32 vcc, 0, v6
	ds_write2st64_b32 v7, v8, v9 offset0:28 offset1:30
	v_add_u32_e32 v7, 0x2000, v7
	s_or_b64 s[14:15], vcc, s[14:15]
	v_mov_b32_e32 v8, s16
	s_andn2_b64 exec, exec, s[14:15]
	s_cbranch_execnz .LBB190_28
; %bb.29:
	s_or_b64 exec, exec, s[14:15]
.LBB190_30:
	s_or_b64 exec, exec, s[10:11]
	v_and_b32_e32 v5, 7, v5
	v_cmp_ne_u32_e32 vcc, 0, v5
	s_and_saveexec_b64 s[10:11], vcc
	s_cbranch_execz .LBB190_33
; %bb.31:
	v_lshlrev_b32_e32 v6, 9, v8
	s_movk_i32 s14, 0x110
	v_add3_u32 v6, v6, v24, s14
	s_mov_b64 s[14:15], 0
.LBB190_32:                             ; =>This Inner Loop Header: Depth=1
	ds_read2st64_b32 v[8:9], v6 offset1:2
	v_add_u32_e32 v5, -1, v5
	v_cmp_eq_u32_e32 vcc, 0, v5
	s_or_b64 s[14:15], vcc, s[14:15]
	s_waitcnt lgkmcnt(0)
	v_pk_mul_f32 v[8:9], v[2:3], v[8:9]
	ds_write2st64_b32 v6, v8, v9 offset1:2
	v_add_u32_e32 v6, 0x400, v6
	s_andn2_b64 exec, exec, s[14:15]
	s_cbranch_execnz .LBB190_32
.LBB190_33:
	s_or_b64 exec, exec, s[10:11]
	v_add_u32_e32 v4, 1, v4
	v_and_b32_e32 v5, 0x3fffffe, v4
	v_cmp_ne_u32_e32 vcc, v4, v5
	v_lshl_add_u32 v3, v5, 7, v0
	s_orn2_b64 s[10:11], vcc, exec
.LBB190_34:
	s_or_b64 exec, exec, s[6:7]
	s_and_b64 exec, exec, s[10:11]
	s_cbranch_execz .LBB190_37
; %bb.35:
	v_mov_b32_e32 v4, 0x110
	v_lshl_add_u32 v4, v3, 2, v4
	s_mov_b64 s[6:7], 0
.LBB190_36:                             ; =>This Inner Loop Header: Depth=1
	ds_read_b32 v5, v4
	v_add_u32_e32 v3, 0x80, v3
	v_cmp_le_i32_e32 vcc, s34, v3
	s_or_b64 s[6:7], vcc, s[6:7]
	s_waitcnt lgkmcnt(0)
	v_mul_f32_e32 v5, v2, v5
	ds_write_b32 v4, v5
	v_add_u32_e32 v4, 0x200, v4
	s_andn2_b64 exec, exec, s[6:7]
	s_cbranch_execnz .LBB190_36
.LBB190_37:
	s_or_b64 exec, exec, s[0:1]
	v_mov_b32_e32 v7, 0
	v_mov_b32_e32 v6, 0
	v_mov_b32_e32 v9, 0
	v_mov_b32_e32 v8, 0
	s_waitcnt lgkmcnt(0)
	s_barrier
	s_and_saveexec_b64 s[6:7], s[2:3]
	s_cbranch_execz .LBB190_49
; %bb.38:
	s_ashr_i32 s1, s12, 31
	s_load_dword s2, s[18:19], 0x0
	s_add_u32 s0, s30, s12
	s_addc_u32 s1, s31, s1
	v_and_b32_e32 v6, 0xfc, v24
	v_mov_b32_e32 v7, 0
	v_and_b32_e32 v2, 12, v24
	s_add_i32 s15, s23, -1
	v_lshl_add_u64 v[10:11], s[0:1], 0, v[6:7]
	s_lshl_b64 s[0:1], s[28:29], 2
	v_lshl_or_b32 v36, v1, 4, v2
	v_lshlrev_b32_e32 v2, 4, v18
	s_add_u32 s0, s26, s0
	v_lshl_or_b32 v2, v1, 6, v2
	v_and_b32_e32 v6, 60, v25
	s_addc_u32 s1, s27, s1
	s_mov_b32 s14, s13
	s_waitcnt lgkmcnt(0)
	s_mov_b32 s3, s2
	s_mov_b32 s16, s33
	v_add_u32_e32 v37, 0x110, v2
	v_lshl_add_u64 v[12:13], s[0:1], 0, v[6:7]
	s_mov_b64 s[10:11], 0
	v_mov_b32_e32 v6, v7
	v_mov_b32_e32 v9, v7
	;; [unrolled: 1-line block ×3, first 2 shown]
	s_branch .LBB190_40
.LBB190_39:                             ;   in Loop: Header=BB190_40 Depth=1
	s_or_b64 exec, exec, s[0:1]
	s_waitcnt lgkmcnt(0)
	v_mul_f32_e32 v28, v2, v28
	v_mul_f32_e32 v24, v2, v24
	;; [unrolled: 1-line block ×3, first 2 shown]
	v_fmac_f32_e32 v28, v3, v29
	v_fmac_f32_e32 v24, v3, v25
	;; [unrolled: 1-line block ×6, first 2 shown]
	v_pk_mul_f32 v[2:3], v[2:3], v[30:31]
	v_fmac_f32_e32 v28, v5, v27
	v_fmac_f32_e32 v24, v5, v23
	;; [unrolled: 1-line block ×3, first 2 shown]
	v_pk_mul_f32 v[4:5], v[4:5], v[20:21]
	v_add_f32_e32 v2, v3, v2
	v_add_f32_e32 v2, v4, v2
	v_add_u32_e32 v1, 2, v1
	v_add_f32_e32 v2, v5, v2
	v_cmp_le_i32_e32 vcc, s23, v1
	v_add_f32_e32 v6, v6, v28
	v_add_f32_e32 v9, v9, v24
	;; [unrolled: 1-line block ×4, first 2 shown]
	v_add_u32_e32 v36, 32, v36
	v_add_u32_e32 v37, 0x80, v37
	s_or_b64 s[10:11], vcc, s[10:11]
	v_lshl_add_u64 v[12:13], v[12:13], 0, 8
	s_andn2_b64 exec, exec, s[10:11]
	s_cbranch_execz .LBB190_48
.LBB190_40:                             ; =>This Inner Loop Header: Depth=1
	global_load_dword v2, v[12:13], off
	v_cmp_eq_u32_e32 vcc, s15, v1
	v_add_u32_e32 v38, 1, v36
	v_add_u32_e32 v30, 2, v36
	v_add_u32_e32 v31, 3, v36
	s_waitcnt vmcnt(0)
	v_mad_i64_i32 v[20:21], s[0:1], v2, s14, v[10:11]
	global_load_dword v14, v[20:21], off
	ds_read_b128 v[2:5], v37
	s_waitcnt vmcnt(0)
	v_and_b32_e32 v15, 0xffff, v14
	v_lshrrev_b32_e32 v16, 16, v14
	v_cvt_pk_f32_fp8_e32 v[14:15], v15
	v_cvt_pk_f32_fp8_e32 v[22:23], v16
	v_pk_mul_f32 v[16:17], s[2:3], v[14:15]
	v_pk_mul_f32 v[14:15], s[2:3], v[22:23]
	s_and_saveexec_b64 s[12:13], vcc
; %bb.41:                               ;   in Loop: Header=BB190_40 Depth=1
	v_cmp_gt_i32_e64 s[0:1], s33, v36
	s_nop 1
	v_cndmask_b32_e64 v16, 0, v16, s[0:1]
	v_cmp_gt_i32_e64 s[0:1], s33, v38
	s_nop 1
	v_cndmask_b32_e64 v17, 0, v17, s[0:1]
	v_cmp_gt_i32_e64 s[0:1], s33, v30
	s_nop 1
	v_cndmask_b32_e64 v14, 0, v14, s[0:1]
	v_cmp_gt_i32_e64 s[0:1], s33, v31
	s_nop 1
	v_cndmask_b32_e64 v15, 0, v15, s[0:1]
; %bb.42:                               ;   in Loop: Header=BB190_40 Depth=1
	s_or_b64 exec, exec, s[12:13]
	global_load_dword v22, v[20:21], off offset:256
	s_waitcnt vmcnt(0)
	v_and_b32_e32 v23, 0xffff, v22
	v_lshrrev_b32_e32 v24, 16, v22
	v_cvt_pk_f32_fp8_e32 v[22:23], v23
	v_cvt_pk_f32_fp8_e32 v[26:27], v24
	v_pk_mul_f32 v[24:25], s[2:3], v[22:23]
	v_pk_mul_f32 v[22:23], s[2:3], v[26:27]
	s_and_saveexec_b64 s[12:13], vcc
; %bb.43:                               ;   in Loop: Header=BB190_40 Depth=1
	v_cmp_gt_i32_e64 s[0:1], s33, v36
	s_nop 1
	v_cndmask_b32_e64 v24, 0, v24, s[0:1]
	v_cmp_gt_i32_e64 s[0:1], s33, v38
	s_nop 1
	v_cndmask_b32_e64 v25, 0, v25, s[0:1]
	v_cmp_gt_i32_e64 s[0:1], s33, v30
	s_nop 1
	v_cndmask_b32_e64 v22, 0, v22, s[0:1]
	v_cmp_gt_i32_e64 s[0:1], s33, v31
	s_nop 1
	v_cndmask_b32_e64 v23, 0, v23, s[0:1]
; %bb.44:                               ;   in Loop: Header=BB190_40 Depth=1
	s_or_b64 exec, exec, s[12:13]
	global_load_dword v26, v[20:21], off offset:512
	;; [unrolled: 24-line block ×3, first 2 shown]
	s_waitcnt vmcnt(0)
	v_and_b32_e32 v21, 0xffff, v20
	v_lshrrev_b32_e32 v30, 16, v20
	v_cvt_pk_f32_fp8_e32 v[20:21], v21
	v_cvt_pk_f32_fp8_e32 v[40:41], v30
	v_pk_mul_f32 v[30:31], s[2:3], v[20:21]
	v_pk_mul_f32 v[20:21], s[2:3], v[40:41]
	s_and_saveexec_b64 s[0:1], vcc
	s_cbranch_execz .LBB190_39
; %bb.47:                               ;   in Loop: Header=BB190_40 Depth=1
	v_cmp_gt_i32_e32 vcc, s16, v38
	v_or_b32_e32 v38, 3, v36
	v_or_b32_e32 v39, 2, v36
	v_cndmask_b32_e32 v31, 0, v31, vcc
	v_cmp_gt_i32_e32 vcc, s33, v36
	s_nop 1
	v_cndmask_b32_e32 v30, 0, v30, vcc
	v_cmp_gt_i32_e32 vcc, s16, v38
	s_nop 1
	;; [unrolled: 3-line block ×3, first 2 shown]
	v_cndmask_b32_e32 v20, 0, v20, vcc
	s_branch .LBB190_39
.LBB190_48:
	s_or_b64 exec, exec, s[10:11]
.LBB190_49:
	s_or_b64 exec, exec, s[6:7]
	ds_bpermute_b32 v2, v35, v8
	ds_bpermute_b32 v3, v35, v9
	;; [unrolled: 1-line block ×4, first 2 shown]
	s_waitcnt lgkmcnt(0)
	s_barrier
	v_pk_add_f32 v[2:3], v[8:9], v[2:3]
	ds_bpermute_b32 v8, v34, v2
	ds_bpermute_b32 v9, v34, v3
	v_pk_add_f32 v[4:5], v[6:7], v[4:5]
	ds_bpermute_b32 v6, v34, v4
	ds_bpermute_b32 v7, v34, v5
	s_waitcnt lgkmcnt(0)
	v_pk_add_f32 v[2:3], v[2:3], v[8:9]
	v_and_b32_e32 v8, 0x3c3, v0
	v_cmp_ne_u32_e32 vcc, 64, v8
	s_and_saveexec_b64 s[0:1], vcc
	s_xor_b64 s[0:1], exec, s[0:1]
; %bb.50:
                                        ; implicit-def: $vgpr19
; %bb.51:
	s_or_saveexec_b64 s[0:1], s[0:1]
	v_pk_add_f32 v[0:1], v[4:5], v[6:7]
	s_xor_b64 exec, exec, s[0:1]
	s_cbranch_execz .LBB190_53
; %bb.52:
	v_add_u32_e32 v4, 0x110, v19
	ds_write2_b32 v4, v2, v3 offset1:16
	ds_write2_b32 v4, v0, v1 offset0:32 offset1:48
.LBB190_53:
	s_or_b64 exec, exec, s[0:1]
	s_waitcnt lgkmcnt(0)
	s_barrier
	s_and_saveexec_b64 s[0:1], s[8:9]
	s_cbranch_execz .LBB190_60
; %bb.54:
	v_mov_b32_e32 v4, 0x110
	v_cmp_eq_u32_e32 vcc, 0, v18
	v_lshl_add_u32 v4, v33, 2, v4
	s_and_saveexec_b64 s[2:3], vcc
	s_cbranch_execnz .LBB190_63
; %bb.55:
	s_or_b64 exec, exec, s[2:3]
	s_and_saveexec_b64 s[2:3], vcc
	s_cbranch_execnz .LBB190_64
.LBB190_56:
	s_or_b64 exec, exec, s[2:3]
	s_and_saveexec_b64 s[2:3], vcc
	s_cbranch_execnz .LBB190_65
.LBB190_57:
	s_or_b64 exec, exec, s[2:3]
	s_and_saveexec_b64 s[2:3], vcc
	s_cbranch_execz .LBB190_59
.LBB190_58:
	ds_read_b32 v4, v4 offset:192
	s_waitcnt lgkmcnt(0)
	v_add_f32_e32 v1, v1, v4
.LBB190_59:
	s_or_b64 exec, exec, s[2:3]
.LBB190_60:
	s_or_b64 exec, exec, s[0:1]
	v_cmp_eq_u32_e32 vcc, 0, v8
	s_barrier
	s_and_saveexec_b64 s[0:1], vcc
	s_cbranch_execz .LBB190_62
; %bb.61:
	s_mul_i32 s0, s20, s21
	s_mul_i32 s0, s0, s5
	s_lshl_b32 s0, s0, 6
	s_ashr_i32 s1, s0, 31
	s_lshl_b64 s[0:1], s[0:1], 2
	s_add_u32 s2, s24, s0
	s_mul_i32 s0, s21, s22
	s_addc_u32 s3, s25, s1
	s_ashr_i32 s1, s0, 31
	s_lshl_b64 s[0:1], s[0:1], 2
	s_add_u32 s2, s2, s0
	s_addc_u32 s3, s3, s1
	s_lshl_b32 s0, s4, 6
	s_ashr_i32 s1, s0, 31
	s_lshl_b64 s[0:1], s[0:1], 2
	s_add_u32 s0, s2, s0
	s_addc_u32 s1, s3, s1
	global_store_dword v32, v2, s[0:1]
	global_store_dword v32, v3, s[0:1] offset:64
	global_store_dword v32, v0, s[0:1] offset:128
	;; [unrolled: 1-line block ×3, first 2 shown]
.LBB190_62:
	s_endpgm
.LBB190_63:
	ds_read_b32 v5, v4
	s_waitcnt lgkmcnt(0)
	v_add_f32_e32 v2, v2, v5
	s_or_b64 exec, exec, s[2:3]
	s_and_saveexec_b64 s[2:3], vcc
	s_cbranch_execz .LBB190_56
.LBB190_64:
	ds_read_b32 v5, v4 offset:64
	s_waitcnt lgkmcnt(0)
	v_add_f32_e32 v3, v3, v5
	s_or_b64 exec, exec, s[2:3]
	s_and_saveexec_b64 s[2:3], vcc
	s_cbranch_execz .LBB190_57
.LBB190_65:
	ds_read_b32 v5, v4 offset:128
	s_waitcnt lgkmcnt(0)
	v_add_f32_e32 v0, v0, v5
	s_or_b64 exec, exec, s[2:3]
	s_and_saveexec_b64 s[2:3], vcc
	s_cbranch_execnz .LBB190_58
	s_branch .LBB190_59
	.section	.rodata,"a",@progbits
	.p2align	6, 0x0
	.amdhsa_kernel _ZN4vllm25paged_attention_v1_kernelIfhLi64ELi16ELi128ELNS_18Fp8KVCacheDataTypeE1ELb0EEEvPT_PKS2_PKT0_S8_ifPKiSA_iPKfiiiSC_SC_iiiii
		.amdhsa_group_segment_fixed_size 272
		.amdhsa_private_segment_fixed_size 0
		.amdhsa_kernarg_size 384
		.amdhsa_user_sgpr_count 2
		.amdhsa_user_sgpr_dispatch_ptr 0
		.amdhsa_user_sgpr_queue_ptr 0
		.amdhsa_user_sgpr_kernarg_segment_ptr 1
		.amdhsa_user_sgpr_dispatch_id 0
		.amdhsa_user_sgpr_kernarg_preload_length 0
		.amdhsa_user_sgpr_kernarg_preload_offset 0
		.amdhsa_user_sgpr_private_segment_size 0
		.amdhsa_uses_dynamic_stack 0
		.amdhsa_enable_private_segment 0
		.amdhsa_system_sgpr_workgroup_id_x 1
		.amdhsa_system_sgpr_workgroup_id_y 1
		.amdhsa_system_sgpr_workgroup_id_z 1
		.amdhsa_system_sgpr_workgroup_info 0
		.amdhsa_system_vgpr_workitem_id 0
		.amdhsa_next_free_vgpr 53
		.amdhsa_next_free_sgpr 39
		.amdhsa_accum_offset 56
		.amdhsa_reserve_vcc 1
		.amdhsa_float_round_mode_32 0
		.amdhsa_float_round_mode_16_64 0
		.amdhsa_float_denorm_mode_32 3
		.amdhsa_float_denorm_mode_16_64 3
		.amdhsa_dx10_clamp 1
		.amdhsa_ieee_mode 1
		.amdhsa_fp16_overflow 0
		.amdhsa_tg_split 0
		.amdhsa_exception_fp_ieee_invalid_op 0
		.amdhsa_exception_fp_denorm_src 0
		.amdhsa_exception_fp_ieee_div_zero 0
		.amdhsa_exception_fp_ieee_overflow 0
		.amdhsa_exception_fp_ieee_underflow 0
		.amdhsa_exception_fp_ieee_inexact 0
		.amdhsa_exception_int_div_zero 0
	.end_amdhsa_kernel
	.section	.text._ZN4vllm25paged_attention_v1_kernelIfhLi64ELi16ELi128ELNS_18Fp8KVCacheDataTypeE1ELb0EEEvPT_PKS2_PKT0_S8_ifPKiSA_iPKfiiiSC_SC_iiiii,"axG",@progbits,_ZN4vllm25paged_attention_v1_kernelIfhLi64ELi16ELi128ELNS_18Fp8KVCacheDataTypeE1ELb0EEEvPT_PKS2_PKT0_S8_ifPKiSA_iPKfiiiSC_SC_iiiii,comdat
.Lfunc_end190:
	.size	_ZN4vllm25paged_attention_v1_kernelIfhLi64ELi16ELi128ELNS_18Fp8KVCacheDataTypeE1ELb0EEEvPT_PKS2_PKT0_S8_ifPKiSA_iPKfiiiSC_SC_iiiii, .Lfunc_end190-_ZN4vllm25paged_attention_v1_kernelIfhLi64ELi16ELi128ELNS_18Fp8KVCacheDataTypeE1ELb0EEEvPT_PKS2_PKT0_S8_ifPKiSA_iPKfiiiSC_SC_iiiii
                                        ; -- End function
	.set _ZN4vllm25paged_attention_v1_kernelIfhLi64ELi16ELi128ELNS_18Fp8KVCacheDataTypeE1ELb0EEEvPT_PKS2_PKT0_S8_ifPKiSA_iPKfiiiSC_SC_iiiii.num_vgpr, 53
	.set _ZN4vllm25paged_attention_v1_kernelIfhLi64ELi16ELi128ELNS_18Fp8KVCacheDataTypeE1ELb0EEEvPT_PKS2_PKT0_S8_ifPKiSA_iPKfiiiSC_SC_iiiii.num_agpr, 0
	.set _ZN4vllm25paged_attention_v1_kernelIfhLi64ELi16ELi128ELNS_18Fp8KVCacheDataTypeE1ELb0EEEvPT_PKS2_PKT0_S8_ifPKiSA_iPKfiiiSC_SC_iiiii.numbered_sgpr, 39
	.set _ZN4vllm25paged_attention_v1_kernelIfhLi64ELi16ELi128ELNS_18Fp8KVCacheDataTypeE1ELb0EEEvPT_PKS2_PKT0_S8_ifPKiSA_iPKfiiiSC_SC_iiiii.num_named_barrier, 0
	.set _ZN4vllm25paged_attention_v1_kernelIfhLi64ELi16ELi128ELNS_18Fp8KVCacheDataTypeE1ELb0EEEvPT_PKS2_PKT0_S8_ifPKiSA_iPKfiiiSC_SC_iiiii.private_seg_size, 0
	.set _ZN4vllm25paged_attention_v1_kernelIfhLi64ELi16ELi128ELNS_18Fp8KVCacheDataTypeE1ELb0EEEvPT_PKS2_PKT0_S8_ifPKiSA_iPKfiiiSC_SC_iiiii.uses_vcc, 1
	.set _ZN4vllm25paged_attention_v1_kernelIfhLi64ELi16ELi128ELNS_18Fp8KVCacheDataTypeE1ELb0EEEvPT_PKS2_PKT0_S8_ifPKiSA_iPKfiiiSC_SC_iiiii.uses_flat_scratch, 0
	.set _ZN4vllm25paged_attention_v1_kernelIfhLi64ELi16ELi128ELNS_18Fp8KVCacheDataTypeE1ELb0EEEvPT_PKS2_PKT0_S8_ifPKiSA_iPKfiiiSC_SC_iiiii.has_dyn_sized_stack, 0
	.set _ZN4vllm25paged_attention_v1_kernelIfhLi64ELi16ELi128ELNS_18Fp8KVCacheDataTypeE1ELb0EEEvPT_PKS2_PKT0_S8_ifPKiSA_iPKfiiiSC_SC_iiiii.has_recursion, 0
	.set _ZN4vllm25paged_attention_v1_kernelIfhLi64ELi16ELi128ELNS_18Fp8KVCacheDataTypeE1ELb0EEEvPT_PKS2_PKT0_S8_ifPKiSA_iPKfiiiSC_SC_iiiii.has_indirect_call, 0
	.section	.AMDGPU.csdata,"",@progbits
; Kernel info:
; codeLenInByte = 4108
; TotalNumSgprs: 45
; NumVgprs: 53
; NumAgprs: 0
; TotalNumVgprs: 53
; ScratchSize: 0
; MemoryBound: 0
; FloatMode: 240
; IeeeMode: 1
; LDSByteSize: 272 bytes/workgroup (compile time only)
; SGPRBlocks: 5
; VGPRBlocks: 6
; NumSGPRsForWavesPerEU: 45
; NumVGPRsForWavesPerEU: 53
; AccumOffset: 56
; Occupancy: 8
; WaveLimiterHint : 1
; COMPUTE_PGM_RSRC2:SCRATCH_EN: 0
; COMPUTE_PGM_RSRC2:USER_SGPR: 2
; COMPUTE_PGM_RSRC2:TRAP_HANDLER: 0
; COMPUTE_PGM_RSRC2:TGID_X_EN: 1
; COMPUTE_PGM_RSRC2:TGID_Y_EN: 1
; COMPUTE_PGM_RSRC2:TGID_Z_EN: 1
; COMPUTE_PGM_RSRC2:TIDIG_COMP_CNT: 0
; COMPUTE_PGM_RSRC3_GFX90A:ACCUM_OFFSET: 13
; COMPUTE_PGM_RSRC3_GFX90A:TG_SPLIT: 0
	.section	.text._ZN4vllm25paged_attention_v1_kernelIfhLi80ELi16ELi128ELNS_18Fp8KVCacheDataTypeE1ELb0EEEvPT_PKS2_PKT0_S8_ifPKiSA_iPKfiiiSC_SC_iiiii,"axG",@progbits,_ZN4vllm25paged_attention_v1_kernelIfhLi80ELi16ELi128ELNS_18Fp8KVCacheDataTypeE1ELb0EEEvPT_PKS2_PKT0_S8_ifPKiSA_iPKfiiiSC_SC_iiiii,comdat
	.protected	_ZN4vllm25paged_attention_v1_kernelIfhLi80ELi16ELi128ELNS_18Fp8KVCacheDataTypeE1ELb0EEEvPT_PKS2_PKT0_S8_ifPKiSA_iPKfiiiSC_SC_iiiii ; -- Begin function _ZN4vllm25paged_attention_v1_kernelIfhLi80ELi16ELi128ELNS_18Fp8KVCacheDataTypeE1ELb0EEEvPT_PKS2_PKT0_S8_ifPKiSA_iPKfiiiSC_SC_iiiii
	.globl	_ZN4vllm25paged_attention_v1_kernelIfhLi80ELi16ELi128ELNS_18Fp8KVCacheDataTypeE1ELb0EEEvPT_PKS2_PKT0_S8_ifPKiSA_iPKfiiiSC_SC_iiiii
	.p2align	8
	.type	_ZN4vllm25paged_attention_v1_kernelIfhLi80ELi16ELi128ELNS_18Fp8KVCacheDataTypeE1ELb0EEEvPT_PKS2_PKT0_S8_ifPKiSA_iPKfiiiSC_SC_iiiii,@function
_ZN4vllm25paged_attention_v1_kernelIfhLi80ELi16ELi128ELNS_18Fp8KVCacheDataTypeE1ELb0EEEvPT_PKS2_PKT0_S8_ifPKiSA_iPKfiiiSC_SC_iiiii: ; @_ZN4vllm25paged_attention_v1_kernelIfhLi80ELi16ELi128ELNS_18Fp8KVCacheDataTypeE1ELb0EEEvPT_PKS2_PKT0_S8_ifPKiSA_iPKfiiiSC_SC_iiiii
; %bb.0:
	s_load_dword s5, s[0:1], 0x80
	s_load_dwordx2 s[6:7], s[0:1], 0x30
	s_load_dwordx2 s[28:29], s[0:1], 0x20
	s_mov_b32 s16, s3
	s_ashr_i32 s17, s3, 31
	s_lshl_b64 s[8:9], s[16:17], 2
	s_waitcnt lgkmcnt(0)
	s_add_u32 s6, s6, s8
	s_addc_u32 s7, s7, s9
	s_abs_i32 s3, s28
	v_cvt_f32_u32_e32 v1, s3
	s_sub_i32 s10, 0, s3
	s_abs_i32 s9, s5
	s_xor_b32 s8, s5, s28
	v_rcp_iflag_f32_e32 v1, v1
	s_ashr_i32 s8, s8, 31
	s_mov_b32 s28, 0
	v_mul_f32_e32 v1, 0x4f7ffffe, v1
	v_cvt_u32_f32_e32 v1, v1
	s_nop 0
	v_readfirstlane_b32 s11, v1
	s_mul_i32 s10, s10, s11
	s_mul_hi_u32 s10, s11, s10
	s_add_i32 s11, s11, s10
	s_mul_hi_u32 s10, s9, s11
	s_mul_i32 s11, s10, s3
	s_sub_i32 s9, s9, s11
	s_add_i32 s11, s10, 1
	s_sub_i32 s12, s9, s3
	s_cmp_ge_u32 s9, s3
	s_cselect_b32 s10, s11, s10
	s_cselect_b32 s9, s12, s9
	s_add_i32 s11, s10, 1
	s_cmp_ge_u32 s9, s3
	s_cselect_b32 s3, s11, s10
	s_xor_b32 s3, s3, s8
	s_sub_i32 s12, s3, s8
	s_abs_i32 s10, s12
	v_cvt_f32_u32_e32 v1, s10
	s_load_dwordx2 s[8:9], s[0:1], 0x40
	s_sub_i32 s3, 0, s10
	s_abs_i32 s11, s2
	v_rcp_iflag_f32_e32 v1, v1
	s_nop 0
	v_mul_f32_e32 v1, 0x4f7ffffe, v1
	v_cvt_u32_f32_e32 v1, v1
	s_nop 0
	v_readfirstlane_b32 s13, v1
	s_mul_i32 s3, s3, s13
	s_mul_hi_u32 s3, s13, s3
	s_add_i32 s13, s13, s3
	s_waitcnt lgkmcnt(0)
	s_cmp_eq_u64 s[8:9], 0
	s_mul_hi_u32 s20, s11, s13
	s_cbranch_scc1 .LBB191_2
; %bb.1:
	s_ashr_i32 s3, s2, 31
	s_lshl_b64 s[14:15], s[2:3], 2
	s_add_u32 s8, s8, s14
	s_addc_u32 s9, s9, s15
	s_load_dword s28, s[8:9], 0x0
.LBB191_2:
	s_load_dword s17, s[6:7], 0x0
	s_ashr_i32 s7, s12, 31
	s_load_dwordx4 s[12:15], s[0:1], 0x48
	v_lshrrev_b32_e32 v38, 2, v0
	s_movk_i32 s8, 0x50
	s_ashr_i32 s6, s2, 31
	v_and_b32_e32 v22, 3, v0
	s_mul_i32 s18, s2, 0x50
	v_cmp_gt_u32_e32 vcc, s8, v0
	v_lshlrev_b32_e32 v28, 2, v0
	v_lshlrev_b32_e32 v1, 2, v38
	s_and_saveexec_b64 s[2:3], vcc
	s_cbranch_execz .LBB191_4
; %bb.3:
	s_load_dwordx2 s[22:23], s[0:1], 0x8
	s_waitcnt lgkmcnt(0)
	s_mul_i32 s24, s12, s16
	s_ashr_i32 s25, s24, 31
	s_lshl_b64 s[24:25], s[24:25], 2
	v_mad_u32_u24 v3, v22, s8, v1
	s_add_u32 s9, s22, s24
	s_addc_u32 s12, s23, s25
	s_ashr_i32 s19, s18, 31
	s_lshl_b64 s[22:23], s[18:19], 2
	s_add_u32 s22, s9, s22
	s_addc_u32 s23, s12, s23
	global_load_dword v2, v28, s[22:23]
	s_waitcnt vmcnt(0)
	ds_write_b32 v3, v2
.LBB191_4:
	s_or_b64 exec, exec, s[2:3]
	s_waitcnt lgkmcnt(0)
	s_add_i32 s3, s17, 15
	s_ashr_i32 s8, s3, 31
	s_lshr_b32 s8, s8, 28
	s_add_i32 s3, s3, s8
	s_ashr_i32 s19, s3, 4
	s_xor_b32 s3, s6, s7
	s_mul_i32 s6, s20, s10
	s_sub_i32 s6, s11, s6
	s_add_i32 s7, s20, 1
	s_sub_i32 s8, s6, s10
	s_load_dwordx2 s[22:23], s[0:1], 0x28
	s_load_dword s2, s[0:1], 0x38
	s_cmp_ge_u32 s6, s10
	s_cselect_b32 s7, s7, s20
	s_cselect_b32 s6, s8, s6
	s_add_i32 s8, s7, 1
	s_cmp_ge_u32 s6, s10
	s_cselect_b32 s6, s8, s7
	v_lshrrev_b32_e32 v39, 6, v0
	s_xor_b32 s6, s6, s3
	s_waitcnt lgkmcnt(0)
	s_mul_i32 s24, s2, s16
	s_sub_i32 s33, s6, s3
	s_ashr_i32 s25, s24, 31
	v_cmp_gt_i32_e64 s[6:7], s19, v39
	v_cmp_le_i32_e32 vcc, s19, v39
	v_mbcnt_lo_u32_b32 v24, -1, 0
	s_barrier
                                        ; implicit-def: $vgpr30
                                        ; implicit-def: $vgpr32
                                        ; implicit-def: $vgpr31
	s_and_saveexec_b64 s[2:3], vcc
	s_xor_b64 s[2:3], exec, s[2:3]
; %bb.5:
	v_mbcnt_hi_u32_b32 v30, -1, v24
	v_and_b32_e32 v32, 64, v30
	v_add_u32_e32 v31, 64, v32
                                        ; implicit-def: $vgpr24
; %bb.6:
	s_or_saveexec_b64 s[30:31], s[2:3]
	s_load_dwordx2 s[20:21], s[0:1], 0x0
	s_load_dwordx2 s[26:27], s[0:1], 0x18
	s_load_dword s12, s[0:1], 0x88
	s_load_dwordx4 s[8:11], s[0:1], 0x58
	v_mov_b32_e32 v23, 0xff7fffff
	s_mul_i32 s33, s33, s14
	v_lshrrev_b32_e32 v29, 4, v0
	s_xor_b64 exec, exec, s[30:31]
	s_cbranch_execz .LBB191_12
; %bb.7:
	v_mbcnt_hi_u32_b32 v30, -1, v24
	s_load_dwordx2 s[0:1], s[0:1], 0x10
	v_and_b32_e32 v32, 64, v30
	v_add_u32_e32 v31, 64, v32
	v_xor_b32_e32 v23, 2, v30
	v_mul_u32_u24_e32 v18, 0x50, v22
	v_cmp_lt_i32_e32 vcc, v23, v31
	ds_read_b128 v[2:5], v18
	ds_read_b128 v[6:9], v18 offset:16
	ds_read_b128 v[10:13], v18 offset:32
	;; [unrolled: 1-line block ×4, first 2 shown]
	v_cndmask_b32_e32 v23, v30, v23, vcc
	s_ashr_i32 s2, s33, 31
	v_lshlrev_b32_e32 v33, 2, v23
	v_xor_b32_e32 v23, 1, v30
	v_bfe_u32 v40, v0, 2, 4
	s_waitcnt lgkmcnt(0)
	s_add_u32 s0, s0, s33
	v_cmp_lt_i32_e32 vcc, v23, v31
	v_lshlrev_b32_e32 v26, 4, v40
	s_addc_u32 s1, s1, s2
	v_mov_b32_e32 v27, 0
	v_cndmask_b32_e32 v23, v30, v23, vcc
	s_load_dword s35, s[8:9], 0x0
	v_lshl_add_u64 v[36:37], s[0:1], 0, v[26:27]
	v_lshlrev_b32_e32 v34, 2, v23
	v_mov_b32_e32 v23, v27
	s_sub_i32 s36, 1, s17
	s_lshl_b64 s[0:1], s[24:25], 2
	v_lshl_add_u64 v[24:25], v[36:37], 0, v[22:23]
	v_lshlrev_b32_e32 v23, 2, v40
	s_add_u32 s0, s22, s0
	v_lshl_or_b32 v23, v39, 6, v23
	v_and_b32_e32 v26, 60, v29
	s_addc_u32 s1, s23, s1
	s_mov_b32 s34, s13
	v_cmp_eq_u32_e32 vcc, 0, v22
	v_cmp_neq_f32_e64 s[2:3], s28, 0
	v_lshl_or_b32 v35, v39, 4, v40
	v_add_u32_e32 v36, 0x150, v23
	v_lshl_add_u64 v[26:27], s[0:1], 0, v[26:27]
	v_mov_b32_e32 v23, 0xff7fffff
	s_mov_b64 s[8:9], 0
	v_mov_b32_e32 v37, v39
	s_branch .LBB191_9
.LBB191_8:                              ;   in Loop: Header=BB191_9 Depth=1
	s_or_b64 exec, exec, s[14:15]
	v_add_u32_e32 v37, 2, v37
	v_cmp_le_i32_e64 s[0:1], s19, v37
	v_add_u32_e32 v35, 32, v35
	v_add_u32_e32 v36, 0x80, v36
	s_or_b64 s[8:9], s[0:1], s[8:9]
	v_lshl_add_u64 v[26:27], v[26:27], 0, 8
	s_andn2_b64 exec, exec, s[8:9]
	s_cbranch_execz .LBB191_11
.LBB191_9:                              ; =>This Inner Loop Header: Depth=1
	global_load_dword v40, v[26:27], off
	s_waitcnt vmcnt(0) lgkmcnt(0)
	v_mad_i64_i32 v[40:41], s[0:1], v40, s34, v[24:25]
	global_load_ubyte v42, v[40:41], off
	global_load_ubyte v43, v[40:41], off offset:4
	global_load_ubyte v44, v[40:41], off offset:8
	;; [unrolled: 1-line block ×19, first 2 shown]
	s_waitcnt vmcnt(19)
	v_cvt_f32_fp8_e32 v40, v42
	s_waitcnt vmcnt(18)
	v_cvt_f32_fp8_e32 v41, v43
	;; [unrolled: 2-line block ×5, first 2 shown]
	s_waitcnt lgkmcnt(0)
	v_mul_f32_e32 v41, s35, v41
	s_waitcnt vmcnt(14)
	v_cvt_f32_fp8_e32 v45, v47
	v_mul_f32_e32 v40, s35, v40
	v_mul_f32_e32 v41, v3, v41
	s_waitcnt vmcnt(13)
	v_cvt_f32_fp8_e32 v46, v48
	v_mul_f32_e32 v42, s35, v42
	v_fmac_f32_e32 v41, v2, v40
	s_waitcnt vmcnt(12)
	v_cvt_f32_fp8_e32 v47, v49
	v_mul_f32_e32 v43, s35, v43
	v_fmac_f32_e32 v41, v4, v42
	;; [unrolled: 4-line block ×14, first 2 shown]
	v_mul_f32_e32 v56, s35, v56
	v_fmac_f32_e32 v41, v17, v55
	v_mul_f32_e32 v57, s35, v57
	v_fmac_f32_e32 v41, v18, v56
	;; [unrolled: 2-line block ×4, first 2 shown]
	v_fmac_f32_e32 v41, v21, v59
	ds_bpermute_b32 v40, v33, v41
	s_waitcnt lgkmcnt(0)
	v_add_f32_e32 v40, v41, v40
	ds_bpermute_b32 v41, v34, v40
	s_and_saveexec_b64 s[14:15], vcc
	s_cbranch_execz .LBB191_8
; %bb.10:                               ;   in Loop: Header=BB191_9 Depth=1
	v_add_u32_e32 v42, s36, v35
	v_cvt_f32_i32_e32 v42, v42
	s_waitcnt lgkmcnt(0)
	v_add_f32_e32 v40, v40, v41
	v_cmp_gt_i32_e64 s[0:1], s17, v35
	v_max_f32_e32 v41, v23, v23
	v_mul_f32_e32 v42, s28, v42
	v_cndmask_b32_e64 v42, 0, v42, s[2:3]
	v_fmac_f32_e32 v42, s29, v40
	v_cndmask_b32_e64 v40, 0, v42, s[0:1]
	ds_write_b32 v36, v40
	v_max_f32_e32 v40, v41, v42
	v_cndmask_b32_e64 v23, v23, v40, s[0:1]
	s_branch .LBB191_8
.LBB191_11:
	s_or_b64 exec, exec, s[8:9]
.LBB191_12:
	s_or_b64 exec, exec, s[30:31]
	v_xor_b32_e32 v2, 32, v30
	v_cmp_lt_i32_e32 vcc, v2, v31
	v_xor_b32_e32 v5, 16, v30
	v_max_f32_e32 v4, v23, v23
	v_cndmask_b32_e32 v2, v30, v2, vcc
	v_lshlrev_b32_e32 v2, 2, v2
	ds_bpermute_b32 v3, v2, v23
	v_cmp_lt_i32_e32 vcc, v5, v31
	v_xor_b32_e32 v6, 8, v30
	v_xor_b32_e32 v7, 4, v30
	v_and_b32_e32 v23, 63, v0
	s_waitcnt lgkmcnt(0)
	v_max_f32_e32 v3, v3, v3
	v_max_f32_e32 v4, v4, v3
	v_cndmask_b32_e32 v3, v30, v5, vcc
	v_lshlrev_b32_e32 v3, 2, v3
	ds_bpermute_b32 v5, v3, v4
	v_cmp_lt_i32_e32 vcc, v6, v31
	s_waitcnt lgkmcnt(0)
	v_max_f32_e32 v5, v5, v5
	v_max_f32_e32 v4, v4, v5
	v_cndmask_b32_e32 v5, v30, v6, vcc
	v_lshlrev_b32_e32 v6, 2, v5
	ds_bpermute_b32 v5, v6, v4
	v_cmp_lt_i32_e32 vcc, v7, v31
	s_waitcnt lgkmcnt(0)
	v_max_f32_e32 v5, v5, v5
	v_max_f32_e32 v5, v4, v5
	v_cndmask_b32_e32 v4, v30, v7, vcc
	v_lshlrev_b32_e32 v7, 2, v4
	ds_bpermute_b32 v8, v7, v5
	v_cmp_eq_u32_e32 vcc, 0, v23
	v_lshlrev_b32_e32 v4, 2, v39
	s_and_saveexec_b64 s[0:1], vcc
	s_cbranch_execz .LBB191_14
; %bb.13:
	s_waitcnt lgkmcnt(0)
	v_max_f32_e32 v8, v8, v8
	v_max_f32_e32 v5, v5, v5
	;; [unrolled: 1-line block ×3, first 2 shown]
	ds_write_b32 v4, v5 offset:320
.LBB191_14:
	s_or_b64 exec, exec, s[0:1]
	v_cmp_gt_u32_e64 s[0:1], 2, v23
	s_waitcnt lgkmcnt(0)
	v_mov_b32_e32 v8, 0xff7fffff
	v_lshlrev_b32_e32 v5, 2, v23
	s_barrier
	s_and_saveexec_b64 s[2:3], s[0:1]
; %bb.15:
	ds_read_b32 v8, v5 offset:320
; %bb.16:
	s_or_b64 exec, exec, s[2:3]
	v_xor_b32_e32 v9, 1, v30
	v_cmp_lt_i32_e64 s[2:3], v9, v31
	s_nop 1
	v_cndmask_b32_e64 v9, v30, v9, s[2:3]
	v_lshlrev_b32_e32 v40, 2, v9
	s_waitcnt lgkmcnt(0)
	ds_bpermute_b32 v9, v40, v8
	v_max_f32_e32 v8, v8, v8
	s_lshl_b32 s2, s19, 4
	s_min_i32 s30, s2, s17
	v_cmp_gt_i32_e64 s[2:3], s30, v0
	s_waitcnt lgkmcnt(0)
	v_max_f32_e32 v9, v9, v9
	v_max_f32_e32 v8, v8, v9
	v_lshlrev_b32_e32 v9, 2, v32
	ds_bpermute_b32 v9, v9, v8
	v_mov_b32_e32 v8, 0
	s_and_saveexec_b64 s[14:15], s[2:3]
	s_cbranch_execz .LBB191_20
; %bb.17:
	v_mov_b32_e32 v8, 0x150
	v_lshl_add_u32 v10, v0, 2, v8
	v_mov_b32_e32 v8, 0
	s_mov_b64 s[28:29], 0
	v_mov_b32_e32 v11, v0
.LBB191_18:                             ; =>This Inner Loop Header: Depth=1
	ds_read_b32 v12, v10
	v_add_u32_e32 v11, 0x80, v11
	v_cmp_le_i32_e64 s[8:9], s30, v11
	s_or_b64 s[28:29], s[8:9], s[28:29]
	s_waitcnt lgkmcnt(0)
	v_sub_f32_e32 v12, v12, v9
	v_mul_f32_e32 v12, 0x3fb8aa3b, v12
	v_exp_f32_e32 v12, v12
	ds_write_b32 v10, v12
	v_add_f32_e32 v8, v8, v12
	v_add_u32_e32 v10, 0x200, v10
	s_andn2_b64 exec, exec, s[28:29]
	s_cbranch_execnz .LBB191_18
; %bb.19:
	s_or_b64 exec, exec, s[28:29]
.LBB191_20:
	s_or_b64 exec, exec, s[14:15]
	ds_bpermute_b32 v2, v2, v8
	s_waitcnt lgkmcnt(0)
	v_add_f32_e32 v2, v8, v2
	ds_bpermute_b32 v3, v3, v2
	s_waitcnt lgkmcnt(0)
	v_add_f32_e32 v2, v2, v3
	ds_bpermute_b32 v3, v6, v2
	v_xor_b32_e32 v6, 2, v30
	v_cmp_lt_i32_e64 s[8:9], v6, v31
	s_waitcnt lgkmcnt(0)
	v_add_f32_e32 v2, v2, v3
	ds_bpermute_b32 v3, v7, v2
	v_cndmask_b32_e64 v6, v30, v6, s[8:9]
	v_lshlrev_b32_e32 v41, 2, v6
	s_waitcnt lgkmcnt(0)
	v_add_f32_e32 v2, v2, v3
	ds_bpermute_b32 v3, v41, v2
	s_waitcnt lgkmcnt(0)
	v_add_f32_e32 v2, v2, v3
	ds_bpermute_b32 v3, v40, v2
	s_waitcnt lgkmcnt(0)
	v_add_f32_e32 v2, v2, v3
	s_and_saveexec_b64 s[8:9], vcc
; %bb.21:
	ds_write_b32 v4, v2 offset:328
; %bb.22:
	s_or_b64 exec, exec, s[8:9]
	s_waitcnt lgkmcnt(0)
	s_barrier
	s_and_saveexec_b64 s[8:9], s[0:1]
; %bb.23:
	ds_read_b32 v2, v5 offset:328
; %bb.24:
	s_or_b64 exec, exec, s[8:9]
	s_waitcnt lgkmcnt(0)
	ds_bpermute_b32 v3, v40, v2
	v_lshlrev_b32_e32 v4, 2, v30
	s_waitcnt lgkmcnt(0)
	v_add_f32_e32 v2, v2, v3
	v_and_b32_e32 v3, 0xffffff00, v4
	ds_bpermute_b32 v2, v3, v2
	s_and_saveexec_b64 s[0:1], s[2:3]
	s_cbranch_execz .LBB191_37
; %bb.25:
	s_waitcnt lgkmcnt(0)
	v_add_f32_e32 v2, 0x358637bd, v2
	v_div_scale_f32 v3, s[2:3], v2, v2, 1.0
	v_rcp_f32_e32 v4, v3
	v_div_scale_f32 v5, vcc, 1.0, v2, 1.0
	s_movk_i32 s2, 0x7f
	v_fma_f32 v6, -v3, v4, 1.0
	v_fmac_f32_e32 v4, v6, v4
	v_mul_f32_e32 v6, v5, v4
	v_fma_f32 v7, -v3, v6, v5
	v_fmac_f32_e32 v6, v7, v4
	v_fma_f32 v3, -v3, v6, v5
	v_div_fmas_f32 v3, v3, v4, v6
	v_xad_u32 v4, v0, -1, s30
	v_div_fixup_f32 v2, v3, v2, 1.0
	v_cmp_lt_u32_e32 vcc, s2, v4
	s_mov_b64 s[8:9], -1
	v_mov_b32_e32 v3, v0
	s_and_saveexec_b64 s[2:3], vcc
	s_cbranch_execz .LBB191_34
; %bb.26:
	v_lshrrev_b32_e32 v4, 7, v4
	v_add_u32_e32 v6, -1, v4
	v_lshrrev_b32_e32 v5, 1, v6
	v_mov_b32_e32 v3, v2
	v_add_u32_e32 v5, 1, v5
	v_cmp_lt_u32_e32 vcc, 13, v6
	v_mov_b32_e32 v8, 0
	s_and_saveexec_b64 s[8:9], vcc
	s_cbranch_execz .LBB191_30
; %bb.27:
	v_mov_b32_e32 v7, 0x150
	v_and_b32_e32 v6, -8, v5
	v_lshl_add_u32 v7, v0, 2, v7
	s_mov_b32 s28, 0
	s_mov_b64 s[14:15], 0
.LBB191_28:                             ; =>This Inner Loop Header: Depth=1
	ds_read2st64_b32 v[8:9], v7 offset1:2
	ds_read2st64_b32 v[10:11], v7 offset0:4 offset1:6
	ds_read2st64_b32 v[12:13], v7 offset0:8 offset1:10
	;; [unrolled: 1-line block ×3, first 2 shown]
	v_add_u32_e32 v6, -8, v6
	s_waitcnt lgkmcnt(3)
	v_pk_mul_f32 v[8:9], v[2:3], v[8:9]
	s_waitcnt lgkmcnt(2)
	v_pk_mul_f32 v[10:11], v[2:3], v[10:11]
	ds_write2st64_b32 v7, v8, v9 offset1:2
	ds_write2st64_b32 v7, v10, v11 offset0:4 offset1:6
	ds_read2st64_b32 v[10:11], v7 offset0:16 offset1:18
	s_waitcnt lgkmcnt(4)
	v_pk_mul_f32 v[8:9], v[2:3], v[12:13]
	ds_write2st64_b32 v7, v8, v9 offset0:8 offset1:10
	s_waitcnt lgkmcnt(4)
	v_pk_mul_f32 v[8:9], v[2:3], v[14:15]
	ds_write2st64_b32 v7, v8, v9 offset0:12 offset1:14
	ds_read2st64_b32 v[8:9], v7 offset0:20 offset1:22
	s_waitcnt lgkmcnt(3)
	v_pk_mul_f32 v[10:11], v[2:3], v[10:11]
	ds_read2st64_b32 v[12:13], v7 offset0:24 offset1:26
	ds_write2st64_b32 v7, v10, v11 offset0:16 offset1:18
	ds_read2st64_b32 v[10:11], v7 offset0:28 offset1:30
	s_waitcnt lgkmcnt(3)
	v_pk_mul_f32 v[8:9], v[2:3], v[8:9]
	ds_write2st64_b32 v7, v8, v9 offset0:20 offset1:22
	s_waitcnt lgkmcnt(3)
	v_pk_mul_f32 v[8:9], v[2:3], v[12:13]
	ds_write2st64_b32 v7, v8, v9 offset0:24 offset1:26
	s_waitcnt lgkmcnt(2)
	v_pk_mul_f32 v[8:9], v[2:3], v[10:11]
	s_add_i32 s28, s28, 16
	v_cmp_eq_u32_e32 vcc, 0, v6
	ds_write2st64_b32 v7, v8, v9 offset0:28 offset1:30
	v_add_u32_e32 v7, 0x2000, v7
	s_or_b64 s[14:15], vcc, s[14:15]
	v_mov_b32_e32 v8, s28
	s_andn2_b64 exec, exec, s[14:15]
	s_cbranch_execnz .LBB191_28
; %bb.29:
	s_or_b64 exec, exec, s[14:15]
.LBB191_30:
	s_or_b64 exec, exec, s[8:9]
	v_and_b32_e32 v5, 7, v5
	v_cmp_ne_u32_e32 vcc, 0, v5
	s_and_saveexec_b64 s[8:9], vcc
	s_cbranch_execz .LBB191_33
; %bb.31:
	v_lshlrev_b32_e32 v6, 9, v8
	s_movk_i32 s14, 0x150
	v_add3_u32 v6, v6, v28, s14
	s_mov_b64 s[14:15], 0
.LBB191_32:                             ; =>This Inner Loop Header: Depth=1
	ds_read2st64_b32 v[8:9], v6 offset1:2
	v_add_u32_e32 v5, -1, v5
	v_cmp_eq_u32_e32 vcc, 0, v5
	s_or_b64 s[14:15], vcc, s[14:15]
	s_waitcnt lgkmcnt(0)
	v_pk_mul_f32 v[8:9], v[2:3], v[8:9]
	ds_write2st64_b32 v6, v8, v9 offset1:2
	v_add_u32_e32 v6, 0x400, v6
	s_andn2_b64 exec, exec, s[14:15]
	s_cbranch_execnz .LBB191_32
.LBB191_33:
	s_or_b64 exec, exec, s[8:9]
	v_add_u32_e32 v4, 1, v4
	v_and_b32_e32 v5, 0x3fffffe, v4
	v_cmp_ne_u32_e32 vcc, v4, v5
	v_lshl_add_u32 v3, v5, 7, v0
	s_orn2_b64 s[8:9], vcc, exec
.LBB191_34:
	s_or_b64 exec, exec, s[2:3]
	s_and_b64 exec, exec, s[8:9]
	s_cbranch_execz .LBB191_37
; %bb.35:
	v_mov_b32_e32 v4, 0x150
	v_lshl_add_u32 v4, v3, 2, v4
	s_mov_b64 s[2:3], 0
.LBB191_36:                             ; =>This Inner Loop Header: Depth=1
	ds_read_b32 v5, v4
	v_add_u32_e32 v3, 0x80, v3
	v_cmp_le_i32_e32 vcc, s30, v3
	s_or_b64 s[2:3], vcc, s[2:3]
	s_waitcnt lgkmcnt(0)
	v_mul_f32_e32 v5, v2, v5
	ds_write_b32 v4, v5
	v_add_u32_e32 v4, 0x200, v4
	s_andn2_b64 exec, exec, s[2:3]
	s_cbranch_execnz .LBB191_36
.LBB191_37:
	s_or_b64 exec, exec, s[0:1]
	v_mov_b32_e32 v9, 0
	v_mov_b32_e32 v8, 0
	;; [unrolled: 1-line block ×5, first 2 shown]
	s_waitcnt lgkmcnt(0)
	s_barrier
	s_and_saveexec_b64 s[2:3], s[6:7]
	s_cbranch_execz .LBB191_51
; %bb.38:
	s_ashr_i32 s1, s33, 31
	s_load_dword s6, s[10:11], 0x0
	s_add_u32 s0, s26, s33
	s_addc_u32 s1, s27, s1
	v_and_b32_e32 v6, 0xfc, v28
	v_mov_b32_e32 v7, 0
	v_and_b32_e32 v2, 12, v28
	s_add_i32 s14, s19, -1
	v_lshl_add_u64 v[12:13], s[0:1], 0, v[6:7]
	s_lshl_b64 s[0:1], s[24:25], 2
	v_lshl_or_b32 v42, v39, 4, v2
	v_lshlrev_b32_e32 v2, 4, v22
	s_add_u32 s0, s22, s0
	v_lshl_or_b32 v2, v39, 6, v2
	v_and_b32_e32 v6, 60, v29
	s_addc_u32 s1, s23, s1
	s_waitcnt lgkmcnt(0)
	s_mov_b32 s7, s6
	s_mov_b32 s15, s17
	v_add_u32_e32 v43, 0x150, v2
	v_lshl_add_u64 v[14:15], s[0:1], 0, v[6:7]
	s_mov_b64 s[8:9], 0
	v_mov_b32_e32 v9, v7
	v_mov_b32_e32 v8, v7
	;; [unrolled: 1-line block ×4, first 2 shown]
	s_branch .LBB191_40
.LBB191_39:                             ;   in Loop: Header=BB191_40 Depth=1
	s_or_b64 exec, exec, s[0:1]
	s_waitcnt lgkmcnt(0)
	v_mul_f32_e32 v6, v2, v34
	v_fmac_f32_e32 v6, v3, v35
	v_fmac_f32_e32 v6, v4, v32
	v_fmac_f32_e32 v6, v5, v33
	v_add_f32_e32 v9, v9, v6
	v_mul_f32_e32 v6, v2, v30
	v_fmac_f32_e32 v6, v3, v31
	v_fmac_f32_e32 v6, v4, v28
	v_fmac_f32_e32 v6, v5, v29
	v_add_f32_e32 v8, v8, v6
	;; [unrolled: 5-line block ×3, first 2 shown]
	v_mul_f32_e32 v6, v2, v18
	v_fmac_f32_e32 v6, v3, v19
	v_fmac_f32_e32 v6, v4, v16
	v_pk_mul_f32 v[2:3], v[2:3], v[36:37]
	v_fmac_f32_e32 v6, v5, v17
	v_pk_mul_f32 v[4:5], v[4:5], v[26:27]
	v_add_f32_e32 v2, v3, v2
	v_add_f32_e32 v2, v4, v2
	v_add_u32_e32 v39, 2, v39
	v_add_f32_e32 v2, v5, v2
	v_cmp_le_i32_e32 vcc, s19, v39
	v_add_f32_e32 v10, v10, v6
	v_add_f32_e32 v7, v7, v2
	v_add_u32_e32 v42, 32, v42
	v_add_u32_e32 v43, 0x80, v43
	s_or_b64 s[8:9], vcc, s[8:9]
	v_lshl_add_u64 v[14:15], v[14:15], 0, 8
	s_andn2_b64 exec, exec, s[8:9]
	s_cbranch_execz .LBB191_50
.LBB191_40:                             ; =>This Inner Loop Header: Depth=1
	global_load_dword v2, v[14:15], off
	v_cmp_eq_u32_e32 vcc, s14, v39
	v_add_u32_e32 v36, 2, v42
	v_add_u32_e32 v37, 3, v42
	s_waitcnt vmcnt(0)
	v_mad_i64_i32 v[26:27], s[0:1], v2, s13, v[12:13]
	global_load_dword v6, v[26:27], off
	ds_read_b128 v[2:5], v43
	s_waitcnt vmcnt(0)
	v_and_b32_e32 v16, 0xffff, v6
	v_lshrrev_b32_e32 v6, 16, v6
	v_cvt_pk_f32_fp8_e32 v[16:17], v16
	v_cvt_pk_f32_fp8_e32 v[20:21], v6
	v_add_u32_e32 v6, 1, v42
	v_pk_mul_f32 v[18:19], s[6:7], v[16:17]
	v_pk_mul_f32 v[16:17], s[6:7], v[20:21]
	s_and_saveexec_b64 s[10:11], vcc
; %bb.41:                               ;   in Loop: Header=BB191_40 Depth=1
	v_cmp_gt_i32_e64 s[0:1], s17, v42
	s_nop 1
	v_cndmask_b32_e64 v18, 0, v18, s[0:1]
	v_cmp_gt_i32_e64 s[0:1], s17, v6
	s_nop 1
	v_cndmask_b32_e64 v19, 0, v19, s[0:1]
	v_cmp_gt_i32_e64 s[0:1], s17, v36
	s_nop 1
	v_cndmask_b32_e64 v16, 0, v16, s[0:1]
	v_cmp_gt_i32_e64 s[0:1], s17, v37
	s_nop 1
	v_cndmask_b32_e64 v17, 0, v17, s[0:1]
; %bb.42:                               ;   in Loop: Header=BB191_40 Depth=1
	s_or_b64 exec, exec, s[10:11]
	global_load_dword v20, v[26:27], off offset:256
	s_waitcnt vmcnt(0)
	v_and_b32_e32 v21, 0xffff, v20
	v_lshrrev_b32_e32 v24, 16, v20
	v_cvt_pk_f32_fp8_e32 v[20:21], v21
	v_cvt_pk_f32_fp8_e32 v[28:29], v24
	v_pk_mul_f32 v[24:25], s[6:7], v[20:21]
	v_pk_mul_f32 v[20:21], s[6:7], v[28:29]
	s_and_saveexec_b64 s[10:11], vcc
; %bb.43:                               ;   in Loop: Header=BB191_40 Depth=1
	v_cmp_gt_i32_e64 s[0:1], s17, v42
	s_nop 1
	v_cndmask_b32_e64 v24, 0, v24, s[0:1]
	v_cmp_gt_i32_e64 s[0:1], s17, v6
	s_nop 1
	v_cndmask_b32_e64 v25, 0, v25, s[0:1]
	v_cmp_gt_i32_e64 s[0:1], s17, v36
	s_nop 1
	v_cndmask_b32_e64 v20, 0, v20, s[0:1]
	v_cmp_gt_i32_e64 s[0:1], s17, v37
	s_nop 1
	v_cndmask_b32_e64 v21, 0, v21, s[0:1]
; %bb.44:                               ;   in Loop: Header=BB191_40 Depth=1
	s_or_b64 exec, exec, s[10:11]
	global_load_dword v28, v[26:27], off offset:512
	s_waitcnt vmcnt(0)
	v_and_b32_e32 v29, 0xffff, v28
	v_lshrrev_b32_e32 v30, 16, v28
	v_cvt_pk_f32_fp8_e32 v[28:29], v29
	v_cvt_pk_f32_fp8_e32 v[32:33], v30
	;; [unrolled: 24-line block ×4, first 2 shown]
	v_pk_mul_f32 v[36:37], s[6:7], v[26:27]
	v_pk_mul_f32 v[26:27], s[6:7], v[44:45]
	s_and_saveexec_b64 s[0:1], vcc
	s_cbranch_execz .LBB191_39
; %bb.49:                               ;   in Loop: Header=BB191_40 Depth=1
	v_cmp_gt_i32_e32 vcc, s15, v6
	v_or_b32_e32 v6, 3, v42
	v_or_b32_e32 v44, 2, v42
	v_cndmask_b32_e32 v37, 0, v37, vcc
	v_cmp_gt_i32_e32 vcc, s17, v42
	s_nop 1
	v_cndmask_b32_e32 v36, 0, v36, vcc
	v_cmp_gt_i32_e32 vcc, s15, v6
	s_nop 1
	;; [unrolled: 3-line block ×3, first 2 shown]
	v_cndmask_b32_e32 v26, 0, v26, vcc
	s_branch .LBB191_39
.LBB191_50:
	s_or_b64 exec, exec, s[8:9]
.LBB191_51:
	s_or_b64 exec, exec, s[2:3]
	ds_bpermute_b32 v2, v41, v10
	ds_bpermute_b32 v3, v41, v11
	;; [unrolled: 1-line block ×5, first 2 shown]
	s_waitcnt lgkmcnt(0)
	v_pk_add_f32 v[2:3], v[10:11], v[2:3]
	ds_bpermute_b32 v10, v40, v2
	v_pk_add_f32 v[8:9], v[8:9], v[4:5]
	ds_bpermute_b32 v11, v40, v3
	ds_bpermute_b32 v12, v40, v8
	;; [unrolled: 1-line block ×3, first 2 shown]
	v_add_f32_e32 v7, v7, v6
	v_and_b32_e32 v6, 0x3c3, v0
	s_waitcnt lgkmcnt(2)
	v_pk_add_f32 v[4:5], v[2:3], v[10:11]
	v_cmp_ne_u32_e32 vcc, 64, v6
	s_waitcnt lgkmcnt(0)
	v_pk_add_f32 v[2:3], v[8:9], v[12:13]
	ds_bpermute_b32 v8, v40, v7
	s_barrier
	s_waitcnt lgkmcnt(0)
	s_and_saveexec_b64 s[0:1], vcc
	s_xor_b64 s[0:1], exec, s[0:1]
; %bb.52:
                                        ; implicit-def: $vgpr23
; %bb.53:
	s_or_saveexec_b64 s[0:1], s[0:1]
	v_add_f32_e32 v7, v7, v8
	s_xor_b64 exec, exec, s[0:1]
	s_cbranch_execz .LBB191_55
; %bb.54:
	v_add_u32_e32 v8, 0x150, v23
	ds_write2_b32 v8, v4, v5 offset1:16
	ds_write2_b32 v8, v2, v3 offset0:32 offset1:48
	ds_write_b32 v8, v7 offset:256
.LBB191_55:
	s_or_b64 exec, exec, s[0:1]
	v_cmp_gt_u32_e32 vcc, 64, v0
	s_waitcnt lgkmcnt(0)
	s_barrier
	s_and_saveexec_b64 s[0:1], vcc
	s_cbranch_execz .LBB191_63
; %bb.56:
	v_mov_b32_e32 v0, 0x150
	v_cmp_eq_u32_e32 vcc, 0, v22
	v_lshl_add_u32 v0, v38, 2, v0
	s_and_saveexec_b64 s[2:3], vcc
	s_cbranch_execnz .LBB191_66
; %bb.57:
	s_or_b64 exec, exec, s[2:3]
	s_and_saveexec_b64 s[2:3], vcc
	s_cbranch_execnz .LBB191_67
.LBB191_58:
	s_or_b64 exec, exec, s[2:3]
	s_and_saveexec_b64 s[2:3], vcc
	s_cbranch_execnz .LBB191_68
.LBB191_59:
	s_or_b64 exec, exec, s[2:3]
	s_and_saveexec_b64 s[2:3], vcc
	s_cbranch_execnz .LBB191_69
.LBB191_60:
	s_or_b64 exec, exec, s[2:3]
	s_and_saveexec_b64 s[2:3], vcc
	s_cbranch_execz .LBB191_62
.LBB191_61:
	ds_read_b32 v0, v0 offset:256
	s_waitcnt lgkmcnt(0)
	v_add_f32_e32 v7, v7, v0
.LBB191_62:
	s_or_b64 exec, exec, s[2:3]
.LBB191_63:
	s_or_b64 exec, exec, s[0:1]
	v_cmp_eq_u32_e32 vcc, 0, v6
	s_barrier
	s_and_saveexec_b64 s[0:1], vcc
	s_cbranch_execz .LBB191_65
; %bb.64:
	s_mul_i32 s0, s16, s12
	s_mul_i32 s0, s0, s5
	s_mulk_i32 s0, 0x50
	s_ashr_i32 s1, s0, 31
	s_lshl_b64 s[0:1], s[0:1], 2
	s_add_u32 s2, s20, s0
	s_mul_i32 s0, s12, s18
	s_addc_u32 s3, s21, s1
	s_ashr_i32 s1, s0, 31
	s_lshl_b64 s[0:1], s[0:1], 2
	s_add_u32 s2, s2, s0
	s_mul_i32 s0, s4, 0x50
	s_addc_u32 s3, s3, s1
	s_ashr_i32 s1, s0, 31
	s_lshl_b64 s[0:1], s[0:1], 2
	s_add_u32 s0, s2, s0
	s_addc_u32 s1, s3, s1
	global_store_dword v1, v4, s[0:1]
	global_store_dword v1, v5, s[0:1] offset:64
	global_store_dword v1, v2, s[0:1] offset:128
	;; [unrolled: 1-line block ×4, first 2 shown]
.LBB191_65:
	s_endpgm
.LBB191_66:
	ds_read_b32 v8, v0
	s_waitcnt lgkmcnt(0)
	v_add_f32_e32 v4, v4, v8
	s_or_b64 exec, exec, s[2:3]
	s_and_saveexec_b64 s[2:3], vcc
	s_cbranch_execz .LBB191_58
.LBB191_67:
	ds_read_b32 v8, v0 offset:64
	s_waitcnt lgkmcnt(0)
	v_add_f32_e32 v5, v5, v8
	s_or_b64 exec, exec, s[2:3]
	s_and_saveexec_b64 s[2:3], vcc
	s_cbranch_execz .LBB191_59
.LBB191_68:
	ds_read_b32 v8, v0 offset:128
	s_waitcnt lgkmcnt(0)
	v_add_f32_e32 v2, v2, v8
	s_or_b64 exec, exec, s[2:3]
	s_and_saveexec_b64 s[2:3], vcc
	s_cbranch_execz .LBB191_60
.LBB191_69:
	ds_read_b32 v8, v0 offset:192
	s_waitcnt lgkmcnt(0)
	v_add_f32_e32 v3, v3, v8
	s_or_b64 exec, exec, s[2:3]
	s_and_saveexec_b64 s[2:3], vcc
	s_cbranch_execnz .LBB191_61
	s_branch .LBB191_62
	.section	.rodata,"a",@progbits
	.p2align	6, 0x0
	.amdhsa_kernel _ZN4vllm25paged_attention_v1_kernelIfhLi80ELi16ELi128ELNS_18Fp8KVCacheDataTypeE1ELb0EEEvPT_PKS2_PKT0_S8_ifPKiSA_iPKfiiiSC_SC_iiiii
		.amdhsa_group_segment_fixed_size 336
		.amdhsa_private_segment_fixed_size 0
		.amdhsa_kernarg_size 384
		.amdhsa_user_sgpr_count 2
		.amdhsa_user_sgpr_dispatch_ptr 0
		.amdhsa_user_sgpr_queue_ptr 0
		.amdhsa_user_sgpr_kernarg_segment_ptr 1
		.amdhsa_user_sgpr_dispatch_id 0
		.amdhsa_user_sgpr_kernarg_preload_length 0
		.amdhsa_user_sgpr_kernarg_preload_offset 0
		.amdhsa_user_sgpr_private_segment_size 0
		.amdhsa_uses_dynamic_stack 0
		.amdhsa_enable_private_segment 0
		.amdhsa_system_sgpr_workgroup_id_x 1
		.amdhsa_system_sgpr_workgroup_id_y 1
		.amdhsa_system_sgpr_workgroup_id_z 1
		.amdhsa_system_sgpr_workgroup_info 0
		.amdhsa_system_vgpr_workitem_id 0
		.amdhsa_next_free_vgpr 62
		.amdhsa_next_free_sgpr 37
		.amdhsa_accum_offset 64
		.amdhsa_reserve_vcc 1
		.amdhsa_float_round_mode_32 0
		.amdhsa_float_round_mode_16_64 0
		.amdhsa_float_denorm_mode_32 3
		.amdhsa_float_denorm_mode_16_64 3
		.amdhsa_dx10_clamp 1
		.amdhsa_ieee_mode 1
		.amdhsa_fp16_overflow 0
		.amdhsa_tg_split 0
		.amdhsa_exception_fp_ieee_invalid_op 0
		.amdhsa_exception_fp_denorm_src 0
		.amdhsa_exception_fp_ieee_div_zero 0
		.amdhsa_exception_fp_ieee_overflow 0
		.amdhsa_exception_fp_ieee_underflow 0
		.amdhsa_exception_fp_ieee_inexact 0
		.amdhsa_exception_int_div_zero 0
	.end_amdhsa_kernel
	.section	.text._ZN4vllm25paged_attention_v1_kernelIfhLi80ELi16ELi128ELNS_18Fp8KVCacheDataTypeE1ELb0EEEvPT_PKS2_PKT0_S8_ifPKiSA_iPKfiiiSC_SC_iiiii,"axG",@progbits,_ZN4vllm25paged_attention_v1_kernelIfhLi80ELi16ELi128ELNS_18Fp8KVCacheDataTypeE1ELb0EEEvPT_PKS2_PKT0_S8_ifPKiSA_iPKfiiiSC_SC_iiiii,comdat
.Lfunc_end191:
	.size	_ZN4vllm25paged_attention_v1_kernelIfhLi80ELi16ELi128ELNS_18Fp8KVCacheDataTypeE1ELb0EEEvPT_PKS2_PKT0_S8_ifPKiSA_iPKfiiiSC_SC_iiiii, .Lfunc_end191-_ZN4vllm25paged_attention_v1_kernelIfhLi80ELi16ELi128ELNS_18Fp8KVCacheDataTypeE1ELb0EEEvPT_PKS2_PKT0_S8_ifPKiSA_iPKfiiiSC_SC_iiiii
                                        ; -- End function
	.set _ZN4vllm25paged_attention_v1_kernelIfhLi80ELi16ELi128ELNS_18Fp8KVCacheDataTypeE1ELb0EEEvPT_PKS2_PKT0_S8_ifPKiSA_iPKfiiiSC_SC_iiiii.num_vgpr, 62
	.set _ZN4vllm25paged_attention_v1_kernelIfhLi80ELi16ELi128ELNS_18Fp8KVCacheDataTypeE1ELb0EEEvPT_PKS2_PKT0_S8_ifPKiSA_iPKfiiiSC_SC_iiiii.num_agpr, 0
	.set _ZN4vllm25paged_attention_v1_kernelIfhLi80ELi16ELi128ELNS_18Fp8KVCacheDataTypeE1ELb0EEEvPT_PKS2_PKT0_S8_ifPKiSA_iPKfiiiSC_SC_iiiii.numbered_sgpr, 37
	.set _ZN4vllm25paged_attention_v1_kernelIfhLi80ELi16ELi128ELNS_18Fp8KVCacheDataTypeE1ELb0EEEvPT_PKS2_PKT0_S8_ifPKiSA_iPKfiiiSC_SC_iiiii.num_named_barrier, 0
	.set _ZN4vllm25paged_attention_v1_kernelIfhLi80ELi16ELi128ELNS_18Fp8KVCacheDataTypeE1ELb0EEEvPT_PKS2_PKT0_S8_ifPKiSA_iPKfiiiSC_SC_iiiii.private_seg_size, 0
	.set _ZN4vllm25paged_attention_v1_kernelIfhLi80ELi16ELi128ELNS_18Fp8KVCacheDataTypeE1ELb0EEEvPT_PKS2_PKT0_S8_ifPKiSA_iPKfiiiSC_SC_iiiii.uses_vcc, 1
	.set _ZN4vllm25paged_attention_v1_kernelIfhLi80ELi16ELi128ELNS_18Fp8KVCacheDataTypeE1ELb0EEEvPT_PKS2_PKT0_S8_ifPKiSA_iPKfiiiSC_SC_iiiii.uses_flat_scratch, 0
	.set _ZN4vllm25paged_attention_v1_kernelIfhLi80ELi16ELi128ELNS_18Fp8KVCacheDataTypeE1ELb0EEEvPT_PKS2_PKT0_S8_ifPKiSA_iPKfiiiSC_SC_iiiii.has_dyn_sized_stack, 0
	.set _ZN4vllm25paged_attention_v1_kernelIfhLi80ELi16ELi128ELNS_18Fp8KVCacheDataTypeE1ELb0EEEvPT_PKS2_PKT0_S8_ifPKiSA_iPKfiiiSC_SC_iiiii.has_recursion, 0
	.set _ZN4vllm25paged_attention_v1_kernelIfhLi80ELi16ELi128ELNS_18Fp8KVCacheDataTypeE1ELb0EEEvPT_PKS2_PKT0_S8_ifPKiSA_iPKfiiiSC_SC_iiiii.has_indirect_call, 0
	.section	.AMDGPU.csdata,"",@progbits
; Kernel info:
; codeLenInByte = 4476
; TotalNumSgprs: 43
; NumVgprs: 62
; NumAgprs: 0
; TotalNumVgprs: 62
; ScratchSize: 0
; MemoryBound: 0
; FloatMode: 240
; IeeeMode: 1
; LDSByteSize: 336 bytes/workgroup (compile time only)
; SGPRBlocks: 5
; VGPRBlocks: 7
; NumSGPRsForWavesPerEU: 43
; NumVGPRsForWavesPerEU: 62
; AccumOffset: 64
; Occupancy: 8
; WaveLimiterHint : 1
; COMPUTE_PGM_RSRC2:SCRATCH_EN: 0
; COMPUTE_PGM_RSRC2:USER_SGPR: 2
; COMPUTE_PGM_RSRC2:TRAP_HANDLER: 0
; COMPUTE_PGM_RSRC2:TGID_X_EN: 1
; COMPUTE_PGM_RSRC2:TGID_Y_EN: 1
; COMPUTE_PGM_RSRC2:TGID_Z_EN: 1
; COMPUTE_PGM_RSRC2:TIDIG_COMP_CNT: 0
; COMPUTE_PGM_RSRC3_GFX90A:ACCUM_OFFSET: 15
; COMPUTE_PGM_RSRC3_GFX90A:TG_SPLIT: 0
	.section	.text._ZN4vllm25paged_attention_v1_kernelIfhLi96ELi16ELi128ELNS_18Fp8KVCacheDataTypeE1ELb0EEEvPT_PKS2_PKT0_S8_ifPKiSA_iPKfiiiSC_SC_iiiii,"axG",@progbits,_ZN4vllm25paged_attention_v1_kernelIfhLi96ELi16ELi128ELNS_18Fp8KVCacheDataTypeE1ELb0EEEvPT_PKS2_PKT0_S8_ifPKiSA_iPKfiiiSC_SC_iiiii,comdat
	.protected	_ZN4vllm25paged_attention_v1_kernelIfhLi96ELi16ELi128ELNS_18Fp8KVCacheDataTypeE1ELb0EEEvPT_PKS2_PKT0_S8_ifPKiSA_iPKfiiiSC_SC_iiiii ; -- Begin function _ZN4vllm25paged_attention_v1_kernelIfhLi96ELi16ELi128ELNS_18Fp8KVCacheDataTypeE1ELb0EEEvPT_PKS2_PKT0_S8_ifPKiSA_iPKfiiiSC_SC_iiiii
	.globl	_ZN4vllm25paged_attention_v1_kernelIfhLi96ELi16ELi128ELNS_18Fp8KVCacheDataTypeE1ELb0EEEvPT_PKS2_PKT0_S8_ifPKiSA_iPKfiiiSC_SC_iiiii
	.p2align	8
	.type	_ZN4vllm25paged_attention_v1_kernelIfhLi96ELi16ELi128ELNS_18Fp8KVCacheDataTypeE1ELb0EEEvPT_PKS2_PKT0_S8_ifPKiSA_iPKfiiiSC_SC_iiiii,@function
_ZN4vllm25paged_attention_v1_kernelIfhLi96ELi16ELi128ELNS_18Fp8KVCacheDataTypeE1ELb0EEEvPT_PKS2_PKT0_S8_ifPKiSA_iPKfiiiSC_SC_iiiii: ; @_ZN4vllm25paged_attention_v1_kernelIfhLi96ELi16ELi128ELNS_18Fp8KVCacheDataTypeE1ELb0EEEvPT_PKS2_PKT0_S8_ifPKiSA_iPKfiiiSC_SC_iiiii
; %bb.0:
	s_load_dword s5, s[0:1], 0x80
	s_load_dwordx2 s[6:7], s[0:1], 0x30
	s_load_dwordx2 s[28:29], s[0:1], 0x20
	s_mov_b32 s16, s3
	s_ashr_i32 s17, s3, 31
	s_lshl_b64 s[8:9], s[16:17], 2
	s_waitcnt lgkmcnt(0)
	s_add_u32 s6, s6, s8
	s_addc_u32 s7, s7, s9
	s_abs_i32 s3, s28
	v_cvt_f32_u32_e32 v1, s3
	s_sub_i32 s10, 0, s3
	s_abs_i32 s9, s5
	s_xor_b32 s8, s5, s28
	v_rcp_iflag_f32_e32 v1, v1
	s_ashr_i32 s8, s8, 31
	s_mov_b32 s28, 0
	v_mul_f32_e32 v1, 0x4f7ffffe, v1
	v_cvt_u32_f32_e32 v1, v1
	s_nop 0
	v_readfirstlane_b32 s11, v1
	s_mul_i32 s10, s10, s11
	s_mul_hi_u32 s10, s11, s10
	s_add_i32 s11, s11, s10
	s_mul_hi_u32 s10, s9, s11
	s_mul_i32 s11, s10, s3
	s_sub_i32 s9, s9, s11
	s_add_i32 s11, s10, 1
	s_sub_i32 s12, s9, s3
	s_cmp_ge_u32 s9, s3
	s_cselect_b32 s10, s11, s10
	s_cselect_b32 s9, s12, s9
	s_add_i32 s11, s10, 1
	s_cmp_ge_u32 s9, s3
	s_cselect_b32 s3, s11, s10
	s_xor_b32 s3, s3, s8
	s_sub_i32 s12, s3, s8
	s_abs_i32 s10, s12
	v_cvt_f32_u32_e32 v1, s10
	s_load_dwordx2 s[8:9], s[0:1], 0x40
	s_sub_i32 s3, 0, s10
	s_abs_i32 s11, s2
	v_rcp_iflag_f32_e32 v1, v1
	s_nop 0
	v_mul_f32_e32 v1, 0x4f7ffffe, v1
	v_cvt_u32_f32_e32 v1, v1
	s_nop 0
	v_readfirstlane_b32 s13, v1
	s_mul_i32 s3, s3, s13
	s_mul_hi_u32 s3, s13, s3
	s_add_i32 s13, s13, s3
	s_waitcnt lgkmcnt(0)
	s_cmp_eq_u64 s[8:9], 0
	s_mul_hi_u32 s20, s11, s13
	s_cbranch_scc1 .LBB192_2
; %bb.1:
	s_ashr_i32 s3, s2, 31
	s_lshl_b64 s[14:15], s[2:3], 2
	s_add_u32 s8, s8, s14
	s_addc_u32 s9, s9, s15
	s_load_dword s28, s[8:9], 0x0
.LBB192_2:
	s_load_dword s17, s[6:7], 0x0
	s_ashr_i32 s7, s12, 31
	s_load_dwordx4 s[12:15], s[0:1], 0x48
	v_lshrrev_b32_e32 v42, 2, v0
	s_movk_i32 s8, 0x60
	s_ashr_i32 s6, s2, 31
	v_and_b32_e32 v26, 3, v0
	s_mul_i32 s18, s2, 0x60
	v_cmp_gt_u32_e32 vcc, s8, v0
	v_lshlrev_b32_e32 v32, 2, v0
	v_lshlrev_b32_e32 v1, 2, v42
	s_and_saveexec_b64 s[2:3], vcc
	s_cbranch_execz .LBB192_4
; %bb.3:
	s_load_dwordx2 s[22:23], s[0:1], 0x8
	s_waitcnt lgkmcnt(0)
	s_mul_i32 s24, s12, s16
	s_ashr_i32 s25, s24, 31
	s_lshl_b64 s[24:25], s[24:25], 2
	v_mad_u32_u24 v3, v26, s8, v1
	s_add_u32 s9, s22, s24
	s_addc_u32 s12, s23, s25
	s_ashr_i32 s19, s18, 31
	s_lshl_b64 s[22:23], s[18:19], 2
	s_add_u32 s22, s9, s22
	s_addc_u32 s23, s12, s23
	global_load_dword v2, v32, s[22:23]
	s_waitcnt vmcnt(0)
	ds_write_b32 v3, v2
.LBB192_4:
	s_or_b64 exec, exec, s[2:3]
	s_waitcnt lgkmcnt(0)
	s_add_i32 s3, s17, 15
	s_ashr_i32 s8, s3, 31
	s_lshr_b32 s8, s8, 28
	s_add_i32 s3, s3, s8
	s_ashr_i32 s19, s3, 4
	s_xor_b32 s3, s6, s7
	s_mul_i32 s6, s20, s10
	s_sub_i32 s6, s11, s6
	s_add_i32 s7, s20, 1
	s_sub_i32 s8, s6, s10
	s_load_dwordx2 s[22:23], s[0:1], 0x28
	s_load_dword s2, s[0:1], 0x38
	s_cmp_ge_u32 s6, s10
	s_cselect_b32 s7, s7, s20
	s_cselect_b32 s6, s8, s6
	s_add_i32 s8, s7, 1
	s_cmp_ge_u32 s6, s10
	s_cselect_b32 s6, s8, s7
	v_lshrrev_b32_e32 v43, 6, v0
	s_xor_b32 s6, s6, s3
	s_waitcnt lgkmcnt(0)
	s_mul_i32 s24, s2, s16
	s_sub_i32 s33, s6, s3
	s_ashr_i32 s25, s24, 31
	v_cmp_gt_i32_e64 s[6:7], s19, v43
	v_cmp_le_i32_e32 vcc, s19, v43
	v_mbcnt_lo_u32_b32 v28, -1, 0
	s_barrier
                                        ; implicit-def: $vgpr34
                                        ; implicit-def: $vgpr36
                                        ; implicit-def: $vgpr35
	s_and_saveexec_b64 s[2:3], vcc
	s_xor_b64 s[2:3], exec, s[2:3]
; %bb.5:
	v_mbcnt_hi_u32_b32 v34, -1, v28
	v_and_b32_e32 v36, 64, v34
	v_add_u32_e32 v35, 64, v36
                                        ; implicit-def: $vgpr28
; %bb.6:
	s_or_saveexec_b64 s[30:31], s[2:3]
	s_load_dwordx2 s[20:21], s[0:1], 0x0
	s_load_dwordx2 s[26:27], s[0:1], 0x18
	s_load_dword s12, s[0:1], 0x88
	s_load_dwordx4 s[8:11], s[0:1], 0x58
	v_mov_b32_e32 v27, 0xff7fffff
	s_mul_i32 s33, s33, s14
	v_lshrrev_b32_e32 v33, 4, v0
	s_xor_b64 exec, exec, s[30:31]
	s_cbranch_execz .LBB192_12
; %bb.7:
	v_mbcnt_hi_u32_b32 v34, -1, v28
	s_load_dwordx2 s[0:1], s[0:1], 0x10
	v_and_b32_e32 v36, 64, v34
	v_mul_u32_u24_e32 v22, 0x60, v26
	v_add_u32_e32 v35, 64, v36
	v_xor_b32_e32 v27, 2, v34
	ds_read_b128 v[2:5], v22
	ds_read_b128 v[6:9], v22 offset:16
	ds_read_b128 v[10:13], v22 offset:32
	;; [unrolled: 1-line block ×5, first 2 shown]
	v_cmp_lt_i32_e32 vcc, v27, v35
	s_ashr_i32 s2, s33, 31
	v_bfe_u32 v44, v0, 2, 4
	v_cndmask_b32_e32 v27, v34, v27, vcc
	v_lshlrev_b32_e32 v37, 2, v27
	v_xor_b32_e32 v27, 1, v34
	s_waitcnt lgkmcnt(0)
	s_add_u32 s0, s0, s33
	v_cmp_lt_i32_e32 vcc, v27, v35
	v_lshlrev_b32_e32 v30, 4, v44
	s_addc_u32 s1, s1, s2
	v_mov_b32_e32 v31, 0
	v_cndmask_b32_e32 v27, v34, v27, vcc
	s_load_dword s35, s[8:9], 0x0
	v_lshl_add_u64 v[40:41], s[0:1], 0, v[30:31]
	v_lshlrev_b32_e32 v38, 2, v27
	v_mov_b32_e32 v27, v31
	s_sub_i32 s36, 1, s17
	s_lshl_b64 s[0:1], s[24:25], 2
	v_lshl_add_u64 v[28:29], v[40:41], 0, v[26:27]
	v_lshlrev_b32_e32 v27, 2, v44
	s_add_u32 s0, s22, s0
	v_lshl_or_b32 v27, v43, 6, v27
	v_and_b32_e32 v30, 60, v33
	s_addc_u32 s1, s23, s1
	s_mov_b32 s34, s13
	v_cmp_eq_u32_e32 vcc, 0, v26
	v_cmp_neq_f32_e64 s[2:3], s28, 0
	v_lshl_or_b32 v39, v43, 4, v44
	v_add_u32_e32 v40, 0x190, v27
	v_lshl_add_u64 v[30:31], s[0:1], 0, v[30:31]
	v_mov_b32_e32 v27, 0xff7fffff
	s_mov_b64 s[8:9], 0
	v_mov_b32_e32 v41, v43
	s_branch .LBB192_9
.LBB192_8:                              ;   in Loop: Header=BB192_9 Depth=1
	s_or_b64 exec, exec, s[14:15]
	v_add_u32_e32 v41, 2, v41
	v_cmp_le_i32_e64 s[0:1], s19, v41
	v_add_u32_e32 v39, 32, v39
	v_add_u32_e32 v40, 0x80, v40
	s_or_b64 s[8:9], s[0:1], s[8:9]
	v_lshl_add_u64 v[30:31], v[30:31], 0, 8
	s_andn2_b64 exec, exec, s[8:9]
	s_cbranch_execz .LBB192_11
.LBB192_9:                              ; =>This Inner Loop Header: Depth=1
	global_load_dword v44, v[30:31], off
	s_waitcnt vmcnt(0) lgkmcnt(0)
	v_mad_i64_i32 v[44:45], s[0:1], v44, s34, v[28:29]
	global_load_ubyte v46, v[44:45], off
	global_load_ubyte v47, v[44:45], off offset:4
	global_load_ubyte v48, v[44:45], off offset:8
	;; [unrolled: 1-line block ×22, first 2 shown]
	s_nop 0
	global_load_ubyte v44, v[44:45], off offset:1292
	s_waitcnt vmcnt(23)
	v_cvt_f32_fp8_e32 v45, v46
	s_waitcnt vmcnt(22)
	v_cvt_f32_fp8_e32 v46, v47
	;; [unrolled: 2-line block ×5, first 2 shown]
	s_waitcnt lgkmcnt(0)
	v_mul_f32_e32 v46, s35, v46
	s_waitcnt vmcnt(18)
	v_cvt_f32_fp8_e32 v50, v51
	v_mul_f32_e32 v45, s35, v45
	v_mul_f32_e32 v46, v3, v46
	s_waitcnt vmcnt(17)
	v_cvt_f32_fp8_e32 v51, v52
	v_mul_f32_e32 v47, s35, v47
	v_fmac_f32_e32 v46, v2, v45
	s_waitcnt vmcnt(16)
	v_cvt_f32_fp8_e32 v52, v53
	v_mul_f32_e32 v48, s35, v48
	v_fmac_f32_e32 v46, v4, v47
	;; [unrolled: 4-line block ×18, first 2 shown]
	v_mul_f32_e32 v65, s35, v65
	v_fmac_f32_e32 v46, v21, v64
	v_mul_f32_e32 v66, s35, v66
	v_fmac_f32_e32 v46, v22, v65
	;; [unrolled: 2-line block ×4, first 2 shown]
	v_fmac_f32_e32 v46, v25, v44
	ds_bpermute_b32 v44, v37, v46
	s_waitcnt lgkmcnt(0)
	v_add_f32_e32 v44, v46, v44
	ds_bpermute_b32 v45, v38, v44
	s_and_saveexec_b64 s[14:15], vcc
	s_cbranch_execz .LBB192_8
; %bb.10:                               ;   in Loop: Header=BB192_9 Depth=1
	v_add_u32_e32 v46, s36, v39
	v_cvt_f32_i32_e32 v46, v46
	s_waitcnt lgkmcnt(0)
	v_add_f32_e32 v44, v44, v45
	v_cmp_gt_i32_e64 s[0:1], s17, v39
	v_max_f32_e32 v45, v27, v27
	v_mul_f32_e32 v46, s28, v46
	v_cndmask_b32_e64 v46, 0, v46, s[2:3]
	v_fmac_f32_e32 v46, s29, v44
	v_cndmask_b32_e64 v44, 0, v46, s[0:1]
	ds_write_b32 v40, v44
	v_max_f32_e32 v44, v45, v46
	v_cndmask_b32_e64 v27, v27, v44, s[0:1]
	s_branch .LBB192_8
.LBB192_11:
	s_or_b64 exec, exec, s[8:9]
.LBB192_12:
	s_or_b64 exec, exec, s[30:31]
	v_xor_b32_e32 v2, 32, v34
	v_cmp_lt_i32_e32 vcc, v2, v35
	v_xor_b32_e32 v5, 16, v34
	v_max_f32_e32 v4, v27, v27
	v_cndmask_b32_e32 v2, v34, v2, vcc
	v_lshlrev_b32_e32 v2, 2, v2
	ds_bpermute_b32 v3, v2, v27
	v_cmp_lt_i32_e32 vcc, v5, v35
	v_xor_b32_e32 v6, 8, v34
	v_xor_b32_e32 v7, 4, v34
	v_and_b32_e32 v27, 63, v0
	s_waitcnt lgkmcnt(0)
	v_max_f32_e32 v3, v3, v3
	v_max_f32_e32 v4, v4, v3
	v_cndmask_b32_e32 v3, v34, v5, vcc
	v_lshlrev_b32_e32 v3, 2, v3
	ds_bpermute_b32 v5, v3, v4
	v_cmp_lt_i32_e32 vcc, v6, v35
	s_waitcnt lgkmcnt(0)
	v_max_f32_e32 v5, v5, v5
	v_max_f32_e32 v4, v4, v5
	v_cndmask_b32_e32 v5, v34, v6, vcc
	v_lshlrev_b32_e32 v6, 2, v5
	ds_bpermute_b32 v5, v6, v4
	v_cmp_lt_i32_e32 vcc, v7, v35
	s_waitcnt lgkmcnt(0)
	v_max_f32_e32 v5, v5, v5
	v_max_f32_e32 v5, v4, v5
	v_cndmask_b32_e32 v4, v34, v7, vcc
	v_lshlrev_b32_e32 v7, 2, v4
	ds_bpermute_b32 v8, v7, v5
	v_cmp_eq_u32_e32 vcc, 0, v27
	v_lshlrev_b32_e32 v4, 2, v43
	s_and_saveexec_b64 s[0:1], vcc
	s_cbranch_execz .LBB192_14
; %bb.13:
	s_waitcnt lgkmcnt(0)
	v_max_f32_e32 v8, v8, v8
	v_max_f32_e32 v5, v5, v5
	v_max_f32_e32 v5, v5, v8
	ds_write_b32 v4, v5 offset:384
.LBB192_14:
	s_or_b64 exec, exec, s[0:1]
	v_cmp_gt_u32_e64 s[0:1], 2, v27
	s_waitcnt lgkmcnt(0)
	v_mov_b32_e32 v8, 0xff7fffff
	v_lshlrev_b32_e32 v5, 2, v27
	s_barrier
	s_and_saveexec_b64 s[2:3], s[0:1]
; %bb.15:
	ds_read_b32 v8, v5 offset:384
; %bb.16:
	s_or_b64 exec, exec, s[2:3]
	v_xor_b32_e32 v9, 1, v34
	v_cmp_lt_i32_e64 s[2:3], v9, v35
	s_nop 1
	v_cndmask_b32_e64 v9, v34, v9, s[2:3]
	v_lshlrev_b32_e32 v44, 2, v9
	s_waitcnt lgkmcnt(0)
	ds_bpermute_b32 v9, v44, v8
	v_max_f32_e32 v8, v8, v8
	s_lshl_b32 s2, s19, 4
	s_min_i32 s30, s2, s17
	v_cmp_gt_i32_e64 s[2:3], s30, v0
	s_waitcnt lgkmcnt(0)
	v_max_f32_e32 v9, v9, v9
	v_max_f32_e32 v8, v8, v9
	v_lshlrev_b32_e32 v9, 2, v36
	ds_bpermute_b32 v9, v9, v8
	v_mov_b32_e32 v8, 0
	s_and_saveexec_b64 s[14:15], s[2:3]
	s_cbranch_execz .LBB192_20
; %bb.17:
	v_mov_b32_e32 v8, 0x190
	v_lshl_add_u32 v10, v0, 2, v8
	v_mov_b32_e32 v8, 0
	s_mov_b64 s[28:29], 0
	v_mov_b32_e32 v11, v0
.LBB192_18:                             ; =>This Inner Loop Header: Depth=1
	ds_read_b32 v12, v10
	v_add_u32_e32 v11, 0x80, v11
	v_cmp_le_i32_e64 s[8:9], s30, v11
	s_or_b64 s[28:29], s[8:9], s[28:29]
	s_waitcnt lgkmcnt(0)
	v_sub_f32_e32 v12, v12, v9
	v_mul_f32_e32 v12, 0x3fb8aa3b, v12
	v_exp_f32_e32 v12, v12
	ds_write_b32 v10, v12
	v_add_f32_e32 v8, v8, v12
	v_add_u32_e32 v10, 0x200, v10
	s_andn2_b64 exec, exec, s[28:29]
	s_cbranch_execnz .LBB192_18
; %bb.19:
	s_or_b64 exec, exec, s[28:29]
.LBB192_20:
	s_or_b64 exec, exec, s[14:15]
	ds_bpermute_b32 v2, v2, v8
	s_waitcnt lgkmcnt(0)
	v_add_f32_e32 v2, v8, v2
	ds_bpermute_b32 v3, v3, v2
	s_waitcnt lgkmcnt(0)
	v_add_f32_e32 v2, v2, v3
	ds_bpermute_b32 v3, v6, v2
	v_xor_b32_e32 v6, 2, v34
	v_cmp_lt_i32_e64 s[8:9], v6, v35
	s_waitcnt lgkmcnt(0)
	v_add_f32_e32 v2, v2, v3
	ds_bpermute_b32 v3, v7, v2
	v_cndmask_b32_e64 v6, v34, v6, s[8:9]
	v_lshlrev_b32_e32 v45, 2, v6
	s_waitcnt lgkmcnt(0)
	v_add_f32_e32 v2, v2, v3
	ds_bpermute_b32 v3, v45, v2
	s_waitcnt lgkmcnt(0)
	v_add_f32_e32 v2, v2, v3
	ds_bpermute_b32 v3, v44, v2
	s_waitcnt lgkmcnt(0)
	v_add_f32_e32 v2, v2, v3
	s_and_saveexec_b64 s[8:9], vcc
; %bb.21:
	ds_write_b32 v4, v2 offset:392
; %bb.22:
	s_or_b64 exec, exec, s[8:9]
	s_waitcnt lgkmcnt(0)
	s_barrier
	s_and_saveexec_b64 s[8:9], s[0:1]
; %bb.23:
	ds_read_b32 v2, v5 offset:392
; %bb.24:
	s_or_b64 exec, exec, s[8:9]
	s_waitcnt lgkmcnt(0)
	ds_bpermute_b32 v3, v44, v2
	v_lshlrev_b32_e32 v4, 2, v34
	s_waitcnt lgkmcnt(0)
	v_add_f32_e32 v2, v2, v3
	v_and_b32_e32 v3, 0xffffff00, v4
	ds_bpermute_b32 v2, v3, v2
	s_and_saveexec_b64 s[0:1], s[2:3]
	s_cbranch_execz .LBB192_37
; %bb.25:
	s_waitcnt lgkmcnt(0)
	v_add_f32_e32 v2, 0x358637bd, v2
	v_div_scale_f32 v3, s[2:3], v2, v2, 1.0
	v_rcp_f32_e32 v4, v3
	v_div_scale_f32 v5, vcc, 1.0, v2, 1.0
	s_movk_i32 s2, 0x7f
	v_fma_f32 v6, -v3, v4, 1.0
	v_fmac_f32_e32 v4, v6, v4
	v_mul_f32_e32 v6, v5, v4
	v_fma_f32 v7, -v3, v6, v5
	v_fmac_f32_e32 v6, v7, v4
	v_fma_f32 v3, -v3, v6, v5
	v_div_fmas_f32 v3, v3, v4, v6
	v_xad_u32 v4, v0, -1, s30
	v_div_fixup_f32 v2, v3, v2, 1.0
	v_cmp_lt_u32_e32 vcc, s2, v4
	s_mov_b64 s[8:9], -1
	v_mov_b32_e32 v3, v0
	s_and_saveexec_b64 s[2:3], vcc
	s_cbranch_execz .LBB192_34
; %bb.26:
	v_lshrrev_b32_e32 v4, 7, v4
	v_add_u32_e32 v6, -1, v4
	v_lshrrev_b32_e32 v5, 1, v6
	v_mov_b32_e32 v3, v2
	v_add_u32_e32 v5, 1, v5
	v_cmp_lt_u32_e32 vcc, 13, v6
	v_mov_b32_e32 v8, 0
	s_and_saveexec_b64 s[8:9], vcc
	s_cbranch_execz .LBB192_30
; %bb.27:
	v_mov_b32_e32 v7, 0x190
	v_and_b32_e32 v6, -8, v5
	v_lshl_add_u32 v7, v0, 2, v7
	s_mov_b32 s28, 0
	s_mov_b64 s[14:15], 0
.LBB192_28:                             ; =>This Inner Loop Header: Depth=1
	ds_read2st64_b32 v[8:9], v7 offset1:2
	ds_read2st64_b32 v[10:11], v7 offset0:4 offset1:6
	ds_read2st64_b32 v[12:13], v7 offset0:8 offset1:10
	;; [unrolled: 1-line block ×3, first 2 shown]
	v_add_u32_e32 v6, -8, v6
	s_waitcnt lgkmcnt(3)
	v_pk_mul_f32 v[8:9], v[2:3], v[8:9]
	s_waitcnt lgkmcnt(2)
	v_pk_mul_f32 v[10:11], v[2:3], v[10:11]
	ds_write2st64_b32 v7, v8, v9 offset1:2
	ds_write2st64_b32 v7, v10, v11 offset0:4 offset1:6
	ds_read2st64_b32 v[10:11], v7 offset0:16 offset1:18
	s_waitcnt lgkmcnt(4)
	v_pk_mul_f32 v[8:9], v[2:3], v[12:13]
	ds_write2st64_b32 v7, v8, v9 offset0:8 offset1:10
	s_waitcnt lgkmcnt(4)
	v_pk_mul_f32 v[8:9], v[2:3], v[14:15]
	ds_write2st64_b32 v7, v8, v9 offset0:12 offset1:14
	ds_read2st64_b32 v[8:9], v7 offset0:20 offset1:22
	s_waitcnt lgkmcnt(3)
	v_pk_mul_f32 v[10:11], v[2:3], v[10:11]
	ds_read2st64_b32 v[12:13], v7 offset0:24 offset1:26
	ds_write2st64_b32 v7, v10, v11 offset0:16 offset1:18
	ds_read2st64_b32 v[10:11], v7 offset0:28 offset1:30
	s_waitcnt lgkmcnt(3)
	v_pk_mul_f32 v[8:9], v[2:3], v[8:9]
	ds_write2st64_b32 v7, v8, v9 offset0:20 offset1:22
	s_waitcnt lgkmcnt(3)
	v_pk_mul_f32 v[8:9], v[2:3], v[12:13]
	ds_write2st64_b32 v7, v8, v9 offset0:24 offset1:26
	s_waitcnt lgkmcnt(2)
	v_pk_mul_f32 v[8:9], v[2:3], v[10:11]
	s_add_i32 s28, s28, 16
	v_cmp_eq_u32_e32 vcc, 0, v6
	ds_write2st64_b32 v7, v8, v9 offset0:28 offset1:30
	v_add_u32_e32 v7, 0x2000, v7
	s_or_b64 s[14:15], vcc, s[14:15]
	v_mov_b32_e32 v8, s28
	s_andn2_b64 exec, exec, s[14:15]
	s_cbranch_execnz .LBB192_28
; %bb.29:
	s_or_b64 exec, exec, s[14:15]
.LBB192_30:
	s_or_b64 exec, exec, s[8:9]
	v_and_b32_e32 v5, 7, v5
	v_cmp_ne_u32_e32 vcc, 0, v5
	s_and_saveexec_b64 s[8:9], vcc
	s_cbranch_execz .LBB192_33
; %bb.31:
	v_lshlrev_b32_e32 v6, 9, v8
	s_movk_i32 s14, 0x190
	v_add3_u32 v6, v6, v32, s14
	s_mov_b64 s[14:15], 0
.LBB192_32:                             ; =>This Inner Loop Header: Depth=1
	ds_read2st64_b32 v[8:9], v6 offset1:2
	v_add_u32_e32 v5, -1, v5
	v_cmp_eq_u32_e32 vcc, 0, v5
	s_or_b64 s[14:15], vcc, s[14:15]
	s_waitcnt lgkmcnt(0)
	v_pk_mul_f32 v[8:9], v[2:3], v[8:9]
	ds_write2st64_b32 v6, v8, v9 offset1:2
	v_add_u32_e32 v6, 0x400, v6
	s_andn2_b64 exec, exec, s[14:15]
	s_cbranch_execnz .LBB192_32
.LBB192_33:
	s_or_b64 exec, exec, s[8:9]
	v_add_u32_e32 v4, 1, v4
	v_and_b32_e32 v5, 0x3fffffe, v4
	v_cmp_ne_u32_e32 vcc, v4, v5
	v_lshl_add_u32 v3, v5, 7, v0
	s_orn2_b64 s[8:9], vcc, exec
.LBB192_34:
	s_or_b64 exec, exec, s[2:3]
	s_and_b64 exec, exec, s[8:9]
	s_cbranch_execz .LBB192_37
; %bb.35:
	v_mov_b32_e32 v4, 0x190
	v_lshl_add_u32 v4, v3, 2, v4
	s_mov_b64 s[2:3], 0
.LBB192_36:                             ; =>This Inner Loop Header: Depth=1
	ds_read_b32 v5, v4
	v_add_u32_e32 v3, 0x80, v3
	v_cmp_le_i32_e32 vcc, s30, v3
	s_or_b64 s[2:3], vcc, s[2:3]
	s_waitcnt lgkmcnt(0)
	v_mul_f32_e32 v5, v2, v5
	ds_write_b32 v4, v5
	v_add_u32_e32 v4, 0x200, v4
	s_andn2_b64 exec, exec, s[2:3]
	s_cbranch_execnz .LBB192_36
.LBB192_37:
	s_or_b64 exec, exec, s[0:1]
	v_mov_b32_e32 v7, 0
	v_mov_b32_e32 v6, 0
	;; [unrolled: 1-line block ×6, first 2 shown]
	s_waitcnt lgkmcnt(0)
	s_barrier
	s_and_saveexec_b64 s[2:3], s[6:7]
	s_cbranch_execz .LBB192_53
; %bb.38:
	s_ashr_i32 s1, s33, 31
	s_load_dword s6, s[10:11], 0x0
	s_add_u32 s0, s26, s33
	s_addc_u32 s1, s27, s1
	v_and_b32_e32 v6, 0xfc, v32
	v_mov_b32_e32 v7, 0
	v_and_b32_e32 v2, 12, v32
	s_add_i32 s14, s19, -1
	v_lshl_add_u64 v[12:13], s[0:1], 0, v[6:7]
	s_lshl_b64 s[0:1], s[24:25], 2
	v_lshl_or_b32 v46, v43, 4, v2
	v_lshlrev_b32_e32 v2, 4, v26
	s_add_u32 s0, s22, s0
	v_lshl_or_b32 v2, v43, 6, v2
	v_and_b32_e32 v6, 60, v33
	s_addc_u32 s1, s23, s1
	s_waitcnt lgkmcnt(0)
	s_mov_b32 s7, s6
	s_mov_b32 s15, s17
	v_add_u32_e32 v47, 0x190, v2
	v_lshl_add_u64 v[14:15], s[0:1], 0, v[6:7]
	s_mov_b64 s[8:9], 0
	v_mov_b32_e32 v6, v7
	v_mov_b32_e32 v9, v7
	;; [unrolled: 1-line block ×5, first 2 shown]
	s_branch .LBB192_40
.LBB192_39:                             ;   in Loop: Header=BB192_40 Depth=1
	s_or_b64 exec, exec, s[0:1]
	s_waitcnt lgkmcnt(0)
	v_mul_f32_e32 v38, v2, v38
	v_mul_f32_e32 v34, v2, v34
	;; [unrolled: 1-line block ×5, first 2 shown]
	v_fmac_f32_e32 v38, v3, v39
	v_fmac_f32_e32 v34, v3, v35
	v_fmac_f32_e32 v30, v3, v31
	v_fmac_f32_e32 v22, v3, v23
	v_fmac_f32_e32 v18, v3, v19
	v_fmac_f32_e32 v38, v4, v36
	v_fmac_f32_e32 v34, v4, v32
	v_fmac_f32_e32 v30, v4, v28
	v_fmac_f32_e32 v22, v4, v20
	v_fmac_f32_e32 v18, v4, v16
	v_pk_mul_f32 v[2:3], v[2:3], v[40:41]
	v_fmac_f32_e32 v38, v5, v37
	v_fmac_f32_e32 v34, v5, v33
	;; [unrolled: 1-line block ×5, first 2 shown]
	v_pk_mul_f32 v[4:5], v[4:5], v[24:25]
	v_add_f32_e32 v2, v3, v2
	v_add_f32_e32 v2, v4, v2
	v_add_u32_e32 v43, 2, v43
	v_add_f32_e32 v2, v5, v2
	v_cmp_le_i32_e32 vcc, s19, v43
	v_add_f32_e32 v6, v6, v38
	v_add_f32_e32 v9, v9, v34
	;; [unrolled: 1-line block ×6, first 2 shown]
	v_add_u32_e32 v46, 32, v46
	v_add_u32_e32 v47, 0x80, v47
	s_or_b64 s[8:9], vcc, s[8:9]
	v_lshl_add_u64 v[14:15], v[14:15], 0, 8
	s_andn2_b64 exec, exec, s[8:9]
	s_cbranch_execz .LBB192_52
.LBB192_40:                             ; =>This Inner Loop Header: Depth=1
	global_load_dword v2, v[14:15], off
	v_cmp_eq_u32_e32 vcc, s14, v43
	v_add_u32_e32 v48, 1, v46
	v_add_u32_e32 v40, 2, v46
	;; [unrolled: 1-line block ×3, first 2 shown]
	s_waitcnt vmcnt(0)
	v_mad_i64_i32 v[24:25], s[0:1], v2, s13, v[12:13]
	global_load_dword v16, v[24:25], off
	ds_read_b128 v[2:5], v47
	s_waitcnt vmcnt(0)
	v_and_b32_e32 v17, 0xffff, v16
	v_lshrrev_b32_e32 v18, 16, v16
	v_cvt_pk_f32_fp8_e32 v[16:17], v17
	v_cvt_pk_f32_fp8_e32 v[20:21], v18
	v_pk_mul_f32 v[18:19], s[6:7], v[16:17]
	v_pk_mul_f32 v[16:17], s[6:7], v[20:21]
	s_and_saveexec_b64 s[10:11], vcc
; %bb.41:                               ;   in Loop: Header=BB192_40 Depth=1
	v_cmp_gt_i32_e64 s[0:1], s17, v46
	s_nop 1
	v_cndmask_b32_e64 v18, 0, v18, s[0:1]
	v_cmp_gt_i32_e64 s[0:1], s17, v48
	s_nop 1
	v_cndmask_b32_e64 v19, 0, v19, s[0:1]
	v_cmp_gt_i32_e64 s[0:1], s17, v40
	s_nop 1
	v_cndmask_b32_e64 v16, 0, v16, s[0:1]
	v_cmp_gt_i32_e64 s[0:1], s17, v41
	s_nop 1
	v_cndmask_b32_e64 v17, 0, v17, s[0:1]
; %bb.42:                               ;   in Loop: Header=BB192_40 Depth=1
	s_or_b64 exec, exec, s[10:11]
	global_load_dword v20, v[24:25], off offset:256
	s_waitcnt vmcnt(0)
	v_and_b32_e32 v21, 0xffff, v20
	v_lshrrev_b32_e32 v22, 16, v20
	v_cvt_pk_f32_fp8_e32 v[20:21], v21
	v_cvt_pk_f32_fp8_e32 v[28:29], v22
	v_pk_mul_f32 v[22:23], s[6:7], v[20:21]
	v_pk_mul_f32 v[20:21], s[6:7], v[28:29]
	s_and_saveexec_b64 s[10:11], vcc
; %bb.43:                               ;   in Loop: Header=BB192_40 Depth=1
	v_cmp_gt_i32_e64 s[0:1], s17, v46
	s_nop 1
	v_cndmask_b32_e64 v22, 0, v22, s[0:1]
	v_cmp_gt_i32_e64 s[0:1], s17, v48
	s_nop 1
	v_cndmask_b32_e64 v23, 0, v23, s[0:1]
	v_cmp_gt_i32_e64 s[0:1], s17, v40
	s_nop 1
	v_cndmask_b32_e64 v20, 0, v20, s[0:1]
	v_cmp_gt_i32_e64 s[0:1], s17, v41
	s_nop 1
	v_cndmask_b32_e64 v21, 0, v21, s[0:1]
; %bb.44:                               ;   in Loop: Header=BB192_40 Depth=1
	s_or_b64 exec, exec, s[10:11]
	global_load_dword v28, v[24:25], off offset:512
	;; [unrolled: 24-line block ×5, first 2 shown]
	s_waitcnt vmcnt(0)
	v_and_b32_e32 v25, 0xffff, v24
	v_lshrrev_b32_e32 v40, 16, v24
	v_cvt_pk_f32_fp8_e32 v[24:25], v25
	v_cvt_pk_f32_fp8_e32 v[50:51], v40
	v_pk_mul_f32 v[40:41], s[6:7], v[24:25]
	v_pk_mul_f32 v[24:25], s[6:7], v[50:51]
	s_and_saveexec_b64 s[0:1], vcc
	s_cbranch_execz .LBB192_39
; %bb.51:                               ;   in Loop: Header=BB192_40 Depth=1
	v_cmp_gt_i32_e32 vcc, s15, v48
	v_or_b32_e32 v48, 3, v46
	v_or_b32_e32 v49, 2, v46
	v_cndmask_b32_e32 v41, 0, v41, vcc
	v_cmp_gt_i32_e32 vcc, s17, v46
	s_nop 1
	v_cndmask_b32_e32 v40, 0, v40, vcc
	v_cmp_gt_i32_e32 vcc, s15, v48
	s_nop 1
	;; [unrolled: 3-line block ×3, first 2 shown]
	v_cndmask_b32_e32 v24, 0, v24, vcc
	s_branch .LBB192_39
.LBB192_52:
	s_or_b64 exec, exec, s[8:9]
.LBB192_53:
	s_or_b64 exec, exec, s[2:3]
	ds_bpermute_b32 v2, v45, v10
	ds_bpermute_b32 v3, v45, v11
	;; [unrolled: 1-line block ×6, first 2 shown]
	s_waitcnt lgkmcnt(4)
	v_pk_add_f32 v[2:3], v[10:11], v[2:3]
	ds_bpermute_b32 v10, v44, v2
	s_waitcnt lgkmcnt(3)
	v_pk_add_f32 v[8:9], v[8:9], v[4:5]
	ds_bpermute_b32 v11, v44, v3
	ds_bpermute_b32 v12, v44, v8
	;; [unrolled: 1-line block ×3, first 2 shown]
	s_waitcnt lgkmcnt(4)
	v_pk_add_f32 v[6:7], v[6:7], v[14:15]
	s_waitcnt lgkmcnt(0)
	v_pk_add_f32 v[4:5], v[2:3], v[10:11]
	v_and_b32_e32 v10, 0x3c3, v0
	v_pk_add_f32 v[2:3], v[8:9], v[12:13]
	ds_bpermute_b32 v8, v44, v6
	ds_bpermute_b32 v9, v44, v7
	v_cmp_ne_u32_e32 vcc, 64, v10
	s_barrier
	s_waitcnt lgkmcnt(0)
	s_and_saveexec_b64 s[0:1], vcc
	s_xor_b64 s[0:1], exec, s[0:1]
; %bb.54:
                                        ; implicit-def: $vgpr27
; %bb.55:
	s_or_saveexec_b64 s[0:1], s[0:1]
	v_pk_add_f32 v[6:7], v[6:7], v[8:9]
	s_xor_b64 exec, exec, s[0:1]
	s_cbranch_execz .LBB192_57
; %bb.56:
	v_add_u32_e32 v8, 0x190, v27
	ds_write2_b32 v8, v4, v5 offset1:16
	ds_write2_b32 v8, v2, v3 offset0:32 offset1:48
	ds_write2_b32 v8, v6, v7 offset0:64 offset1:80
.LBB192_57:
	s_or_b64 exec, exec, s[0:1]
	v_cmp_gt_u32_e32 vcc, 64, v0
	s_waitcnt lgkmcnt(0)
	s_barrier
	s_and_saveexec_b64 s[0:1], vcc
	s_cbranch_execz .LBB192_66
; %bb.58:
	v_mov_b32_e32 v0, 0x190
	v_cmp_eq_u32_e32 vcc, 0, v26
	v_lshl_add_u32 v0, v42, 2, v0
	s_and_saveexec_b64 s[2:3], vcc
	s_cbranch_execnz .LBB192_69
; %bb.59:
	s_or_b64 exec, exec, s[2:3]
	s_and_saveexec_b64 s[2:3], vcc
	s_cbranch_execnz .LBB192_70
.LBB192_60:
	s_or_b64 exec, exec, s[2:3]
	s_and_saveexec_b64 s[2:3], vcc
	s_cbranch_execnz .LBB192_71
.LBB192_61:
	s_or_b64 exec, exec, s[2:3]
	s_and_saveexec_b64 s[2:3], vcc
	s_cbranch_execnz .LBB192_72
.LBB192_62:
	s_or_b64 exec, exec, s[2:3]
	s_and_saveexec_b64 s[2:3], vcc
	s_cbranch_execnz .LBB192_73
.LBB192_63:
	s_or_b64 exec, exec, s[2:3]
	s_and_saveexec_b64 s[2:3], vcc
	s_cbranch_execz .LBB192_65
.LBB192_64:
	ds_read_b32 v0, v0 offset:320
	s_waitcnt lgkmcnt(0)
	v_add_f32_e32 v7, v7, v0
.LBB192_65:
	s_or_b64 exec, exec, s[2:3]
.LBB192_66:
	s_or_b64 exec, exec, s[0:1]
	v_cmp_eq_u32_e32 vcc, 0, v10
	s_barrier
	s_and_saveexec_b64 s[0:1], vcc
	s_cbranch_execz .LBB192_68
; %bb.67:
	s_mul_i32 s0, s16, s12
	s_mul_i32 s0, s0, s5
	s_mulk_i32 s0, 0x60
	s_ashr_i32 s1, s0, 31
	s_lshl_b64 s[0:1], s[0:1], 2
	s_add_u32 s2, s20, s0
	s_mul_i32 s0, s12, s18
	s_addc_u32 s3, s21, s1
	s_ashr_i32 s1, s0, 31
	s_lshl_b64 s[0:1], s[0:1], 2
	s_add_u32 s2, s2, s0
	s_mul_i32 s0, s4, 0x60
	s_addc_u32 s3, s3, s1
	s_ashr_i32 s1, s0, 31
	s_lshl_b64 s[0:1], s[0:1], 2
	s_add_u32 s0, s2, s0
	s_addc_u32 s1, s3, s1
	global_store_dword v1, v4, s[0:1]
	global_store_dword v1, v5, s[0:1] offset:64
	global_store_dword v1, v2, s[0:1] offset:128
	;; [unrolled: 1-line block ×5, first 2 shown]
.LBB192_68:
	s_endpgm
.LBB192_69:
	ds_read_b32 v8, v0
	s_waitcnt lgkmcnt(0)
	v_add_f32_e32 v4, v4, v8
	s_or_b64 exec, exec, s[2:3]
	s_and_saveexec_b64 s[2:3], vcc
	s_cbranch_execz .LBB192_60
.LBB192_70:
	ds_read_b32 v8, v0 offset:64
	s_waitcnt lgkmcnt(0)
	v_add_f32_e32 v5, v5, v8
	s_or_b64 exec, exec, s[2:3]
	s_and_saveexec_b64 s[2:3], vcc
	s_cbranch_execz .LBB192_61
.LBB192_71:
	ds_read_b32 v8, v0 offset:128
	s_waitcnt lgkmcnt(0)
	v_add_f32_e32 v2, v2, v8
	s_or_b64 exec, exec, s[2:3]
	s_and_saveexec_b64 s[2:3], vcc
	s_cbranch_execz .LBB192_62
.LBB192_72:
	ds_read_b32 v8, v0 offset:192
	s_waitcnt lgkmcnt(0)
	v_add_f32_e32 v3, v3, v8
	s_or_b64 exec, exec, s[2:3]
	s_and_saveexec_b64 s[2:3], vcc
	s_cbranch_execz .LBB192_63
.LBB192_73:
	ds_read_b32 v8, v0 offset:256
	s_waitcnt lgkmcnt(0)
	v_add_f32_e32 v6, v6, v8
	s_or_b64 exec, exec, s[2:3]
	s_and_saveexec_b64 s[2:3], vcc
	s_cbranch_execnz .LBB192_64
	s_branch .LBB192_65
	.section	.rodata,"a",@progbits
	.p2align	6, 0x0
	.amdhsa_kernel _ZN4vllm25paged_attention_v1_kernelIfhLi96ELi16ELi128ELNS_18Fp8KVCacheDataTypeE1ELb0EEEvPT_PKS2_PKT0_S8_ifPKiSA_iPKfiiiSC_SC_iiiii
		.amdhsa_group_segment_fixed_size 400
		.amdhsa_private_segment_fixed_size 0
		.amdhsa_kernarg_size 384
		.amdhsa_user_sgpr_count 2
		.amdhsa_user_sgpr_dispatch_ptr 0
		.amdhsa_user_sgpr_queue_ptr 0
		.amdhsa_user_sgpr_kernarg_segment_ptr 1
		.amdhsa_user_sgpr_dispatch_id 0
		.amdhsa_user_sgpr_kernarg_preload_length 0
		.amdhsa_user_sgpr_kernarg_preload_offset 0
		.amdhsa_user_sgpr_private_segment_size 0
		.amdhsa_uses_dynamic_stack 0
		.amdhsa_enable_private_segment 0
		.amdhsa_system_sgpr_workgroup_id_x 1
		.amdhsa_system_sgpr_workgroup_id_y 1
		.amdhsa_system_sgpr_workgroup_id_z 1
		.amdhsa_system_sgpr_workgroup_info 0
		.amdhsa_system_vgpr_workitem_id 0
		.amdhsa_next_free_vgpr 69
		.amdhsa_next_free_sgpr 37
		.amdhsa_accum_offset 72
		.amdhsa_reserve_vcc 1
		.amdhsa_float_round_mode_32 0
		.amdhsa_float_round_mode_16_64 0
		.amdhsa_float_denorm_mode_32 3
		.amdhsa_float_denorm_mode_16_64 3
		.amdhsa_dx10_clamp 1
		.amdhsa_ieee_mode 1
		.amdhsa_fp16_overflow 0
		.amdhsa_tg_split 0
		.amdhsa_exception_fp_ieee_invalid_op 0
		.amdhsa_exception_fp_denorm_src 0
		.amdhsa_exception_fp_ieee_div_zero 0
		.amdhsa_exception_fp_ieee_overflow 0
		.amdhsa_exception_fp_ieee_underflow 0
		.amdhsa_exception_fp_ieee_inexact 0
		.amdhsa_exception_int_div_zero 0
	.end_amdhsa_kernel
	.section	.text._ZN4vllm25paged_attention_v1_kernelIfhLi96ELi16ELi128ELNS_18Fp8KVCacheDataTypeE1ELb0EEEvPT_PKS2_PKT0_S8_ifPKiSA_iPKfiiiSC_SC_iiiii,"axG",@progbits,_ZN4vllm25paged_attention_v1_kernelIfhLi96ELi16ELi128ELNS_18Fp8KVCacheDataTypeE1ELb0EEEvPT_PKS2_PKT0_S8_ifPKiSA_iPKfiiiSC_SC_iiiii,comdat
.Lfunc_end192:
	.size	_ZN4vllm25paged_attention_v1_kernelIfhLi96ELi16ELi128ELNS_18Fp8KVCacheDataTypeE1ELb0EEEvPT_PKS2_PKT0_S8_ifPKiSA_iPKfiiiSC_SC_iiiii, .Lfunc_end192-_ZN4vllm25paged_attention_v1_kernelIfhLi96ELi16ELi128ELNS_18Fp8KVCacheDataTypeE1ELb0EEEvPT_PKS2_PKT0_S8_ifPKiSA_iPKfiiiSC_SC_iiiii
                                        ; -- End function
	.set _ZN4vllm25paged_attention_v1_kernelIfhLi96ELi16ELi128ELNS_18Fp8KVCacheDataTypeE1ELb0EEEvPT_PKS2_PKT0_S8_ifPKiSA_iPKfiiiSC_SC_iiiii.num_vgpr, 69
	.set _ZN4vllm25paged_attention_v1_kernelIfhLi96ELi16ELi128ELNS_18Fp8KVCacheDataTypeE1ELb0EEEvPT_PKS2_PKT0_S8_ifPKiSA_iPKfiiiSC_SC_iiiii.num_agpr, 0
	.set _ZN4vllm25paged_attention_v1_kernelIfhLi96ELi16ELi128ELNS_18Fp8KVCacheDataTypeE1ELb0EEEvPT_PKS2_PKT0_S8_ifPKiSA_iPKfiiiSC_SC_iiiii.numbered_sgpr, 37
	.set _ZN4vllm25paged_attention_v1_kernelIfhLi96ELi16ELi128ELNS_18Fp8KVCacheDataTypeE1ELb0EEEvPT_PKS2_PKT0_S8_ifPKiSA_iPKfiiiSC_SC_iiiii.num_named_barrier, 0
	.set _ZN4vllm25paged_attention_v1_kernelIfhLi96ELi16ELi128ELNS_18Fp8KVCacheDataTypeE1ELb0EEEvPT_PKS2_PKT0_S8_ifPKiSA_iPKfiiiSC_SC_iiiii.private_seg_size, 0
	.set _ZN4vllm25paged_attention_v1_kernelIfhLi96ELi16ELi128ELNS_18Fp8KVCacheDataTypeE1ELb0EEEvPT_PKS2_PKT0_S8_ifPKiSA_iPKfiiiSC_SC_iiiii.uses_vcc, 1
	.set _ZN4vllm25paged_attention_v1_kernelIfhLi96ELi16ELi128ELNS_18Fp8KVCacheDataTypeE1ELb0EEEvPT_PKS2_PKT0_S8_ifPKiSA_iPKfiiiSC_SC_iiiii.uses_flat_scratch, 0
	.set _ZN4vllm25paged_attention_v1_kernelIfhLi96ELi16ELi128ELNS_18Fp8KVCacheDataTypeE1ELb0EEEvPT_PKS2_PKT0_S8_ifPKiSA_iPKfiiiSC_SC_iiiii.has_dyn_sized_stack, 0
	.set _ZN4vllm25paged_attention_v1_kernelIfhLi96ELi16ELi128ELNS_18Fp8KVCacheDataTypeE1ELb0EEEvPT_PKS2_PKT0_S8_ifPKiSA_iPKfiiiSC_SC_iiiii.has_recursion, 0
	.set _ZN4vllm25paged_attention_v1_kernelIfhLi96ELi16ELi128ELNS_18Fp8KVCacheDataTypeE1ELb0EEEvPT_PKS2_PKT0_S8_ifPKiSA_iPKfiiiSC_SC_iiiii.has_indirect_call, 0
	.section	.AMDGPU.csdata,"",@progbits
; Kernel info:
; codeLenInByte = 4824
; TotalNumSgprs: 43
; NumVgprs: 69
; NumAgprs: 0
; TotalNumVgprs: 69
; ScratchSize: 0
; MemoryBound: 0
; FloatMode: 240
; IeeeMode: 1
; LDSByteSize: 400 bytes/workgroup (compile time only)
; SGPRBlocks: 5
; VGPRBlocks: 8
; NumSGPRsForWavesPerEU: 43
; NumVGPRsForWavesPerEU: 69
; AccumOffset: 72
; Occupancy: 7
; WaveLimiterHint : 1
; COMPUTE_PGM_RSRC2:SCRATCH_EN: 0
; COMPUTE_PGM_RSRC2:USER_SGPR: 2
; COMPUTE_PGM_RSRC2:TRAP_HANDLER: 0
; COMPUTE_PGM_RSRC2:TGID_X_EN: 1
; COMPUTE_PGM_RSRC2:TGID_Y_EN: 1
; COMPUTE_PGM_RSRC2:TGID_Z_EN: 1
; COMPUTE_PGM_RSRC2:TIDIG_COMP_CNT: 0
; COMPUTE_PGM_RSRC3_GFX90A:ACCUM_OFFSET: 17
; COMPUTE_PGM_RSRC3_GFX90A:TG_SPLIT: 0
	.section	.text._ZN4vllm25paged_attention_v1_kernelIfhLi112ELi16ELi128ELNS_18Fp8KVCacheDataTypeE1ELb0EEEvPT_PKS2_PKT0_S8_ifPKiSA_iPKfiiiSC_SC_iiiii,"axG",@progbits,_ZN4vllm25paged_attention_v1_kernelIfhLi112ELi16ELi128ELNS_18Fp8KVCacheDataTypeE1ELb0EEEvPT_PKS2_PKT0_S8_ifPKiSA_iPKfiiiSC_SC_iiiii,comdat
	.protected	_ZN4vllm25paged_attention_v1_kernelIfhLi112ELi16ELi128ELNS_18Fp8KVCacheDataTypeE1ELb0EEEvPT_PKS2_PKT0_S8_ifPKiSA_iPKfiiiSC_SC_iiiii ; -- Begin function _ZN4vllm25paged_attention_v1_kernelIfhLi112ELi16ELi128ELNS_18Fp8KVCacheDataTypeE1ELb0EEEvPT_PKS2_PKT0_S8_ifPKiSA_iPKfiiiSC_SC_iiiii
	.globl	_ZN4vllm25paged_attention_v1_kernelIfhLi112ELi16ELi128ELNS_18Fp8KVCacheDataTypeE1ELb0EEEvPT_PKS2_PKT0_S8_ifPKiSA_iPKfiiiSC_SC_iiiii
	.p2align	8
	.type	_ZN4vllm25paged_attention_v1_kernelIfhLi112ELi16ELi128ELNS_18Fp8KVCacheDataTypeE1ELb0EEEvPT_PKS2_PKT0_S8_ifPKiSA_iPKfiiiSC_SC_iiiii,@function
_ZN4vllm25paged_attention_v1_kernelIfhLi112ELi16ELi128ELNS_18Fp8KVCacheDataTypeE1ELb0EEEvPT_PKS2_PKT0_S8_ifPKiSA_iPKfiiiSC_SC_iiiii: ; @_ZN4vllm25paged_attention_v1_kernelIfhLi112ELi16ELi128ELNS_18Fp8KVCacheDataTypeE1ELb0EEEvPT_PKS2_PKT0_S8_ifPKiSA_iPKfiiiSC_SC_iiiii
; %bb.0:
	s_load_dword s5, s[0:1], 0x80
	s_load_dwordx2 s[6:7], s[0:1], 0x30
	s_load_dwordx2 s[28:29], s[0:1], 0x20
	s_mov_b32 s16, s3
	s_ashr_i32 s17, s3, 31
	s_lshl_b64 s[8:9], s[16:17], 2
	s_waitcnt lgkmcnt(0)
	s_add_u32 s6, s6, s8
	s_addc_u32 s7, s7, s9
	s_abs_i32 s3, s28
	v_cvt_f32_u32_e32 v1, s3
	s_sub_i32 s10, 0, s3
	s_abs_i32 s9, s5
	s_xor_b32 s8, s5, s28
	v_rcp_iflag_f32_e32 v1, v1
	s_ashr_i32 s8, s8, 31
	s_mov_b32 s28, 0
	v_mul_f32_e32 v1, 0x4f7ffffe, v1
	v_cvt_u32_f32_e32 v1, v1
	s_nop 0
	v_readfirstlane_b32 s11, v1
	s_mul_i32 s10, s10, s11
	s_mul_hi_u32 s10, s11, s10
	s_add_i32 s11, s11, s10
	s_mul_hi_u32 s10, s9, s11
	s_mul_i32 s11, s10, s3
	s_sub_i32 s9, s9, s11
	s_add_i32 s11, s10, 1
	s_sub_i32 s12, s9, s3
	s_cmp_ge_u32 s9, s3
	s_cselect_b32 s10, s11, s10
	s_cselect_b32 s9, s12, s9
	s_add_i32 s11, s10, 1
	s_cmp_ge_u32 s9, s3
	s_cselect_b32 s3, s11, s10
	s_xor_b32 s3, s3, s8
	s_sub_i32 s12, s3, s8
	s_abs_i32 s10, s12
	v_cvt_f32_u32_e32 v1, s10
	s_load_dwordx2 s[8:9], s[0:1], 0x40
	s_sub_i32 s3, 0, s10
	s_abs_i32 s11, s2
	v_rcp_iflag_f32_e32 v1, v1
	s_nop 0
	v_mul_f32_e32 v1, 0x4f7ffffe, v1
	v_cvt_u32_f32_e32 v1, v1
	s_nop 0
	v_readfirstlane_b32 s13, v1
	s_mul_i32 s3, s3, s13
	s_mul_hi_u32 s3, s13, s3
	s_add_i32 s13, s13, s3
	s_waitcnt lgkmcnt(0)
	s_cmp_eq_u64 s[8:9], 0
	s_mul_hi_u32 s20, s11, s13
	s_cbranch_scc1 .LBB193_2
; %bb.1:
	s_ashr_i32 s3, s2, 31
	s_lshl_b64 s[14:15], s[2:3], 2
	s_add_u32 s8, s8, s14
	s_addc_u32 s9, s9, s15
	s_load_dword s28, s[8:9], 0x0
.LBB193_2:
	s_load_dword s17, s[6:7], 0x0
	s_ashr_i32 s7, s12, 31
	s_load_dwordx4 s[12:15], s[0:1], 0x48
	v_lshrrev_b32_e32 v48, 2, v0
	s_movk_i32 s8, 0x70
	s_ashr_i32 s6, s2, 31
	v_and_b32_e32 v30, 3, v0
	s_mul_i32 s18, s2, 0x70
	v_cmp_gt_u32_e32 vcc, s8, v0
	v_lshlrev_b32_e32 v36, 2, v0
	v_lshlrev_b32_e32 v1, 2, v48
	s_and_saveexec_b64 s[2:3], vcc
	s_cbranch_execz .LBB193_4
; %bb.3:
	s_load_dwordx2 s[22:23], s[0:1], 0x8
	s_waitcnt lgkmcnt(0)
	s_mul_i32 s24, s12, s16
	s_ashr_i32 s25, s24, 31
	s_lshl_b64 s[24:25], s[24:25], 2
	v_mad_u32_u24 v3, v30, s8, v1
	s_add_u32 s9, s22, s24
	s_addc_u32 s12, s23, s25
	s_ashr_i32 s19, s18, 31
	s_lshl_b64 s[22:23], s[18:19], 2
	s_add_u32 s22, s9, s22
	s_addc_u32 s23, s12, s23
	global_load_dword v2, v36, s[22:23]
	s_waitcnt vmcnt(0)
	ds_write_b32 v3, v2
.LBB193_4:
	s_or_b64 exec, exec, s[2:3]
	s_waitcnt lgkmcnt(0)
	s_add_i32 s3, s17, 15
	s_ashr_i32 s8, s3, 31
	s_lshr_b32 s8, s8, 28
	s_add_i32 s3, s3, s8
	s_ashr_i32 s19, s3, 4
	s_xor_b32 s3, s6, s7
	s_mul_i32 s6, s20, s10
	s_sub_i32 s6, s11, s6
	s_add_i32 s7, s20, 1
	s_sub_i32 s8, s6, s10
	s_load_dwordx2 s[22:23], s[0:1], 0x28
	s_load_dword s2, s[0:1], 0x38
	s_cmp_ge_u32 s6, s10
	s_cselect_b32 s7, s7, s20
	s_cselect_b32 s6, s8, s6
	s_add_i32 s8, s7, 1
	s_cmp_ge_u32 s6, s10
	s_cselect_b32 s6, s8, s7
	v_lshrrev_b32_e32 v49, 6, v0
	s_xor_b32 s6, s6, s3
	s_waitcnt lgkmcnt(0)
	s_mul_i32 s24, s2, s16
	s_sub_i32 s33, s6, s3
	s_ashr_i32 s25, s24, 31
	v_cmp_gt_i32_e64 s[6:7], s19, v49
	v_cmp_le_i32_e32 vcc, s19, v49
	v_mbcnt_lo_u32_b32 v32, -1, 0
	s_barrier
                                        ; implicit-def: $vgpr38
                                        ; implicit-def: $vgpr40
                                        ; implicit-def: $vgpr39
	s_and_saveexec_b64 s[2:3], vcc
	s_xor_b64 s[2:3], exec, s[2:3]
; %bb.5:
	v_mbcnt_hi_u32_b32 v38, -1, v32
	v_and_b32_e32 v40, 64, v38
	v_add_u32_e32 v39, 64, v40
                                        ; implicit-def: $vgpr32
; %bb.6:
	s_or_saveexec_b64 s[30:31], s[2:3]
	s_load_dwordx2 s[20:21], s[0:1], 0x0
	s_load_dwordx2 s[26:27], s[0:1], 0x18
	s_load_dword s12, s[0:1], 0x88
	s_load_dwordx4 s[8:11], s[0:1], 0x58
	v_mov_b32_e32 v31, 0xff7fffff
	s_mul_i32 s33, s33, s14
	v_lshrrev_b32_e32 v37, 4, v0
	s_xor_b64 exec, exec, s[30:31]
	s_cbranch_execz .LBB193_12
; %bb.7:
	v_mbcnt_hi_u32_b32 v38, -1, v32
	s_load_dwordx2 s[0:1], s[0:1], 0x10
	v_mul_u32_u24_e32 v26, 0x70, v30
	v_and_b32_e32 v40, 64, v38
	ds_read_b128 v[2:5], v26
	ds_read_b128 v[6:9], v26 offset:16
	ds_read_b128 v[10:13], v26 offset:32
	;; [unrolled: 1-line block ×6, first 2 shown]
	v_add_u32_e32 v39, 64, v40
	v_xor_b32_e32 v31, 2, v38
	v_cmp_lt_i32_e32 vcc, v31, v39
	s_ashr_i32 s2, s33, 31
	v_bfe_u32 v46, v0, 2, 4
	v_cndmask_b32_e32 v31, v38, v31, vcc
	v_lshlrev_b32_e32 v41, 2, v31
	v_xor_b32_e32 v31, 1, v38
	s_waitcnt lgkmcnt(0)
	s_add_u32 s0, s0, s33
	v_cmp_lt_i32_e32 vcc, v31, v39
	v_lshlrev_b32_e32 v34, 4, v46
	s_addc_u32 s1, s1, s2
	v_mov_b32_e32 v35, 0
	v_cndmask_b32_e32 v31, v38, v31, vcc
	s_load_dword s35, s[8:9], 0x0
	v_lshl_add_u64 v[44:45], s[0:1], 0, v[34:35]
	v_lshlrev_b32_e32 v42, 2, v31
	v_mov_b32_e32 v31, v35
	s_sub_i32 s36, 1, s17
	s_lshl_b64 s[0:1], s[24:25], 2
	v_lshl_add_u64 v[32:33], v[44:45], 0, v[30:31]
	v_lshlrev_b32_e32 v31, 2, v46
	s_add_u32 s0, s22, s0
	v_lshl_or_b32 v31, v49, 6, v31
	v_and_b32_e32 v34, 60, v37
	s_addc_u32 s1, s23, s1
	s_mov_b32 s34, s13
	v_cmp_eq_u32_e32 vcc, 0, v30
	v_cmp_neq_f32_e64 s[2:3], s28, 0
	v_lshl_or_b32 v43, v49, 4, v46
	v_add_u32_e32 v44, 0x1d0, v31
	v_lshl_add_u64 v[34:35], s[0:1], 0, v[34:35]
	v_mov_b32_e32 v31, 0xff7fffff
	s_mov_b64 s[8:9], 0
	v_mov_b32_e32 v45, v49
	s_branch .LBB193_9
.LBB193_8:                              ;   in Loop: Header=BB193_9 Depth=1
	s_or_b64 exec, exec, s[14:15]
	v_add_u32_e32 v45, 2, v45
	v_cmp_le_i32_e64 s[0:1], s19, v45
	v_add_u32_e32 v43, 32, v43
	v_add_u32_e32 v44, 0x80, v44
	s_or_b64 s[8:9], s[0:1], s[8:9]
	v_lshl_add_u64 v[34:35], v[34:35], 0, 8
	s_andn2_b64 exec, exec, s[8:9]
	s_cbranch_execz .LBB193_11
.LBB193_9:                              ; =>This Inner Loop Header: Depth=1
	global_load_dword v46, v[34:35], off
	s_waitcnt vmcnt(0) lgkmcnt(0)
	v_mad_i64_i32 v[46:47], s[0:1], v46, s34, v[32:33]
	global_load_ubyte v50, v[46:47], off
	global_load_ubyte v51, v[46:47], off offset:4
	global_load_ubyte v52, v[46:47], off offset:8
	;; [unrolled: 1-line block ×26, first 2 shown]
	s_nop 0
	global_load_ubyte v46, v[46:47], off offset:1548
	s_waitcnt vmcnt(27)
	v_cvt_f32_fp8_e32 v47, v50
	s_waitcnt vmcnt(26)
	v_cvt_f32_fp8_e32 v50, v51
	;; [unrolled: 2-line block ×5, first 2 shown]
	s_waitcnt lgkmcnt(0)
	v_mul_f32_e32 v50, s35, v50
	s_waitcnt vmcnt(22)
	v_cvt_f32_fp8_e32 v54, v55
	v_mul_f32_e32 v47, s35, v47
	v_mul_f32_e32 v50, v3, v50
	s_waitcnt vmcnt(21)
	v_cvt_f32_fp8_e32 v55, v56
	v_mul_f32_e32 v51, s35, v51
	v_fmac_f32_e32 v50, v2, v47
	s_waitcnt vmcnt(20)
	v_cvt_f32_fp8_e32 v56, v57
	v_mul_f32_e32 v52, s35, v52
	v_fmac_f32_e32 v50, v4, v51
	;; [unrolled: 4-line block ×22, first 2 shown]
	v_mul_f32_e32 v73, s35, v73
	v_fmac_f32_e32 v50, v25, v72
	v_mul_f32_e32 v74, s35, v74
	v_fmac_f32_e32 v50, v26, v73
	;; [unrolled: 2-line block ×4, first 2 shown]
	v_fmac_f32_e32 v50, v29, v46
	ds_bpermute_b32 v46, v41, v50
	s_waitcnt lgkmcnt(0)
	v_add_f32_e32 v46, v50, v46
	ds_bpermute_b32 v47, v42, v46
	s_and_saveexec_b64 s[14:15], vcc
	s_cbranch_execz .LBB193_8
; %bb.10:                               ;   in Loop: Header=BB193_9 Depth=1
	v_add_u32_e32 v50, s36, v43
	v_cvt_f32_i32_e32 v50, v50
	s_waitcnt lgkmcnt(0)
	v_add_f32_e32 v46, v46, v47
	v_cmp_gt_i32_e64 s[0:1], s17, v43
	v_max_f32_e32 v47, v31, v31
	v_mul_f32_e32 v50, s28, v50
	v_cndmask_b32_e64 v50, 0, v50, s[2:3]
	v_fmac_f32_e32 v50, s29, v46
	v_cndmask_b32_e64 v46, 0, v50, s[0:1]
	ds_write_b32 v44, v46
	v_max_f32_e32 v46, v47, v50
	v_cndmask_b32_e64 v31, v31, v46, s[0:1]
	s_branch .LBB193_8
.LBB193_11:
	s_or_b64 exec, exec, s[8:9]
.LBB193_12:
	s_or_b64 exec, exec, s[30:31]
	v_xor_b32_e32 v2, 32, v38
	v_cmp_lt_i32_e32 vcc, v2, v39
	v_xor_b32_e32 v5, 16, v38
	v_max_f32_e32 v4, v31, v31
	v_cndmask_b32_e32 v2, v38, v2, vcc
	v_lshlrev_b32_e32 v2, 2, v2
	ds_bpermute_b32 v3, v2, v31
	v_cmp_lt_i32_e32 vcc, v5, v39
	v_xor_b32_e32 v6, 8, v38
	v_xor_b32_e32 v7, 4, v38
	v_and_b32_e32 v31, 63, v0
	s_waitcnt lgkmcnt(0)
	v_max_f32_e32 v3, v3, v3
	v_max_f32_e32 v4, v4, v3
	v_cndmask_b32_e32 v3, v38, v5, vcc
	v_lshlrev_b32_e32 v3, 2, v3
	ds_bpermute_b32 v5, v3, v4
	v_cmp_lt_i32_e32 vcc, v6, v39
	s_waitcnt lgkmcnt(0)
	v_max_f32_e32 v5, v5, v5
	v_max_f32_e32 v4, v4, v5
	v_cndmask_b32_e32 v5, v38, v6, vcc
	v_lshlrev_b32_e32 v6, 2, v5
	ds_bpermute_b32 v5, v6, v4
	v_cmp_lt_i32_e32 vcc, v7, v39
	s_waitcnt lgkmcnt(0)
	v_max_f32_e32 v5, v5, v5
	v_max_f32_e32 v5, v4, v5
	v_cndmask_b32_e32 v4, v38, v7, vcc
	v_lshlrev_b32_e32 v7, 2, v4
	ds_bpermute_b32 v8, v7, v5
	v_cmp_eq_u32_e32 vcc, 0, v31
	v_lshlrev_b32_e32 v4, 2, v49
	s_and_saveexec_b64 s[0:1], vcc
	s_cbranch_execz .LBB193_14
; %bb.13:
	s_waitcnt lgkmcnt(0)
	v_max_f32_e32 v8, v8, v8
	v_max_f32_e32 v5, v5, v5
	;; [unrolled: 1-line block ×3, first 2 shown]
	ds_write_b32 v4, v5 offset:448
.LBB193_14:
	s_or_b64 exec, exec, s[0:1]
	v_cmp_gt_u32_e64 s[0:1], 2, v31
	s_waitcnt lgkmcnt(0)
	v_mov_b32_e32 v8, 0xff7fffff
	v_lshlrev_b32_e32 v5, 2, v31
	s_barrier
	s_and_saveexec_b64 s[2:3], s[0:1]
; %bb.15:
	ds_read_b32 v8, v5 offset:448
; %bb.16:
	s_or_b64 exec, exec, s[2:3]
	v_xor_b32_e32 v9, 1, v38
	v_cmp_lt_i32_e64 s[2:3], v9, v39
	s_nop 1
	v_cndmask_b32_e64 v9, v38, v9, s[2:3]
	v_lshlrev_b32_e32 v50, 2, v9
	s_waitcnt lgkmcnt(0)
	ds_bpermute_b32 v9, v50, v8
	v_max_f32_e32 v8, v8, v8
	s_lshl_b32 s2, s19, 4
	s_min_i32 s30, s2, s17
	v_cmp_gt_i32_e64 s[2:3], s30, v0
	s_waitcnt lgkmcnt(0)
	v_max_f32_e32 v9, v9, v9
	v_max_f32_e32 v8, v8, v9
	v_lshlrev_b32_e32 v9, 2, v40
	ds_bpermute_b32 v9, v9, v8
	v_mov_b32_e32 v8, 0
	s_and_saveexec_b64 s[14:15], s[2:3]
	s_cbranch_execz .LBB193_20
; %bb.17:
	v_mov_b32_e32 v8, 0x1d0
	v_lshl_add_u32 v10, v0, 2, v8
	v_mov_b32_e32 v8, 0
	s_mov_b64 s[28:29], 0
	v_mov_b32_e32 v11, v0
.LBB193_18:                             ; =>This Inner Loop Header: Depth=1
	ds_read_b32 v12, v10
	v_add_u32_e32 v11, 0x80, v11
	v_cmp_le_i32_e64 s[8:9], s30, v11
	s_or_b64 s[28:29], s[8:9], s[28:29]
	s_waitcnt lgkmcnt(0)
	v_sub_f32_e32 v12, v12, v9
	v_mul_f32_e32 v12, 0x3fb8aa3b, v12
	v_exp_f32_e32 v12, v12
	ds_write_b32 v10, v12
	v_add_f32_e32 v8, v8, v12
	v_add_u32_e32 v10, 0x200, v10
	s_andn2_b64 exec, exec, s[28:29]
	s_cbranch_execnz .LBB193_18
; %bb.19:
	s_or_b64 exec, exec, s[28:29]
.LBB193_20:
	s_or_b64 exec, exec, s[14:15]
	ds_bpermute_b32 v2, v2, v8
	s_waitcnt lgkmcnt(0)
	v_add_f32_e32 v2, v8, v2
	ds_bpermute_b32 v3, v3, v2
	s_waitcnt lgkmcnt(0)
	v_add_f32_e32 v2, v2, v3
	ds_bpermute_b32 v3, v6, v2
	v_xor_b32_e32 v6, 2, v38
	v_cmp_lt_i32_e64 s[8:9], v6, v39
	s_waitcnt lgkmcnt(0)
	v_add_f32_e32 v2, v2, v3
	ds_bpermute_b32 v3, v7, v2
	v_cndmask_b32_e64 v6, v38, v6, s[8:9]
	v_lshlrev_b32_e32 v51, 2, v6
	s_waitcnt lgkmcnt(0)
	v_add_f32_e32 v2, v2, v3
	ds_bpermute_b32 v3, v51, v2
	s_waitcnt lgkmcnt(0)
	v_add_f32_e32 v2, v2, v3
	ds_bpermute_b32 v3, v50, v2
	s_waitcnt lgkmcnt(0)
	v_add_f32_e32 v2, v2, v3
	s_and_saveexec_b64 s[8:9], vcc
; %bb.21:
	ds_write_b32 v4, v2 offset:456
; %bb.22:
	s_or_b64 exec, exec, s[8:9]
	s_waitcnt lgkmcnt(0)
	s_barrier
	s_and_saveexec_b64 s[8:9], s[0:1]
; %bb.23:
	ds_read_b32 v2, v5 offset:456
; %bb.24:
	s_or_b64 exec, exec, s[8:9]
	s_waitcnt lgkmcnt(0)
	ds_bpermute_b32 v3, v50, v2
	v_lshlrev_b32_e32 v4, 2, v38
	s_waitcnt lgkmcnt(0)
	v_add_f32_e32 v2, v2, v3
	v_and_b32_e32 v3, 0xffffff00, v4
	ds_bpermute_b32 v2, v3, v2
	s_and_saveexec_b64 s[0:1], s[2:3]
	s_cbranch_execz .LBB193_37
; %bb.25:
	s_waitcnt lgkmcnt(0)
	v_add_f32_e32 v2, 0x358637bd, v2
	v_div_scale_f32 v3, s[2:3], v2, v2, 1.0
	v_rcp_f32_e32 v4, v3
	v_div_scale_f32 v5, vcc, 1.0, v2, 1.0
	s_movk_i32 s2, 0x7f
	v_fma_f32 v6, -v3, v4, 1.0
	v_fmac_f32_e32 v4, v6, v4
	v_mul_f32_e32 v6, v5, v4
	v_fma_f32 v7, -v3, v6, v5
	v_fmac_f32_e32 v6, v7, v4
	v_fma_f32 v3, -v3, v6, v5
	v_div_fmas_f32 v3, v3, v4, v6
	v_xad_u32 v4, v0, -1, s30
	v_div_fixup_f32 v2, v3, v2, 1.0
	v_cmp_lt_u32_e32 vcc, s2, v4
	s_mov_b64 s[8:9], -1
	v_mov_b32_e32 v3, v0
	s_and_saveexec_b64 s[2:3], vcc
	s_cbranch_execz .LBB193_34
; %bb.26:
	v_lshrrev_b32_e32 v4, 7, v4
	v_add_u32_e32 v6, -1, v4
	v_lshrrev_b32_e32 v5, 1, v6
	v_mov_b32_e32 v3, v2
	v_add_u32_e32 v5, 1, v5
	v_cmp_lt_u32_e32 vcc, 13, v6
	v_mov_b32_e32 v8, 0
	s_and_saveexec_b64 s[8:9], vcc
	s_cbranch_execz .LBB193_30
; %bb.27:
	v_mov_b32_e32 v7, 0x1d0
	v_and_b32_e32 v6, -8, v5
	v_lshl_add_u32 v7, v0, 2, v7
	s_mov_b32 s28, 0
	s_mov_b64 s[14:15], 0
.LBB193_28:                             ; =>This Inner Loop Header: Depth=1
	ds_read2st64_b32 v[8:9], v7 offset1:2
	ds_read2st64_b32 v[10:11], v7 offset0:4 offset1:6
	ds_read2st64_b32 v[12:13], v7 offset0:8 offset1:10
	;; [unrolled: 1-line block ×3, first 2 shown]
	v_add_u32_e32 v6, -8, v6
	s_waitcnt lgkmcnt(3)
	v_pk_mul_f32 v[8:9], v[2:3], v[8:9]
	s_waitcnt lgkmcnt(2)
	v_pk_mul_f32 v[10:11], v[2:3], v[10:11]
	ds_write2st64_b32 v7, v8, v9 offset1:2
	ds_write2st64_b32 v7, v10, v11 offset0:4 offset1:6
	ds_read2st64_b32 v[10:11], v7 offset0:16 offset1:18
	s_waitcnt lgkmcnt(4)
	v_pk_mul_f32 v[8:9], v[2:3], v[12:13]
	ds_write2st64_b32 v7, v8, v9 offset0:8 offset1:10
	s_waitcnt lgkmcnt(4)
	v_pk_mul_f32 v[8:9], v[2:3], v[14:15]
	ds_write2st64_b32 v7, v8, v9 offset0:12 offset1:14
	ds_read2st64_b32 v[8:9], v7 offset0:20 offset1:22
	s_waitcnt lgkmcnt(3)
	v_pk_mul_f32 v[10:11], v[2:3], v[10:11]
	ds_read2st64_b32 v[12:13], v7 offset0:24 offset1:26
	ds_write2st64_b32 v7, v10, v11 offset0:16 offset1:18
	ds_read2st64_b32 v[10:11], v7 offset0:28 offset1:30
	s_waitcnt lgkmcnt(3)
	v_pk_mul_f32 v[8:9], v[2:3], v[8:9]
	ds_write2st64_b32 v7, v8, v9 offset0:20 offset1:22
	s_waitcnt lgkmcnt(3)
	v_pk_mul_f32 v[8:9], v[2:3], v[12:13]
	ds_write2st64_b32 v7, v8, v9 offset0:24 offset1:26
	s_waitcnt lgkmcnt(2)
	v_pk_mul_f32 v[8:9], v[2:3], v[10:11]
	s_add_i32 s28, s28, 16
	v_cmp_eq_u32_e32 vcc, 0, v6
	ds_write2st64_b32 v7, v8, v9 offset0:28 offset1:30
	v_add_u32_e32 v7, 0x2000, v7
	s_or_b64 s[14:15], vcc, s[14:15]
	v_mov_b32_e32 v8, s28
	s_andn2_b64 exec, exec, s[14:15]
	s_cbranch_execnz .LBB193_28
; %bb.29:
	s_or_b64 exec, exec, s[14:15]
.LBB193_30:
	s_or_b64 exec, exec, s[8:9]
	v_and_b32_e32 v5, 7, v5
	v_cmp_ne_u32_e32 vcc, 0, v5
	s_and_saveexec_b64 s[8:9], vcc
	s_cbranch_execz .LBB193_33
; %bb.31:
	v_lshlrev_b32_e32 v6, 9, v8
	s_movk_i32 s14, 0x1d0
	v_add3_u32 v6, v6, v36, s14
	s_mov_b64 s[14:15], 0
.LBB193_32:                             ; =>This Inner Loop Header: Depth=1
	ds_read2st64_b32 v[8:9], v6 offset1:2
	v_add_u32_e32 v5, -1, v5
	v_cmp_eq_u32_e32 vcc, 0, v5
	s_or_b64 s[14:15], vcc, s[14:15]
	s_waitcnt lgkmcnt(0)
	v_pk_mul_f32 v[8:9], v[2:3], v[8:9]
	ds_write2st64_b32 v6, v8, v9 offset1:2
	v_add_u32_e32 v6, 0x400, v6
	s_andn2_b64 exec, exec, s[14:15]
	s_cbranch_execnz .LBB193_32
.LBB193_33:
	s_or_b64 exec, exec, s[8:9]
	v_add_u32_e32 v4, 1, v4
	v_and_b32_e32 v5, 0x3fffffe, v4
	v_cmp_ne_u32_e32 vcc, v4, v5
	v_lshl_add_u32 v3, v5, 7, v0
	s_orn2_b64 s[8:9], vcc, exec
.LBB193_34:
	s_or_b64 exec, exec, s[2:3]
	s_and_b64 exec, exec, s[8:9]
	s_cbranch_execz .LBB193_37
; %bb.35:
	v_mov_b32_e32 v4, 0x1d0
	v_lshl_add_u32 v4, v3, 2, v4
	s_mov_b64 s[2:3], 0
.LBB193_36:                             ; =>This Inner Loop Header: Depth=1
	ds_read_b32 v5, v4
	v_add_u32_e32 v3, 0x80, v3
	v_cmp_le_i32_e32 vcc, s30, v3
	s_or_b64 s[2:3], vcc, s[2:3]
	s_waitcnt lgkmcnt(0)
	v_mul_f32_e32 v5, v2, v5
	ds_write_b32 v4, v5
	v_add_u32_e32 v4, 0x200, v4
	s_andn2_b64 exec, exec, s[2:3]
	s_cbranch_execnz .LBB193_36
.LBB193_37:
	s_or_b64 exec, exec, s[0:1]
	v_mov_b32_e32 v9, 0
	v_mov_b32_e32 v8, 0
	;; [unrolled: 1-line block ×7, first 2 shown]
	s_waitcnt lgkmcnt(0)
	s_barrier
	s_and_saveexec_b64 s[2:3], s[6:7]
	s_cbranch_execz .LBB193_55
; %bb.38:
	s_ashr_i32 s1, s33, 31
	s_load_dword s6, s[10:11], 0x0
	s_add_u32 s0, s26, s33
	s_addc_u32 s1, s27, s1
	v_and_b32_e32 v6, 0xfc, v36
	v_mov_b32_e32 v7, 0
	v_and_b32_e32 v2, 12, v36
	s_add_i32 s14, s19, -1
	v_lshl_add_u64 v[14:15], s[0:1], 0, v[6:7]
	s_lshl_b64 s[0:1], s[24:25], 2
	v_lshl_or_b32 v52, v49, 4, v2
	v_lshlrev_b32_e32 v2, 4, v30
	s_add_u32 s0, s22, s0
	v_lshl_or_b32 v2, v49, 6, v2
	v_and_b32_e32 v6, 60, v37
	s_addc_u32 s1, s23, s1
	s_waitcnt lgkmcnt(0)
	s_mov_b32 s7, s6
	s_mov_b32 s15, s17
	v_add_u32_e32 v53, 0x1d0, v2
	v_lshl_add_u64 v[16:17], s[0:1], 0, v[6:7]
	s_mov_b64 s[8:9], 0
	v_mov_b32_e32 v9, v7
	v_mov_b32_e32 v8, v7
	;; [unrolled: 1-line block ×6, first 2 shown]
	s_branch .LBB193_40
.LBB193_39:                             ;   in Loop: Header=BB193_40 Depth=1
	s_or_b64 exec, exec, s[0:1]
	s_waitcnt lgkmcnt(0)
	v_mul_f32_e32 v6, v2, v46
	v_fmac_f32_e32 v6, v3, v47
	v_fmac_f32_e32 v6, v4, v44
	v_fmac_f32_e32 v6, v5, v45
	v_add_f32_e32 v9, v9, v6
	v_mul_f32_e32 v6, v2, v40
	v_fmac_f32_e32 v6, v3, v41
	v_fmac_f32_e32 v6, v4, v38
	v_fmac_f32_e32 v6, v5, v39
	v_add_f32_e32 v8, v8, v6
	;; [unrolled: 5-line block ×5, first 2 shown]
	v_mul_f32_e32 v6, v2, v20
	v_fmac_f32_e32 v6, v3, v21
	v_fmac_f32_e32 v6, v4, v18
	v_pk_mul_f32 v[2:3], v[2:3], v[42:43]
	v_fmac_f32_e32 v6, v5, v19
	v_pk_mul_f32 v[4:5], v[4:5], v[26:27]
	v_add_f32_e32 v2, v3, v2
	v_add_f32_e32 v2, v4, v2
	v_add_u32_e32 v49, 2, v49
	v_add_f32_e32 v2, v5, v2
	v_cmp_le_i32_e32 vcc, s19, v49
	v_add_f32_e32 v12, v12, v6
	v_add_f32_e32 v7, v7, v2
	v_add_u32_e32 v52, 32, v52
	v_add_u32_e32 v53, 0x80, v53
	s_or_b64 s[8:9], vcc, s[8:9]
	v_lshl_add_u64 v[16:17], v[16:17], 0, 8
	s_andn2_b64 exec, exec, s[8:9]
	s_cbranch_execz .LBB193_54
.LBB193_40:                             ; =>This Inner Loop Header: Depth=1
	global_load_dword v2, v[16:17], off
	v_cmp_eq_u32_e32 vcc, s14, v49
	v_add_u32_e32 v42, 2, v52
	v_add_u32_e32 v43, 3, v52
	s_waitcnt vmcnt(0)
	v_mad_i64_i32 v[26:27], s[0:1], v2, s13, v[14:15]
	global_load_dword v6, v[26:27], off
	ds_read_b128 v[2:5], v53
	s_waitcnt vmcnt(0)
	v_and_b32_e32 v18, 0xffff, v6
	v_lshrrev_b32_e32 v6, 16, v6
	v_cvt_pk_f32_fp8_e32 v[18:19], v18
	v_cvt_pk_f32_fp8_e32 v[22:23], v6
	v_add_u32_e32 v6, 1, v52
	v_pk_mul_f32 v[20:21], s[6:7], v[18:19]
	v_pk_mul_f32 v[18:19], s[6:7], v[22:23]
	s_and_saveexec_b64 s[10:11], vcc
; %bb.41:                               ;   in Loop: Header=BB193_40 Depth=1
	v_cmp_gt_i32_e64 s[0:1], s17, v52
	s_nop 1
	v_cndmask_b32_e64 v20, 0, v20, s[0:1]
	v_cmp_gt_i32_e64 s[0:1], s17, v6
	s_nop 1
	v_cndmask_b32_e64 v21, 0, v21, s[0:1]
	v_cmp_gt_i32_e64 s[0:1], s17, v42
	s_nop 1
	v_cndmask_b32_e64 v18, 0, v18, s[0:1]
	v_cmp_gt_i32_e64 s[0:1], s17, v43
	s_nop 1
	v_cndmask_b32_e64 v19, 0, v19, s[0:1]
; %bb.42:                               ;   in Loop: Header=BB193_40 Depth=1
	s_or_b64 exec, exec, s[10:11]
	global_load_dword v22, v[26:27], off offset:256
	s_waitcnt vmcnt(0)
	v_and_b32_e32 v23, 0xffff, v22
	v_lshrrev_b32_e32 v24, 16, v22
	v_cvt_pk_f32_fp8_e32 v[22:23], v23
	v_cvt_pk_f32_fp8_e32 v[28:29], v24
	v_pk_mul_f32 v[24:25], s[6:7], v[22:23]
	v_pk_mul_f32 v[22:23], s[6:7], v[28:29]
	s_and_saveexec_b64 s[10:11], vcc
; %bb.43:                               ;   in Loop: Header=BB193_40 Depth=1
	v_cmp_gt_i32_e64 s[0:1], s17, v52
	s_nop 1
	v_cndmask_b32_e64 v24, 0, v24, s[0:1]
	v_cmp_gt_i32_e64 s[0:1], s17, v6
	s_nop 1
	v_cndmask_b32_e64 v25, 0, v25, s[0:1]
	v_cmp_gt_i32_e64 s[0:1], s17, v42
	s_nop 1
	v_cndmask_b32_e64 v22, 0, v22, s[0:1]
	v_cmp_gt_i32_e64 s[0:1], s17, v43
	s_nop 1
	v_cndmask_b32_e64 v23, 0, v23, s[0:1]
; %bb.44:                               ;   in Loop: Header=BB193_40 Depth=1
	s_or_b64 exec, exec, s[10:11]
	global_load_dword v28, v[26:27], off offset:512
	s_waitcnt vmcnt(0)
	v_and_b32_e32 v29, 0xffff, v28
	v_lshrrev_b32_e32 v32, 16, v28
	v_cvt_pk_f32_fp8_e32 v[28:29], v29
	v_cvt_pk_f32_fp8_e32 v[34:35], v32
	;; [unrolled: 24-line block ×6, first 2 shown]
	v_pk_mul_f32 v[42:43], s[6:7], v[26:27]
	v_pk_mul_f32 v[26:27], s[6:7], v[54:55]
	s_and_saveexec_b64 s[0:1], vcc
	s_cbranch_execz .LBB193_39
; %bb.53:                               ;   in Loop: Header=BB193_40 Depth=1
	v_cmp_gt_i32_e32 vcc, s15, v6
	v_or_b32_e32 v6, 3, v52
	v_or_b32_e32 v54, 2, v52
	v_cndmask_b32_e32 v43, 0, v43, vcc
	v_cmp_gt_i32_e32 vcc, s17, v52
	s_nop 1
	v_cndmask_b32_e32 v42, 0, v42, vcc
	v_cmp_gt_i32_e32 vcc, s15, v6
	s_nop 1
	;; [unrolled: 3-line block ×3, first 2 shown]
	v_cndmask_b32_e32 v26, 0, v26, vcc
	s_branch .LBB193_39
.LBB193_54:
	s_or_b64 exec, exec, s[8:9]
.LBB193_55:
	s_or_b64 exec, exec, s[2:3]
	ds_bpermute_b32 v4, v51, v10
	ds_bpermute_b32 v5, v51, v11
	ds_bpermute_b32 v2, v51, v12
	ds_bpermute_b32 v3, v51, v13
	ds_bpermute_b32 v14, v51, v8
	ds_bpermute_b32 v15, v51, v9
	s_waitcnt lgkmcnt(4)
	v_pk_add_f32 v[4:5], v[10:11], v[4:5]
	ds_bpermute_b32 v6, v51, v7
	ds_bpermute_b32 v10, v50, v4
	ds_bpermute_b32 v11, v50, v5
	s_waitcnt lgkmcnt(5)
	v_pk_add_f32 v[2:3], v[12:13], v[2:3]
	s_waitcnt lgkmcnt(3)
	v_pk_add_f32 v[14:15], v[8:9], v[14:15]
	ds_bpermute_b32 v12, v50, v2
	ds_bpermute_b32 v13, v50, v3
	;; [unrolled: 1-line block ×4, first 2 shown]
	s_waitcnt lgkmcnt(6)
	v_add_f32_e32 v7, v7, v6
	s_waitcnt lgkmcnt(4)
	v_pk_add_f32 v[4:5], v[4:5], v[10:11]
	ds_bpermute_b32 v10, v50, v7
	v_and_b32_e32 v6, 0x3c3, v0
	s_waitcnt lgkmcnt(3)
	v_pk_add_f32 v[8:9], v[2:3], v[12:13]
	s_waitcnt lgkmcnt(1)
	v_pk_add_f32 v[2:3], v[14:15], v[16:17]
	v_cmp_ne_u32_e32 vcc, 64, v6
	s_waitcnt lgkmcnt(0)
	s_barrier
	s_and_saveexec_b64 s[0:1], vcc
	s_xor_b64 s[0:1], exec, s[0:1]
; %bb.56:
                                        ; implicit-def: $vgpr31
; %bb.57:
	s_or_saveexec_b64 s[0:1], s[0:1]
	v_add_f32_e32 v7, v7, v10
	s_xor_b64 exec, exec, s[0:1]
	s_cbranch_execz .LBB193_59
; %bb.58:
	v_add_u32_e32 v10, 0x1d0, v31
	ds_write2_b32 v10, v8, v9 offset1:16
	ds_write2_b32 v10, v4, v5 offset0:32 offset1:48
	ds_write2_b32 v10, v2, v3 offset0:64 offset1:80
	ds_write_b32 v10, v7 offset:384
.LBB193_59:
	s_or_b64 exec, exec, s[0:1]
	v_cmp_gt_u32_e32 vcc, 64, v0
	s_waitcnt lgkmcnt(0)
	s_barrier
	s_and_saveexec_b64 s[0:1], vcc
	s_cbranch_execz .LBB193_69
; %bb.60:
	v_mov_b32_e32 v0, 0x1d0
	v_cmp_eq_u32_e32 vcc, 0, v30
	v_lshl_add_u32 v0, v48, 2, v0
	s_and_saveexec_b64 s[2:3], vcc
	s_cbranch_execnz .LBB193_72
; %bb.61:
	s_or_b64 exec, exec, s[2:3]
	s_and_saveexec_b64 s[2:3], vcc
	s_cbranch_execnz .LBB193_73
.LBB193_62:
	s_or_b64 exec, exec, s[2:3]
	s_and_saveexec_b64 s[2:3], vcc
	s_cbranch_execnz .LBB193_74
.LBB193_63:
	s_or_b64 exec, exec, s[2:3]
	s_and_saveexec_b64 s[2:3], vcc
	s_cbranch_execnz .LBB193_75
.LBB193_64:
	s_or_b64 exec, exec, s[2:3]
	s_and_saveexec_b64 s[2:3], vcc
	s_cbranch_execnz .LBB193_76
.LBB193_65:
	s_or_b64 exec, exec, s[2:3]
	s_and_saveexec_b64 s[2:3], vcc
	s_cbranch_execnz .LBB193_77
.LBB193_66:
	s_or_b64 exec, exec, s[2:3]
	s_and_saveexec_b64 s[2:3], vcc
	s_cbranch_execz .LBB193_68
.LBB193_67:
	ds_read_b32 v0, v0 offset:384
	s_waitcnt lgkmcnt(0)
	v_add_f32_e32 v7, v7, v0
.LBB193_68:
	s_or_b64 exec, exec, s[2:3]
.LBB193_69:
	s_or_b64 exec, exec, s[0:1]
	v_cmp_eq_u32_e32 vcc, 0, v6
	s_barrier
	s_and_saveexec_b64 s[0:1], vcc
	s_cbranch_execz .LBB193_71
; %bb.70:
	s_mul_i32 s0, s16, s12
	s_mul_i32 s0, s0, s5
	s_mulk_i32 s0, 0x70
	s_ashr_i32 s1, s0, 31
	s_lshl_b64 s[0:1], s[0:1], 2
	s_add_u32 s2, s20, s0
	s_mul_i32 s0, s12, s18
	s_addc_u32 s3, s21, s1
	s_ashr_i32 s1, s0, 31
	s_lshl_b64 s[0:1], s[0:1], 2
	s_add_u32 s2, s2, s0
	s_mul_i32 s0, s4, 0x70
	s_addc_u32 s3, s3, s1
	s_ashr_i32 s1, s0, 31
	s_lshl_b64 s[0:1], s[0:1], 2
	s_add_u32 s0, s2, s0
	s_addc_u32 s1, s3, s1
	global_store_dword v1, v8, s[0:1]
	global_store_dword v1, v9, s[0:1] offset:64
	global_store_dword v1, v4, s[0:1] offset:128
	global_store_dword v1, v5, s[0:1] offset:192
	global_store_dword v1, v2, s[0:1] offset:256
	global_store_dword v1, v3, s[0:1] offset:320
	global_store_dword v1, v7, s[0:1] offset:384
.LBB193_71:
	s_endpgm
.LBB193_72:
	ds_read_b32 v10, v0
	s_waitcnt lgkmcnt(0)
	v_add_f32_e32 v8, v8, v10
	s_or_b64 exec, exec, s[2:3]
	s_and_saveexec_b64 s[2:3], vcc
	s_cbranch_execz .LBB193_62
.LBB193_73:
	ds_read_b32 v10, v0 offset:64
	s_waitcnt lgkmcnt(0)
	v_add_f32_e32 v9, v9, v10
	s_or_b64 exec, exec, s[2:3]
	s_and_saveexec_b64 s[2:3], vcc
	s_cbranch_execz .LBB193_63
.LBB193_74:
	ds_read_b32 v10, v0 offset:128
	s_waitcnt lgkmcnt(0)
	v_add_f32_e32 v4, v4, v10
	s_or_b64 exec, exec, s[2:3]
	s_and_saveexec_b64 s[2:3], vcc
	s_cbranch_execz .LBB193_64
.LBB193_75:
	ds_read_b32 v10, v0 offset:192
	s_waitcnt lgkmcnt(0)
	v_add_f32_e32 v5, v5, v10
	s_or_b64 exec, exec, s[2:3]
	s_and_saveexec_b64 s[2:3], vcc
	s_cbranch_execz .LBB193_65
.LBB193_76:
	ds_read_b32 v10, v0 offset:256
	s_waitcnt lgkmcnt(0)
	v_add_f32_e32 v2, v2, v10
	s_or_b64 exec, exec, s[2:3]
	s_and_saveexec_b64 s[2:3], vcc
	s_cbranch_execz .LBB193_66
.LBB193_77:
	ds_read_b32 v10, v0 offset:320
	s_waitcnt lgkmcnt(0)
	v_add_f32_e32 v3, v3, v10
	s_or_b64 exec, exec, s[2:3]
	s_and_saveexec_b64 s[2:3], vcc
	s_cbranch_execnz .LBB193_67
	s_branch .LBB193_68
	.section	.rodata,"a",@progbits
	.p2align	6, 0x0
	.amdhsa_kernel _ZN4vllm25paged_attention_v1_kernelIfhLi112ELi16ELi128ELNS_18Fp8KVCacheDataTypeE1ELb0EEEvPT_PKS2_PKT0_S8_ifPKiSA_iPKfiiiSC_SC_iiiii
		.amdhsa_group_segment_fixed_size 464
		.amdhsa_private_segment_fixed_size 0
		.amdhsa_kernarg_size 384
		.amdhsa_user_sgpr_count 2
		.amdhsa_user_sgpr_dispatch_ptr 0
		.amdhsa_user_sgpr_queue_ptr 0
		.amdhsa_user_sgpr_kernarg_segment_ptr 1
		.amdhsa_user_sgpr_dispatch_id 0
		.amdhsa_user_sgpr_kernarg_preload_length 0
		.amdhsa_user_sgpr_kernarg_preload_offset 0
		.amdhsa_user_sgpr_private_segment_size 0
		.amdhsa_uses_dynamic_stack 0
		.amdhsa_enable_private_segment 0
		.amdhsa_system_sgpr_workgroup_id_x 1
		.amdhsa_system_sgpr_workgroup_id_y 1
		.amdhsa_system_sgpr_workgroup_id_z 1
		.amdhsa_system_sgpr_workgroup_info 0
		.amdhsa_system_vgpr_workitem_id 0
		.amdhsa_next_free_vgpr 77
		.amdhsa_next_free_sgpr 37
		.amdhsa_accum_offset 80
		.amdhsa_reserve_vcc 1
		.amdhsa_float_round_mode_32 0
		.amdhsa_float_round_mode_16_64 0
		.amdhsa_float_denorm_mode_32 3
		.amdhsa_float_denorm_mode_16_64 3
		.amdhsa_dx10_clamp 1
		.amdhsa_ieee_mode 1
		.amdhsa_fp16_overflow 0
		.amdhsa_tg_split 0
		.amdhsa_exception_fp_ieee_invalid_op 0
		.amdhsa_exception_fp_denorm_src 0
		.amdhsa_exception_fp_ieee_div_zero 0
		.amdhsa_exception_fp_ieee_overflow 0
		.amdhsa_exception_fp_ieee_underflow 0
		.amdhsa_exception_fp_ieee_inexact 0
		.amdhsa_exception_int_div_zero 0
	.end_amdhsa_kernel
	.section	.text._ZN4vllm25paged_attention_v1_kernelIfhLi112ELi16ELi128ELNS_18Fp8KVCacheDataTypeE1ELb0EEEvPT_PKS2_PKT0_S8_ifPKiSA_iPKfiiiSC_SC_iiiii,"axG",@progbits,_ZN4vllm25paged_attention_v1_kernelIfhLi112ELi16ELi128ELNS_18Fp8KVCacheDataTypeE1ELb0EEEvPT_PKS2_PKT0_S8_ifPKiSA_iPKfiiiSC_SC_iiiii,comdat
.Lfunc_end193:
	.size	_ZN4vllm25paged_attention_v1_kernelIfhLi112ELi16ELi128ELNS_18Fp8KVCacheDataTypeE1ELb0EEEvPT_PKS2_PKT0_S8_ifPKiSA_iPKfiiiSC_SC_iiiii, .Lfunc_end193-_ZN4vllm25paged_attention_v1_kernelIfhLi112ELi16ELi128ELNS_18Fp8KVCacheDataTypeE1ELb0EEEvPT_PKS2_PKT0_S8_ifPKiSA_iPKfiiiSC_SC_iiiii
                                        ; -- End function
	.set _ZN4vllm25paged_attention_v1_kernelIfhLi112ELi16ELi128ELNS_18Fp8KVCacheDataTypeE1ELb0EEEvPT_PKS2_PKT0_S8_ifPKiSA_iPKfiiiSC_SC_iiiii.num_vgpr, 77
	.set _ZN4vllm25paged_attention_v1_kernelIfhLi112ELi16ELi128ELNS_18Fp8KVCacheDataTypeE1ELb0EEEvPT_PKS2_PKT0_S8_ifPKiSA_iPKfiiiSC_SC_iiiii.num_agpr, 0
	.set _ZN4vllm25paged_attention_v1_kernelIfhLi112ELi16ELi128ELNS_18Fp8KVCacheDataTypeE1ELb0EEEvPT_PKS2_PKT0_S8_ifPKiSA_iPKfiiiSC_SC_iiiii.numbered_sgpr, 37
	.set _ZN4vllm25paged_attention_v1_kernelIfhLi112ELi16ELi128ELNS_18Fp8KVCacheDataTypeE1ELb0EEEvPT_PKS2_PKT0_S8_ifPKiSA_iPKfiiiSC_SC_iiiii.num_named_barrier, 0
	.set _ZN4vllm25paged_attention_v1_kernelIfhLi112ELi16ELi128ELNS_18Fp8KVCacheDataTypeE1ELb0EEEvPT_PKS2_PKT0_S8_ifPKiSA_iPKfiiiSC_SC_iiiii.private_seg_size, 0
	.set _ZN4vllm25paged_attention_v1_kernelIfhLi112ELi16ELi128ELNS_18Fp8KVCacheDataTypeE1ELb0EEEvPT_PKS2_PKT0_S8_ifPKiSA_iPKfiiiSC_SC_iiiii.uses_vcc, 1
	.set _ZN4vllm25paged_attention_v1_kernelIfhLi112ELi16ELi128ELNS_18Fp8KVCacheDataTypeE1ELb0EEEvPT_PKS2_PKT0_S8_ifPKiSA_iPKfiiiSC_SC_iiiii.uses_flat_scratch, 0
	.set _ZN4vllm25paged_attention_v1_kernelIfhLi112ELi16ELi128ELNS_18Fp8KVCacheDataTypeE1ELb0EEEvPT_PKS2_PKT0_S8_ifPKiSA_iPKfiiiSC_SC_iiiii.has_dyn_sized_stack, 0
	.set _ZN4vllm25paged_attention_v1_kernelIfhLi112ELi16ELi128ELNS_18Fp8KVCacheDataTypeE1ELb0EEEvPT_PKS2_PKT0_S8_ifPKiSA_iPKfiiiSC_SC_iiiii.has_recursion, 0
	.set _ZN4vllm25paged_attention_v1_kernelIfhLi112ELi16ELi128ELNS_18Fp8KVCacheDataTypeE1ELb0EEEvPT_PKS2_PKT0_S8_ifPKiSA_iPKfiiiSC_SC_iiiii.has_indirect_call, 0
	.section	.AMDGPU.csdata,"",@progbits
; Kernel info:
; codeLenInByte = 5184
; TotalNumSgprs: 43
; NumVgprs: 77
; NumAgprs: 0
; TotalNumVgprs: 77
; ScratchSize: 0
; MemoryBound: 0
; FloatMode: 240
; IeeeMode: 1
; LDSByteSize: 464 bytes/workgroup (compile time only)
; SGPRBlocks: 5
; VGPRBlocks: 9
; NumSGPRsForWavesPerEU: 43
; NumVGPRsForWavesPerEU: 77
; AccumOffset: 80
; Occupancy: 6
; WaveLimiterHint : 1
; COMPUTE_PGM_RSRC2:SCRATCH_EN: 0
; COMPUTE_PGM_RSRC2:USER_SGPR: 2
; COMPUTE_PGM_RSRC2:TRAP_HANDLER: 0
; COMPUTE_PGM_RSRC2:TGID_X_EN: 1
; COMPUTE_PGM_RSRC2:TGID_Y_EN: 1
; COMPUTE_PGM_RSRC2:TGID_Z_EN: 1
; COMPUTE_PGM_RSRC2:TIDIG_COMP_CNT: 0
; COMPUTE_PGM_RSRC3_GFX90A:ACCUM_OFFSET: 19
; COMPUTE_PGM_RSRC3_GFX90A:TG_SPLIT: 0
	.section	.text._ZN4vllm25paged_attention_v1_kernelIfhLi120ELi16ELi128ELNS_18Fp8KVCacheDataTypeE1ELb0EEEvPT_PKS2_PKT0_S8_ifPKiSA_iPKfiiiSC_SC_iiiii,"axG",@progbits,_ZN4vllm25paged_attention_v1_kernelIfhLi120ELi16ELi128ELNS_18Fp8KVCacheDataTypeE1ELb0EEEvPT_PKS2_PKT0_S8_ifPKiSA_iPKfiiiSC_SC_iiiii,comdat
	.protected	_ZN4vllm25paged_attention_v1_kernelIfhLi120ELi16ELi128ELNS_18Fp8KVCacheDataTypeE1ELb0EEEvPT_PKS2_PKT0_S8_ifPKiSA_iPKfiiiSC_SC_iiiii ; -- Begin function _ZN4vllm25paged_attention_v1_kernelIfhLi120ELi16ELi128ELNS_18Fp8KVCacheDataTypeE1ELb0EEEvPT_PKS2_PKT0_S8_ifPKiSA_iPKfiiiSC_SC_iiiii
	.globl	_ZN4vllm25paged_attention_v1_kernelIfhLi120ELi16ELi128ELNS_18Fp8KVCacheDataTypeE1ELb0EEEvPT_PKS2_PKT0_S8_ifPKiSA_iPKfiiiSC_SC_iiiii
	.p2align	8
	.type	_ZN4vllm25paged_attention_v1_kernelIfhLi120ELi16ELi128ELNS_18Fp8KVCacheDataTypeE1ELb0EEEvPT_PKS2_PKT0_S8_ifPKiSA_iPKfiiiSC_SC_iiiii,@function
_ZN4vllm25paged_attention_v1_kernelIfhLi120ELi16ELi128ELNS_18Fp8KVCacheDataTypeE1ELb0EEEvPT_PKS2_PKT0_S8_ifPKiSA_iPKfiiiSC_SC_iiiii: ; @_ZN4vllm25paged_attention_v1_kernelIfhLi120ELi16ELi128ELNS_18Fp8KVCacheDataTypeE1ELb0EEEvPT_PKS2_PKT0_S8_ifPKiSA_iPKfiiiSC_SC_iiiii
; %bb.0:
	s_load_dword s5, s[0:1], 0x80
	s_load_dwordx2 s[6:7], s[0:1], 0x30
	s_load_dwordx2 s[28:29], s[0:1], 0x20
	s_mov_b32 s16, s3
	s_ashr_i32 s17, s3, 31
	s_lshl_b64 s[8:9], s[16:17], 2
	s_waitcnt lgkmcnt(0)
	s_add_u32 s6, s6, s8
	s_addc_u32 s7, s7, s9
	s_abs_i32 s3, s28
	v_cvt_f32_u32_e32 v1, s3
	s_sub_i32 s10, 0, s3
	s_abs_i32 s9, s5
	s_xor_b32 s8, s5, s28
	v_rcp_iflag_f32_e32 v1, v1
	s_ashr_i32 s8, s8, 31
	s_mov_b32 s28, 0
	v_mul_f32_e32 v1, 0x4f7ffffe, v1
	v_cvt_u32_f32_e32 v1, v1
	s_nop 0
	v_readfirstlane_b32 s11, v1
	s_mul_i32 s10, s10, s11
	s_mul_hi_u32 s10, s11, s10
	s_add_i32 s11, s11, s10
	s_mul_hi_u32 s10, s9, s11
	s_mul_i32 s11, s10, s3
	s_sub_i32 s9, s9, s11
	s_add_i32 s11, s10, 1
	s_sub_i32 s12, s9, s3
	s_cmp_ge_u32 s9, s3
	s_cselect_b32 s10, s11, s10
	s_cselect_b32 s9, s12, s9
	s_add_i32 s11, s10, 1
	s_cmp_ge_u32 s9, s3
	s_cselect_b32 s3, s11, s10
	s_xor_b32 s3, s3, s8
	s_sub_i32 s12, s3, s8
	s_abs_i32 s10, s12
	v_cvt_f32_u32_e32 v1, s10
	s_load_dwordx2 s[8:9], s[0:1], 0x40
	s_sub_i32 s3, 0, s10
	s_abs_i32 s11, s2
	v_rcp_iflag_f32_e32 v1, v1
	s_nop 0
	v_mul_f32_e32 v1, 0x4f7ffffe, v1
	v_cvt_u32_f32_e32 v1, v1
	s_nop 0
	v_readfirstlane_b32 s13, v1
	s_mul_i32 s3, s3, s13
	s_mul_hi_u32 s3, s13, s3
	s_add_i32 s13, s13, s3
	s_waitcnt lgkmcnt(0)
	s_cmp_eq_u64 s[8:9], 0
	s_mul_hi_u32 s17, s11, s13
	s_cbranch_scc1 .LBB194_2
; %bb.1:
	s_ashr_i32 s3, s2, 31
	s_lshl_b64 s[14:15], s[2:3], 2
	s_add_u32 s8, s8, s14
	s_addc_u32 s9, s9, s15
	s_load_dword s28, s[8:9], 0x0
.LBB194_2:
	s_load_dword s33, s[6:7], 0x0
	s_ashr_i32 s7, s12, 31
	s_load_dwordx4 s[12:15], s[0:1], 0x48
	v_lshrrev_b32_e32 v56, 2, v0
	s_movk_i32 s8, 0x78
	s_ashr_i32 s6, s2, 31
	v_and_b32_e32 v30, 3, v0
	s_mul_i32 s18, s2, 0x78
	v_cmp_gt_u32_e32 vcc, s8, v0
	v_lshlrev_b32_e32 v38, 2, v0
	v_lshlrev_b32_e32 v1, 2, v56
	s_and_saveexec_b64 s[2:3], vcc
	s_cbranch_execz .LBB194_4
; %bb.3:
	s_load_dwordx2 s[20:21], s[0:1], 0x8
	s_waitcnt lgkmcnt(0)
	s_mul_i32 s22, s12, s16
	s_ashr_i32 s23, s22, 31
	s_lshl_b64 s[22:23], s[22:23], 2
	v_mad_u32_u24 v3, v30, s8, v1
	s_add_u32 s9, s20, s22
	s_addc_u32 s12, s21, s23
	s_ashr_i32 s19, s18, 31
	s_lshl_b64 s[20:21], s[18:19], 2
	s_add_u32 s20, s9, s20
	s_addc_u32 s21, s12, s21
	global_load_dword v2, v38, s[20:21]
	s_waitcnt vmcnt(0)
	ds_write_b32 v3, v2
.LBB194_4:
	s_or_b64 exec, exec, s[2:3]
	s_waitcnt lgkmcnt(0)
	s_add_i32 s3, s33, 15
	s_ashr_i32 s8, s3, 31
	s_lshr_b32 s8, s8, 28
	s_add_i32 s3, s3, s8
	s_ashr_i32 s19, s3, 4
	s_xor_b32 s3, s6, s7
	s_mul_i32 s6, s17, s10
	s_sub_i32 s6, s11, s6
	s_add_i32 s7, s17, 1
	s_sub_i32 s8, s6, s10
	s_load_dwordx2 s[22:23], s[0:1], 0x28
	s_load_dword s2, s[0:1], 0x38
	s_cmp_ge_u32 s6, s10
	s_cselect_b32 s7, s7, s17
	s_cselect_b32 s6, s8, s6
	s_add_i32 s8, s7, 1
	s_cmp_ge_u32 s6, s10
	s_cselect_b32 s6, s8, s7
	v_lshrrev_b32_e32 v57, 6, v0
	s_xor_b32 s6, s6, s3
	s_waitcnt lgkmcnt(0)
	s_mul_i32 s24, s2, s16
	s_sub_i32 s12, s6, s3
	s_ashr_i32 s25, s24, 31
	v_cmp_le_i32_e64 s[6:7], s19, v57
	v_mbcnt_lo_u32_b32 v34, -1, 0
	s_barrier
                                        ; implicit-def: $vgpr40
                                        ; implicit-def: $vgpr42
                                        ; implicit-def: $vgpr41
	s_and_saveexec_b64 s[2:3], s[6:7]
	s_xor_b64 s[2:3], exec, s[2:3]
; %bb.5:
	v_mbcnt_hi_u32_b32 v40, -1, v34
	v_and_b32_e32 v42, 64, v40
	v_add_u32_e32 v41, 64, v42
                                        ; implicit-def: $vgpr34
; %bb.6:
	s_or_saveexec_b64 s[30:31], s[2:3]
	s_load_dwordx2 s[20:21], s[0:1], 0x0
	s_load_dwordx2 s[26:27], s[0:1], 0x18
	s_load_dword s17, s[0:1], 0x88
	s_load_dwordx4 s[8:11], s[0:1], 0x58
	v_mov_b32_e32 v31, 0xff7fffff
	s_mul_i32 s12, s12, s14
	v_lshrrev_b32_e32 v39, 4, v0
	s_xor_b64 exec, exec, s[30:31]
	s_cbranch_execz .LBB194_12
; %bb.7:
	v_mul_u32_u24_e32 v31, 0x78, v30
	v_mbcnt_hi_u32_b32 v40, -1, v34
	s_load_dwordx2 s[0:1], s[0:1], 0x10
	ds_read2_b64 v[2:5], v31 offset1:1
	ds_read2_b64 v[6:9], v31 offset0:2 offset1:3
	ds_read2_b64 v[10:13], v31 offset0:4 offset1:5
	;; [unrolled: 1-line block ×6, first 2 shown]
	ds_read_b64 v[32:33], v31 offset:112
	v_and_b32_e32 v42, 64, v40
	v_add_u32_e32 v41, 64, v42
	v_xor_b32_e32 v31, 2, v40
	v_cmp_lt_i32_e32 vcc, v31, v41
	s_ashr_i32 s2, s12, 31
	v_bfe_u32 v48, v0, 2, 4
	v_cndmask_b32_e32 v31, v40, v31, vcc
	v_lshlrev_b32_e32 v43, 2, v31
	v_xor_b32_e32 v31, 1, v40
	s_waitcnt lgkmcnt(0)
	s_add_u32 s0, s0, s12
	v_cmp_lt_i32_e32 vcc, v31, v41
	v_lshlrev_b32_e32 v36, 4, v48
	s_addc_u32 s1, s1, s2
	v_mov_b32_e32 v37, 0
	v_cndmask_b32_e32 v31, v40, v31, vcc
	s_load_dword s35, s[8:9], 0x0
	v_lshl_add_u64 v[46:47], s[0:1], 0, v[36:37]
	v_lshlrev_b32_e32 v44, 2, v31
	v_mov_b32_e32 v31, v37
	s_sub_i32 s36, 1, s33
	s_lshl_b64 s[0:1], s[24:25], 2
	v_lshl_add_u64 v[34:35], v[46:47], 0, v[30:31]
	v_lshlrev_b32_e32 v31, 2, v48
	s_add_u32 s0, s22, s0
	v_lshl_or_b32 v31, v57, 6, v31
	v_and_b32_e32 v36, 60, v39
	s_addc_u32 s1, s23, s1
	s_mov_b32 s34, s13
	v_cmp_eq_u32_e32 vcc, 0, v30
	v_cmp_neq_f32_e64 s[2:3], s28, 0
	v_lshl_or_b32 v45, v57, 4, v48
	v_add_u32_e32 v46, 0x1f0, v31
	v_lshl_add_u64 v[36:37], s[0:1], 0, v[36:37]
	v_mov_b32_e32 v31, 0xff7fffff
	s_mov_b64 s[8:9], 0
	v_mov_b32_e32 v47, v57
	s_branch .LBB194_9
.LBB194_8:                              ;   in Loop: Header=BB194_9 Depth=1
	s_or_b64 exec, exec, s[14:15]
	v_add_u32_e32 v47, 2, v47
	v_cmp_le_i32_e64 s[0:1], s19, v47
	v_add_u32_e32 v45, 32, v45
	v_add_u32_e32 v46, 0x80, v46
	s_or_b64 s[8:9], s[0:1], s[8:9]
	v_lshl_add_u64 v[36:37], v[36:37], 0, 8
	s_andn2_b64 exec, exec, s[8:9]
	s_cbranch_execz .LBB194_11
.LBB194_9:                              ; =>This Inner Loop Header: Depth=1
	global_load_dword v48, v[36:37], off
	s_waitcnt vmcnt(0) lgkmcnt(0)
	v_mad_i64_i32 v[48:49], s[0:1], v48, s34, v[34:35]
	global_load_ubyte v50, v[48:49], off
	global_load_ubyte v51, v[48:49], off offset:4
	global_load_ubyte v52, v[48:49], off offset:8
	;; [unrolled: 1-line block ×28, first 2 shown]
	s_nop 0
	global_load_ubyte v48, v[48:49], off offset:1796
	s_waitcnt vmcnt(29)
	v_cvt_f32_fp8_e32 v49, v50
	s_waitcnt vmcnt(28)
	v_cvt_f32_fp8_e32 v50, v51
	;; [unrolled: 2-line block ×5, first 2 shown]
	s_waitcnt lgkmcnt(0)
	v_mul_f32_e32 v50, s35, v50
	s_waitcnt vmcnt(24)
	v_cvt_f32_fp8_e32 v54, v55
	v_mul_f32_e32 v49, s35, v49
	v_mul_f32_e32 v50, v3, v50
	s_waitcnt vmcnt(23)
	v_cvt_f32_fp8_e32 v55, v58
	v_mul_f32_e32 v51, s35, v51
	v_fmac_f32_e32 v50, v2, v49
	s_waitcnt vmcnt(22)
	v_cvt_f32_fp8_e32 v58, v59
	v_mul_f32_e32 v52, s35, v52
	v_fmac_f32_e32 v50, v4, v51
	;; [unrolled: 4-line block ×24, first 2 shown]
	v_mul_f32_e32 v77, s35, v77
	v_fmac_f32_e32 v50, v27, v76
	v_mul_f32_e32 v78, s35, v78
	v_fmac_f32_e32 v50, v28, v77
	;; [unrolled: 2-line block ×4, first 2 shown]
	v_fmac_f32_e32 v50, v33, v48
	ds_bpermute_b32 v48, v43, v50
	s_waitcnt lgkmcnt(0)
	v_add_f32_e32 v48, v50, v48
	ds_bpermute_b32 v49, v44, v48
	s_and_saveexec_b64 s[14:15], vcc
	s_cbranch_execz .LBB194_8
; %bb.10:                               ;   in Loop: Header=BB194_9 Depth=1
	v_add_u32_e32 v50, s36, v45
	v_cvt_f32_i32_e32 v50, v50
	s_waitcnt lgkmcnt(0)
	v_add_f32_e32 v48, v48, v49
	v_cmp_gt_i32_e64 s[0:1], s33, v45
	v_max_f32_e32 v49, v31, v31
	v_mul_f32_e32 v50, s28, v50
	v_cndmask_b32_e64 v50, 0, v50, s[2:3]
	v_fmac_f32_e32 v50, s29, v48
	v_cndmask_b32_e64 v48, 0, v50, s[0:1]
	ds_write_b32 v46, v48
	v_max_f32_e32 v48, v49, v50
	v_cndmask_b32_e64 v31, v31, v48, s[0:1]
	s_branch .LBB194_8
.LBB194_11:
	s_or_b64 exec, exec, s[8:9]
.LBB194_12:
	s_or_b64 exec, exec, s[30:31]
	v_xor_b32_e32 v2, 32, v40
	v_cmp_lt_i32_e32 vcc, v2, v41
	v_xor_b32_e32 v5, 16, v40
	v_max_f32_e32 v4, v31, v31
	v_cndmask_b32_e32 v2, v40, v2, vcc
	v_lshlrev_b32_e32 v2, 2, v2
	ds_bpermute_b32 v3, v2, v31
	v_cmp_lt_i32_e32 vcc, v5, v41
	v_xor_b32_e32 v6, 8, v40
	v_xor_b32_e32 v8, 4, v40
	s_waitcnt lgkmcnt(0)
	v_max_f32_e32 v3, v3, v3
	v_max_f32_e32 v4, v4, v3
	v_cndmask_b32_e32 v3, v40, v5, vcc
	v_lshlrev_b32_e32 v3, 2, v3
	ds_bpermute_b32 v5, v3, v4
	v_cmp_lt_i32_e32 vcc, v6, v41
	s_waitcnt lgkmcnt(0)
	v_max_f32_e32 v5, v5, v5
	v_max_f32_e32 v4, v4, v5
	v_cndmask_b32_e32 v5, v40, v6, vcc
	v_lshlrev_b32_e32 v7, 2, v5
	ds_bpermute_b32 v5, v7, v4
	v_cmp_lt_i32_e32 vcc, v8, v41
	s_waitcnt lgkmcnt(0)
	v_max_f32_e32 v5, v5, v5
	v_max_f32_e32 v6, v4, v5
	v_cndmask_b32_e32 v4, v40, v8, vcc
	v_lshlrev_b32_e32 v8, 2, v4
	ds_bpermute_b32 v9, v8, v6
	v_and_b32_e32 v4, 63, v0
	v_cmp_eq_u32_e32 vcc, 0, v4
	v_lshlrev_b32_e32 v5, 2, v57
	s_and_saveexec_b64 s[0:1], vcc
	s_cbranch_execz .LBB194_14
; %bb.13:
	s_waitcnt lgkmcnt(0)
	v_max_f32_e32 v9, v9, v9
	v_max_f32_e32 v6, v6, v6
	;; [unrolled: 1-line block ×3, first 2 shown]
	ds_write_b32 v5, v6 offset:480
.LBB194_14:
	s_or_b64 exec, exec, s[0:1]
	v_cmp_gt_u32_e64 s[0:1], 2, v4
	s_waitcnt lgkmcnt(0)
	v_mov_b32_e32 v9, 0xff7fffff
	v_lshlrev_b32_e32 v6, 2, v4
	s_barrier
	s_and_saveexec_b64 s[2:3], s[0:1]
; %bb.15:
	ds_read_b32 v9, v6 offset:480
; %bb.16:
	s_or_b64 exec, exec, s[2:3]
	v_xor_b32_e32 v10, 1, v40
	v_cmp_lt_i32_e64 s[2:3], v10, v41
	s_nop 1
	v_cndmask_b32_e64 v10, v40, v10, s[2:3]
	v_lshlrev_b32_e32 v31, 2, v10
	s_waitcnt lgkmcnt(0)
	ds_bpermute_b32 v10, v31, v9
	v_max_f32_e32 v9, v9, v9
	s_lshl_b32 s2, s19, 4
	s_min_i32 s30, s2, s33
	v_cmp_gt_i32_e64 s[2:3], s30, v0
	s_waitcnt lgkmcnt(0)
	v_max_f32_e32 v10, v10, v10
	v_max_f32_e32 v9, v9, v10
	v_lshlrev_b32_e32 v10, 2, v42
	ds_bpermute_b32 v10, v10, v9
	v_mov_b32_e32 v9, 0
	s_and_saveexec_b64 s[14:15], s[2:3]
	s_cbranch_execz .LBB194_20
; %bb.17:
	v_mov_b32_e32 v9, 0x1f0
	v_lshl_add_u32 v11, v0, 2, v9
	v_mov_b32_e32 v9, 0
	s_mov_b64 s[28:29], 0
	v_mov_b32_e32 v12, v0
.LBB194_18:                             ; =>This Inner Loop Header: Depth=1
	ds_read_b32 v13, v11
	v_add_u32_e32 v12, 0x80, v12
	v_cmp_le_i32_e64 s[8:9], s30, v12
	s_or_b64 s[28:29], s[8:9], s[28:29]
	s_waitcnt lgkmcnt(0)
	v_sub_f32_e32 v13, v13, v10
	v_mul_f32_e32 v13, 0x3fb8aa3b, v13
	v_exp_f32_e32 v13, v13
	ds_write_b32 v11, v13
	v_add_f32_e32 v9, v9, v13
	v_add_u32_e32 v11, 0x200, v11
	s_andn2_b64 exec, exec, s[28:29]
	s_cbranch_execnz .LBB194_18
; %bb.19:
	s_or_b64 exec, exec, s[28:29]
.LBB194_20:
	s_or_b64 exec, exec, s[14:15]
	ds_bpermute_b32 v2, v2, v9
	s_waitcnt lgkmcnt(0)
	v_add_f32_e32 v2, v9, v2
	ds_bpermute_b32 v3, v3, v2
	s_waitcnt lgkmcnt(0)
	v_add_f32_e32 v2, v2, v3
	ds_bpermute_b32 v3, v7, v2
	v_xor_b32_e32 v7, 2, v40
	v_cmp_lt_i32_e64 s[8:9], v7, v41
	s_waitcnt lgkmcnt(0)
	v_add_f32_e32 v2, v2, v3
	ds_bpermute_b32 v3, v8, v2
	v_cndmask_b32_e64 v7, v40, v7, s[8:9]
	v_lshlrev_b32_e32 v58, 2, v7
	s_waitcnt lgkmcnt(0)
	v_add_f32_e32 v2, v2, v3
	ds_bpermute_b32 v3, v58, v2
	s_waitcnt lgkmcnt(0)
	v_add_f32_e32 v2, v2, v3
	ds_bpermute_b32 v3, v31, v2
	s_waitcnt lgkmcnt(0)
	v_add_f32_e32 v2, v2, v3
	s_and_saveexec_b64 s[8:9], vcc
; %bb.21:
	ds_write_b32 v5, v2 offset:488
; %bb.22:
	s_or_b64 exec, exec, s[8:9]
	s_waitcnt lgkmcnt(0)
	s_barrier
	s_and_saveexec_b64 s[8:9], s[0:1]
; %bb.23:
	ds_read_b32 v2, v6 offset:488
; %bb.24:
	s_or_b64 exec, exec, s[8:9]
	s_waitcnt lgkmcnt(0)
	ds_bpermute_b32 v3, v31, v2
	v_lshlrev_b32_e32 v5, 2, v40
	s_waitcnt lgkmcnt(0)
	v_add_f32_e32 v2, v2, v3
	v_and_b32_e32 v3, 0xffffff00, v5
	ds_bpermute_b32 v2, v3, v2
	s_and_saveexec_b64 s[0:1], s[2:3]
	s_cbranch_execz .LBB194_37
; %bb.25:
	s_waitcnt lgkmcnt(0)
	v_add_f32_e32 v2, 0x358637bd, v2
	v_div_scale_f32 v3, s[2:3], v2, v2, 1.0
	v_rcp_f32_e32 v5, v3
	v_div_scale_f32 v6, vcc, 1.0, v2, 1.0
	s_movk_i32 s2, 0x7f
	v_fma_f32 v7, -v3, v5, 1.0
	v_fmac_f32_e32 v5, v7, v5
	v_mul_f32_e32 v7, v6, v5
	v_fma_f32 v8, -v3, v7, v6
	v_fmac_f32_e32 v7, v8, v5
	v_fma_f32 v3, -v3, v7, v6
	v_div_fmas_f32 v3, v3, v5, v7
	v_xad_u32 v5, v0, -1, s30
	v_div_fixup_f32 v2, v3, v2, 1.0
	v_cmp_lt_u32_e32 vcc, s2, v5
	s_mov_b64 s[8:9], -1
	v_mov_b32_e32 v3, v0
	s_and_saveexec_b64 s[2:3], vcc
	s_cbranch_execz .LBB194_34
; %bb.26:
	v_lshrrev_b32_e32 v5, 7, v5
	v_add_u32_e32 v7, -1, v5
	v_lshrrev_b32_e32 v6, 1, v7
	v_mov_b32_e32 v3, v2
	v_add_u32_e32 v6, 1, v6
	v_cmp_lt_u32_e32 vcc, 13, v7
	v_mov_b32_e32 v9, 0
	s_and_saveexec_b64 s[8:9], vcc
	s_cbranch_execz .LBB194_30
; %bb.27:
	v_mov_b32_e32 v8, 0x1f0
	v_and_b32_e32 v7, -8, v6
	v_lshl_add_u32 v8, v0, 2, v8
	s_mov_b32 s28, 0
	s_mov_b64 s[14:15], 0
.LBB194_28:                             ; =>This Inner Loop Header: Depth=1
	ds_read2st64_b32 v[10:11], v8 offset1:2
	ds_read2st64_b32 v[12:13], v8 offset0:4 offset1:6
	ds_read2st64_b32 v[14:15], v8 offset0:8 offset1:10
	;; [unrolled: 1-line block ×3, first 2 shown]
	v_add_u32_e32 v7, -8, v7
	s_waitcnt lgkmcnt(3)
	v_pk_mul_f32 v[10:11], v[2:3], v[10:11]
	s_waitcnt lgkmcnt(2)
	v_pk_mul_f32 v[12:13], v[2:3], v[12:13]
	ds_write2st64_b32 v8, v10, v11 offset1:2
	ds_write2st64_b32 v8, v12, v13 offset0:4 offset1:6
	ds_read2st64_b32 v[12:13], v8 offset0:16 offset1:18
	s_waitcnt lgkmcnt(4)
	v_pk_mul_f32 v[10:11], v[2:3], v[14:15]
	ds_write2st64_b32 v8, v10, v11 offset0:8 offset1:10
	s_waitcnt lgkmcnt(4)
	v_pk_mul_f32 v[10:11], v[2:3], v[16:17]
	ds_write2st64_b32 v8, v10, v11 offset0:12 offset1:14
	ds_read2st64_b32 v[10:11], v8 offset0:20 offset1:22
	s_waitcnt lgkmcnt(3)
	v_pk_mul_f32 v[12:13], v[2:3], v[12:13]
	ds_read2st64_b32 v[14:15], v8 offset0:24 offset1:26
	ds_write2st64_b32 v8, v12, v13 offset0:16 offset1:18
	ds_read2st64_b32 v[12:13], v8 offset0:28 offset1:30
	s_waitcnt lgkmcnt(3)
	v_pk_mul_f32 v[10:11], v[2:3], v[10:11]
	ds_write2st64_b32 v8, v10, v11 offset0:20 offset1:22
	s_waitcnt lgkmcnt(3)
	v_pk_mul_f32 v[10:11], v[2:3], v[14:15]
	ds_write2st64_b32 v8, v10, v11 offset0:24 offset1:26
	s_waitcnt lgkmcnt(2)
	v_pk_mul_f32 v[10:11], v[2:3], v[12:13]
	s_add_i32 s28, s28, 16
	v_cmp_eq_u32_e32 vcc, 0, v7
	ds_write2st64_b32 v8, v10, v11 offset0:28 offset1:30
	v_add_u32_e32 v8, 0x2000, v8
	s_or_b64 s[14:15], vcc, s[14:15]
	v_mov_b32_e32 v9, s28
	s_andn2_b64 exec, exec, s[14:15]
	s_cbranch_execnz .LBB194_28
; %bb.29:
	s_or_b64 exec, exec, s[14:15]
.LBB194_30:
	s_or_b64 exec, exec, s[8:9]
	v_and_b32_e32 v6, 7, v6
	v_cmp_ne_u32_e32 vcc, 0, v6
	s_and_saveexec_b64 s[8:9], vcc
	s_cbranch_execz .LBB194_33
; %bb.31:
	v_lshlrev_b32_e32 v7, 9, v9
	s_movk_i32 s14, 0x1f0
	v_add3_u32 v7, v7, v38, s14
	s_mov_b64 s[14:15], 0
.LBB194_32:                             ; =>This Inner Loop Header: Depth=1
	ds_read2st64_b32 v[8:9], v7 offset1:2
	v_add_u32_e32 v6, -1, v6
	v_cmp_eq_u32_e32 vcc, 0, v6
	s_or_b64 s[14:15], vcc, s[14:15]
	s_waitcnt lgkmcnt(0)
	v_pk_mul_f32 v[8:9], v[2:3], v[8:9]
	ds_write2st64_b32 v7, v8, v9 offset1:2
	v_add_u32_e32 v7, 0x400, v7
	s_andn2_b64 exec, exec, s[14:15]
	s_cbranch_execnz .LBB194_32
.LBB194_33:
	s_or_b64 exec, exec, s[8:9]
	v_add_u32_e32 v5, 1, v5
	v_and_b32_e32 v6, 0x3fffffe, v5
	v_cmp_ne_u32_e32 vcc, v5, v6
	v_lshl_add_u32 v3, v6, 7, v0
	s_orn2_b64 s[8:9], vcc, exec
.LBB194_34:
	s_or_b64 exec, exec, s[2:3]
	s_and_b64 exec, exec, s[8:9]
	s_cbranch_execz .LBB194_37
; %bb.35:
	v_mov_b32_e32 v5, 0x1f0
	v_lshl_add_u32 v5, v3, 2, v5
	s_mov_b64 s[2:3], 0
.LBB194_36:                             ; =>This Inner Loop Header: Depth=1
	ds_read_b32 v6, v5
	v_add_u32_e32 v3, 0x80, v3
	v_cmp_le_i32_e32 vcc, s30, v3
	s_or_b64 s[2:3], vcc, s[2:3]
	s_waitcnt lgkmcnt(0)
	v_mul_f32_e32 v6, v2, v6
	ds_write_b32 v5, v6
	v_add_u32_e32 v5, 0x200, v5
	s_andn2_b64 exec, exec, s[2:3]
	s_cbranch_execnz .LBB194_36
.LBB194_37:
	s_or_b64 exec, exec, s[0:1]
	v_lshrrev_b32_e32 v59, 2, v4
	s_waitcnt lgkmcnt(0)
	s_barrier
	s_and_saveexec_b64 s[0:1], s[6:7]
	s_xor_b64 s[0:1], exec, s[0:1]
; %bb.38:
	v_lshrrev_b32_e32 v59, 2, v4
                                        ; implicit-def: $vgpr57
                                        ; implicit-def: $vgpr38
                                        ; implicit-def: $vgpr39
; %bb.39:
	s_or_saveexec_b64 s[6:7], s[0:1]
	v_mov_b32_e32 v7, 0
	v_mov_b32_e32 v6, 0
	;; [unrolled: 1-line block ×8, first 2 shown]
	s_xor_b64 exec, exec, s[6:7]
	s_cbranch_execz .LBB194_61
; %bb.40:
	s_ashr_i32 s1, s12, 31
	s_load_dword s8, s[10:11], 0x0
	v_and_b32_e32 v2, 12, v38
	s_add_u32 s0, s26, s12
	v_or_b32_e32 v3, 0x70, v59
	s_movk_i32 s2, 0x78
	s_addc_u32 s1, s27, s1
	s_add_i32 s15, s19, -1
	v_lshl_or_b32 v14, v59, 4, v2
	v_cmp_gt_u32_e32 vcc, s2, v3
	v_lshl_or_b32 v16, v3, 4, v2
	v_lshl_or_b32 v60, v57, 4, v2
	v_lshlrev_b32_e32 v2, 4, v30
	s_lshl_b64 s[2:3], s[24:25], 2
	v_mov_b32_e32 v15, 0
	v_lshl_or_b32 v2, v57, 6, v2
	s_add_u32 s2, s22, s2
	v_add_u32_e32 v61, 0x1f0, v2
	v_and_b32_e32 v2, 60, v39
	v_mov_b32_e32 v3, v15
	s_addc_u32 s3, s23, s3
	s_mov_b32 s14, s13
	s_waitcnt lgkmcnt(0)
	s_mov_b32 s9, s8
	v_mov_b32_e32 v17, v15
	s_mov_b32 s26, s33
	v_lshl_add_u64 v[18:19], s[2:3], 0, v[2:3]
	s_mov_b64 s[10:11], 0
	v_mov_b64_e32 v[20:21], s[0:1]
	v_mov_b32_e32 v7, v15
	v_mov_b32_e32 v6, v15
	;; [unrolled: 1-line block ×8, first 2 shown]
	s_branch .LBB194_43
.LBB194_41:                             ;   in Loop: Header=BB194_43 Depth=1
	s_or_b64 exec, exec, s[12:13]
	s_waitcnt lgkmcnt(0)
	v_pk_mul_f32 v[54:55], v[2:3], v[54:55]
	v_pk_mul_f32 v[32:33], v[4:5], v[32:33]
	v_add_f32_e32 v54, v55, v54
	v_add_f32_e32 v32, v32, v54
	;; [unrolled: 1-line block ×4, first 2 shown]
.LBB194_42:                             ;   in Loop: Header=BB194_43 Depth=1
	s_or_b64 exec, exec, s[2:3]
	s_waitcnt lgkmcnt(0)
	v_mul_f32_e32 v32, v2, v52
	v_fmac_f32_e32 v32, v3, v53
	v_fmac_f32_e32 v32, v4, v38
	v_fmac_f32_e32 v32, v5, v39
	v_add_f32_e32 v6, v6, v32
	v_mul_f32_e32 v32, v2, v50
	v_fmac_f32_e32 v32, v3, v51
	v_fmac_f32_e32 v32, v4, v48
	v_fmac_f32_e32 v32, v5, v49
	v_add_f32_e32 v9, v9, v32
	;; [unrolled: 5-line block ×4, first 2 shown]
	v_mul_f32_e32 v32, v2, v36
	v_mul_f32_e32 v28, v2, v28
	;; [unrolled: 1-line block ×3, first 2 shown]
	v_fmac_f32_e32 v32, v3, v37
	v_fmac_f32_e32 v28, v3, v29
	;; [unrolled: 1-line block ×6, first 2 shown]
	v_add_u32_e32 v57, 2, v57
	v_fmac_f32_e32 v32, v5, v35
	v_fmac_f32_e32 v28, v5, v27
	;; [unrolled: 1-line block ×3, first 2 shown]
	v_cmp_le_i32_e64 s[0:1], s19, v57
	v_add_f32_e32 v10, v10, v32
	v_add_f32_e32 v13, v13, v28
	;; [unrolled: 1-line block ×3, first 2 shown]
	v_add_u32_e32 v60, 32, v60
	v_add_u32_e32 v61, 0x80, v61
	s_or_b64 s[10:11], s[0:1], s[10:11]
	v_lshl_add_u64 v[18:19], v[18:19], 0, 8
	s_andn2_b64 exec, exec, s[10:11]
	s_cbranch_execz .LBB194_60
.LBB194_43:                             ; =>This Inner Loop Header: Depth=1
	global_load_dword v2, v[18:19], off
	v_add_u32_e32 v54, 2, v60
	v_add_u32_e32 v55, 3, v60
	s_waitcnt vmcnt(0)
	v_mad_i64_i32 v[32:33], s[0:1], v2, s14, v[20:21]
	v_lshl_add_u64 v[38:39], v[32:33], 0, v[14:15]
	global_load_dword v22, v[38:39], off
	ds_read_b128 v[2:5], v61
	v_cmp_eq_u32_e64 s[0:1], s15, v57
	s_waitcnt vmcnt(0)
	v_and_b32_e32 v23, 0xffff, v22
	v_lshrrev_b32_e32 v24, 16, v22
	v_cvt_pk_f32_fp8_e32 v[22:23], v23
	v_cvt_pk_f32_fp8_e32 v[26:27], v24
	v_pk_mul_f32 v[24:25], s[8:9], v[22:23]
	v_pk_mul_f32 v[22:23], s[8:9], v[26:27]
	s_and_saveexec_b64 s[12:13], s[0:1]
; %bb.44:                               ;   in Loop: Header=BB194_43 Depth=1
	v_cmp_gt_i32_e64 s[2:3], s33, v60
	v_add_u32_e32 v26, 1, v60
	s_nop 0
	v_cndmask_b32_e64 v24, 0, v24, s[2:3]
	v_cmp_gt_i32_e64 s[2:3], s33, v26
	s_nop 1
	v_cndmask_b32_e64 v25, 0, v25, s[2:3]
	v_cmp_gt_i32_e64 s[2:3], s33, v54
	s_nop 1
	v_cndmask_b32_e64 v22, 0, v22, s[2:3]
	v_cmp_gt_i32_e64 s[2:3], s33, v55
	s_nop 1
	v_cndmask_b32_e64 v23, 0, v23, s[2:3]
; %bb.45:                               ;   in Loop: Header=BB194_43 Depth=1
	s_or_b64 exec, exec, s[12:13]
	global_load_dword v26, v[38:39], off offset:256
	s_waitcnt vmcnt(0)
	v_and_b32_e32 v27, 0xffff, v26
	v_lshrrev_b32_e32 v28, 16, v26
	v_cvt_pk_f32_fp8_e32 v[26:27], v27
	v_cvt_pk_f32_fp8_e32 v[34:35], v28
	v_pk_mul_f32 v[28:29], s[8:9], v[26:27]
	v_pk_mul_f32 v[26:27], s[8:9], v[34:35]
	s_and_saveexec_b64 s[12:13], s[0:1]
; %bb.46:                               ;   in Loop: Header=BB194_43 Depth=1
	v_cmp_gt_i32_e64 s[2:3], s33, v60
	v_add_u32_e32 v34, 1, v60
	s_nop 0
	v_cndmask_b32_e64 v28, 0, v28, s[2:3]
	v_cmp_gt_i32_e64 s[2:3], s33, v34
	s_nop 1
	v_cndmask_b32_e64 v29, 0, v29, s[2:3]
	v_cmp_gt_i32_e64 s[2:3], s33, v54
	s_nop 1
	v_cndmask_b32_e64 v26, 0, v26, s[2:3]
	v_cmp_gt_i32_e64 s[2:3], s33, v55
	s_nop 1
	v_cndmask_b32_e64 v27, 0, v27, s[2:3]
; %bb.47:                               ;   in Loop: Header=BB194_43 Depth=1
	s_or_b64 exec, exec, s[12:13]
	global_load_dword v34, v[38:39], off offset:512
	;; [unrolled: 25-line block ×6, first 2 shown]
	s_waitcnt vmcnt(0)
	v_and_b32_e32 v39, 0xffff, v38
	v_lshrrev_b32_e32 v52, 16, v38
	v_cvt_pk_f32_fp8_e32 v[38:39], v39
	v_cvt_pk_f32_fp8_e32 v[62:63], v52
	v_pk_mul_f32 v[52:53], s[8:9], v[38:39]
	v_pk_mul_f32 v[38:39], s[8:9], v[62:63]
	s_and_saveexec_b64 s[12:13], s[0:1]
; %bb.56:                               ;   in Loop: Header=BB194_43 Depth=1
	v_cmp_gt_i32_e64 s[2:3], s33, v60
	v_add_u32_e32 v62, 1, v60
	s_nop 0
	v_cndmask_b32_e64 v52, 0, v52, s[2:3]
	v_cmp_gt_i32_e64 s[2:3], s33, v62
	s_nop 1
	v_cndmask_b32_e64 v53, 0, v53, s[2:3]
	v_cmp_gt_i32_e64 s[2:3], s33, v54
	;; [unrolled: 3-line block ×3, first 2 shown]
	s_nop 1
	v_cndmask_b32_e64 v39, 0, v39, s[2:3]
; %bb.57:                               ;   in Loop: Header=BB194_43 Depth=1
	s_or_b64 exec, exec, s[12:13]
	s_and_saveexec_b64 s[2:3], vcc
	s_cbranch_execz .LBB194_42
; %bb.58:                               ;   in Loop: Header=BB194_43 Depth=1
	v_lshl_add_u64 v[32:33], v[32:33], 0, v[16:17]
	global_load_dword v32, v[32:33], off
	s_waitcnt vmcnt(0)
	v_and_b32_e32 v33, 0xffff, v32
	v_lshrrev_b32_e32 v54, 16, v32
	v_cvt_pk_f32_fp8_e32 v[32:33], v33
	v_cvt_pk_f32_fp8_e32 v[62:63], v54
	v_pk_mul_f32 v[54:55], s[8:9], v[32:33]
	v_pk_mul_f32 v[32:33], s[8:9], v[62:63]
	s_and_saveexec_b64 s[12:13], s[0:1]
	s_cbranch_execz .LBB194_41
; %bb.59:                               ;   in Loop: Header=BB194_43 Depth=1
	v_add_u32_e32 v62, 1, v60
	v_cmp_gt_i32_e64 s[0:1], s26, v62
	v_or_b32_e32 v62, 3, v60
	v_or_b32_e32 v63, 2, v60
	v_cndmask_b32_e64 v55, 0, v55, s[0:1]
	v_cmp_gt_i32_e64 s[0:1], s33, v60
	s_nop 1
	v_cndmask_b32_e64 v54, 0, v54, s[0:1]
	v_cmp_gt_i32_e64 s[0:1], s26, v62
	s_nop 1
	v_cndmask_b32_e64 v33, 0, v33, s[0:1]
	v_cmp_gt_i32_e64 s[0:1], s33, v63
	s_nop 1
	v_cndmask_b32_e64 v32, 0, v32, s[0:1]
	s_branch .LBB194_41
.LBB194_60:
	s_or_b64 exec, exec, s[10:11]
.LBB194_61:
	s_or_b64 exec, exec, s[6:7]
	ds_bpermute_b32 v4, v58, v10
	ds_bpermute_b32 v5, v58, v11
	;; [unrolled: 1-line block ×6, first 2 shown]
	s_waitcnt lgkmcnt(4)
	v_pk_add_f32 v[4:5], v[10:11], v[4:5]
	ds_bpermute_b32 v10, v58, v8
	ds_bpermute_b32 v11, v58, v9
	s_waitcnt lgkmcnt(4)
	v_pk_add_f32 v[2:3], v[12:13], v[2:3]
	ds_bpermute_b32 v14, v31, v4
	ds_bpermute_b32 v15, v31, v5
	s_waitcnt lgkmcnt(4)
	v_pk_add_f32 v[16:17], v[6:7], v[16:17]
	s_waitcnt lgkmcnt(2)
	v_pk_add_f32 v[10:11], v[8:9], v[10:11]
	ds_bpermute_b32 v18, v31, v10
	ds_bpermute_b32 v19, v31, v11
	;; [unrolled: 1-line block ×6, first 2 shown]
	s_waitcnt lgkmcnt(6)
	v_pk_add_f32 v[6:7], v[4:5], v[14:15]
	s_waitcnt lgkmcnt(4)
	v_pk_add_f32 v[4:5], v[10:11], v[18:19]
	v_and_b32_e32 v10, 0x3c0, v0
	s_waitcnt lgkmcnt(2)
	v_pk_add_f32 v[8:9], v[2:3], v[12:13]
	s_waitcnt lgkmcnt(0)
	v_pk_add_f32 v[2:3], v[16:17], v[20:21]
	v_cmp_eq_u32_e64 s[0:1], 64, v10
	v_cmp_eq_u32_e32 vcc, 0, v30
	s_barrier
	s_and_saveexec_b64 s[2:3], s[0:1]
	s_cbranch_execz .LBB194_66
; %bb.62:
	s_and_saveexec_b64 s[0:1], vcc
	s_cbranch_execz .LBB194_64
; %bb.63:
	v_mov_b32_e32 v10, 0x1f0
	v_lshl_add_u32 v10, v59, 2, v10
	ds_write2_b32 v10, v8, v9 offset1:16
	ds_write2_b32 v10, v6, v7 offset0:32 offset1:48
	ds_write2_b32 v10, v4, v5 offset0:64 offset1:80
	ds_write_b32 v10, v2 offset:384
.LBB194_64:
	s_or_b64 exec, exec, s[0:1]
	v_or_b32_e32 v10, 0x70, v59
	s_movk_i32 s0, 0x78
	v_cmp_gt_u32_e64 s[0:1], s0, v10
	s_and_b64 s[0:1], vcc, s[0:1]
	s_and_b64 exec, exec, s[0:1]
; %bb.65:
	v_mov_b32_e32 v10, 0x1f0
	v_lshl_add_u32 v10, v59, 2, v10
	ds_write_b32 v10, v3 offset:448
.LBB194_66:
	s_or_b64 exec, exec, s[2:3]
	v_cmp_gt_u32_e64 s[0:1], 64, v0
	s_waitcnt lgkmcnt(0)
	s_barrier
	s_and_saveexec_b64 s[6:7], s[0:1]
	s_cbranch_execz .LBB194_84
; %bb.67:
	s_and_saveexec_b64 s[2:3], vcc
	s_cbranch_execz .LBB194_69
; %bb.68:
	v_mov_b32_e32 v0, 0x1f0
	v_lshl_add_u32 v0, v56, 2, v0
	ds_read_b32 v0, v0
	s_waitcnt lgkmcnt(0)
	v_add_f32_e32 v8, v8, v0
.LBB194_69:
	s_or_b64 exec, exec, s[2:3]
	v_or_b32_e32 v0, 16, v56
	s_movk_i32 s8, 0x78
	v_cmp_gt_u32_e64 s[2:3], s8, v0
	s_and_b64 s[10:11], vcc, s[2:3]
	s_and_saveexec_b64 s[2:3], s[10:11]
	s_cbranch_execz .LBB194_71
; %bb.70:
	v_mov_b32_e32 v0, 0x1f0
	v_lshl_add_u32 v0, v56, 2, v0
	ds_read_b32 v0, v0 offset:64
	s_waitcnt lgkmcnt(0)
	v_add_f32_e32 v9, v9, v0
.LBB194_71:
	s_or_b64 exec, exec, s[2:3]
	v_or_b32_e32 v0, 32, v56
	v_cmp_gt_u32_e64 s[2:3], s8, v0
	s_and_b64 s[8:9], vcc, s[2:3]
	s_and_saveexec_b64 s[2:3], s[8:9]
	s_cbranch_execz .LBB194_73
; %bb.72:
	v_mov_b32_e32 v0, 0x1f0
	v_lshl_add_u32 v0, v56, 2, v0
	ds_read_b32 v0, v0 offset:128
	s_waitcnt lgkmcnt(0)
	v_add_f32_e32 v6, v6, v0
.LBB194_73:
	s_or_b64 exec, exec, s[2:3]
	v_or_b32_e32 v0, 48, v56
	s_movk_i32 s8, 0x78
	v_cmp_gt_u32_e64 s[2:3], s8, v0
	s_and_b64 s[10:11], vcc, s[2:3]
	s_and_saveexec_b64 s[2:3], s[10:11]
	s_cbranch_execz .LBB194_75
; %bb.74:
	v_mov_b32_e32 v0, 0x1f0
	v_lshl_add_u32 v0, v56, 2, v0
	ds_read_b32 v0, v0 offset:192
	s_waitcnt lgkmcnt(0)
	v_add_f32_e32 v7, v7, v0
.LBB194_75:
	s_or_b64 exec, exec, s[2:3]
	v_or_b32_e32 v0, 64, v56
	v_cmp_gt_u32_e64 s[2:3], s8, v0
	s_and_b64 s[8:9], vcc, s[2:3]
	s_and_saveexec_b64 s[2:3], s[8:9]
	s_cbranch_execz .LBB194_77
; %bb.76:
	v_mov_b32_e32 v0, 0x1f0
	v_lshl_add_u32 v0, v56, 2, v0
	ds_read_b32 v0, v0 offset:256
	s_waitcnt lgkmcnt(0)
	v_add_f32_e32 v4, v4, v0
.LBB194_77:
	;; [unrolled: 27-line block ×3, first 2 shown]
	s_or_b64 exec, exec, s[2:3]
	v_or_b32_e32 v0, 0x70, v56
	s_movk_i32 s2, 0x78
	v_cmp_gt_u32_e64 s[2:3], s2, v0
	s_and_b64 s[8:9], vcc, s[2:3]
	s_and_saveexec_b64 s[2:3], s[8:9]
	s_cbranch_execz .LBB194_83
; %bb.82:
	v_mov_b32_e32 v0, 0x1f0
	v_lshl_add_u32 v0, v56, 2, v0
	ds_read_b32 v0, v0 offset:448
	s_waitcnt lgkmcnt(0)
	v_add_f32_e32 v3, v3, v0
.LBB194_83:
	s_or_b64 exec, exec, s[2:3]
.LBB194_84:
	s_or_b64 exec, exec, s[6:7]
	s_barrier
	s_and_saveexec_b64 s[2:3], s[0:1]
	s_cbranch_execz .LBB194_101
; %bb.85:
	s_mul_i32 s0, s16, s17
	s_mul_i32 s0, s0, s5
	s_mulk_i32 s0, 0x78
	s_ashr_i32 s1, s0, 31
	s_lshl_b64 s[0:1], s[0:1], 2
	s_add_u32 s2, s20, s0
	s_mul_i32 s0, s17, s18
	s_addc_u32 s3, s21, s1
	s_ashr_i32 s1, s0, 31
	s_lshl_b64 s[0:1], s[0:1], 2
	s_add_u32 s2, s2, s0
	s_mul_i32 s0, s4, 0x78
	s_addc_u32 s3, s3, s1
	s_ashr_i32 s1, s0, 31
	s_lshl_b64 s[0:1], s[0:1], 2
	s_add_u32 s2, s2, s0
	s_movk_i32 s5, 0x78
	s_addc_u32 s3, s3, s1
	s_and_saveexec_b64 s[0:1], vcc
	s_cbranch_execz .LBB194_87
; %bb.86:
	global_store_dword v1, v8, s[2:3]
.LBB194_87:
	s_or_b64 exec, exec, s[0:1]
	v_or_b32_e32 v0, 16, v56
	v_cmp_gt_u32_e64 s[0:1], s5, v0
	s_and_b64 s[4:5], vcc, s[0:1]
	s_and_saveexec_b64 s[0:1], s[4:5]
	s_cbranch_execz .LBB194_89
; %bb.88:
	global_store_dword v1, v9, s[2:3] offset:64
.LBB194_89:
	s_or_b64 exec, exec, s[0:1]
	v_or_b32_e32 v0, 32, v56
	s_movk_i32 s4, 0x78
	v_cmp_gt_u32_e64 s[0:1], s4, v0
	s_and_b64 s[6:7], vcc, s[0:1]
	s_and_saveexec_b64 s[0:1], s[6:7]
	s_cbranch_execz .LBB194_91
; %bb.90:
	global_store_dword v1, v6, s[2:3] offset:128
.LBB194_91:
	s_or_b64 exec, exec, s[0:1]
	v_or_b32_e32 v0, 48, v56
	v_cmp_gt_u32_e64 s[0:1], s4, v0
	s_and_b64 s[4:5], vcc, s[0:1]
	s_and_saveexec_b64 s[0:1], s[4:5]
	s_cbranch_execz .LBB194_93
; %bb.92:
	global_store_dword v1, v7, s[2:3] offset:192
.LBB194_93:
	s_or_b64 exec, exec, s[0:1]
	v_or_b32_e32 v0, 64, v56
	s_movk_i32 s4, 0x78
	v_cmp_gt_u32_e64 s[0:1], s4, v0
	s_and_b64 s[6:7], vcc, s[0:1]
	s_and_saveexec_b64 s[0:1], s[6:7]
	s_cbranch_execz .LBB194_95
; %bb.94:
	global_store_dword v1, v4, s[2:3] offset:256
.LBB194_95:
	;; [unrolled: 19-line block ×3, first 2 shown]
	s_or_b64 exec, exec, s[0:1]
	v_or_b32_e32 v0, 0x70, v56
	v_cmp_gt_u32_e64 s[0:1], s4, v0
	s_and_b64 s[0:1], vcc, s[0:1]
	s_and_b64 exec, exec, s[0:1]
	s_cbranch_execz .LBB194_101
; %bb.100:
	global_store_dword v1, v3, s[2:3] offset:448
.LBB194_101:
	s_endpgm
	.section	.rodata,"a",@progbits
	.p2align	6, 0x0
	.amdhsa_kernel _ZN4vllm25paged_attention_v1_kernelIfhLi120ELi16ELi128ELNS_18Fp8KVCacheDataTypeE1ELb0EEEvPT_PKS2_PKT0_S8_ifPKiSA_iPKfiiiSC_SC_iiiii
		.amdhsa_group_segment_fixed_size 496
		.amdhsa_private_segment_fixed_size 0
		.amdhsa_kernarg_size 384
		.amdhsa_user_sgpr_count 2
		.amdhsa_user_sgpr_dispatch_ptr 0
		.amdhsa_user_sgpr_queue_ptr 0
		.amdhsa_user_sgpr_kernarg_segment_ptr 1
		.amdhsa_user_sgpr_dispatch_id 0
		.amdhsa_user_sgpr_kernarg_preload_length 0
		.amdhsa_user_sgpr_kernarg_preload_offset 0
		.amdhsa_user_sgpr_private_segment_size 0
		.amdhsa_uses_dynamic_stack 0
		.amdhsa_enable_private_segment 0
		.amdhsa_system_sgpr_workgroup_id_x 1
		.amdhsa_system_sgpr_workgroup_id_y 1
		.amdhsa_system_sgpr_workgroup_id_z 1
		.amdhsa_system_sgpr_workgroup_info 0
		.amdhsa_system_vgpr_workitem_id 0
		.amdhsa_next_free_vgpr 81
		.amdhsa_next_free_sgpr 37
		.amdhsa_accum_offset 84
		.amdhsa_reserve_vcc 1
		.amdhsa_float_round_mode_32 0
		.amdhsa_float_round_mode_16_64 0
		.amdhsa_float_denorm_mode_32 3
		.amdhsa_float_denorm_mode_16_64 3
		.amdhsa_dx10_clamp 1
		.amdhsa_ieee_mode 1
		.amdhsa_fp16_overflow 0
		.amdhsa_tg_split 0
		.amdhsa_exception_fp_ieee_invalid_op 0
		.amdhsa_exception_fp_denorm_src 0
		.amdhsa_exception_fp_ieee_div_zero 0
		.amdhsa_exception_fp_ieee_overflow 0
		.amdhsa_exception_fp_ieee_underflow 0
		.amdhsa_exception_fp_ieee_inexact 0
		.amdhsa_exception_int_div_zero 0
	.end_amdhsa_kernel
	.section	.text._ZN4vllm25paged_attention_v1_kernelIfhLi120ELi16ELi128ELNS_18Fp8KVCacheDataTypeE1ELb0EEEvPT_PKS2_PKT0_S8_ifPKiSA_iPKfiiiSC_SC_iiiii,"axG",@progbits,_ZN4vllm25paged_attention_v1_kernelIfhLi120ELi16ELi128ELNS_18Fp8KVCacheDataTypeE1ELb0EEEvPT_PKS2_PKT0_S8_ifPKiSA_iPKfiiiSC_SC_iiiii,comdat
.Lfunc_end194:
	.size	_ZN4vllm25paged_attention_v1_kernelIfhLi120ELi16ELi128ELNS_18Fp8KVCacheDataTypeE1ELb0EEEvPT_PKS2_PKT0_S8_ifPKiSA_iPKfiiiSC_SC_iiiii, .Lfunc_end194-_ZN4vllm25paged_attention_v1_kernelIfhLi120ELi16ELi128ELNS_18Fp8KVCacheDataTypeE1ELb0EEEvPT_PKS2_PKT0_S8_ifPKiSA_iPKfiiiSC_SC_iiiii
                                        ; -- End function
	.set _ZN4vllm25paged_attention_v1_kernelIfhLi120ELi16ELi128ELNS_18Fp8KVCacheDataTypeE1ELb0EEEvPT_PKS2_PKT0_S8_ifPKiSA_iPKfiiiSC_SC_iiiii.num_vgpr, 81
	.set _ZN4vllm25paged_attention_v1_kernelIfhLi120ELi16ELi128ELNS_18Fp8KVCacheDataTypeE1ELb0EEEvPT_PKS2_PKT0_S8_ifPKiSA_iPKfiiiSC_SC_iiiii.num_agpr, 0
	.set _ZN4vllm25paged_attention_v1_kernelIfhLi120ELi16ELi128ELNS_18Fp8KVCacheDataTypeE1ELb0EEEvPT_PKS2_PKT0_S8_ifPKiSA_iPKfiiiSC_SC_iiiii.numbered_sgpr, 37
	.set _ZN4vllm25paged_attention_v1_kernelIfhLi120ELi16ELi128ELNS_18Fp8KVCacheDataTypeE1ELb0EEEvPT_PKS2_PKT0_S8_ifPKiSA_iPKfiiiSC_SC_iiiii.num_named_barrier, 0
	.set _ZN4vllm25paged_attention_v1_kernelIfhLi120ELi16ELi128ELNS_18Fp8KVCacheDataTypeE1ELb0EEEvPT_PKS2_PKT0_S8_ifPKiSA_iPKfiiiSC_SC_iiiii.private_seg_size, 0
	.set _ZN4vllm25paged_attention_v1_kernelIfhLi120ELi16ELi128ELNS_18Fp8KVCacheDataTypeE1ELb0EEEvPT_PKS2_PKT0_S8_ifPKiSA_iPKfiiiSC_SC_iiiii.uses_vcc, 1
	.set _ZN4vllm25paged_attention_v1_kernelIfhLi120ELi16ELi128ELNS_18Fp8KVCacheDataTypeE1ELb0EEEvPT_PKS2_PKT0_S8_ifPKiSA_iPKfiiiSC_SC_iiiii.uses_flat_scratch, 0
	.set _ZN4vllm25paged_attention_v1_kernelIfhLi120ELi16ELi128ELNS_18Fp8KVCacheDataTypeE1ELb0EEEvPT_PKS2_PKT0_S8_ifPKiSA_iPKfiiiSC_SC_iiiii.has_dyn_sized_stack, 0
	.set _ZN4vllm25paged_attention_v1_kernelIfhLi120ELi16ELi128ELNS_18Fp8KVCacheDataTypeE1ELb0EEEvPT_PKS2_PKT0_S8_ifPKiSA_iPKfiiiSC_SC_iiiii.has_recursion, 0
	.set _ZN4vllm25paged_attention_v1_kernelIfhLi120ELi16ELi128ELNS_18Fp8KVCacheDataTypeE1ELb0EEEvPT_PKS2_PKT0_S8_ifPKiSA_iPKfiiiSC_SC_iiiii.has_indirect_call, 0
	.section	.AMDGPU.csdata,"",@progbits
; Kernel info:
; codeLenInByte = 6088
; TotalNumSgprs: 43
; NumVgprs: 81
; NumAgprs: 0
; TotalNumVgprs: 81
; ScratchSize: 0
; MemoryBound: 0
; FloatMode: 240
; IeeeMode: 1
; LDSByteSize: 496 bytes/workgroup (compile time only)
; SGPRBlocks: 5
; VGPRBlocks: 10
; NumSGPRsForWavesPerEU: 43
; NumVGPRsForWavesPerEU: 81
; AccumOffset: 84
; Occupancy: 5
; WaveLimiterHint : 1
; COMPUTE_PGM_RSRC2:SCRATCH_EN: 0
; COMPUTE_PGM_RSRC2:USER_SGPR: 2
; COMPUTE_PGM_RSRC2:TRAP_HANDLER: 0
; COMPUTE_PGM_RSRC2:TGID_X_EN: 1
; COMPUTE_PGM_RSRC2:TGID_Y_EN: 1
; COMPUTE_PGM_RSRC2:TGID_Z_EN: 1
; COMPUTE_PGM_RSRC2:TIDIG_COMP_CNT: 0
; COMPUTE_PGM_RSRC3_GFX90A:ACCUM_OFFSET: 20
; COMPUTE_PGM_RSRC3_GFX90A:TG_SPLIT: 0
	.section	.text._ZN4vllm25paged_attention_v1_kernelIfhLi128ELi16ELi128ELNS_18Fp8KVCacheDataTypeE1ELb0EEEvPT_PKS2_PKT0_S8_ifPKiSA_iPKfiiiSC_SC_iiiii,"axG",@progbits,_ZN4vllm25paged_attention_v1_kernelIfhLi128ELi16ELi128ELNS_18Fp8KVCacheDataTypeE1ELb0EEEvPT_PKS2_PKT0_S8_ifPKiSA_iPKfiiiSC_SC_iiiii,comdat
	.protected	_ZN4vllm25paged_attention_v1_kernelIfhLi128ELi16ELi128ELNS_18Fp8KVCacheDataTypeE1ELb0EEEvPT_PKS2_PKT0_S8_ifPKiSA_iPKfiiiSC_SC_iiiii ; -- Begin function _ZN4vllm25paged_attention_v1_kernelIfhLi128ELi16ELi128ELNS_18Fp8KVCacheDataTypeE1ELb0EEEvPT_PKS2_PKT0_S8_ifPKiSA_iPKfiiiSC_SC_iiiii
	.globl	_ZN4vllm25paged_attention_v1_kernelIfhLi128ELi16ELi128ELNS_18Fp8KVCacheDataTypeE1ELb0EEEvPT_PKS2_PKT0_S8_ifPKiSA_iPKfiiiSC_SC_iiiii
	.p2align	8
	.type	_ZN4vllm25paged_attention_v1_kernelIfhLi128ELi16ELi128ELNS_18Fp8KVCacheDataTypeE1ELb0EEEvPT_PKS2_PKT0_S8_ifPKiSA_iPKfiiiSC_SC_iiiii,@function
_ZN4vllm25paged_attention_v1_kernelIfhLi128ELi16ELi128ELNS_18Fp8KVCacheDataTypeE1ELb0EEEvPT_PKS2_PKT0_S8_ifPKiSA_iPKfiiiSC_SC_iiiii: ; @_ZN4vllm25paged_attention_v1_kernelIfhLi128ELi16ELi128ELNS_18Fp8KVCacheDataTypeE1ELb0EEEvPT_PKS2_PKT0_S8_ifPKiSA_iPKfiiiSC_SC_iiiii
; %bb.0:
	s_load_dword s5, s[0:1], 0x80
	s_load_dwordx2 s[6:7], s[0:1], 0x30
	s_load_dwordx2 s[28:29], s[0:1], 0x20
	s_mov_b32 s16, s3
	s_ashr_i32 s17, s3, 31
	s_lshl_b64 s[8:9], s[16:17], 2
	s_waitcnt lgkmcnt(0)
	s_add_u32 s6, s6, s8
	s_addc_u32 s7, s7, s9
	s_abs_i32 s3, s28
	v_cvt_f32_u32_e32 v1, s3
	s_sub_i32 s10, 0, s3
	s_abs_i32 s9, s5
	s_xor_b32 s8, s5, s28
	v_rcp_iflag_f32_e32 v1, v1
	s_ashr_i32 s8, s8, 31
	s_mov_b32 s28, 0
	v_mul_f32_e32 v1, 0x4f7ffffe, v1
	v_cvt_u32_f32_e32 v1, v1
	s_nop 0
	v_readfirstlane_b32 s11, v1
	s_mul_i32 s10, s10, s11
	s_mul_hi_u32 s10, s11, s10
	s_add_i32 s11, s11, s10
	s_mul_hi_u32 s10, s9, s11
	s_mul_i32 s11, s10, s3
	s_sub_i32 s9, s9, s11
	s_add_i32 s11, s10, 1
	s_sub_i32 s12, s9, s3
	s_cmp_ge_u32 s9, s3
	s_cselect_b32 s10, s11, s10
	s_cselect_b32 s9, s12, s9
	s_add_i32 s11, s10, 1
	s_cmp_ge_u32 s9, s3
	s_cselect_b32 s3, s11, s10
	s_xor_b32 s3, s3, s8
	s_sub_i32 s12, s3, s8
	s_abs_i32 s10, s12
	v_cvt_f32_u32_e32 v1, s10
	s_load_dwordx2 s[8:9], s[0:1], 0x40
	s_sub_i32 s3, 0, s10
	s_abs_i32 s11, s2
	v_rcp_iflag_f32_e32 v1, v1
	s_nop 0
	v_mul_f32_e32 v1, 0x4f7ffffe, v1
	v_cvt_u32_f32_e32 v1, v1
	s_nop 0
	v_readfirstlane_b32 s13, v1
	s_mul_i32 s3, s3, s13
	s_mul_hi_u32 s3, s13, s3
	s_add_i32 s13, s13, s3
	s_waitcnt lgkmcnt(0)
	s_cmp_eq_u64 s[8:9], 0
	s_mul_hi_u32 s20, s11, s13
	s_cbranch_scc1 .LBB195_2
; %bb.1:
	s_ashr_i32 s3, s2, 31
	s_lshl_b64 s[14:15], s[2:3], 2
	s_add_u32 s8, s8, s14
	s_addc_u32 s9, s9, s15
	s_load_dword s28, s[8:9], 0x0
.LBB195_2:
	s_load_dword s17, s[6:7], 0x0
	s_ashr_i32 s7, s12, 31
	s_load_dwordx4 s[12:15], s[0:1], 0x48
	s_ashr_i32 s6, s2, 31
	v_lshrrev_b32_e32 v52, 2, v0
	s_lshl_b32 s18, s2, 7
	s_movk_i32 s2, 0x80
	v_and_b32_e32 v34, 3, v0
	v_cmp_gt_u32_e32 vcc, s2, v0
	v_lshlrev_b32_e32 v40, 2, v0
	v_lshlrev_b32_e32 v1, 2, v52
	s_and_saveexec_b64 s[2:3], vcc
	s_cbranch_execz .LBB195_4
; %bb.3:
	s_load_dwordx2 s[8:9], s[0:1], 0x8
	s_waitcnt lgkmcnt(0)
	s_mul_i32 s22, s12, s16
	s_ashr_i32 s23, s22, 31
	s_lshl_b64 s[22:23], s[22:23], 2
	v_lshl_add_u32 v3, v34, 7, v1
	s_add_u32 s12, s8, s22
	s_addc_u32 s15, s9, s23
	s_ashr_i32 s19, s18, 31
	s_lshl_b64 s[8:9], s[18:19], 2
	s_add_u32 s8, s12, s8
	s_addc_u32 s9, s15, s9
	global_load_dword v2, v40, s[8:9]
	s_waitcnt vmcnt(0)
	ds_write_b32 v3, v2
.LBB195_4:
	s_or_b64 exec, exec, s[2:3]
	s_waitcnt lgkmcnt(0)
	s_add_i32 s3, s17, 15
	s_ashr_i32 s8, s3, 31
	s_lshr_b32 s8, s8, 28
	s_add_i32 s3, s3, s8
	s_ashr_i32 s19, s3, 4
	s_xor_b32 s3, s6, s7
	s_mul_i32 s6, s20, s10
	s_sub_i32 s6, s11, s6
	s_add_i32 s7, s20, 1
	s_sub_i32 s8, s6, s10
	s_load_dwordx2 s[22:23], s[0:1], 0x28
	s_load_dword s2, s[0:1], 0x38
	s_cmp_ge_u32 s6, s10
	s_cselect_b32 s7, s7, s20
	s_cselect_b32 s6, s8, s6
	s_add_i32 s8, s7, 1
	s_cmp_ge_u32 s6, s10
	s_cselect_b32 s6, s8, s7
	v_lshrrev_b32_e32 v53, 6, v0
	s_xor_b32 s6, s6, s3
	s_waitcnt lgkmcnt(0)
	s_mul_i32 s24, s2, s16
	s_sub_i32 s33, s6, s3
	s_ashr_i32 s25, s24, 31
	v_cmp_gt_i32_e64 s[6:7], s19, v53
	v_cmp_le_i32_e32 vcc, s19, v53
	v_mbcnt_lo_u32_b32 v36, -1, 0
	s_barrier
                                        ; implicit-def: $vgpr42
                                        ; implicit-def: $vgpr44
                                        ; implicit-def: $vgpr43
	s_and_saveexec_b64 s[2:3], vcc
	s_xor_b64 s[2:3], exec, s[2:3]
; %bb.5:
	v_mbcnt_hi_u32_b32 v42, -1, v36
	v_and_b32_e32 v44, 64, v42
	v_add_u32_e32 v43, 64, v44
                                        ; implicit-def: $vgpr36
; %bb.6:
	s_or_saveexec_b64 s[30:31], s[2:3]
	s_load_dwordx2 s[20:21], s[0:1], 0x0
	s_load_dwordx2 s[26:27], s[0:1], 0x18
	s_load_dword s12, s[0:1], 0x88
	s_load_dwordx4 s[8:11], s[0:1], 0x58
	v_mov_b32_e32 v35, 0xff7fffff
	s_mul_i32 s33, s33, s14
	v_lshrrev_b32_e32 v41, 4, v0
	s_xor_b64 exec, exec, s[30:31]
	s_cbranch_execz .LBB195_12
; %bb.7:
	v_lshlrev_b32_e32 v30, 7, v34
	v_mbcnt_hi_u32_b32 v42, -1, v36
	s_load_dwordx2 s[0:1], s[0:1], 0x10
	ds_read_b128 v[2:5], v30
	ds_read_b128 v[6:9], v30 offset:16
	ds_read_b128 v[10:13], v30 offset:32
	ds_read_b128 v[14:17], v30 offset:48
	ds_read_b128 v[18:21], v30 offset:64
	ds_read_b128 v[22:25], v30 offset:80
	ds_read_b128 v[26:29], v30 offset:96
	ds_read_b128 v[30:33], v30 offset:112
	v_and_b32_e32 v44, 64, v42
	v_add_u32_e32 v43, 64, v44
	v_xor_b32_e32 v35, 2, v42
	v_cmp_lt_i32_e32 vcc, v35, v43
	s_ashr_i32 s2, s33, 31
	v_bfe_u32 v50, v0, 2, 4
	v_cndmask_b32_e32 v35, v42, v35, vcc
	v_lshlrev_b32_e32 v45, 2, v35
	v_xor_b32_e32 v35, 1, v42
	s_waitcnt lgkmcnt(0)
	s_add_u32 s0, s0, s33
	v_cmp_lt_i32_e32 vcc, v35, v43
	v_lshlrev_b32_e32 v38, 4, v50
	s_addc_u32 s1, s1, s2
	v_mov_b32_e32 v39, 0
	v_cndmask_b32_e32 v35, v42, v35, vcc
	s_load_dword s35, s[8:9], 0x0
	v_lshl_add_u64 v[48:49], s[0:1], 0, v[38:39]
	v_lshlrev_b32_e32 v46, 2, v35
	v_mov_b32_e32 v35, v39
	s_sub_i32 s36, 1, s17
	s_lshl_b64 s[0:1], s[24:25], 2
	v_lshl_add_u64 v[36:37], v[48:49], 0, v[34:35]
	v_lshlrev_b32_e32 v35, 2, v50
	s_add_u32 s0, s22, s0
	v_lshl_or_b32 v35, v53, 6, v35
	v_and_b32_e32 v38, 60, v41
	s_addc_u32 s1, s23, s1
	s_mov_b32 s34, s13
	v_cmp_eq_u32_e32 vcc, 0, v34
	v_cmp_neq_f32_e64 s[2:3], s28, 0
	v_lshl_or_b32 v47, v53, 4, v50
	v_add_u32_e32 v48, 0x210, v35
	v_lshl_add_u64 v[38:39], s[0:1], 0, v[38:39]
	v_mov_b32_e32 v35, 0xff7fffff
	s_mov_b64 s[8:9], 0
	v_mov_b32_e32 v49, v53
	s_branch .LBB195_9
.LBB195_8:                              ;   in Loop: Header=BB195_9 Depth=1
	s_or_b64 exec, exec, s[14:15]
	v_add_u32_e32 v49, 2, v49
	v_cmp_le_i32_e64 s[0:1], s19, v49
	v_add_u32_e32 v47, 32, v47
	v_add_u32_e32 v48, 0x80, v48
	s_or_b64 s[8:9], s[0:1], s[8:9]
	v_lshl_add_u64 v[38:39], v[38:39], 0, 8
	s_andn2_b64 exec, exec, s[8:9]
	s_cbranch_execz .LBB195_11
.LBB195_9:                              ; =>This Inner Loop Header: Depth=1
	global_load_dword v50, v[38:39], off
	s_waitcnt vmcnt(0) lgkmcnt(0)
	v_mad_i64_i32 v[50:51], s[0:1], v50, s34, v[36:37]
	global_load_ubyte v54, v[50:51], off
	global_load_ubyte v55, v[50:51], off offset:4
	global_load_ubyte v56, v[50:51], off offset:8
	;; [unrolled: 1-line block ×30, first 2 shown]
	s_nop 0
	global_load_ubyte v50, v[50:51], off offset:1804
	s_waitcnt vmcnt(31)
	v_cvt_f32_fp8_e32 v51, v54
	s_waitcnt vmcnt(30)
	v_cvt_f32_fp8_e32 v54, v55
	;; [unrolled: 2-line block ×5, first 2 shown]
	s_waitcnt lgkmcnt(0)
	v_mul_f32_e32 v54, s35, v54
	s_waitcnt vmcnt(26)
	v_cvt_f32_fp8_e32 v58, v59
	v_mul_f32_e32 v51, s35, v51
	v_mul_f32_e32 v54, v3, v54
	s_waitcnt vmcnt(25)
	v_cvt_f32_fp8_e32 v59, v60
	v_mul_f32_e32 v55, s35, v55
	v_fmac_f32_e32 v54, v2, v51
	s_waitcnt vmcnt(24)
	v_cvt_f32_fp8_e32 v60, v61
	v_mul_f32_e32 v56, s35, v56
	v_fmac_f32_e32 v54, v4, v55
	;; [unrolled: 4-line block ×26, first 2 shown]
	v_mul_f32_e32 v81, s35, v81
	v_fmac_f32_e32 v54, v29, v80
	v_mul_f32_e32 v82, s35, v82
	v_fmac_f32_e32 v54, v30, v81
	;; [unrolled: 2-line block ×4, first 2 shown]
	v_fmac_f32_e32 v54, v33, v50
	ds_bpermute_b32 v50, v45, v54
	s_waitcnt lgkmcnt(0)
	v_add_f32_e32 v50, v54, v50
	ds_bpermute_b32 v51, v46, v50
	s_and_saveexec_b64 s[14:15], vcc
	s_cbranch_execz .LBB195_8
; %bb.10:                               ;   in Loop: Header=BB195_9 Depth=1
	v_add_u32_e32 v54, s36, v47
	v_cvt_f32_i32_e32 v54, v54
	s_waitcnt lgkmcnt(0)
	v_add_f32_e32 v50, v50, v51
	v_cmp_gt_i32_e64 s[0:1], s17, v47
	v_max_f32_e32 v51, v35, v35
	v_mul_f32_e32 v54, s28, v54
	v_cndmask_b32_e64 v54, 0, v54, s[2:3]
	v_fmac_f32_e32 v54, s29, v50
	v_cndmask_b32_e64 v50, 0, v54, s[0:1]
	ds_write_b32 v48, v50
	v_max_f32_e32 v50, v51, v54
	v_cndmask_b32_e64 v35, v35, v50, s[0:1]
	s_branch .LBB195_8
.LBB195_11:
	s_or_b64 exec, exec, s[8:9]
.LBB195_12:
	s_or_b64 exec, exec, s[30:31]
	v_xor_b32_e32 v2, 32, v42
	v_cmp_lt_i32_e32 vcc, v2, v43
	v_xor_b32_e32 v5, 16, v42
	v_max_f32_e32 v4, v35, v35
	v_cndmask_b32_e32 v2, v42, v2, vcc
	v_lshlrev_b32_e32 v2, 2, v2
	ds_bpermute_b32 v3, v2, v35
	v_cmp_lt_i32_e32 vcc, v5, v43
	v_xor_b32_e32 v6, 8, v42
	v_xor_b32_e32 v7, 4, v42
	v_and_b32_e32 v35, 63, v0
	s_waitcnt lgkmcnt(0)
	v_max_f32_e32 v3, v3, v3
	v_max_f32_e32 v4, v4, v3
	v_cndmask_b32_e32 v3, v42, v5, vcc
	v_lshlrev_b32_e32 v3, 2, v3
	ds_bpermute_b32 v5, v3, v4
	v_cmp_lt_i32_e32 vcc, v6, v43
	s_waitcnt lgkmcnt(0)
	v_max_f32_e32 v5, v5, v5
	v_max_f32_e32 v4, v4, v5
	v_cndmask_b32_e32 v5, v42, v6, vcc
	v_lshlrev_b32_e32 v6, 2, v5
	ds_bpermute_b32 v5, v6, v4
	v_cmp_lt_i32_e32 vcc, v7, v43
	s_waitcnt lgkmcnt(0)
	v_max_f32_e32 v5, v5, v5
	v_max_f32_e32 v5, v4, v5
	v_cndmask_b32_e32 v4, v42, v7, vcc
	v_lshlrev_b32_e32 v7, 2, v4
	ds_bpermute_b32 v8, v7, v5
	v_cmp_eq_u32_e32 vcc, 0, v35
	v_lshlrev_b32_e32 v4, 2, v53
	s_and_saveexec_b64 s[0:1], vcc
	s_cbranch_execz .LBB195_14
; %bb.13:
	s_waitcnt lgkmcnt(0)
	v_max_f32_e32 v8, v8, v8
	v_max_f32_e32 v5, v5, v5
	v_max_f32_e32 v5, v5, v8
	ds_write_b32 v4, v5 offset:512
.LBB195_14:
	s_or_b64 exec, exec, s[0:1]
	v_cmp_gt_u32_e64 s[0:1], 2, v35
	s_waitcnt lgkmcnt(0)
	v_mov_b32_e32 v8, 0xff7fffff
	v_lshlrev_b32_e32 v5, 2, v35
	s_barrier
	s_and_saveexec_b64 s[2:3], s[0:1]
; %bb.15:
	ds_read_b32 v8, v5 offset:512
; %bb.16:
	s_or_b64 exec, exec, s[2:3]
	v_xor_b32_e32 v9, 1, v42
	v_cmp_lt_i32_e64 s[2:3], v9, v43
	s_nop 1
	v_cndmask_b32_e64 v9, v42, v9, s[2:3]
	v_lshlrev_b32_e32 v54, 2, v9
	s_waitcnt lgkmcnt(0)
	ds_bpermute_b32 v9, v54, v8
	v_max_f32_e32 v8, v8, v8
	s_lshl_b32 s2, s19, 4
	s_min_i32 s30, s2, s17
	v_cmp_gt_i32_e64 s[2:3], s30, v0
	s_waitcnt lgkmcnt(0)
	v_max_f32_e32 v9, v9, v9
	v_max_f32_e32 v8, v8, v9
	v_lshlrev_b32_e32 v9, 2, v44
	ds_bpermute_b32 v9, v9, v8
	v_mov_b32_e32 v8, 0
	s_and_saveexec_b64 s[14:15], s[2:3]
	s_cbranch_execz .LBB195_20
; %bb.17:
	v_mov_b32_e32 v8, 0x210
	v_lshl_add_u32 v10, v0, 2, v8
	v_mov_b32_e32 v8, 0
	s_mov_b64 s[28:29], 0
	v_mov_b32_e32 v11, v0
.LBB195_18:                             ; =>This Inner Loop Header: Depth=1
	ds_read_b32 v12, v10
	v_add_u32_e32 v11, 0x80, v11
	v_cmp_le_i32_e64 s[8:9], s30, v11
	s_or_b64 s[28:29], s[8:9], s[28:29]
	s_waitcnt lgkmcnt(0)
	v_sub_f32_e32 v12, v12, v9
	v_mul_f32_e32 v12, 0x3fb8aa3b, v12
	v_exp_f32_e32 v12, v12
	ds_write_b32 v10, v12
	v_add_f32_e32 v8, v8, v12
	v_add_u32_e32 v10, 0x200, v10
	s_andn2_b64 exec, exec, s[28:29]
	s_cbranch_execnz .LBB195_18
; %bb.19:
	s_or_b64 exec, exec, s[28:29]
.LBB195_20:
	s_or_b64 exec, exec, s[14:15]
	ds_bpermute_b32 v2, v2, v8
	s_waitcnt lgkmcnt(0)
	v_add_f32_e32 v2, v8, v2
	ds_bpermute_b32 v3, v3, v2
	s_waitcnt lgkmcnt(0)
	v_add_f32_e32 v2, v2, v3
	ds_bpermute_b32 v3, v6, v2
	v_xor_b32_e32 v6, 2, v42
	v_cmp_lt_i32_e64 s[8:9], v6, v43
	s_waitcnt lgkmcnt(0)
	v_add_f32_e32 v2, v2, v3
	ds_bpermute_b32 v3, v7, v2
	v_cndmask_b32_e64 v6, v42, v6, s[8:9]
	v_lshlrev_b32_e32 v55, 2, v6
	s_waitcnt lgkmcnt(0)
	v_add_f32_e32 v2, v2, v3
	ds_bpermute_b32 v3, v55, v2
	s_waitcnt lgkmcnt(0)
	v_add_f32_e32 v2, v2, v3
	ds_bpermute_b32 v3, v54, v2
	s_waitcnt lgkmcnt(0)
	v_add_f32_e32 v2, v2, v3
	s_and_saveexec_b64 s[8:9], vcc
; %bb.21:
	ds_write_b32 v4, v2 offset:520
; %bb.22:
	s_or_b64 exec, exec, s[8:9]
	s_waitcnt lgkmcnt(0)
	s_barrier
	s_and_saveexec_b64 s[8:9], s[0:1]
; %bb.23:
	ds_read_b32 v2, v5 offset:520
; %bb.24:
	s_or_b64 exec, exec, s[8:9]
	s_waitcnt lgkmcnt(0)
	ds_bpermute_b32 v3, v54, v2
	v_lshlrev_b32_e32 v4, 2, v42
	s_waitcnt lgkmcnt(0)
	v_add_f32_e32 v2, v2, v3
	v_and_b32_e32 v3, 0xffffff00, v4
	ds_bpermute_b32 v2, v3, v2
	s_and_saveexec_b64 s[0:1], s[2:3]
	s_cbranch_execz .LBB195_37
; %bb.25:
	s_waitcnt lgkmcnt(0)
	v_add_f32_e32 v2, 0x358637bd, v2
	v_div_scale_f32 v3, s[2:3], v2, v2, 1.0
	v_rcp_f32_e32 v4, v3
	v_div_scale_f32 v5, vcc, 1.0, v2, 1.0
	s_movk_i32 s2, 0x7f
	v_fma_f32 v6, -v3, v4, 1.0
	v_fmac_f32_e32 v4, v6, v4
	v_mul_f32_e32 v6, v5, v4
	v_fma_f32 v7, -v3, v6, v5
	v_fmac_f32_e32 v6, v7, v4
	v_fma_f32 v3, -v3, v6, v5
	v_div_fmas_f32 v3, v3, v4, v6
	v_xad_u32 v4, v0, -1, s30
	v_div_fixup_f32 v2, v3, v2, 1.0
	v_cmp_lt_u32_e32 vcc, s2, v4
	s_mov_b64 s[8:9], -1
	v_mov_b32_e32 v3, v0
	s_and_saveexec_b64 s[2:3], vcc
	s_cbranch_execz .LBB195_34
; %bb.26:
	v_lshrrev_b32_e32 v4, 7, v4
	v_add_u32_e32 v6, -1, v4
	v_lshrrev_b32_e32 v5, 1, v6
	v_mov_b32_e32 v3, v2
	v_add_u32_e32 v5, 1, v5
	v_cmp_lt_u32_e32 vcc, 13, v6
	v_mov_b32_e32 v8, 0
	s_and_saveexec_b64 s[8:9], vcc
	s_cbranch_execz .LBB195_30
; %bb.27:
	v_mov_b32_e32 v7, 0x210
	v_and_b32_e32 v6, -8, v5
	v_lshl_add_u32 v7, v0, 2, v7
	s_mov_b32 s28, 0
	s_mov_b64 s[14:15], 0
.LBB195_28:                             ; =>This Inner Loop Header: Depth=1
	ds_read2st64_b32 v[8:9], v7 offset1:2
	ds_read2st64_b32 v[10:11], v7 offset0:4 offset1:6
	ds_read2st64_b32 v[12:13], v7 offset0:8 offset1:10
	;; [unrolled: 1-line block ×3, first 2 shown]
	v_add_u32_e32 v6, -8, v6
	s_waitcnt lgkmcnt(3)
	v_pk_mul_f32 v[8:9], v[2:3], v[8:9]
	s_waitcnt lgkmcnt(2)
	v_pk_mul_f32 v[10:11], v[2:3], v[10:11]
	ds_write2st64_b32 v7, v8, v9 offset1:2
	ds_write2st64_b32 v7, v10, v11 offset0:4 offset1:6
	ds_read2st64_b32 v[10:11], v7 offset0:16 offset1:18
	s_waitcnt lgkmcnt(4)
	v_pk_mul_f32 v[8:9], v[2:3], v[12:13]
	ds_write2st64_b32 v7, v8, v9 offset0:8 offset1:10
	s_waitcnt lgkmcnt(4)
	v_pk_mul_f32 v[8:9], v[2:3], v[14:15]
	ds_write2st64_b32 v7, v8, v9 offset0:12 offset1:14
	ds_read2st64_b32 v[8:9], v7 offset0:20 offset1:22
	s_waitcnt lgkmcnt(3)
	v_pk_mul_f32 v[10:11], v[2:3], v[10:11]
	ds_read2st64_b32 v[12:13], v7 offset0:24 offset1:26
	ds_write2st64_b32 v7, v10, v11 offset0:16 offset1:18
	ds_read2st64_b32 v[10:11], v7 offset0:28 offset1:30
	s_waitcnt lgkmcnt(3)
	v_pk_mul_f32 v[8:9], v[2:3], v[8:9]
	ds_write2st64_b32 v7, v8, v9 offset0:20 offset1:22
	s_waitcnt lgkmcnt(3)
	v_pk_mul_f32 v[8:9], v[2:3], v[12:13]
	ds_write2st64_b32 v7, v8, v9 offset0:24 offset1:26
	s_waitcnt lgkmcnt(2)
	v_pk_mul_f32 v[8:9], v[2:3], v[10:11]
	s_add_i32 s28, s28, 16
	v_cmp_eq_u32_e32 vcc, 0, v6
	ds_write2st64_b32 v7, v8, v9 offset0:28 offset1:30
	v_add_u32_e32 v7, 0x2000, v7
	s_or_b64 s[14:15], vcc, s[14:15]
	v_mov_b32_e32 v8, s28
	s_andn2_b64 exec, exec, s[14:15]
	s_cbranch_execnz .LBB195_28
; %bb.29:
	s_or_b64 exec, exec, s[14:15]
.LBB195_30:
	s_or_b64 exec, exec, s[8:9]
	v_and_b32_e32 v5, 7, v5
	v_cmp_ne_u32_e32 vcc, 0, v5
	s_and_saveexec_b64 s[8:9], vcc
	s_cbranch_execz .LBB195_33
; %bb.31:
	v_lshlrev_b32_e32 v6, 9, v8
	s_movk_i32 s14, 0x210
	v_add3_u32 v6, v6, v40, s14
	s_mov_b64 s[14:15], 0
.LBB195_32:                             ; =>This Inner Loop Header: Depth=1
	ds_read2st64_b32 v[8:9], v6 offset1:2
	v_add_u32_e32 v5, -1, v5
	v_cmp_eq_u32_e32 vcc, 0, v5
	s_or_b64 s[14:15], vcc, s[14:15]
	s_waitcnt lgkmcnt(0)
	v_pk_mul_f32 v[8:9], v[2:3], v[8:9]
	ds_write2st64_b32 v6, v8, v9 offset1:2
	v_add_u32_e32 v6, 0x400, v6
	s_andn2_b64 exec, exec, s[14:15]
	s_cbranch_execnz .LBB195_32
.LBB195_33:
	s_or_b64 exec, exec, s[8:9]
	v_add_u32_e32 v4, 1, v4
	v_and_b32_e32 v5, 0x3fffffe, v4
	v_cmp_ne_u32_e32 vcc, v4, v5
	v_lshl_add_u32 v3, v5, 7, v0
	s_orn2_b64 s[8:9], vcc, exec
.LBB195_34:
	s_or_b64 exec, exec, s[2:3]
	s_and_b64 exec, exec, s[8:9]
	s_cbranch_execz .LBB195_37
; %bb.35:
	v_mov_b32_e32 v4, 0x210
	v_lshl_add_u32 v4, v3, 2, v4
	s_mov_b64 s[2:3], 0
.LBB195_36:                             ; =>This Inner Loop Header: Depth=1
	ds_read_b32 v5, v4
	v_add_u32_e32 v3, 0x80, v3
	v_cmp_le_i32_e32 vcc, s30, v3
	s_or_b64 s[2:3], vcc, s[2:3]
	s_waitcnt lgkmcnt(0)
	v_mul_f32_e32 v5, v2, v5
	ds_write_b32 v4, v5
	v_add_u32_e32 v4, 0x200, v4
	s_andn2_b64 exec, exec, s[2:3]
	s_cbranch_execnz .LBB195_36
.LBB195_37:
	s_or_b64 exec, exec, s[0:1]
	v_mov_b32_e32 v7, 0
	v_mov_b32_e32 v6, 0
	v_mov_b32_e32 v9, 0
	v_mov_b32_e32 v8, 0
	v_mov_b32_e32 v11, 0
	v_mov_b32_e32 v10, 0
	v_mov_b32_e32 v13, 0
	v_mov_b32_e32 v12, 0
	s_waitcnt lgkmcnt(0)
	s_barrier
	s_and_saveexec_b64 s[2:3], s[6:7]
	s_cbranch_execz .LBB195_57
; %bb.38:
	s_ashr_i32 s1, s33, 31
	s_load_dword s6, s[10:11], 0x0
	s_add_u32 s0, s26, s33
	s_addc_u32 s1, s27, s1
	v_and_b32_e32 v6, 0xfc, v40
	v_mov_b32_e32 v7, 0
	v_and_b32_e32 v2, 12, v40
	s_add_i32 s14, s19, -1
	v_lshl_add_u64 v[14:15], s[0:1], 0, v[6:7]
	s_lshl_b64 s[0:1], s[24:25], 2
	v_lshl_or_b32 v56, v53, 4, v2
	v_lshlrev_b32_e32 v2, 4, v34
	s_add_u32 s0, s22, s0
	v_lshl_or_b32 v2, v53, 6, v2
	v_and_b32_e32 v6, 60, v41
	s_addc_u32 s1, s23, s1
	s_waitcnt lgkmcnt(0)
	s_mov_b32 s7, s6
	s_mov_b32 s15, s17
	v_add_u32_e32 v57, 0x210, v2
	v_lshl_add_u64 v[16:17], s[0:1], 0, v[6:7]
	s_mov_b64 s[8:9], 0
	v_mov_b32_e32 v6, v7
	v_mov_b32_e32 v9, v7
	;; [unrolled: 1-line block ×7, first 2 shown]
	s_branch .LBB195_40
.LBB195_39:                             ;   in Loop: Header=BB195_40 Depth=1
	s_or_b64 exec, exec, s[0:1]
	s_waitcnt lgkmcnt(0)
	v_mul_f32_e32 v50, v2, v50
	v_mul_f32_e32 v44, v2, v44
	;; [unrolled: 1-line block ×7, first 2 shown]
	v_fmac_f32_e32 v50, v3, v51
	v_fmac_f32_e32 v44, v3, v45
	;; [unrolled: 1-line block ×14, first 2 shown]
	v_pk_mul_f32 v[2:3], v[2:3], v[46:47]
	v_fmac_f32_e32 v50, v5, v49
	v_fmac_f32_e32 v44, v5, v43
	;; [unrolled: 1-line block ×7, first 2 shown]
	v_pk_mul_f32 v[4:5], v[4:5], v[26:27]
	v_add_f32_e32 v2, v3, v2
	v_add_f32_e32 v2, v4, v2
	v_add_u32_e32 v53, 2, v53
	v_add_f32_e32 v2, v5, v2
	v_cmp_le_i32_e32 vcc, s19, v53
	v_add_f32_e32 v6, v6, v50
	v_add_f32_e32 v9, v9, v44
	;; [unrolled: 1-line block ×8, first 2 shown]
	v_add_u32_e32 v56, 32, v56
	v_add_u32_e32 v57, 0x80, v57
	s_or_b64 s[8:9], vcc, s[8:9]
	v_lshl_add_u64 v[16:17], v[16:17], 0, 8
	s_andn2_b64 exec, exec, s[8:9]
	s_cbranch_execz .LBB195_56
.LBB195_40:                             ; =>This Inner Loop Header: Depth=1
	global_load_dword v2, v[16:17], off
	v_cmp_eq_u32_e32 vcc, s14, v53
	v_add_u32_e32 v58, 1, v56
	v_add_u32_e32 v46, 2, v56
	;; [unrolled: 1-line block ×3, first 2 shown]
	s_waitcnt vmcnt(0)
	v_mad_i64_i32 v[26:27], s[0:1], v2, s13, v[14:15]
	global_load_dword v18, v[26:27], off
	ds_read_b128 v[2:5], v57
	s_waitcnt vmcnt(0)
	v_and_b32_e32 v19, 0xffff, v18
	v_lshrrev_b32_e32 v20, 16, v18
	v_cvt_pk_f32_fp8_e32 v[18:19], v19
	v_cvt_pk_f32_fp8_e32 v[22:23], v20
	v_pk_mul_f32 v[20:21], s[6:7], v[18:19]
	v_pk_mul_f32 v[18:19], s[6:7], v[22:23]
	s_and_saveexec_b64 s[10:11], vcc
; %bb.41:                               ;   in Loop: Header=BB195_40 Depth=1
	v_cmp_gt_i32_e64 s[0:1], s17, v56
	s_nop 1
	v_cndmask_b32_e64 v20, 0, v20, s[0:1]
	v_cmp_gt_i32_e64 s[0:1], s17, v58
	s_nop 1
	v_cndmask_b32_e64 v21, 0, v21, s[0:1]
	v_cmp_gt_i32_e64 s[0:1], s17, v46
	s_nop 1
	v_cndmask_b32_e64 v18, 0, v18, s[0:1]
	v_cmp_gt_i32_e64 s[0:1], s17, v47
	s_nop 1
	v_cndmask_b32_e64 v19, 0, v19, s[0:1]
; %bb.42:                               ;   in Loop: Header=BB195_40 Depth=1
	s_or_b64 exec, exec, s[10:11]
	global_load_dword v22, v[26:27], off offset:256
	s_waitcnt vmcnt(0)
	v_and_b32_e32 v23, 0xffff, v22
	v_lshrrev_b32_e32 v24, 16, v22
	v_cvt_pk_f32_fp8_e32 v[22:23], v23
	v_cvt_pk_f32_fp8_e32 v[28:29], v24
	v_pk_mul_f32 v[24:25], s[6:7], v[22:23]
	v_pk_mul_f32 v[22:23], s[6:7], v[28:29]
	s_and_saveexec_b64 s[10:11], vcc
; %bb.43:                               ;   in Loop: Header=BB195_40 Depth=1
	v_cmp_gt_i32_e64 s[0:1], s17, v56
	s_nop 1
	v_cndmask_b32_e64 v24, 0, v24, s[0:1]
	v_cmp_gt_i32_e64 s[0:1], s17, v58
	s_nop 1
	v_cndmask_b32_e64 v25, 0, v25, s[0:1]
	v_cmp_gt_i32_e64 s[0:1], s17, v46
	s_nop 1
	v_cndmask_b32_e64 v22, 0, v22, s[0:1]
	v_cmp_gt_i32_e64 s[0:1], s17, v47
	s_nop 1
	v_cndmask_b32_e64 v23, 0, v23, s[0:1]
; %bb.44:                               ;   in Loop: Header=BB195_40 Depth=1
	s_or_b64 exec, exec, s[10:11]
	global_load_dword v28, v[26:27], off offset:512
	;; [unrolled: 24-line block ×7, first 2 shown]
	s_waitcnt vmcnt(0)
	v_and_b32_e32 v27, 0xffff, v26
	v_lshrrev_b32_e32 v46, 16, v26
	v_cvt_pk_f32_fp8_e32 v[26:27], v27
	v_cvt_pk_f32_fp8_e32 v[60:61], v46
	v_pk_mul_f32 v[46:47], s[6:7], v[26:27]
	v_pk_mul_f32 v[26:27], s[6:7], v[60:61]
	s_and_saveexec_b64 s[0:1], vcc
	s_cbranch_execz .LBB195_39
; %bb.55:                               ;   in Loop: Header=BB195_40 Depth=1
	v_cmp_gt_i32_e32 vcc, s15, v58
	v_or_b32_e32 v58, 3, v56
	v_or_b32_e32 v59, 2, v56
	v_cndmask_b32_e32 v47, 0, v47, vcc
	v_cmp_gt_i32_e32 vcc, s17, v56
	s_nop 1
	v_cndmask_b32_e32 v46, 0, v46, vcc
	v_cmp_gt_i32_e32 vcc, s15, v58
	s_nop 1
	;; [unrolled: 3-line block ×3, first 2 shown]
	v_cndmask_b32_e32 v26, 0, v26, vcc
	s_branch .LBB195_39
.LBB195_56:
	s_or_b64 exec, exec, s[8:9]
.LBB195_57:
	s_or_b64 exec, exec, s[2:3]
	ds_bpermute_b32 v4, v55, v10
	ds_bpermute_b32 v5, v55, v11
	;; [unrolled: 1-line block ×6, first 2 shown]
	s_waitcnt lgkmcnt(4)
	v_pk_add_f32 v[4:5], v[10:11], v[4:5]
	ds_bpermute_b32 v18, v55, v6
	ds_bpermute_b32 v19, v55, v7
	;; [unrolled: 1-line block ×4, first 2 shown]
	s_waitcnt lgkmcnt(6)
	v_pk_add_f32 v[2:3], v[12:13], v[2:3]
	ds_bpermute_b32 v12, v54, v2
	ds_bpermute_b32 v13, v54, v3
	s_waitcnt lgkmcnt(6)
	v_pk_add_f32 v[14:15], v[8:9], v[14:15]
	ds_bpermute_b32 v16, v54, v14
	ds_bpermute_b32 v17, v54, v15
	s_waitcnt lgkmcnt(6)
	v_pk_add_f32 v[6:7], v[6:7], v[18:19]
	s_waitcnt lgkmcnt(4)
	v_pk_add_f32 v[4:5], v[4:5], v[10:11]
	ds_bpermute_b32 v10, v54, v6
	ds_bpermute_b32 v11, v54, v7
	s_waitcnt lgkmcnt(4)
	v_pk_add_f32 v[8:9], v[2:3], v[12:13]
	v_and_b32_e32 v12, 0x3c3, v0
	s_waitcnt lgkmcnt(2)
	v_pk_add_f32 v[2:3], v[14:15], v[16:17]
	v_cmp_ne_u32_e32 vcc, 64, v12
	s_waitcnt lgkmcnt(0)
	s_barrier
	s_and_saveexec_b64 s[0:1], vcc
	s_xor_b64 s[0:1], exec, s[0:1]
; %bb.58:
                                        ; implicit-def: $vgpr35
; %bb.59:
	s_or_saveexec_b64 s[0:1], s[0:1]
	v_pk_add_f32 v[6:7], v[6:7], v[10:11]
	s_xor_b64 exec, exec, s[0:1]
	s_cbranch_execz .LBB195_61
; %bb.60:
	v_add_u32_e32 v10, 0x210, v35
	ds_write2_b32 v10, v8, v9 offset1:16
	ds_write2_b32 v10, v4, v5 offset0:32 offset1:48
	ds_write2_b32 v10, v2, v3 offset0:64 offset1:80
	;; [unrolled: 1-line block ×3, first 2 shown]
.LBB195_61:
	s_or_b64 exec, exec, s[0:1]
	v_cmp_gt_u32_e32 vcc, 64, v0
	s_waitcnt lgkmcnt(0)
	s_barrier
	s_and_saveexec_b64 s[0:1], vcc
	s_cbranch_execz .LBB195_72
; %bb.62:
	v_mov_b32_e32 v0, 0x210
	v_cmp_eq_u32_e32 vcc, 0, v34
	v_lshl_add_u32 v0, v52, 2, v0
	s_and_saveexec_b64 s[2:3], vcc
	s_cbranch_execnz .LBB195_75
; %bb.63:
	s_or_b64 exec, exec, s[2:3]
	s_and_saveexec_b64 s[2:3], vcc
	s_cbranch_execnz .LBB195_76
.LBB195_64:
	s_or_b64 exec, exec, s[2:3]
	s_and_saveexec_b64 s[2:3], vcc
	s_cbranch_execnz .LBB195_77
.LBB195_65:
	s_or_b64 exec, exec, s[2:3]
	s_and_saveexec_b64 s[2:3], vcc
	s_cbranch_execnz .LBB195_78
.LBB195_66:
	s_or_b64 exec, exec, s[2:3]
	s_and_saveexec_b64 s[2:3], vcc
	s_cbranch_execnz .LBB195_79
.LBB195_67:
	s_or_b64 exec, exec, s[2:3]
	s_and_saveexec_b64 s[2:3], vcc
	s_cbranch_execnz .LBB195_80
.LBB195_68:
	s_or_b64 exec, exec, s[2:3]
	s_and_saveexec_b64 s[2:3], vcc
	s_cbranch_execnz .LBB195_81
.LBB195_69:
	s_or_b64 exec, exec, s[2:3]
	s_and_saveexec_b64 s[2:3], vcc
	s_cbranch_execz .LBB195_71
.LBB195_70:
	ds_read_b32 v0, v0 offset:448
	s_waitcnt lgkmcnt(0)
	v_add_f32_e32 v7, v7, v0
.LBB195_71:
	s_or_b64 exec, exec, s[2:3]
.LBB195_72:
	s_or_b64 exec, exec, s[0:1]
	v_cmp_eq_u32_e32 vcc, 0, v12
	s_barrier
	s_and_saveexec_b64 s[0:1], vcc
	s_cbranch_execz .LBB195_74
; %bb.73:
	s_mul_i32 s0, s16, s12
	s_mul_i32 s0, s0, s5
	s_lshl_b32 s0, s0, 7
	s_ashr_i32 s1, s0, 31
	s_lshl_b64 s[0:1], s[0:1], 2
	s_add_u32 s2, s20, s0
	s_mul_i32 s0, s12, s18
	s_addc_u32 s3, s21, s1
	s_ashr_i32 s1, s0, 31
	s_lshl_b64 s[0:1], s[0:1], 2
	s_add_u32 s2, s2, s0
	s_addc_u32 s3, s3, s1
	s_lshl_b32 s0, s4, 7
	s_ashr_i32 s1, s0, 31
	s_lshl_b64 s[0:1], s[0:1], 2
	s_add_u32 s0, s2, s0
	s_addc_u32 s1, s3, s1
	global_store_dword v1, v8, s[0:1]
	global_store_dword v1, v9, s[0:1] offset:64
	global_store_dword v1, v4, s[0:1] offset:128
	;; [unrolled: 1-line block ×7, first 2 shown]
.LBB195_74:
	s_endpgm
.LBB195_75:
	ds_read_b32 v10, v0
	s_waitcnt lgkmcnt(0)
	v_add_f32_e32 v8, v8, v10
	s_or_b64 exec, exec, s[2:3]
	s_and_saveexec_b64 s[2:3], vcc
	s_cbranch_execz .LBB195_64
.LBB195_76:
	ds_read_b32 v10, v0 offset:64
	s_waitcnt lgkmcnt(0)
	v_add_f32_e32 v9, v9, v10
	s_or_b64 exec, exec, s[2:3]
	s_and_saveexec_b64 s[2:3], vcc
	s_cbranch_execz .LBB195_65
.LBB195_77:
	ds_read_b32 v10, v0 offset:128
	s_waitcnt lgkmcnt(0)
	v_add_f32_e32 v4, v4, v10
	s_or_b64 exec, exec, s[2:3]
	s_and_saveexec_b64 s[2:3], vcc
	s_cbranch_execz .LBB195_66
.LBB195_78:
	ds_read_b32 v10, v0 offset:192
	s_waitcnt lgkmcnt(0)
	v_add_f32_e32 v5, v5, v10
	s_or_b64 exec, exec, s[2:3]
	s_and_saveexec_b64 s[2:3], vcc
	s_cbranch_execz .LBB195_67
.LBB195_79:
	ds_read_b32 v10, v0 offset:256
	s_waitcnt lgkmcnt(0)
	v_add_f32_e32 v2, v2, v10
	s_or_b64 exec, exec, s[2:3]
	s_and_saveexec_b64 s[2:3], vcc
	s_cbranch_execz .LBB195_68
.LBB195_80:
	ds_read_b32 v10, v0 offset:320
	s_waitcnt lgkmcnt(0)
	v_add_f32_e32 v3, v3, v10
	s_or_b64 exec, exec, s[2:3]
	s_and_saveexec_b64 s[2:3], vcc
	s_cbranch_execz .LBB195_69
.LBB195_81:
	ds_read_b32 v10, v0 offset:384
	s_waitcnt lgkmcnt(0)
	v_add_f32_e32 v6, v6, v10
	s_or_b64 exec, exec, s[2:3]
	s_and_saveexec_b64 s[2:3], vcc
	s_cbranch_execnz .LBB195_70
	s_branch .LBB195_71
	.section	.rodata,"a",@progbits
	.p2align	6, 0x0
	.amdhsa_kernel _ZN4vllm25paged_attention_v1_kernelIfhLi128ELi16ELi128ELNS_18Fp8KVCacheDataTypeE1ELb0EEEvPT_PKS2_PKT0_S8_ifPKiSA_iPKfiiiSC_SC_iiiii
		.amdhsa_group_segment_fixed_size 528
		.amdhsa_private_segment_fixed_size 0
		.amdhsa_kernarg_size 384
		.amdhsa_user_sgpr_count 2
		.amdhsa_user_sgpr_dispatch_ptr 0
		.amdhsa_user_sgpr_queue_ptr 0
		.amdhsa_user_sgpr_kernarg_segment_ptr 1
		.amdhsa_user_sgpr_dispatch_id 0
		.amdhsa_user_sgpr_kernarg_preload_length 0
		.amdhsa_user_sgpr_kernarg_preload_offset 0
		.amdhsa_user_sgpr_private_segment_size 0
		.amdhsa_uses_dynamic_stack 0
		.amdhsa_enable_private_segment 0
		.amdhsa_system_sgpr_workgroup_id_x 1
		.amdhsa_system_sgpr_workgroup_id_y 1
		.amdhsa_system_sgpr_workgroup_id_z 1
		.amdhsa_system_sgpr_workgroup_info 0
		.amdhsa_system_vgpr_workitem_id 0
		.amdhsa_next_free_vgpr 85
		.amdhsa_next_free_sgpr 37
		.amdhsa_accum_offset 88
		.amdhsa_reserve_vcc 1
		.amdhsa_float_round_mode_32 0
		.amdhsa_float_round_mode_16_64 0
		.amdhsa_float_denorm_mode_32 3
		.amdhsa_float_denorm_mode_16_64 3
		.amdhsa_dx10_clamp 1
		.amdhsa_ieee_mode 1
		.amdhsa_fp16_overflow 0
		.amdhsa_tg_split 0
		.amdhsa_exception_fp_ieee_invalid_op 0
		.amdhsa_exception_fp_denorm_src 0
		.amdhsa_exception_fp_ieee_div_zero 0
		.amdhsa_exception_fp_ieee_overflow 0
		.amdhsa_exception_fp_ieee_underflow 0
		.amdhsa_exception_fp_ieee_inexact 0
		.amdhsa_exception_int_div_zero 0
	.end_amdhsa_kernel
	.section	.text._ZN4vllm25paged_attention_v1_kernelIfhLi128ELi16ELi128ELNS_18Fp8KVCacheDataTypeE1ELb0EEEvPT_PKS2_PKT0_S8_ifPKiSA_iPKfiiiSC_SC_iiiii,"axG",@progbits,_ZN4vllm25paged_attention_v1_kernelIfhLi128ELi16ELi128ELNS_18Fp8KVCacheDataTypeE1ELb0EEEvPT_PKS2_PKT0_S8_ifPKiSA_iPKfiiiSC_SC_iiiii,comdat
.Lfunc_end195:
	.size	_ZN4vllm25paged_attention_v1_kernelIfhLi128ELi16ELi128ELNS_18Fp8KVCacheDataTypeE1ELb0EEEvPT_PKS2_PKT0_S8_ifPKiSA_iPKfiiiSC_SC_iiiii, .Lfunc_end195-_ZN4vllm25paged_attention_v1_kernelIfhLi128ELi16ELi128ELNS_18Fp8KVCacheDataTypeE1ELb0EEEvPT_PKS2_PKT0_S8_ifPKiSA_iPKfiiiSC_SC_iiiii
                                        ; -- End function
	.set _ZN4vllm25paged_attention_v1_kernelIfhLi128ELi16ELi128ELNS_18Fp8KVCacheDataTypeE1ELb0EEEvPT_PKS2_PKT0_S8_ifPKiSA_iPKfiiiSC_SC_iiiii.num_vgpr, 85
	.set _ZN4vllm25paged_attention_v1_kernelIfhLi128ELi16ELi128ELNS_18Fp8KVCacheDataTypeE1ELb0EEEvPT_PKS2_PKT0_S8_ifPKiSA_iPKfiiiSC_SC_iiiii.num_agpr, 0
	.set _ZN4vllm25paged_attention_v1_kernelIfhLi128ELi16ELi128ELNS_18Fp8KVCacheDataTypeE1ELb0EEEvPT_PKS2_PKT0_S8_ifPKiSA_iPKfiiiSC_SC_iiiii.numbered_sgpr, 37
	.set _ZN4vllm25paged_attention_v1_kernelIfhLi128ELi16ELi128ELNS_18Fp8KVCacheDataTypeE1ELb0EEEvPT_PKS2_PKT0_S8_ifPKiSA_iPKfiiiSC_SC_iiiii.num_named_barrier, 0
	.set _ZN4vllm25paged_attention_v1_kernelIfhLi128ELi16ELi128ELNS_18Fp8KVCacheDataTypeE1ELb0EEEvPT_PKS2_PKT0_S8_ifPKiSA_iPKfiiiSC_SC_iiiii.private_seg_size, 0
	.set _ZN4vllm25paged_attention_v1_kernelIfhLi128ELi16ELi128ELNS_18Fp8KVCacheDataTypeE1ELb0EEEvPT_PKS2_PKT0_S8_ifPKiSA_iPKfiiiSC_SC_iiiii.uses_vcc, 1
	.set _ZN4vllm25paged_attention_v1_kernelIfhLi128ELi16ELi128ELNS_18Fp8KVCacheDataTypeE1ELb0EEEvPT_PKS2_PKT0_S8_ifPKiSA_iPKfiiiSC_SC_iiiii.uses_flat_scratch, 0
	.set _ZN4vllm25paged_attention_v1_kernelIfhLi128ELi16ELi128ELNS_18Fp8KVCacheDataTypeE1ELb0EEEvPT_PKS2_PKT0_S8_ifPKiSA_iPKfiiiSC_SC_iiiii.has_dyn_sized_stack, 0
	.set _ZN4vllm25paged_attention_v1_kernelIfhLi128ELi16ELi128ELNS_18Fp8KVCacheDataTypeE1ELb0EEEvPT_PKS2_PKT0_S8_ifPKiSA_iPKfiiiSC_SC_iiiii.has_recursion, 0
	.set _ZN4vllm25paged_attention_v1_kernelIfhLi128ELi16ELi128ELNS_18Fp8KVCacheDataTypeE1ELb0EEEvPT_PKS2_PKT0_S8_ifPKiSA_iPKfiiiSC_SC_iiiii.has_indirect_call, 0
	.section	.AMDGPU.csdata,"",@progbits
; Kernel info:
; codeLenInByte = 5512
; TotalNumSgprs: 43
; NumVgprs: 85
; NumAgprs: 0
; TotalNumVgprs: 85
; ScratchSize: 0
; MemoryBound: 0
; FloatMode: 240
; IeeeMode: 1
; LDSByteSize: 528 bytes/workgroup (compile time only)
; SGPRBlocks: 5
; VGPRBlocks: 10
; NumSGPRsForWavesPerEU: 43
; NumVGPRsForWavesPerEU: 85
; AccumOffset: 88
; Occupancy: 5
; WaveLimiterHint : 1
; COMPUTE_PGM_RSRC2:SCRATCH_EN: 0
; COMPUTE_PGM_RSRC2:USER_SGPR: 2
; COMPUTE_PGM_RSRC2:TRAP_HANDLER: 0
; COMPUTE_PGM_RSRC2:TGID_X_EN: 1
; COMPUTE_PGM_RSRC2:TGID_Y_EN: 1
; COMPUTE_PGM_RSRC2:TGID_Z_EN: 1
; COMPUTE_PGM_RSRC2:TIDIG_COMP_CNT: 0
; COMPUTE_PGM_RSRC3_GFX90A:ACCUM_OFFSET: 21
; COMPUTE_PGM_RSRC3_GFX90A:TG_SPLIT: 0
	.section	.text._ZN4vllm25paged_attention_v1_kernelIfhLi192ELi16ELi128ELNS_18Fp8KVCacheDataTypeE1ELb0EEEvPT_PKS2_PKT0_S8_ifPKiSA_iPKfiiiSC_SC_iiiii,"axG",@progbits,_ZN4vllm25paged_attention_v1_kernelIfhLi192ELi16ELi128ELNS_18Fp8KVCacheDataTypeE1ELb0EEEvPT_PKS2_PKT0_S8_ifPKiSA_iPKfiiiSC_SC_iiiii,comdat
	.protected	_ZN4vllm25paged_attention_v1_kernelIfhLi192ELi16ELi128ELNS_18Fp8KVCacheDataTypeE1ELb0EEEvPT_PKS2_PKT0_S8_ifPKiSA_iPKfiiiSC_SC_iiiii ; -- Begin function _ZN4vllm25paged_attention_v1_kernelIfhLi192ELi16ELi128ELNS_18Fp8KVCacheDataTypeE1ELb0EEEvPT_PKS2_PKT0_S8_ifPKiSA_iPKfiiiSC_SC_iiiii
	.globl	_ZN4vllm25paged_attention_v1_kernelIfhLi192ELi16ELi128ELNS_18Fp8KVCacheDataTypeE1ELb0EEEvPT_PKS2_PKT0_S8_ifPKiSA_iPKfiiiSC_SC_iiiii
	.p2align	8
	.type	_ZN4vllm25paged_attention_v1_kernelIfhLi192ELi16ELi128ELNS_18Fp8KVCacheDataTypeE1ELb0EEEvPT_PKS2_PKT0_S8_ifPKiSA_iPKfiiiSC_SC_iiiii,@function
_ZN4vllm25paged_attention_v1_kernelIfhLi192ELi16ELi128ELNS_18Fp8KVCacheDataTypeE1ELb0EEEvPT_PKS2_PKT0_S8_ifPKiSA_iPKfiiiSC_SC_iiiii: ; @_ZN4vllm25paged_attention_v1_kernelIfhLi192ELi16ELi128ELNS_18Fp8KVCacheDataTypeE1ELb0EEEvPT_PKS2_PKT0_S8_ifPKiSA_iPKfiiiSC_SC_iiiii
; %bb.0:
	s_load_dword s5, s[0:1], 0x80
	s_load_dwordx2 s[6:7], s[0:1], 0x30
	s_load_dwordx2 s[28:29], s[0:1], 0x20
	s_mov_b32 s16, s3
	s_ashr_i32 s17, s3, 31
	s_lshl_b64 s[8:9], s[16:17], 2
	s_waitcnt lgkmcnt(0)
	s_add_u32 s6, s6, s8
	s_addc_u32 s7, s7, s9
	s_abs_i32 s3, s28
	v_cvt_f32_u32_e32 v1, s3
	s_sub_i32 s10, 0, s3
	s_abs_i32 s9, s5
	s_xor_b32 s8, s5, s28
	v_rcp_iflag_f32_e32 v1, v1
	s_ashr_i32 s8, s8, 31
	s_mov_b32 s28, 0
	v_mul_f32_e32 v1, 0x4f7ffffe, v1
	v_cvt_u32_f32_e32 v1, v1
	s_nop 0
	v_readfirstlane_b32 s11, v1
	s_mul_i32 s10, s10, s11
	s_mul_hi_u32 s10, s11, s10
	s_add_i32 s11, s11, s10
	s_mul_hi_u32 s10, s9, s11
	s_mul_i32 s11, s10, s3
	s_sub_i32 s9, s9, s11
	s_add_i32 s11, s10, 1
	s_sub_i32 s12, s9, s3
	s_cmp_ge_u32 s9, s3
	s_cselect_b32 s10, s11, s10
	s_cselect_b32 s9, s12, s9
	s_add_i32 s11, s10, 1
	s_cmp_ge_u32 s9, s3
	s_cselect_b32 s3, s11, s10
	s_xor_b32 s3, s3, s8
	s_sub_i32 s12, s3, s8
	s_abs_i32 s10, s12
	v_cvt_f32_u32_e32 v1, s10
	s_load_dwordx2 s[8:9], s[0:1], 0x40
	s_sub_i32 s3, 0, s10
	s_abs_i32 s11, s2
	v_rcp_iflag_f32_e32 v1, v1
	s_nop 0
	v_mul_f32_e32 v1, 0x4f7ffffe, v1
	v_cvt_u32_f32_e32 v1, v1
	s_nop 0
	v_readfirstlane_b32 s13, v1
	s_mul_i32 s3, s3, s13
	s_mul_hi_u32 s3, s13, s3
	s_add_i32 s13, s13, s3
	s_waitcnt lgkmcnt(0)
	s_cmp_eq_u64 s[8:9], 0
	s_mul_hi_u32 s20, s11, s13
	s_cbranch_scc1 .LBB196_2
; %bb.1:
	s_ashr_i32 s3, s2, 31
	s_lshl_b64 s[14:15], s[2:3], 2
	s_add_u32 s8, s8, s14
	s_addc_u32 s9, s9, s15
	s_load_dword s28, s[8:9], 0x0
.LBB196_2:
	s_load_dword s33, s[6:7], 0x0
	s_ashr_i32 s9, s12, 31
	s_load_dword s17, s[0:1], 0x88
	s_load_dwordx4 s[12:15], s[0:1], 0x48
	v_lshrrev_b32_e32 v72, 2, v0
	s_waitcnt lgkmcnt(0)
	s_movk_i32 s15, 0xc0
	s_ashr_i32 s8, s2, 31
	v_and_b32_e32 v50, 3, v0
	s_mul_i32 s18, s2, 0xc0
	v_cmp_gt_u32_e32 vcc, s15, v0
	v_lshlrev_b32_e32 v58, 2, v0
	v_lshlrev_b32_e32 v1, 2, v72
	s_and_saveexec_b64 s[2:3], vcc
	s_cbranch_execz .LBB196_5
; %bb.3:
	s_load_dwordx2 s[6:7], s[0:1], 0x8
	s_mul_i32 s22, s12, s16
	s_ashr_i32 s23, s22, 31
	s_lshl_b64 s[22:23], s[22:23], 2
	v_mad_u32_u24 v2, v50, s15, v1
	s_waitcnt lgkmcnt(0)
	s_add_u32 s12, s6, s22
	s_addc_u32 s21, s7, s23
	s_ashr_i32 s19, s18, 31
	s_lshl_b64 s[6:7], s[18:19], 2
	s_add_u32 s6, s12, s6
	s_addc_u32 s7, s21, s7
	global_load_dword v3, v58, s[6:7]
	v_cmp_gt_u32_e32 vcc, 64, v0
	s_waitcnt vmcnt(0)
	ds_write_b32 v2, v3
	s_and_b64 exec, exec, vcc
	s_cbranch_execz .LBB196_5
; %bb.4:
	v_lshlrev_b32_e32 v3, 4, v72
	v_lshlrev_b32_e32 v4, 2, v50
	s_movk_i32 s12, 0x200
	v_or3_b32 v3, v3, v4, s12
	global_load_dword v3, v3, s[6:7]
	s_waitcnt vmcnt(0)
	ds_write_b32 v2, v3 offset:128
.LBB196_5:
	s_or_b64 exec, exec, s[2:3]
	s_add_i32 s3, s33, 15
	s_ashr_i32 s6, s3, 31
	s_lshr_b32 s6, s6, 28
	s_add_i32 s3, s3, s6
	s_mul_i32 s6, s20, s10
	s_sub_i32 s6, s11, s6
	s_ashr_i32 s12, s3, 4
	s_xor_b32 s3, s8, s9
	s_add_i32 s7, s20, 1
	s_sub_i32 s8, s6, s10
	s_load_dwordx2 s[22:23], s[0:1], 0x28
	s_load_dword s2, s[0:1], 0x38
	s_cmp_ge_u32 s6, s10
	s_cselect_b32 s7, s7, s20
	s_cselect_b32 s6, s8, s6
	s_add_i32 s8, s7, 1
	s_cmp_ge_u32 s6, s10
	s_cselect_b32 s6, s8, s7
	v_lshrrev_b32_e32 v73, 6, v0
	s_xor_b32 s6, s6, s3
	s_waitcnt lgkmcnt(0)
	s_mul_i32 s24, s2, s16
	s_sub_i32 s19, s6, s3
	s_ashr_i32 s25, s24, 31
	v_cmp_gt_i32_e64 s[6:7], s12, v73
	v_cmp_le_i32_e32 vcc, s12, v73
	v_mbcnt_lo_u32_b32 v42, -1, 0
	s_barrier
                                        ; implicit-def: $vgpr60
                                        ; implicit-def: $vgpr62
                                        ; implicit-def: $vgpr61
	s_and_saveexec_b64 s[2:3], vcc
	s_xor_b64 s[2:3], exec, s[2:3]
; %bb.6:
	v_mbcnt_hi_u32_b32 v60, -1, v42
	v_and_b32_e32 v62, 64, v60
	v_add_u32_e32 v61, 64, v62
                                        ; implicit-def: $vgpr42
; %bb.7:
	s_or_saveexec_b64 s[30:31], s[2:3]
	s_load_dwordx2 s[20:21], s[0:1], 0x0
	s_load_dwordx2 s[26:27], s[0:1], 0x18
	s_load_dwordx4 s[8:11], s[0:1], 0x58
	v_mov_b32_e32 v51, 0xff7fffff
	s_mul_i32 s19, s19, s14
	v_lshrrev_b32_e32 v59, 4, v0
	s_xor_b64 exec, exec, s[30:31]
	s_cbranch_execz .LBB196_13
; %bb.8:
	v_mbcnt_hi_u32_b32 v60, -1, v42
	v_mul_u32_u24_e32 v46, 0xc0, v50
	v_and_b32_e32 v62, 64, v60
	s_load_dwordx2 s[0:1], s[0:1], 0x10
	ds_read_b128 v[2:5], v46
	ds_read_b128 v[6:9], v46 offset:16
	ds_read_b128 v[10:13], v46 offset:32
	;; [unrolled: 1-line block ×9, first 2 shown]
	v_add_u32_e32 v61, 64, v62
	v_xor_b32_e32 v42, 2, v60
	v_cmp_lt_i32_e32 vcc, v42, v61
	s_ashr_i32 s2, s19, 31
	v_bfe_u32 v43, v0, 2, 4
	v_cndmask_b32_e32 v42, v60, v42, vcc
	v_lshlrev_b32_e32 v63, 2, v42
	v_xor_b32_e32 v42, 1, v60
	v_cmp_lt_i32_e32 vcc, v42, v61
	s_waitcnt lgkmcnt(0)
	s_add_u32 s0, s0, s19
	v_lshlrev_b32_e32 v54, 4, v43
	v_cndmask_b32_e32 v42, v60, v42, vcc
	s_addc_u32 s1, s1, s2
	v_mov_b32_e32 v55, 0
	v_lshlrev_b32_e32 v64, 2, v42
	v_lshlrev_b32_e32 v42, 2, v43
	v_lshl_add_u64 v[44:45], s[0:1], 0, v[54:55]
	v_mov_b32_e32 v51, v55
	v_lshl_or_b32 v42, v73, 6, v42
	s_load_dword s35, s[8:9], 0x0
	v_lshl_add_u64 v[52:53], v[44:45], 0, v[50:51]
	v_lshl_or_b32 v65, v73, 4, v43
	v_add_u32_e32 v66, 0x310, v42
	ds_read_b128 v[42:45], v46 offset:160
	ds_read_b128 v[46:49], v46 offset:176
	s_sub_i32 s36, 1, s33
	s_lshl_b64 s[0:1], s[24:25], 2
	s_add_u32 s0, s22, s0
	v_and_b32_e32 v54, 60, v59
	s_addc_u32 s1, s23, s1
	s_mov_b32 s34, s13
	v_cmp_eq_u32_e32 vcc, 0, v50
	v_cmp_neq_f32_e64 s[2:3], s28, 0
	v_lshl_add_u64 v[54:55], s[0:1], 0, v[54:55]
	v_mov_b32_e32 v51, 0xff7fffff
	s_mov_b64 s[8:9], 0
	v_mov_b32_e32 v67, v73
	s_branch .LBB196_10
.LBB196_9:                              ;   in Loop: Header=BB196_10 Depth=1
	s_or_b64 exec, exec, s[14:15]
	v_add_u32_e32 v67, 2, v67
	v_cmp_le_i32_e64 s[0:1], s12, v67
	v_add_u32_e32 v65, 32, v65
	v_add_u32_e32 v66, 0x80, v66
	s_or_b64 s[8:9], s[0:1], s[8:9]
	v_lshl_add_u64 v[54:55], v[54:55], 0, 8
	s_andn2_b64 exec, exec, s[8:9]
	s_cbranch_execz .LBB196_12
.LBB196_10:                             ; =>This Inner Loop Header: Depth=1
	global_load_dword v56, v[54:55], off
	s_waitcnt vmcnt(0) lgkmcnt(0)
	v_mad_i64_i32 v[56:57], s[0:1], v56, s34, v[52:53]
	global_load_ubyte v68, v[56:57], off
	global_load_ubyte v69, v[56:57], off offset:4
	global_load_ubyte v70, v[56:57], off offset:8
	;; [unrolled: 1-line block ×46, first 2 shown]
	s_nop 0
	global_load_ubyte v56, v[56:57], off offset:2828
	s_waitcnt vmcnt(47)
	v_cvt_f32_fp8_e32 v57, v68
	s_waitcnt vmcnt(46)
	v_cvt_f32_fp8_e32 v68, v69
	;; [unrolled: 2-line block ×5, first 2 shown]
	s_waitcnt lgkmcnt(0)
	v_mul_f32_e32 v68, s35, v68
	s_waitcnt vmcnt(42)
	v_cvt_f32_fp8_e32 v74, v75
	v_mul_f32_e32 v57, s35, v57
	v_mul_f32_e32 v68, v3, v68
	s_waitcnt vmcnt(41)
	v_cvt_f32_fp8_e32 v75, v76
	v_mul_f32_e32 v69, s35, v69
	v_fmac_f32_e32 v68, v2, v57
	s_waitcnt vmcnt(40)
	v_cvt_f32_fp8_e32 v76, v77
	v_mul_f32_e32 v70, s35, v70
	v_fmac_f32_e32 v68, v4, v69
	s_waitcnt vmcnt(39)
	v_cvt_f32_fp8_e32 v77, v78
	v_mul_f32_e32 v71, s35, v71
	v_fmac_f32_e32 v68, v5, v70
	s_waitcnt vmcnt(38)
	v_cvt_f32_fp8_e32 v78, v79
	v_mul_f32_e32 v74, s35, v74
	v_fmac_f32_e32 v68, v6, v71
	s_waitcnt vmcnt(37)
	v_cvt_f32_fp8_e32 v79, v80
	v_mul_f32_e32 v75, s35, v75
	v_fmac_f32_e32 v68, v7, v74
	s_waitcnt vmcnt(36)
	v_cvt_f32_fp8_e32 v80, v81
	v_mul_f32_e32 v76, s35, v76
	v_fmac_f32_e32 v68, v8, v75
	s_waitcnt vmcnt(35)
	v_cvt_f32_fp8_e32 v81, v82
	v_mul_f32_e32 v77, s35, v77
	v_fmac_f32_e32 v68, v9, v76
	s_waitcnt vmcnt(34)
	v_cvt_f32_fp8_e32 v82, v83
	v_mul_f32_e32 v78, s35, v78
	v_fmac_f32_e32 v68, v10, v77
	s_waitcnt vmcnt(33)
	v_cvt_f32_fp8_e32 v83, v84
	v_mul_f32_e32 v79, s35, v79
	v_fmac_f32_e32 v68, v11, v78
	s_waitcnt vmcnt(32)
	v_cvt_f32_fp8_e32 v84, v85
	v_mul_f32_e32 v80, s35, v80
	v_fmac_f32_e32 v68, v12, v79
	s_waitcnt vmcnt(31)
	v_cvt_f32_fp8_e32 v85, v86
	v_mul_f32_e32 v81, s35, v81
	v_fmac_f32_e32 v68, v13, v80
	s_waitcnt vmcnt(30)
	v_cvt_f32_fp8_e32 v86, v87
	v_mul_f32_e32 v82, s35, v82
	v_fmac_f32_e32 v68, v14, v81
	s_waitcnt vmcnt(29)
	v_cvt_f32_fp8_e32 v87, v88
	v_mul_f32_e32 v83, s35, v83
	v_fmac_f32_e32 v68, v15, v82
	s_waitcnt vmcnt(28)
	v_cvt_f32_fp8_e32 v88, v89
	v_mul_f32_e32 v84, s35, v84
	v_fmac_f32_e32 v68, v16, v83
	s_waitcnt vmcnt(27)
	v_cvt_f32_fp8_e32 v89, v90
	v_mul_f32_e32 v85, s35, v85
	v_fmac_f32_e32 v68, v17, v84
	s_waitcnt vmcnt(26)
	v_cvt_f32_fp8_e32 v90, v91
	v_mul_f32_e32 v86, s35, v86
	v_fmac_f32_e32 v68, v18, v85
	s_waitcnt vmcnt(25)
	v_cvt_f32_fp8_e32 v91, v92
	v_mul_f32_e32 v87, s35, v87
	v_fmac_f32_e32 v68, v19, v86
	s_waitcnt vmcnt(24)
	v_cvt_f32_fp8_e32 v92, v93
	v_mul_f32_e32 v88, s35, v88
	v_fmac_f32_e32 v68, v20, v87
	s_waitcnt vmcnt(23)
	v_cvt_f32_fp8_e32 v93, v94
	v_mul_f32_e32 v89, s35, v89
	v_fmac_f32_e32 v68, v21, v88
	s_waitcnt vmcnt(22)
	v_cvt_f32_fp8_e32 v94, v95
	v_mul_f32_e32 v90, s35, v90
	v_fmac_f32_e32 v68, v22, v89
	s_waitcnt vmcnt(21)
	v_cvt_f32_fp8_e32 v95, v96
	v_mul_f32_e32 v91, s35, v91
	v_fmac_f32_e32 v68, v23, v90
	s_waitcnt vmcnt(20)
	v_cvt_f32_fp8_e32 v96, v97
	v_mul_f32_e32 v92, s35, v92
	v_fmac_f32_e32 v68, v24, v91
	s_waitcnt vmcnt(19)
	v_cvt_f32_fp8_e32 v97, v98
	v_mul_f32_e32 v93, s35, v93
	v_fmac_f32_e32 v68, v25, v92
	s_waitcnt vmcnt(18)
	v_cvt_f32_fp8_e32 v98, v99
	v_mul_f32_e32 v94, s35, v94
	v_fmac_f32_e32 v68, v26, v93
	s_waitcnt vmcnt(17)
	v_cvt_f32_fp8_e32 v99, v100
	v_mul_f32_e32 v95, s35, v95
	v_fmac_f32_e32 v68, v27, v94
	s_waitcnt vmcnt(16)
	v_cvt_f32_fp8_e32 v100, v101
	v_mul_f32_e32 v96, s35, v96
	v_fmac_f32_e32 v68, v28, v95
	s_waitcnt vmcnt(15)
	v_cvt_f32_fp8_e32 v101, v102
	v_mul_f32_e32 v97, s35, v97
	v_fmac_f32_e32 v68, v29, v96
	s_waitcnt vmcnt(14)
	v_cvt_f32_fp8_e32 v102, v103
	v_mul_f32_e32 v98, s35, v98
	v_fmac_f32_e32 v68, v30, v97
	s_waitcnt vmcnt(13)
	v_cvt_f32_fp8_e32 v103, v104
	v_mul_f32_e32 v99, s35, v99
	v_fmac_f32_e32 v68, v31, v98
	s_waitcnt vmcnt(12)
	v_cvt_f32_fp8_e32 v104, v105
	v_mul_f32_e32 v100, s35, v100
	v_fmac_f32_e32 v68, v32, v99
	s_waitcnt vmcnt(11)
	v_cvt_f32_fp8_e32 v105, v106
	v_mul_f32_e32 v101, s35, v101
	v_fmac_f32_e32 v68, v33, v100
	s_waitcnt vmcnt(10)
	v_cvt_f32_fp8_e32 v106, v107
	v_mul_f32_e32 v102, s35, v102
	v_fmac_f32_e32 v68, v34, v101
	s_waitcnt vmcnt(9)
	v_cvt_f32_fp8_e32 v107, v108
	v_mul_f32_e32 v103, s35, v103
	v_fmac_f32_e32 v68, v35, v102
	s_waitcnt vmcnt(8)
	v_cvt_f32_fp8_e32 v108, v109
	v_mul_f32_e32 v104, s35, v104
	v_fmac_f32_e32 v68, v36, v103
	s_waitcnt vmcnt(7)
	v_cvt_f32_fp8_e32 v109, v110
	v_mul_f32_e32 v105, s35, v105
	v_fmac_f32_e32 v68, v37, v104
	s_waitcnt vmcnt(6)
	v_cvt_f32_fp8_e32 v110, v111
	v_mul_f32_e32 v106, s35, v106
	v_fmac_f32_e32 v68, v38, v105
	s_waitcnt vmcnt(5)
	v_cvt_f32_fp8_e32 v111, v112
	v_mul_f32_e32 v107, s35, v107
	v_fmac_f32_e32 v68, v39, v106
	s_waitcnt vmcnt(4)
	v_cvt_f32_fp8_e32 v112, v113
	v_mul_f32_e32 v108, s35, v108
	v_fmac_f32_e32 v68, v40, v107
	s_waitcnt vmcnt(3)
	v_cvt_f32_fp8_e32 v113, v114
	v_mul_f32_e32 v109, s35, v109
	v_fmac_f32_e32 v68, v41, v108
	s_waitcnt vmcnt(2)
	v_cvt_f32_fp8_e32 v114, v115
	v_mul_f32_e32 v110, s35, v110
	v_fmac_f32_e32 v68, v42, v109
	s_waitcnt vmcnt(1)
	v_cvt_f32_fp8_e32 v115, v116
	v_mul_f32_e32 v111, s35, v111
	v_fmac_f32_e32 v68, v43, v110
	s_waitcnt vmcnt(0)
	v_cvt_f32_fp8_e32 v56, v56
	v_mul_f32_e32 v112, s35, v112
	v_fmac_f32_e32 v68, v44, v111
	v_mul_f32_e32 v113, s35, v113
	v_fmac_f32_e32 v68, v45, v112
	v_mul_f32_e32 v114, s35, v114
	v_fmac_f32_e32 v68, v46, v113
	;; [unrolled: 2-line block ×4, first 2 shown]
	v_fmac_f32_e32 v68, v49, v56
	ds_bpermute_b32 v56, v63, v68
	s_waitcnt lgkmcnt(0)
	v_add_f32_e32 v56, v68, v56
	ds_bpermute_b32 v57, v64, v56
	s_and_saveexec_b64 s[14:15], vcc
	s_cbranch_execz .LBB196_9
; %bb.11:                               ;   in Loop: Header=BB196_10 Depth=1
	v_add_u32_e32 v68, s36, v65
	v_cvt_f32_i32_e32 v68, v68
	s_waitcnt lgkmcnt(0)
	v_add_f32_e32 v56, v56, v57
	v_cmp_gt_i32_e64 s[0:1], s33, v65
	v_max_f32_e32 v57, v51, v51
	v_mul_f32_e32 v68, s28, v68
	v_cndmask_b32_e64 v68, 0, v68, s[2:3]
	v_fmac_f32_e32 v68, s29, v56
	v_cndmask_b32_e64 v56, 0, v68, s[0:1]
	ds_write_b32 v66, v56
	v_max_f32_e32 v56, v57, v68
	v_cndmask_b32_e64 v51, v51, v56, s[0:1]
	s_branch .LBB196_9
.LBB196_12:
	s_or_b64 exec, exec, s[8:9]
.LBB196_13:
	s_or_b64 exec, exec, s[30:31]
	v_xor_b32_e32 v2, 32, v60
	v_cmp_lt_i32_e32 vcc, v2, v61
	v_xor_b32_e32 v5, 16, v60
	v_max_f32_e32 v4, v51, v51
	v_cndmask_b32_e32 v2, v60, v2, vcc
	v_lshlrev_b32_e32 v2, 2, v2
	ds_bpermute_b32 v3, v2, v51
	v_cmp_lt_i32_e32 vcc, v5, v61
	v_xor_b32_e32 v6, 8, v60
	v_xor_b32_e32 v7, 4, v60
	v_and_b32_e32 v51, 63, v0
	s_waitcnt lgkmcnt(0)
	v_max_f32_e32 v3, v3, v3
	v_max_f32_e32 v4, v4, v3
	v_cndmask_b32_e32 v3, v60, v5, vcc
	v_lshlrev_b32_e32 v3, 2, v3
	ds_bpermute_b32 v5, v3, v4
	v_cmp_lt_i32_e32 vcc, v6, v61
	s_waitcnt lgkmcnt(0)
	v_max_f32_e32 v5, v5, v5
	v_max_f32_e32 v4, v4, v5
	v_cndmask_b32_e32 v5, v60, v6, vcc
	v_lshlrev_b32_e32 v6, 2, v5
	ds_bpermute_b32 v5, v6, v4
	v_cmp_lt_i32_e32 vcc, v7, v61
	s_waitcnt lgkmcnt(0)
	v_max_f32_e32 v5, v5, v5
	v_max_f32_e32 v5, v4, v5
	v_cndmask_b32_e32 v4, v60, v7, vcc
	v_lshlrev_b32_e32 v7, 2, v4
	ds_bpermute_b32 v8, v7, v5
	v_cmp_eq_u32_e32 vcc, 0, v51
	v_lshlrev_b32_e32 v4, 2, v73
	s_and_saveexec_b64 s[0:1], vcc
	s_cbranch_execz .LBB196_15
; %bb.14:
	s_waitcnt lgkmcnt(0)
	v_max_f32_e32 v8, v8, v8
	v_max_f32_e32 v5, v5, v5
	;; [unrolled: 1-line block ×3, first 2 shown]
	ds_write_b32 v4, v5 offset:768
.LBB196_15:
	s_or_b64 exec, exec, s[0:1]
	v_cmp_gt_u32_e64 s[0:1], 2, v51
	s_waitcnt lgkmcnt(0)
	v_mov_b32_e32 v8, 0xff7fffff
	v_lshlrev_b32_e32 v5, 2, v51
	s_barrier
	s_and_saveexec_b64 s[2:3], s[0:1]
; %bb.16:
	ds_read_b32 v8, v5 offset:768
; %bb.17:
	s_or_b64 exec, exec, s[2:3]
	v_xor_b32_e32 v9, 1, v60
	v_cmp_lt_i32_e64 s[2:3], v9, v61
	s_nop 1
	v_cndmask_b32_e64 v9, v60, v9, s[2:3]
	v_lshlrev_b32_e32 v74, 2, v9
	s_waitcnt lgkmcnt(0)
	ds_bpermute_b32 v9, v74, v8
	v_max_f32_e32 v8, v8, v8
	s_lshl_b32 s2, s12, 4
	s_min_i32 s30, s2, s33
	v_cmp_gt_i32_e64 s[2:3], s30, v0
	s_waitcnt lgkmcnt(0)
	v_max_f32_e32 v9, v9, v9
	v_max_f32_e32 v8, v8, v9
	v_lshlrev_b32_e32 v9, 2, v62
	ds_bpermute_b32 v9, v9, v8
	v_mov_b32_e32 v8, 0
	s_and_saveexec_b64 s[14:15], s[2:3]
	s_cbranch_execz .LBB196_21
; %bb.18:
	v_mov_b32_e32 v8, 0x310
	v_lshl_add_u32 v10, v0, 2, v8
	v_mov_b32_e32 v8, 0
	s_mov_b64 s[28:29], 0
	v_mov_b32_e32 v11, v0
.LBB196_19:                             ; =>This Inner Loop Header: Depth=1
	ds_read_b32 v12, v10
	v_add_u32_e32 v11, 0x80, v11
	v_cmp_le_i32_e64 s[8:9], s30, v11
	s_or_b64 s[28:29], s[8:9], s[28:29]
	s_waitcnt lgkmcnt(0)
	v_sub_f32_e32 v12, v12, v9
	v_mul_f32_e32 v12, 0x3fb8aa3b, v12
	v_exp_f32_e32 v12, v12
	ds_write_b32 v10, v12
	v_add_f32_e32 v8, v8, v12
	v_add_u32_e32 v10, 0x200, v10
	s_andn2_b64 exec, exec, s[28:29]
	s_cbranch_execnz .LBB196_19
; %bb.20:
	s_or_b64 exec, exec, s[28:29]
.LBB196_21:
	s_or_b64 exec, exec, s[14:15]
	ds_bpermute_b32 v2, v2, v8
	s_waitcnt lgkmcnt(0)
	v_add_f32_e32 v2, v8, v2
	ds_bpermute_b32 v3, v3, v2
	s_waitcnt lgkmcnt(0)
	v_add_f32_e32 v2, v2, v3
	ds_bpermute_b32 v3, v6, v2
	v_xor_b32_e32 v6, 2, v60
	v_cmp_lt_i32_e64 s[8:9], v6, v61
	s_waitcnt lgkmcnt(0)
	v_add_f32_e32 v2, v2, v3
	ds_bpermute_b32 v3, v7, v2
	v_cndmask_b32_e64 v6, v60, v6, s[8:9]
	v_lshlrev_b32_e32 v75, 2, v6
	s_waitcnt lgkmcnt(0)
	v_add_f32_e32 v2, v2, v3
	ds_bpermute_b32 v3, v75, v2
	s_waitcnt lgkmcnt(0)
	v_add_f32_e32 v2, v2, v3
	ds_bpermute_b32 v3, v74, v2
	s_waitcnt lgkmcnt(0)
	v_add_f32_e32 v2, v2, v3
	s_and_saveexec_b64 s[8:9], vcc
; %bb.22:
	ds_write_b32 v4, v2 offset:776
; %bb.23:
	s_or_b64 exec, exec, s[8:9]
	s_waitcnt lgkmcnt(0)
	s_barrier
	s_and_saveexec_b64 s[8:9], s[0:1]
; %bb.24:
	ds_read_b32 v2, v5 offset:776
; %bb.25:
	s_or_b64 exec, exec, s[8:9]
	s_waitcnt lgkmcnt(0)
	ds_bpermute_b32 v3, v74, v2
	v_lshlrev_b32_e32 v4, 2, v60
	s_waitcnt lgkmcnt(0)
	v_add_f32_e32 v2, v2, v3
	v_and_b32_e32 v3, 0xffffff00, v4
	ds_bpermute_b32 v2, v3, v2
	s_and_saveexec_b64 s[0:1], s[2:3]
	s_cbranch_execz .LBB196_38
; %bb.26:
	s_waitcnt lgkmcnt(0)
	v_add_f32_e32 v2, 0x358637bd, v2
	v_div_scale_f32 v3, s[2:3], v2, v2, 1.0
	v_rcp_f32_e32 v4, v3
	v_div_scale_f32 v5, vcc, 1.0, v2, 1.0
	s_movk_i32 s2, 0x7f
	v_fma_f32 v6, -v3, v4, 1.0
	v_fmac_f32_e32 v4, v6, v4
	v_mul_f32_e32 v6, v5, v4
	v_fma_f32 v7, -v3, v6, v5
	v_fmac_f32_e32 v6, v7, v4
	v_fma_f32 v3, -v3, v6, v5
	v_div_fmas_f32 v3, v3, v4, v6
	v_xad_u32 v4, v0, -1, s30
	v_div_fixup_f32 v2, v3, v2, 1.0
	v_cmp_lt_u32_e32 vcc, s2, v4
	s_mov_b64 s[8:9], -1
	v_mov_b32_e32 v3, v0
	s_and_saveexec_b64 s[2:3], vcc
	s_cbranch_execz .LBB196_35
; %bb.27:
	v_lshrrev_b32_e32 v4, 7, v4
	v_add_u32_e32 v6, -1, v4
	v_lshrrev_b32_e32 v5, 1, v6
	v_mov_b32_e32 v3, v2
	v_add_u32_e32 v5, 1, v5
	v_cmp_lt_u32_e32 vcc, 13, v6
	v_mov_b32_e32 v8, 0
	s_and_saveexec_b64 s[8:9], vcc
	s_cbranch_execz .LBB196_31
; %bb.28:
	v_mov_b32_e32 v7, 0x310
	v_and_b32_e32 v6, -8, v5
	v_lshl_add_u32 v7, v0, 2, v7
	s_mov_b32 s28, 0
	s_mov_b64 s[14:15], 0
.LBB196_29:                             ; =>This Inner Loop Header: Depth=1
	ds_read2st64_b32 v[8:9], v7 offset1:2
	ds_read2st64_b32 v[10:11], v7 offset0:4 offset1:6
	ds_read2st64_b32 v[12:13], v7 offset0:8 offset1:10
	;; [unrolled: 1-line block ×3, first 2 shown]
	v_add_u32_e32 v6, -8, v6
	s_waitcnt lgkmcnt(3)
	v_pk_mul_f32 v[8:9], v[2:3], v[8:9]
	s_waitcnt lgkmcnt(2)
	v_pk_mul_f32 v[10:11], v[2:3], v[10:11]
	ds_write2st64_b32 v7, v8, v9 offset1:2
	ds_write2st64_b32 v7, v10, v11 offset0:4 offset1:6
	ds_read2st64_b32 v[10:11], v7 offset0:16 offset1:18
	s_waitcnt lgkmcnt(4)
	v_pk_mul_f32 v[8:9], v[2:3], v[12:13]
	ds_write2st64_b32 v7, v8, v9 offset0:8 offset1:10
	s_waitcnt lgkmcnt(4)
	v_pk_mul_f32 v[8:9], v[2:3], v[14:15]
	ds_write2st64_b32 v7, v8, v9 offset0:12 offset1:14
	ds_read2st64_b32 v[8:9], v7 offset0:20 offset1:22
	s_waitcnt lgkmcnt(3)
	v_pk_mul_f32 v[10:11], v[2:3], v[10:11]
	ds_read2st64_b32 v[12:13], v7 offset0:24 offset1:26
	ds_write2st64_b32 v7, v10, v11 offset0:16 offset1:18
	ds_read2st64_b32 v[10:11], v7 offset0:28 offset1:30
	s_waitcnt lgkmcnt(3)
	v_pk_mul_f32 v[8:9], v[2:3], v[8:9]
	ds_write2st64_b32 v7, v8, v9 offset0:20 offset1:22
	s_waitcnt lgkmcnt(3)
	v_pk_mul_f32 v[8:9], v[2:3], v[12:13]
	ds_write2st64_b32 v7, v8, v9 offset0:24 offset1:26
	s_waitcnt lgkmcnt(2)
	v_pk_mul_f32 v[8:9], v[2:3], v[10:11]
	s_add_i32 s28, s28, 16
	v_cmp_eq_u32_e32 vcc, 0, v6
	ds_write2st64_b32 v7, v8, v9 offset0:28 offset1:30
	v_add_u32_e32 v7, 0x2000, v7
	s_or_b64 s[14:15], vcc, s[14:15]
	v_mov_b32_e32 v8, s28
	s_andn2_b64 exec, exec, s[14:15]
	s_cbranch_execnz .LBB196_29
; %bb.30:
	s_or_b64 exec, exec, s[14:15]
.LBB196_31:
	s_or_b64 exec, exec, s[8:9]
	v_and_b32_e32 v5, 7, v5
	v_cmp_ne_u32_e32 vcc, 0, v5
	s_and_saveexec_b64 s[8:9], vcc
	s_cbranch_execz .LBB196_34
; %bb.32:
	v_lshlrev_b32_e32 v6, 9, v8
	s_movk_i32 s14, 0x310
	v_add3_u32 v6, v6, v58, s14
	s_mov_b64 s[14:15], 0
.LBB196_33:                             ; =>This Inner Loop Header: Depth=1
	ds_read2st64_b32 v[8:9], v6 offset1:2
	v_add_u32_e32 v5, -1, v5
	v_cmp_eq_u32_e32 vcc, 0, v5
	s_or_b64 s[14:15], vcc, s[14:15]
	s_waitcnt lgkmcnt(0)
	v_pk_mul_f32 v[8:9], v[2:3], v[8:9]
	ds_write2st64_b32 v6, v8, v9 offset1:2
	v_add_u32_e32 v6, 0x400, v6
	s_andn2_b64 exec, exec, s[14:15]
	s_cbranch_execnz .LBB196_33
.LBB196_34:
	s_or_b64 exec, exec, s[8:9]
	v_add_u32_e32 v4, 1, v4
	v_and_b32_e32 v5, 0x3fffffe, v4
	v_cmp_ne_u32_e32 vcc, v4, v5
	v_lshl_add_u32 v3, v5, 7, v0
	s_orn2_b64 s[8:9], vcc, exec
.LBB196_35:
	s_or_b64 exec, exec, s[2:3]
	s_and_b64 exec, exec, s[8:9]
	s_cbranch_execz .LBB196_38
; %bb.36:
	v_mov_b32_e32 v4, 0x310
	v_lshl_add_u32 v4, v3, 2, v4
	s_mov_b64 s[2:3], 0
.LBB196_37:                             ; =>This Inner Loop Header: Depth=1
	ds_read_b32 v5, v4
	v_add_u32_e32 v3, 0x80, v3
	v_cmp_le_i32_e32 vcc, s30, v3
	s_or_b64 s[2:3], vcc, s[2:3]
	s_waitcnt lgkmcnt(0)
	v_mul_f32_e32 v5, v2, v5
	ds_write_b32 v4, v5
	v_add_u32_e32 v4, 0x200, v4
	s_andn2_b64 exec, exec, s[2:3]
	s_cbranch_execnz .LBB196_37
.LBB196_38:
	s_or_b64 exec, exec, s[0:1]
	v_mov_b32_e32 v7, 0
	v_mov_b32_e32 v6, 0
	;; [unrolled: 1-line block ×12, first 2 shown]
	s_waitcnt lgkmcnt(0)
	s_barrier
	s_and_saveexec_b64 s[2:3], s[6:7]
	s_cbranch_execz .LBB196_66
; %bb.39:
	s_ashr_i32 s1, s19, 31
	s_load_dword s6, s[10:11], 0x0
	s_add_u32 s0, s26, s19
	s_addc_u32 s1, s27, s1
	v_and_b32_e32 v6, 0xfc, v58
	v_mov_b32_e32 v7, 0
	v_and_b32_e32 v2, 12, v58
	s_add_i32 s14, s12, -1
	v_lshl_add_u64 v[18:19], s[0:1], 0, v[6:7]
	s_lshl_b64 s[0:1], s[24:25], 2
	v_lshl_or_b32 v76, v73, 4, v2
	v_lshlrev_b32_e32 v2, 4, v50
	s_add_u32 s0, s22, s0
	v_lshl_or_b32 v2, v73, 6, v2
	v_and_b32_e32 v6, 60, v59
	s_addc_u32 s1, s23, s1
	s_waitcnt lgkmcnt(0)
	s_mov_b32 s7, s6
	s_mov_b32 s15, s33
	v_add_u32_e32 v77, 0x310, v2
	v_lshl_add_u64 v[20:21], s[0:1], 0, v[6:7]
	s_mov_b64 s[8:9], 0
	v_mov_b32_e32 v6, v7
	v_mov_b32_e32 v9, v7
	;; [unrolled: 1-line block ×11, first 2 shown]
	s_branch .LBB196_41
.LBB196_40:                             ;   in Loop: Header=BB196_41 Depth=1
	s_or_b64 exec, exec, s[0:1]
	s_waitcnt lgkmcnt(0)
	v_mul_f32_e32 v70, v2, v70
	v_mul_f32_e32 v64, v2, v64
	;; [unrolled: 1-line block ×11, first 2 shown]
	v_fmac_f32_e32 v70, v3, v71
	v_fmac_f32_e32 v64, v3, v65
	;; [unrolled: 1-line block ×22, first 2 shown]
	v_pk_mul_f32 v[2:3], v[2:3], v[66:67]
	v_fmac_f32_e32 v70, v5, v69
	v_fmac_f32_e32 v64, v5, v63
	;; [unrolled: 1-line block ×11, first 2 shown]
	v_pk_mul_f32 v[4:5], v[4:5], v[34:35]
	v_add_f32_e32 v2, v3, v2
	v_add_f32_e32 v2, v4, v2
	v_add_u32_e32 v73, 2, v73
	v_add_f32_e32 v2, v5, v2
	v_cmp_le_i32_e32 vcc, s12, v73
	v_add_f32_e32 v6, v6, v70
	v_add_f32_e32 v9, v9, v64
	;; [unrolled: 1-line block ×12, first 2 shown]
	v_add_u32_e32 v76, 32, v76
	v_add_u32_e32 v77, 0x80, v77
	s_or_b64 s[8:9], vcc, s[8:9]
	v_lshl_add_u64 v[20:21], v[20:21], 0, 8
	s_andn2_b64 exec, exec, s[8:9]
	s_cbranch_execz .LBB196_65
.LBB196_41:                             ; =>This Inner Loop Header: Depth=1
	global_load_dword v2, v[20:21], off
	v_cmp_eq_u32_e32 vcc, s14, v73
	v_add_u32_e32 v78, 1, v76
	v_add_u32_e32 v66, 2, v76
	;; [unrolled: 1-line block ×3, first 2 shown]
	s_waitcnt vmcnt(0)
	v_mad_i64_i32 v[34:35], s[0:1], v2, s13, v[18:19]
	global_load_dword v22, v[34:35], off
	ds_read_b128 v[2:5], v77
	s_waitcnt vmcnt(0)
	v_and_b32_e32 v23, 0xffff, v22
	v_lshrrev_b32_e32 v24, 16, v22
	v_cvt_pk_f32_fp8_e32 v[22:23], v23
	v_cvt_pk_f32_fp8_e32 v[26:27], v24
	v_pk_mul_f32 v[24:25], s[6:7], v[22:23]
	v_pk_mul_f32 v[22:23], s[6:7], v[26:27]
	s_and_saveexec_b64 s[10:11], vcc
; %bb.42:                               ;   in Loop: Header=BB196_41 Depth=1
	v_cmp_gt_i32_e64 s[0:1], s33, v76
	s_nop 1
	v_cndmask_b32_e64 v24, 0, v24, s[0:1]
	v_cmp_gt_i32_e64 s[0:1], s33, v78
	s_nop 1
	v_cndmask_b32_e64 v25, 0, v25, s[0:1]
	v_cmp_gt_i32_e64 s[0:1], s33, v66
	s_nop 1
	v_cndmask_b32_e64 v22, 0, v22, s[0:1]
	v_cmp_gt_i32_e64 s[0:1], s33, v67
	s_nop 1
	v_cndmask_b32_e64 v23, 0, v23, s[0:1]
; %bb.43:                               ;   in Loop: Header=BB196_41 Depth=1
	s_or_b64 exec, exec, s[10:11]
	global_load_dword v26, v[34:35], off offset:256
	s_waitcnt vmcnt(0)
	v_and_b32_e32 v27, 0xffff, v26
	v_lshrrev_b32_e32 v28, 16, v26
	v_cvt_pk_f32_fp8_e32 v[26:27], v27
	v_cvt_pk_f32_fp8_e32 v[30:31], v28
	v_pk_mul_f32 v[28:29], s[6:7], v[26:27]
	v_pk_mul_f32 v[26:27], s[6:7], v[30:31]
	s_and_saveexec_b64 s[10:11], vcc
; %bb.44:                               ;   in Loop: Header=BB196_41 Depth=1
	v_cmp_gt_i32_e64 s[0:1], s33, v76
	s_nop 1
	v_cndmask_b32_e64 v28, 0, v28, s[0:1]
	v_cmp_gt_i32_e64 s[0:1], s33, v78
	s_nop 1
	v_cndmask_b32_e64 v29, 0, v29, s[0:1]
	v_cmp_gt_i32_e64 s[0:1], s33, v66
	s_nop 1
	v_cndmask_b32_e64 v26, 0, v26, s[0:1]
	v_cmp_gt_i32_e64 s[0:1], s33, v67
	s_nop 1
	v_cndmask_b32_e64 v27, 0, v27, s[0:1]
; %bb.45:                               ;   in Loop: Header=BB196_41 Depth=1
	s_or_b64 exec, exec, s[10:11]
	global_load_dword v30, v[34:35], off offset:512
	;; [unrolled: 24-line block ×11, first 2 shown]
	s_waitcnt vmcnt(0)
	v_and_b32_e32 v35, 0xffff, v34
	v_lshrrev_b32_e32 v66, 16, v34
	v_cvt_pk_f32_fp8_e32 v[34:35], v35
	v_cvt_pk_f32_fp8_e32 v[80:81], v66
	v_pk_mul_f32 v[66:67], s[6:7], v[34:35]
	v_pk_mul_f32 v[34:35], s[6:7], v[80:81]
	s_and_saveexec_b64 s[0:1], vcc
	s_cbranch_execz .LBB196_40
; %bb.64:                               ;   in Loop: Header=BB196_41 Depth=1
	v_cmp_gt_i32_e32 vcc, s15, v78
	v_or_b32_e32 v78, 3, v76
	v_or_b32_e32 v79, 2, v76
	v_cndmask_b32_e32 v67, 0, v67, vcc
	v_cmp_gt_i32_e32 vcc, s33, v76
	s_nop 1
	v_cndmask_b32_e32 v66, 0, v66, vcc
	v_cmp_gt_i32_e32 vcc, s15, v78
	s_nop 1
	;; [unrolled: 3-line block ×3, first 2 shown]
	v_cndmask_b32_e32 v34, 0, v34, vcc
	s_branch .LBB196_40
.LBB196_65:
	s_or_b64 exec, exec, s[8:9]
.LBB196_66:
	s_or_b64 exec, exec, s[2:3]
	ds_bpermute_b32 v2, v75, v16
	ds_bpermute_b32 v3, v75, v17
	;; [unrolled: 1-line block ×6, first 2 shown]
	s_waitcnt lgkmcnt(4)
	v_pk_add_f32 v[2:3], v[16:17], v[2:3]
	ds_bpermute_b32 v16, v74, v2
	ds_bpermute_b32 v17, v74, v3
	;; [unrolled: 1-line block ×4, first 2 shown]
	s_waitcnt lgkmcnt(4)
	v_pk_add_f32 v[4:5], v[14:15], v[4:5]
	ds_bpermute_b32 v28, v75, v6
	s_waitcnt lgkmcnt(3)
	v_pk_add_f32 v[2:3], v[2:3], v[16:17]
	v_pk_add_f32 v[16:17], v[12:13], v[18:19]
	ds_bpermute_b32 v12, v75, v10
	ds_bpermute_b32 v13, v75, v11
	;; [unrolled: 1-line block ×7, first 2 shown]
	s_waitcnt lgkmcnt(5)
	v_pk_add_f32 v[22:23], v[10:11], v[12:13]
	v_pk_add_f32 v[20:21], v[8:9], v[20:21]
	ds_bpermute_b32 v24, v74, v22
	ds_bpermute_b32 v25, v74, v23
	;; [unrolled: 1-line block ×4, first 2 shown]
	s_waitcnt lgkmcnt(8)
	v_pk_add_f32 v[6:7], v[6:7], v[28:29]
	s_waitcnt lgkmcnt(6)
	v_pk_add_f32 v[12:13], v[4:5], v[14:15]
	ds_bpermute_b32 v14, v74, v6
	ds_bpermute_b32 v15, v74, v7
	s_waitcnt lgkmcnt(6)
	v_pk_add_f32 v[10:11], v[16:17], v[18:19]
	v_and_b32_e32 v16, 0x3c3, v0
	s_waitcnt lgkmcnt(4)
	v_pk_add_f32 v[8:9], v[22:23], v[24:25]
	s_waitcnt lgkmcnt(2)
	v_pk_add_f32 v[4:5], v[20:21], v[26:27]
	v_cmp_ne_u32_e32 vcc, 64, v16
	s_waitcnt lgkmcnt(0)
	s_barrier
	s_and_saveexec_b64 s[0:1], vcc
	s_xor_b64 s[0:1], exec, s[0:1]
; %bb.67:
                                        ; implicit-def: $vgpr51
; %bb.68:
	s_or_saveexec_b64 s[0:1], s[0:1]
	v_pk_add_f32 v[6:7], v[6:7], v[14:15]
	s_xor_b64 exec, exec, s[0:1]
	s_cbranch_execz .LBB196_70
; %bb.69:
	v_add_u32_e32 v14, 0x310, v51
	ds_write2_b32 v14, v2, v3 offset1:16
	ds_write2_b32 v14, v12, v13 offset0:32 offset1:48
	ds_write2_b32 v14, v10, v11 offset0:64 offset1:80
	;; [unrolled: 1-line block ×5, first 2 shown]
.LBB196_70:
	s_or_b64 exec, exec, s[0:1]
	v_cmp_gt_u32_e32 vcc, 64, v0
	s_waitcnt lgkmcnt(0)
	s_barrier
	s_and_saveexec_b64 s[0:1], vcc
	s_cbranch_execz .LBB196_85
; %bb.71:
	v_mov_b32_e32 v0, 0x310
	v_cmp_eq_u32_e32 vcc, 0, v50
	v_lshl_add_u32 v0, v72, 2, v0
	s_and_saveexec_b64 s[2:3], vcc
	s_cbranch_execnz .LBB196_88
; %bb.72:
	s_or_b64 exec, exec, s[2:3]
	s_and_saveexec_b64 s[2:3], vcc
	s_cbranch_execnz .LBB196_89
.LBB196_73:
	s_or_b64 exec, exec, s[2:3]
	s_and_saveexec_b64 s[2:3], vcc
	s_cbranch_execnz .LBB196_90
.LBB196_74:
	s_or_b64 exec, exec, s[2:3]
	s_and_saveexec_b64 s[2:3], vcc
	s_cbranch_execnz .LBB196_91
.LBB196_75:
	s_or_b64 exec, exec, s[2:3]
	s_and_saveexec_b64 s[2:3], vcc
	s_cbranch_execnz .LBB196_92
.LBB196_76:
	s_or_b64 exec, exec, s[2:3]
	s_and_saveexec_b64 s[2:3], vcc
	s_cbranch_execnz .LBB196_93
.LBB196_77:
	s_or_b64 exec, exec, s[2:3]
	s_and_saveexec_b64 s[2:3], vcc
	s_cbranch_execnz .LBB196_94
.LBB196_78:
	s_or_b64 exec, exec, s[2:3]
	s_and_saveexec_b64 s[2:3], vcc
	s_cbranch_execnz .LBB196_95
.LBB196_79:
	s_or_b64 exec, exec, s[2:3]
	s_and_saveexec_b64 s[2:3], vcc
	s_cbranch_execnz .LBB196_96
.LBB196_80:
	s_or_b64 exec, exec, s[2:3]
	s_and_saveexec_b64 s[2:3], vcc
	s_cbranch_execnz .LBB196_97
.LBB196_81:
	s_or_b64 exec, exec, s[2:3]
	s_and_saveexec_b64 s[2:3], vcc
	s_cbranch_execnz .LBB196_98
.LBB196_82:
	s_or_b64 exec, exec, s[2:3]
	s_and_saveexec_b64 s[2:3], vcc
	s_cbranch_execz .LBB196_84
.LBB196_83:
	ds_read_b32 v0, v0 offset:704
	s_waitcnt lgkmcnt(0)
	v_add_f32_e32 v7, v7, v0
.LBB196_84:
	s_or_b64 exec, exec, s[2:3]
.LBB196_85:
	s_or_b64 exec, exec, s[0:1]
	v_cmp_eq_u32_e32 vcc, 0, v16
	s_barrier
	s_and_saveexec_b64 s[0:1], vcc
	s_cbranch_execz .LBB196_87
; %bb.86:
	s_mul_i32 s0, s16, s17
	s_mul_i32 s0, s0, s5
	s_mulk_i32 s0, 0xc0
	s_ashr_i32 s1, s0, 31
	s_lshl_b64 s[0:1], s[0:1], 2
	s_add_u32 s2, s20, s0
	s_mul_i32 s0, s17, s18
	s_addc_u32 s3, s21, s1
	s_ashr_i32 s1, s0, 31
	s_lshl_b64 s[0:1], s[0:1], 2
	s_add_u32 s2, s2, s0
	s_mul_i32 s0, s4, 0xc0
	s_addc_u32 s3, s3, s1
	s_ashr_i32 s1, s0, 31
	s_lshl_b64 s[0:1], s[0:1], 2
	s_add_u32 s0, s2, s0
	s_addc_u32 s1, s3, s1
	global_store_dword v1, v2, s[0:1]
	global_store_dword v1, v3, s[0:1] offset:64
	global_store_dword v1, v12, s[0:1] offset:128
	;; [unrolled: 1-line block ×11, first 2 shown]
.LBB196_87:
	s_endpgm
.LBB196_88:
	ds_read_b32 v14, v0
	s_waitcnt lgkmcnt(0)
	v_add_f32_e32 v2, v2, v14
	s_or_b64 exec, exec, s[2:3]
	s_and_saveexec_b64 s[2:3], vcc
	s_cbranch_execz .LBB196_73
.LBB196_89:
	ds_read_b32 v14, v0 offset:64
	s_waitcnt lgkmcnt(0)
	v_add_f32_e32 v3, v3, v14
	s_or_b64 exec, exec, s[2:3]
	s_and_saveexec_b64 s[2:3], vcc
	s_cbranch_execz .LBB196_74
.LBB196_90:
	ds_read_b32 v14, v0 offset:128
	s_waitcnt lgkmcnt(0)
	v_add_f32_e32 v12, v12, v14
	s_or_b64 exec, exec, s[2:3]
	s_and_saveexec_b64 s[2:3], vcc
	s_cbranch_execz .LBB196_75
.LBB196_91:
	ds_read_b32 v14, v0 offset:192
	s_waitcnt lgkmcnt(0)
	v_add_f32_e32 v13, v13, v14
	s_or_b64 exec, exec, s[2:3]
	s_and_saveexec_b64 s[2:3], vcc
	s_cbranch_execz .LBB196_76
.LBB196_92:
	ds_read_b32 v14, v0 offset:256
	s_waitcnt lgkmcnt(0)
	v_add_f32_e32 v10, v10, v14
	s_or_b64 exec, exec, s[2:3]
	s_and_saveexec_b64 s[2:3], vcc
	s_cbranch_execz .LBB196_77
.LBB196_93:
	ds_read_b32 v14, v0 offset:320
	s_waitcnt lgkmcnt(0)
	v_add_f32_e32 v11, v11, v14
	s_or_b64 exec, exec, s[2:3]
	s_and_saveexec_b64 s[2:3], vcc
	s_cbranch_execz .LBB196_78
.LBB196_94:
	ds_read_b32 v14, v0 offset:384
	s_waitcnt lgkmcnt(0)
	v_add_f32_e32 v8, v8, v14
	s_or_b64 exec, exec, s[2:3]
	s_and_saveexec_b64 s[2:3], vcc
	s_cbranch_execz .LBB196_79
.LBB196_95:
	ds_read_b32 v14, v0 offset:448
	s_waitcnt lgkmcnt(0)
	v_add_f32_e32 v9, v9, v14
	s_or_b64 exec, exec, s[2:3]
	s_and_saveexec_b64 s[2:3], vcc
	s_cbranch_execz .LBB196_80
.LBB196_96:
	ds_read_b32 v14, v0 offset:512
	s_waitcnt lgkmcnt(0)
	v_add_f32_e32 v4, v4, v14
	s_or_b64 exec, exec, s[2:3]
	s_and_saveexec_b64 s[2:3], vcc
	s_cbranch_execz .LBB196_81
.LBB196_97:
	ds_read_b32 v14, v0 offset:576
	s_waitcnt lgkmcnt(0)
	v_add_f32_e32 v5, v5, v14
	s_or_b64 exec, exec, s[2:3]
	s_and_saveexec_b64 s[2:3], vcc
	s_cbranch_execz .LBB196_82
.LBB196_98:
	ds_read_b32 v14, v0 offset:640
	s_waitcnt lgkmcnt(0)
	v_add_f32_e32 v6, v6, v14
	s_or_b64 exec, exec, s[2:3]
	s_and_saveexec_b64 s[2:3], vcc
	s_cbranch_execnz .LBB196_83
	s_branch .LBB196_84
	.section	.rodata,"a",@progbits
	.p2align	6, 0x0
	.amdhsa_kernel _ZN4vllm25paged_attention_v1_kernelIfhLi192ELi16ELi128ELNS_18Fp8KVCacheDataTypeE1ELb0EEEvPT_PKS2_PKT0_S8_ifPKiSA_iPKfiiiSC_SC_iiiii
		.amdhsa_group_segment_fixed_size 784
		.amdhsa_private_segment_fixed_size 0
		.amdhsa_kernarg_size 384
		.amdhsa_user_sgpr_count 2
		.amdhsa_user_sgpr_dispatch_ptr 0
		.amdhsa_user_sgpr_queue_ptr 0
		.amdhsa_user_sgpr_kernarg_segment_ptr 1
		.amdhsa_user_sgpr_dispatch_id 0
		.amdhsa_user_sgpr_kernarg_preload_length 0
		.amdhsa_user_sgpr_kernarg_preload_offset 0
		.amdhsa_user_sgpr_private_segment_size 0
		.amdhsa_uses_dynamic_stack 0
		.amdhsa_enable_private_segment 0
		.amdhsa_system_sgpr_workgroup_id_x 1
		.amdhsa_system_sgpr_workgroup_id_y 1
		.amdhsa_system_sgpr_workgroup_id_z 1
		.amdhsa_system_sgpr_workgroup_info 0
		.amdhsa_system_vgpr_workitem_id 0
		.amdhsa_next_free_vgpr 117
		.amdhsa_next_free_sgpr 37
		.amdhsa_accum_offset 120
		.amdhsa_reserve_vcc 1
		.amdhsa_float_round_mode_32 0
		.amdhsa_float_round_mode_16_64 0
		.amdhsa_float_denorm_mode_32 3
		.amdhsa_float_denorm_mode_16_64 3
		.amdhsa_dx10_clamp 1
		.amdhsa_ieee_mode 1
		.amdhsa_fp16_overflow 0
		.amdhsa_tg_split 0
		.amdhsa_exception_fp_ieee_invalid_op 0
		.amdhsa_exception_fp_denorm_src 0
		.amdhsa_exception_fp_ieee_div_zero 0
		.amdhsa_exception_fp_ieee_overflow 0
		.amdhsa_exception_fp_ieee_underflow 0
		.amdhsa_exception_fp_ieee_inexact 0
		.amdhsa_exception_int_div_zero 0
	.end_amdhsa_kernel
	.section	.text._ZN4vllm25paged_attention_v1_kernelIfhLi192ELi16ELi128ELNS_18Fp8KVCacheDataTypeE1ELb0EEEvPT_PKS2_PKT0_S8_ifPKiSA_iPKfiiiSC_SC_iiiii,"axG",@progbits,_ZN4vllm25paged_attention_v1_kernelIfhLi192ELi16ELi128ELNS_18Fp8KVCacheDataTypeE1ELb0EEEvPT_PKS2_PKT0_S8_ifPKiSA_iPKfiiiSC_SC_iiiii,comdat
.Lfunc_end196:
	.size	_ZN4vllm25paged_attention_v1_kernelIfhLi192ELi16ELi128ELNS_18Fp8KVCacheDataTypeE1ELb0EEEvPT_PKS2_PKT0_S8_ifPKiSA_iPKfiiiSC_SC_iiiii, .Lfunc_end196-_ZN4vllm25paged_attention_v1_kernelIfhLi192ELi16ELi128ELNS_18Fp8KVCacheDataTypeE1ELb0EEEvPT_PKS2_PKT0_S8_ifPKiSA_iPKfiiiSC_SC_iiiii
                                        ; -- End function
	.set _ZN4vllm25paged_attention_v1_kernelIfhLi192ELi16ELi128ELNS_18Fp8KVCacheDataTypeE1ELb0EEEvPT_PKS2_PKT0_S8_ifPKiSA_iPKfiiiSC_SC_iiiii.num_vgpr, 117
	.set _ZN4vllm25paged_attention_v1_kernelIfhLi192ELi16ELi128ELNS_18Fp8KVCacheDataTypeE1ELb0EEEvPT_PKS2_PKT0_S8_ifPKiSA_iPKfiiiSC_SC_iiiii.num_agpr, 0
	.set _ZN4vllm25paged_attention_v1_kernelIfhLi192ELi16ELi128ELNS_18Fp8KVCacheDataTypeE1ELb0EEEvPT_PKS2_PKT0_S8_ifPKiSA_iPKfiiiSC_SC_iiiii.numbered_sgpr, 37
	.set _ZN4vllm25paged_attention_v1_kernelIfhLi192ELi16ELi128ELNS_18Fp8KVCacheDataTypeE1ELb0EEEvPT_PKS2_PKT0_S8_ifPKiSA_iPKfiiiSC_SC_iiiii.num_named_barrier, 0
	.set _ZN4vllm25paged_attention_v1_kernelIfhLi192ELi16ELi128ELNS_18Fp8KVCacheDataTypeE1ELb0EEEvPT_PKS2_PKT0_S8_ifPKiSA_iPKfiiiSC_SC_iiiii.private_seg_size, 0
	.set _ZN4vllm25paged_attention_v1_kernelIfhLi192ELi16ELi128ELNS_18Fp8KVCacheDataTypeE1ELb0EEEvPT_PKS2_PKT0_S8_ifPKiSA_iPKfiiiSC_SC_iiiii.uses_vcc, 1
	.set _ZN4vllm25paged_attention_v1_kernelIfhLi192ELi16ELi128ELNS_18Fp8KVCacheDataTypeE1ELb0EEEvPT_PKS2_PKT0_S8_ifPKiSA_iPKfiiiSC_SC_iiiii.uses_flat_scratch, 0
	.set _ZN4vllm25paged_attention_v1_kernelIfhLi192ELi16ELi128ELNS_18Fp8KVCacheDataTypeE1ELb0EEEvPT_PKS2_PKT0_S8_ifPKiSA_iPKfiiiSC_SC_iiiii.has_dyn_sized_stack, 0
	.set _ZN4vllm25paged_attention_v1_kernelIfhLi192ELi16ELi128ELNS_18Fp8KVCacheDataTypeE1ELb0EEEvPT_PKS2_PKT0_S8_ifPKiSA_iPKfiiiSC_SC_iiiii.has_recursion, 0
	.set _ZN4vllm25paged_attention_v1_kernelIfhLi192ELi16ELi128ELNS_18Fp8KVCacheDataTypeE1ELb0EEEvPT_PKS2_PKT0_S8_ifPKiSA_iPKfiiiSC_SC_iiiii.has_indirect_call, 0
	.section	.AMDGPU.csdata,"",@progbits
; Kernel info:
; codeLenInByte = 6960
; TotalNumSgprs: 43
; NumVgprs: 117
; NumAgprs: 0
; TotalNumVgprs: 117
; ScratchSize: 0
; MemoryBound: 0
; FloatMode: 240
; IeeeMode: 1
; LDSByteSize: 784 bytes/workgroup (compile time only)
; SGPRBlocks: 5
; VGPRBlocks: 14
; NumSGPRsForWavesPerEU: 43
; NumVGPRsForWavesPerEU: 117
; AccumOffset: 120
; Occupancy: 4
; WaveLimiterHint : 1
; COMPUTE_PGM_RSRC2:SCRATCH_EN: 0
; COMPUTE_PGM_RSRC2:USER_SGPR: 2
; COMPUTE_PGM_RSRC2:TRAP_HANDLER: 0
; COMPUTE_PGM_RSRC2:TGID_X_EN: 1
; COMPUTE_PGM_RSRC2:TGID_Y_EN: 1
; COMPUTE_PGM_RSRC2:TGID_Z_EN: 1
; COMPUTE_PGM_RSRC2:TIDIG_COMP_CNT: 0
; COMPUTE_PGM_RSRC3_GFX90A:ACCUM_OFFSET: 29
; COMPUTE_PGM_RSRC3_GFX90A:TG_SPLIT: 0
	.section	.text._ZN4vllm25paged_attention_v1_kernelIfhLi256ELi16ELi128ELNS_18Fp8KVCacheDataTypeE1ELb0EEEvPT_PKS2_PKT0_S8_ifPKiSA_iPKfiiiSC_SC_iiiii,"axG",@progbits,_ZN4vllm25paged_attention_v1_kernelIfhLi256ELi16ELi128ELNS_18Fp8KVCacheDataTypeE1ELb0EEEvPT_PKS2_PKT0_S8_ifPKiSA_iPKfiiiSC_SC_iiiii,comdat
	.protected	_ZN4vllm25paged_attention_v1_kernelIfhLi256ELi16ELi128ELNS_18Fp8KVCacheDataTypeE1ELb0EEEvPT_PKS2_PKT0_S8_ifPKiSA_iPKfiiiSC_SC_iiiii ; -- Begin function _ZN4vllm25paged_attention_v1_kernelIfhLi256ELi16ELi128ELNS_18Fp8KVCacheDataTypeE1ELb0EEEvPT_PKS2_PKT0_S8_ifPKiSA_iPKfiiiSC_SC_iiiii
	.globl	_ZN4vllm25paged_attention_v1_kernelIfhLi256ELi16ELi128ELNS_18Fp8KVCacheDataTypeE1ELb0EEEvPT_PKS2_PKT0_S8_ifPKiSA_iPKfiiiSC_SC_iiiii
	.p2align	8
	.type	_ZN4vllm25paged_attention_v1_kernelIfhLi256ELi16ELi128ELNS_18Fp8KVCacheDataTypeE1ELb0EEEvPT_PKS2_PKT0_S8_ifPKiSA_iPKfiiiSC_SC_iiiii,@function
_ZN4vllm25paged_attention_v1_kernelIfhLi256ELi16ELi128ELNS_18Fp8KVCacheDataTypeE1ELb0EEEvPT_PKS2_PKT0_S8_ifPKiSA_iPKfiiiSC_SC_iiiii: ; @_ZN4vllm25paged_attention_v1_kernelIfhLi256ELi16ELi128ELNS_18Fp8KVCacheDataTypeE1ELb0EEEvPT_PKS2_PKT0_S8_ifPKiSA_iPKfiiiSC_SC_iiiii
; %bb.0:
	s_load_dword s5, s[0:1], 0x80
	s_load_dwordx2 s[6:7], s[0:1], 0x30
	s_load_dwordx2 s[28:29], s[0:1], 0x20
	s_mov_b32 s16, s3
	s_ashr_i32 s17, s3, 31
	s_lshl_b64 s[8:9], s[16:17], 2
	s_waitcnt lgkmcnt(0)
	s_add_u32 s6, s6, s8
	s_addc_u32 s7, s7, s9
	s_abs_i32 s3, s28
	v_cvt_f32_u32_e32 v1, s3
	s_sub_i32 s10, 0, s3
	s_abs_i32 s9, s5
	s_xor_b32 s8, s5, s28
	v_rcp_iflag_f32_e32 v1, v1
	s_ashr_i32 s8, s8, 31
	v_mov_b32_e32 v96, v0
	s_mov_b32 s28, 0
	v_mul_f32_e32 v1, 0x4f7ffffe, v1
	v_cvt_u32_f32_e32 v1, v1
	s_nop 0
	v_readfirstlane_b32 s11, v1
	s_mul_i32 s10, s10, s11
	s_mul_hi_u32 s10, s11, s10
	s_add_i32 s11, s11, s10
	s_mul_hi_u32 s10, s9, s11
	s_mul_i32 s11, s10, s3
	s_sub_i32 s9, s9, s11
	s_add_i32 s11, s10, 1
	s_sub_i32 s12, s9, s3
	s_cmp_ge_u32 s9, s3
	s_cselect_b32 s10, s11, s10
	s_cselect_b32 s9, s12, s9
	s_add_i32 s11, s10, 1
	s_cmp_ge_u32 s9, s3
	s_cselect_b32 s3, s11, s10
	s_xor_b32 s3, s3, s8
	s_sub_i32 s12, s3, s8
	s_abs_i32 s10, s12
	v_cvt_f32_u32_e32 v1, s10
	s_load_dwordx2 s[8:9], s[0:1], 0x40
	s_sub_i32 s3, 0, s10
	s_abs_i32 s11, s2
	v_rcp_iflag_f32_e32 v1, v1
	s_nop 0
	v_mul_f32_e32 v1, 0x4f7ffffe, v1
	v_cvt_u32_f32_e32 v1, v1
	s_nop 0
	v_readfirstlane_b32 s13, v1
	s_mul_i32 s3, s3, s13
	s_mul_hi_u32 s3, s13, s3
	s_add_i32 s13, s13, s3
	s_waitcnt lgkmcnt(0)
	s_cmp_eq_u64 s[8:9], 0
	s_mul_hi_u32 s20, s11, s13
	s_cbranch_scc1 .LBB197_2
; %bb.1:
	s_ashr_i32 s3, s2, 31
	s_lshl_b64 s[14:15], s[2:3], 2
	s_add_u32 s8, s8, s14
	s_addc_u32 s9, s9, s15
	s_load_dword s28, s[8:9], 0x0
.LBB197_2:
	s_load_dword s33, s[6:7], 0x0
	s_ashr_i32 s9, s12, 31
	s_load_dword s17, s[0:1], 0x88
	s_load_dwordx4 s[12:15], s[0:1], 0x48
	s_ashr_i32 s8, s2, 31
	v_lshrrev_b32_e32 v97, 2, v96
	s_lshl_b32 s18, s2, 8
	s_movk_i32 s2, 0x100
	v_and_b32_e32 v106, 3, v96
	v_cmp_gt_u32_e32 vcc, s2, v96
	v_lshlrev_b32_e32 v24, 2, v96
	v_lshlrev_b32_e32 v66, 2, v97
	s_and_saveexec_b64 s[2:3], vcc
	s_cbranch_execz .LBB197_5
; %bb.3:
	s_load_dwordx2 s[6:7], s[0:1], 0x8
	s_waitcnt lgkmcnt(0)
	s_mul_i32 s22, s12, s16
	s_ashr_i32 s23, s22, 31
	s_lshl_b64 s[22:23], s[22:23], 2
	v_lshl_add_u32 v2, v106, 8, v66
	s_add_u32 s12, s6, s22
	s_addc_u32 s15, s7, s23
	s_ashr_i32 s19, s18, 31
	s_lshl_b64 s[6:7], s[18:19], 2
	s_add_u32 s6, s12, s6
	s_addc_u32 s7, s15, s7
	global_load_dword v3, v24, s[6:7]
	s_movk_i32 s12, 0x80
	v_cmp_gt_u32_e32 vcc, s12, v96
	s_waitcnt vmcnt(0)
	ds_write_b32 v2, v3
	s_and_b64 exec, exec, vcc
	s_cbranch_execz .LBB197_5
; %bb.4:
	v_lshlrev_b32_e32 v3, 4, v97
	v_lshlrev_b32_e32 v4, 2, v106
	s_movk_i32 s12, 0x200
	v_or3_b32 v3, v3, v4, s12
	global_load_dword v3, v3, s[6:7]
	s_waitcnt vmcnt(0)
	ds_write_b32 v2, v3 offset:128
.LBB197_5:
	s_or_b64 exec, exec, s[2:3]
	s_waitcnt lgkmcnt(0)
	s_add_i32 s3, s33, 15
	s_ashr_i32 s6, s3, 31
	s_lshr_b32 s6, s6, 28
	s_add_i32 s3, s3, s6
	s_mul_i32 s6, s20, s10
	s_sub_i32 s6, s11, s6
	s_ashr_i32 s12, s3, 4
	s_xor_b32 s3, s8, s9
	s_add_i32 s7, s20, 1
	s_sub_i32 s8, s6, s10
	s_load_dwordx2 s[22:23], s[0:1], 0x28
	s_load_dword s2, s[0:1], 0x38
	s_cmp_ge_u32 s6, s10
	s_cselect_b32 s7, s7, s20
	s_cselect_b32 s6, s8, s6
	s_add_i32 s8, s7, 1
	s_cmp_ge_u32 s6, s10
	s_cselect_b32 s6, s8, s7
	v_lshrrev_b32_e32 v108, 6, v96
	s_xor_b32 s6, s6, s3
	s_waitcnt lgkmcnt(0)
	s_mul_i32 s24, s2, s16
	s_sub_i32 s19, s6, s3
	s_ashr_i32 s25, s24, 31
	v_cmp_gt_i32_e64 s[6:7], s12, v108
	v_cmp_le_i32_e32 vcc, s12, v108
	v_mbcnt_lo_u32_b32 v42, -1, 0
	s_barrier
                                        ; implicit-def: $vgpr12
                                        ; implicit-def: $vgpr9
                                        ; implicit-def: $vgpr13
	s_and_saveexec_b64 s[2:3], vcc
	s_xor_b64 s[2:3], exec, s[2:3]
; %bb.6:
	v_mbcnt_hi_u32_b32 v12, -1, v42
	v_and_b32_e32 v9, 64, v12
	v_add_u32_e32 v13, 64, v9
                                        ; implicit-def: $vgpr42
; %bb.7:
	s_or_saveexec_b64 s[30:31], s[2:3]
	s_load_dwordx2 s[20:21], s[0:1], 0x0
	s_load_dwordx2 s[26:27], s[0:1], 0x18
	s_load_dwordx4 s[8:11], s[0:1], 0x58
	v_mov_b32_e32 v0, 0xff7fffff
	s_mul_i32 s19, s19, s14
	v_lshrrev_b32_e32 v46, 4, v96
	s_xor_b64 exec, exec, s[30:31]
	s_cbranch_execz .LBB197_13
; %bb.8:
	v_mbcnt_hi_u32_b32 v0, -1, v42
	scratch_store_dword off, v24, off offset:64 ; 4-byte Folded Spill
	scratch_store_dword off, v97, off offset:48 ; 4-byte Folded Spill
	;; [unrolled: 1-line block ×3, first 2 shown]
	v_lshlrev_b32_e32 v62, 8, v106
	v_and_b32_e32 v1, 64, v0
	s_load_dwordx2 s[0:1], s[0:1], 0x10
	ds_read_b128 v[88:91], v62
	ds_read_b128 v[6:9], v62 offset:16
	ds_read_b128 v[10:13], v62 offset:32
	;; [unrolled: 1-line block ×9, first 2 shown]
	scratch_store_dword off, v1, off offset:76 ; 4-byte Folded Spill
	v_add_u32_e32 v1, 64, v1
	v_xor_b32_e32 v42, 2, v0
	v_cmp_lt_i32_e32 vcc, v42, v1
	s_ashr_i32 s2, s19, 31
	v_bfe_u32 v43, v96, 2, 4
	v_cndmask_b32_e32 v42, v0, v42, vcc
	v_lshlrev_b32_e32 v2, 2, v42
	v_xor_b32_e32 v42, 1, v0
	v_cmp_lt_i32_e32 vcc, v42, v1
	s_waitcnt lgkmcnt(0)
	s_add_u32 s0, s0, s19
	v_lshlrev_b32_e32 v70, 4, v43
	v_cndmask_b32_e32 v42, v0, v42, vcc
	s_addc_u32 s1, s1, s2
	v_mov_b32_e32 v71, 0
	scratch_store_dword off, v0, off offset:72 ; 4-byte Folded Spill
	v_lshlrev_b32_e32 v0, 2, v42
	v_lshl_add_u64 v[44:45], s[0:1], 0, v[70:71]
	scratch_store_dword off, v0, off offset:32 ; 4-byte Folded Spill
	v_mov_b32_e32 v107, v71
	v_mov_b32_e32 v0, v106
	scratch_store_dwordx2 off, v[0:1], off offset:52 ; 8-byte Folded Spill
	v_lshl_add_u64 v[0:1], v[44:45], 0, v[106:107]
	v_lshlrev_b32_e32 v42, 2, v43
	scratch_store_dword off, v2, off offset:28 ; 4-byte Folded Spill
	scratch_store_dwordx2 off, v[0:1], off offset:36 ; 8-byte Folded Spill
	v_lshl_or_b32 v42, v108, 6, v42
	scratch_store_dword off, v46, off offset:68 ; 4-byte Folded Spill
	s_load_dword s35, s[8:9], 0x0
	v_lshl_or_b32 v81, v108, 4, v43
	v_add_u32_e32 v82, 0x410, v42
	v_and_b32_e32 v70, 60, v46
	ds_read_b128 v[42:45], v62 offset:160
	ds_read_b128 v[46:49], v62 offset:176
	;; [unrolled: 1-line block ×6, first 2 shown]
	s_sub_i32 s36, 1, s33
	s_lshl_b64 s[0:1], s[24:25], 2
	s_add_u32 s0, s22, s0
	s_addc_u32 s1, s23, s1
	s_mov_b32 s34, s13
	v_cmp_eq_u32_e32 vcc, 0, v106
	v_cmp_neq_f32_e64 s[2:3], s28, 0
	v_lshl_add_u64 v[70:71], s[0:1], 0, v[70:71]
	v_mov_b32_e32 v0, 0xff7fffff
	s_mov_b64 s[8:9], 0
	v_mov_b32_e32 v83, v108
	scratch_store_dword off, v0, off offset:24 ; 4-byte Folded Spill
	scratch_store_dword off, v108, off offset:60 ; 4-byte Folded Spill
	s_branch .LBB197_10
.LBB197_9:                              ;   in Loop: Header=BB197_10 Depth=1
	s_or_b64 exec, exec, s[14:15]
	v_add_u32_e32 v83, 2, v83
	v_cmp_le_i32_e64 s[0:1], s12, v83
	v_add_u32_e32 v81, 32, v81
	v_add_u32_e32 v82, 0x80, v82
	s_or_b64 s[8:9], s[0:1], s[8:9]
	v_lshl_add_u64 v[70:71], v[70:71], 0, 8
	s_andn2_b64 exec, exec, s[8:9]
	s_cbranch_execz .LBB197_12
.LBB197_10:                             ; =>This Inner Loop Header: Depth=1
	global_load_dword v72, v[70:71], off
	scratch_load_dwordx2 v[0:1], off, off offset:36 ; 8-byte Folded Reload
	s_waitcnt vmcnt(0) lgkmcnt(0)
	v_mad_i64_i32 v[72:73], s[0:1], v72, s34, v[0:1]
	global_load_ubyte v115, v[72:73], off
	global_load_ubyte v116, v[72:73], off offset:4
	global_load_ubyte v117, v[72:73], off offset:8
	;; [unrolled: 1-line block ×51, first 2 shown]
	s_waitcnt vmcnt(38)
	v_cvt_f32_fp8_e32 v75, v75
	s_waitcnt vmcnt(37)
	v_cvt_f32_fp8_e32 v96, v96
	;; [unrolled: 2-line block ×5, first 2 shown]
	s_waitcnt lgkmcnt(0)
	v_mul_f32_e32 v75, s35, v75
	s_waitcnt vmcnt(33)
	v_cvt_f32_fp8_e32 v78, v78
	v_mul_f32_e32 v96, s35, v96
	s_waitcnt vmcnt(32)
	v_cvt_f32_fp8_e32 v77, v77
	;; [unrolled: 3-line block ×3, first 2 shown]
	v_mul_f32_e32 v66, s35, v66
	v_mul_f32_e32 v1, s35, v1
	;; [unrolled: 1-line block ×5, first 2 shown]
	s_waitcnt vmcnt(30)
	v_cvt_f32_fp8_e32 v76, v76
	s_waitcnt vmcnt(29)
	v_cvt_f32_fp8_e32 v79, v79
	;; [unrolled: 2-line block ×5, first 2 shown]
	v_mul_f32_e32 v76, s35, v76
	s_waitcnt vmcnt(25)
	v_cvt_f32_fp8_e32 v67, v67
	v_mul_f32_e32 v79, s35, v79
	s_waitcnt vmcnt(24)
	v_cvt_f32_fp8_e32 v97, v97
	;; [unrolled: 3-line block ×8, first 2 shown]
	v_mul_f32_e32 v3, s35, v3
	s_waitcnt vmcnt(0)
	scratch_store_dword off, v85, off offset:4 ; 4-byte Folded Spill
	global_load_ubyte v85, v[72:73], off offset:3328
	v_cvt_f32_fp8_e32 v114, v114
	v_mul_f32_e32 v4, s35, v4
	v_cvt_f32_fp8_e32 v113, v113
	v_mul_f32_e32 v5, s35, v5
	;; [unrolled: 2-line block ×17, first 2 shown]
	v_mul_f32_e32 v104, s35, v104
	s_waitcnt vmcnt(0)
	scratch_store_dword off, v85, off       ; 4-byte Folded Spill
	global_load_ubyte v85, v[72:73], off offset:3332
	s_waitcnt vmcnt(0)
	scratch_store_dword off, v85, off offset:8 ; 4-byte Folded Spill
	global_load_ubyte v85, v[72:73], off offset:3336
	s_waitcnt vmcnt(0)
	scratch_store_dword off, v85, off offset:12 ; 4-byte Folded Spill
	;; [unrolled: 3-line block ×4, first 2 shown]
	global_load_ubyte v87, v[72:73], off offset:3588
	s_nop 0
	global_load_ubyte v85, v[72:73], off offset:3592
	global_load_ubyte v93, v[72:73], off offset:3596
	;; [unrolled: 1-line block ×5, first 2 shown]
	s_nop 0
	global_load_ubyte v73, v[72:73], off offset:3852
	v_cvt_f32_fp8_e32 v72, v115
	v_cvt_f32_fp8_e32 v115, v116
	v_mul_f32_e32 v116, s35, v72
	v_mul_f32_e32 v72, s35, v115
	v_cvt_f32_fp8_e32 v115, v117
	v_mul_f32_e32 v72, v89, v72
	v_fmac_f32_e32 v72, v88, v116
	v_cvt_f32_fp8_e32 v116, v127
	v_mul_f32_e32 v115, s35, v115
	v_fmac_f32_e32 v72, v90, v115
	v_cvt_f32_fp8_e32 v115, v118
	v_mul_f32_e32 v116, s35, v116
	v_mul_f32_e32 v115, s35, v115
	v_fmac_f32_e32 v72, v91, v115
	v_cvt_f32_fp8_e32 v115, v119
	v_mul_f32_e32 v115, s35, v115
	v_fmac_f32_e32 v72, v6, v115
	v_cvt_f32_fp8_e32 v115, v120
	;; [unrolled: 3-line block ×8, first 2 shown]
	v_mul_f32_e32 v115, s35, v115
	v_fmac_f32_e32 v72, v13, v115
	v_fmac_f32_e32 v72, v14, v116
	;; [unrolled: 1-line block ×10, first 2 shown]
	scratch_load_dword v0, off, off offset:4 ; 4-byte Folded Reload
	scratch_load_dword v66, off, off offset:12 ; 4-byte Folded Reload
	v_fmac_f32_e32 v72, v23, v76
	v_fmac_f32_e32 v72, v24, v79
	;; [unrolled: 1-line block ×14, first 2 shown]
	scratch_load_dword v5, off, off offset:8 ; 4-byte Folded Reload
	scratch_load_dword v67, off, off offset:20 ; 4-byte Folded Reload
	;; [unrolled: 1-line block ×3, first 2 shown]
	scratch_load_dword v4, off, off         ; 4-byte Folded Reload
	v_fmac_f32_e32 v72, v37, v113
	v_fmac_f32_e32 v72, v38, v112
	;; [unrolled: 1-line block ×12, first 2 shown]
	v_mul_f32_e32 v1, s35, v106
	v_fmac_f32_e32 v72, v49, v104
	v_mul_f32_e32 v2, s35, v108
	v_fmac_f32_e32 v72, v50, v1
	;; [unrolled: 2-line block ×3, first 2 shown]
	v_fmac_f32_e32 v72, v52, v3
	s_waitcnt vmcnt(12)
	v_cvt_f32_fp8_e32 v69, v87
	s_waitcnt vmcnt(11)
	v_cvt_f32_fp8_e32 v74, v85
	;; [unrolled: 2-line block ×4, first 2 shown]
	v_mul_f32_e32 v69, s35, v69
	s_waitcnt vmcnt(8)
	v_cvt_f32_fp8_e32 v77, v94
	v_mul_f32_e32 v74, s35, v74
	s_waitcnt vmcnt(7)
	v_cvt_f32_fp8_e32 v78, v95
	;; [unrolled: 3-line block ×3, first 2 shown]
	v_mul_f32_e32 v76, s35, v76
	v_mul_f32_e32 v77, s35, v77
	;; [unrolled: 1-line block ×4, first 2 shown]
	s_waitcnt vmcnt(5)
	v_cvt_f32_fp8_e32 v0, v0
	s_waitcnt vmcnt(4)
	v_cvt_f32_fp8_e32 v66, v66
	v_mul_f32_e32 v0, s35, v0
	v_fmac_f32_e32 v72, v53, v0
	scratch_load_dword v0, off, off offset:28 ; 4-byte Folded Reload
	v_mul_f32_e32 v66, s35, v66
	s_waitcnt vmcnt(4)
	v_cvt_f32_fp8_e32 v5, v5
	s_waitcnt vmcnt(3)
	v_cvt_f32_fp8_e32 v67, v67
	;; [unrolled: 2-line block ×4, first 2 shown]
	v_mul_f32_e32 v5, s35, v5
	v_mul_f32_e32 v67, s35, v67
	;; [unrolled: 1-line block ×4, first 2 shown]
	v_fmac_f32_e32 v72, v54, v4
	v_fmac_f32_e32 v72, v55, v5
	;; [unrolled: 1-line block ×12, first 2 shown]
	s_waitcnt vmcnt(0)
	ds_bpermute_b32 v0, v0, v72
	s_waitcnt lgkmcnt(0)
	v_add_f32_e32 v72, v72, v0
	scratch_load_dword v0, off, off offset:32 ; 4-byte Folded Reload
	s_waitcnt vmcnt(0)
	ds_bpermute_b32 v73, v0, v72
	s_and_saveexec_b64 s[14:15], vcc
	s_cbranch_execz .LBB197_9
; %bb.11:                               ;   in Loop: Header=BB197_10 Depth=1
	scratch_load_dword v3, off, off offset:24 ; 4-byte Folded Reload
	v_add_u32_e32 v0, s36, v81
	v_cvt_f32_i32_e32 v0, v0
	s_waitcnt lgkmcnt(0)
	v_add_f32_e32 v1, v72, v73
	v_cmp_gt_i32_e64 s[0:1], s33, v81
	v_mul_f32_e32 v0, s28, v0
	v_cndmask_b32_e64 v0, 0, v0, s[2:3]
	v_fmac_f32_e32 v0, s29, v1
	v_cndmask_b32_e64 v1, 0, v0, s[0:1]
	ds_write_b32 v82, v1
	s_waitcnt vmcnt(0)
	v_max_f32_e32 v2, v3, v3
	v_max_f32_e32 v0, v2, v0
	v_cndmask_b32_e64 v3, v3, v0, s[0:1]
	scratch_store_dword off, v3, off offset:24 ; 4-byte Folded Spill
	s_branch .LBB197_9
.LBB197_12:
	s_or_b64 exec, exec, s[8:9]
	scratch_load_dword v97, off, off offset:48 ; 4-byte Folded Reload
	scratch_load_dword v96, off, off offset:44 ; 4-byte Folded Reload
	scratch_load_dwordx2 v[106:107], off, off offset:52 ; 8-byte Folded Reload
	scratch_load_dword v108, off, off offset:60 ; 4-byte Folded Reload
	scratch_load_dword v24, off, off offset:64 ; 4-byte Folded Reload
	;; [unrolled: 1-line block ×6, first 2 shown]
	s_waitcnt vmcnt(8)
	v_lshlrev_b32_e32 v66, 2, v97
	s_waitcnt vmcnt(1)
	v_add_u32_e32 v13, 64, v9
.LBB197_13:
	s_or_b64 exec, exec, s[30:31]
	v_xor_b32_e32 v2, 32, v12
	v_cmp_lt_i32_e32 vcc, v2, v13
	v_xor_b32_e32 v5, 16, v12
	s_waitcnt vmcnt(0)
	v_max_f32_e32 v4, v0, v0
	v_cndmask_b32_e32 v2, v12, v2, vcc
	v_lshlrev_b32_e32 v2, 2, v2
	ds_bpermute_b32 v3, v2, v0
	v_cmp_lt_i32_e32 vcc, v5, v13
	v_xor_b32_e32 v6, 8, v12
	v_xor_b32_e32 v7, 4, v12
	v_and_b32_e32 v67, 63, v96
	s_waitcnt lgkmcnt(0)
	v_max_f32_e32 v3, v3, v3
	v_max_f32_e32 v4, v4, v3
	v_cndmask_b32_e32 v3, v12, v5, vcc
	v_lshlrev_b32_e32 v3, 2, v3
	ds_bpermute_b32 v5, v3, v4
	v_cmp_lt_i32_e32 vcc, v6, v13
	s_waitcnt lgkmcnt(0)
	v_max_f32_e32 v5, v5, v5
	v_max_f32_e32 v4, v4, v5
	v_cndmask_b32_e32 v5, v12, v6, vcc
	v_lshlrev_b32_e32 v6, 2, v5
	ds_bpermute_b32 v5, v6, v4
	v_cmp_lt_i32_e32 vcc, v7, v13
	s_waitcnt lgkmcnt(0)
	v_max_f32_e32 v5, v5, v5
	v_max_f32_e32 v5, v4, v5
	v_cndmask_b32_e32 v4, v12, v7, vcc
	v_lshlrev_b32_e32 v7, 2, v4
	ds_bpermute_b32 v8, v7, v5
	v_cmp_eq_u32_e32 vcc, 0, v67
	v_lshlrev_b32_e32 v4, 2, v108
	s_and_saveexec_b64 s[0:1], vcc
	s_cbranch_execz .LBB197_15
; %bb.14:
	s_waitcnt lgkmcnt(0)
	v_max_f32_e32 v0, v8, v8
	v_max_f32_e32 v1, v5, v5
	;; [unrolled: 1-line block ×3, first 2 shown]
	ds_write_b32 v4, v0 offset:1024
.LBB197_15:
	s_or_b64 exec, exec, s[0:1]
	v_cmp_gt_u32_e64 s[0:1], 2, v67
	s_waitcnt lgkmcnt(0)
	v_mov_b32_e32 v8, 0xff7fffff
	v_lshlrev_b32_e32 v5, 2, v67
	s_barrier
	s_and_saveexec_b64 s[2:3], s[0:1]
; %bb.16:
	ds_read_b32 v8, v5 offset:1024
; %bb.17:
	s_or_b64 exec, exec, s[2:3]
	v_xor_b32_e32 v0, 1, v12
	v_cmp_lt_i32_e64 s[2:3], v0, v13
	s_waitcnt lgkmcnt(0)
	v_max_f32_e32 v1, v8, v8
	v_cndmask_b32_e64 v0, v12, v0, s[2:3]
	v_lshlrev_b32_e32 v98, 2, v0
	ds_bpermute_b32 v0, v98, v8
	s_lshl_b32 s2, s12, 4
	s_min_i32 s30, s2, s33
	v_cmp_gt_i32_e64 s[2:3], s30, v96
	v_mov_b32_e32 v8, 0
	s_waitcnt lgkmcnt(0)
	v_max_f32_e32 v0, v0, v0
	v_max_f32_e32 v0, v1, v0
	v_lshlrev_b32_e32 v1, 2, v9
	ds_bpermute_b32 v9, v1, v0
	s_and_saveexec_b64 s[14:15], s[2:3]
	s_cbranch_execz .LBB197_21
; %bb.18:
	v_mov_b32_e32 v0, 0x410
	v_lshl_add_u32 v10, v96, 2, v0
	v_mov_b32_e32 v8, 0
	s_mov_b64 s[28:29], 0
	v_mov_b32_e32 v11, v96
.LBB197_19:                             ; =>This Inner Loop Header: Depth=1
	ds_read_b32 v0, v10
	v_add_u32_e32 v11, 0x80, v11
	v_cmp_le_i32_e64 s[8:9], s30, v11
	s_or_b64 s[28:29], s[8:9], s[28:29]
	s_waitcnt lgkmcnt(0)
	v_sub_f32_e32 v0, v0, v9
	v_mul_f32_e32 v0, 0x3fb8aa3b, v0
	v_exp_f32_e32 v0, v0
	ds_write_b32 v10, v0
	v_add_f32_e32 v8, v8, v0
	v_add_u32_e32 v10, 0x200, v10
	s_andn2_b64 exec, exec, s[28:29]
	s_cbranch_execnz .LBB197_19
; %bb.20:
	s_or_b64 exec, exec, s[28:29]
.LBB197_21:
	s_or_b64 exec, exec, s[14:15]
	ds_bpermute_b32 v0, v2, v8
	v_xor_b32_e32 v2, 2, v12
	v_cmp_lt_i32_e64 s[8:9], v2, v13
	s_waitcnt lgkmcnt(0)
	v_add_f32_e32 v0, v8, v0
	ds_bpermute_b32 v1, v3, v0
	v_cndmask_b32_e64 v2, v12, v2, s[8:9]
	v_lshlrev_b32_e32 v99, 2, v2
	s_waitcnt lgkmcnt(0)
	v_add_f32_e32 v0, v0, v1
	ds_bpermute_b32 v1, v6, v0
	s_waitcnt lgkmcnt(0)
	v_add_f32_e32 v0, v0, v1
	ds_bpermute_b32 v1, v7, v0
	s_waitcnt lgkmcnt(0)
	v_add_f32_e32 v0, v0, v1
	ds_bpermute_b32 v1, v99, v0
	s_waitcnt lgkmcnt(0)
	v_add_f32_e32 v0, v0, v1
	ds_bpermute_b32 v1, v98, v0
	s_waitcnt lgkmcnt(0)
	v_add_f32_e32 v2, v0, v1
	s_and_saveexec_b64 s[8:9], vcc
; %bb.22:
	ds_write_b32 v4, v2 offset:1032
; %bb.23:
	s_or_b64 exec, exec, s[8:9]
	s_waitcnt lgkmcnt(0)
	s_barrier
	s_and_saveexec_b64 s[8:9], s[0:1]
; %bb.24:
	ds_read_b32 v2, v5 offset:1032
; %bb.25:
	s_or_b64 exec, exec, s[8:9]
	s_waitcnt lgkmcnt(0)
	ds_bpermute_b32 v0, v98, v2
	v_lshlrev_b32_e32 v1, 2, v12
	v_and_b32_e32 v1, 0xffffff00, v1
	s_waitcnt lgkmcnt(0)
	v_add_f32_e32 v0, v2, v0
	ds_bpermute_b32 v2, v1, v0
	s_and_saveexec_b64 s[0:1], s[2:3]
	s_cbranch_execz .LBB197_38
; %bb.26:
	s_waitcnt lgkmcnt(0)
	v_add_f32_e32 v0, 0x358637bd, v2
	v_div_scale_f32 v1, s[2:3], v0, v0, 1.0
	v_rcp_f32_e32 v2, v1
	v_div_scale_f32 v3, vcc, 1.0, v0, 1.0
	s_movk_i32 s2, 0x7f
	v_fma_f32 v4, -v1, v2, 1.0
	v_fmac_f32_e32 v2, v4, v2
	v_mul_f32_e32 v4, v3, v2
	v_fma_f32 v5, -v1, v4, v3
	v_fmac_f32_e32 v4, v5, v2
	v_fma_f32 v1, -v1, v4, v3
	v_div_fmas_f32 v1, v1, v2, v4
	v_xad_u32 v4, v96, -1, s30
	v_div_fixup_f32 v2, v1, v0, 1.0
	v_cmp_lt_u32_e32 vcc, s2, v4
	s_mov_b64 s[8:9], -1
	v_mov_b32_e32 v3, v96
	s_and_saveexec_b64 s[2:3], vcc
	s_cbranch_execz .LBB197_35
; %bb.27:
	v_lshrrev_b32_e32 v4, 7, v4
	v_add_u32_e32 v0, -1, v4
	v_lshrrev_b32_e32 v1, 1, v0
	v_mov_b32_e32 v3, v2
	v_add_u32_e32 v5, 1, v1
	v_cmp_lt_u32_e32 vcc, 13, v0
	v_mov_b32_e32 v8, 0
	s_and_saveexec_b64 s[8:9], vcc
	s_cbranch_execz .LBB197_31
; %bb.28:
	v_mov_b32_e32 v0, 0x410
	v_and_b32_e32 v6, -8, v5
	v_lshl_add_u32 v7, v96, 2, v0
	s_mov_b32 s28, 0
	s_mov_b64 s[14:15], 0
.LBB197_29:                             ; =>This Inner Loop Header: Depth=1
	ds_read2st64_b32 v[8:9], v7 offset1:2
	ds_read2st64_b32 v[10:11], v7 offset0:4 offset1:6
	ds_read2st64_b32 v[12:13], v7 offset0:8 offset1:10
	;; [unrolled: 1-line block ×3, first 2 shown]
	v_add_u32_e32 v6, -8, v6
	s_waitcnt lgkmcnt(3)
	v_pk_mul_f32 v[8:9], v[2:3], v[8:9]
	s_waitcnt lgkmcnt(2)
	v_pk_mul_f32 v[10:11], v[2:3], v[10:11]
	ds_write2st64_b32 v7, v8, v9 offset1:2
	ds_write2st64_b32 v7, v10, v11 offset0:4 offset1:6
	ds_read2st64_b32 v[10:11], v7 offset0:16 offset1:18
	s_waitcnt lgkmcnt(4)
	v_pk_mul_f32 v[8:9], v[2:3], v[12:13]
	ds_write2st64_b32 v7, v8, v9 offset0:8 offset1:10
	s_waitcnt lgkmcnt(4)
	v_pk_mul_f32 v[8:9], v[2:3], v[14:15]
	ds_write2st64_b32 v7, v8, v9 offset0:12 offset1:14
	ds_read2st64_b32 v[8:9], v7 offset0:20 offset1:22
	s_waitcnt lgkmcnt(3)
	v_pk_mul_f32 v[10:11], v[2:3], v[10:11]
	ds_read2st64_b32 v[12:13], v7 offset0:24 offset1:26
	ds_write2st64_b32 v7, v10, v11 offset0:16 offset1:18
	ds_read2st64_b32 v[10:11], v7 offset0:28 offset1:30
	s_waitcnt lgkmcnt(3)
	v_pk_mul_f32 v[8:9], v[2:3], v[8:9]
	ds_write2st64_b32 v7, v8, v9 offset0:20 offset1:22
	s_waitcnt lgkmcnt(3)
	v_pk_mul_f32 v[8:9], v[2:3], v[12:13]
	ds_write2st64_b32 v7, v8, v9 offset0:24 offset1:26
	s_waitcnt lgkmcnt(2)
	v_pk_mul_f32 v[8:9], v[2:3], v[10:11]
	s_add_i32 s28, s28, 16
	v_cmp_eq_u32_e32 vcc, 0, v6
	ds_write2st64_b32 v7, v8, v9 offset0:28 offset1:30
	v_add_u32_e32 v7, 0x2000, v7
	s_or_b64 s[14:15], vcc, s[14:15]
	v_mov_b32_e32 v8, s28
	s_andn2_b64 exec, exec, s[14:15]
	s_cbranch_execnz .LBB197_29
; %bb.30:
	s_or_b64 exec, exec, s[14:15]
.LBB197_31:
	s_or_b64 exec, exec, s[8:9]
	v_and_b32_e32 v5, 7, v5
	v_cmp_ne_u32_e32 vcc, 0, v5
	s_and_saveexec_b64 s[8:9], vcc
	s_cbranch_execz .LBB197_34
; %bb.32:
	v_lshlrev_b32_e32 v0, 9, v8
	s_movk_i32 s14, 0x410
	v_add3_u32 v6, v0, v24, s14
	s_mov_b64 s[14:15], 0
.LBB197_33:                             ; =>This Inner Loop Header: Depth=1
	ds_read2st64_b32 v[8:9], v6 offset1:2
	v_add_u32_e32 v5, -1, v5
	v_cmp_eq_u32_e32 vcc, 0, v5
	s_or_b64 s[14:15], vcc, s[14:15]
	s_waitcnt lgkmcnt(0)
	v_pk_mul_f32 v[8:9], v[2:3], v[8:9]
	ds_write2st64_b32 v6, v8, v9 offset1:2
	v_add_u32_e32 v6, 0x400, v6
	s_andn2_b64 exec, exec, s[14:15]
	s_cbranch_execnz .LBB197_33
.LBB197_34:
	s_or_b64 exec, exec, s[8:9]
	v_add_u32_e32 v0, 1, v4
	v_and_b32_e32 v1, 0x3fffffe, v0
	v_cmp_ne_u32_e32 vcc, v0, v1
	v_lshl_add_u32 v3, v1, 7, v96
	s_orn2_b64 s[8:9], vcc, exec
.LBB197_35:
	s_or_b64 exec, exec, s[2:3]
	s_and_b64 exec, exec, s[8:9]
	s_cbranch_execz .LBB197_38
; %bb.36:
	v_mov_b32_e32 v0, 0x410
	v_lshl_add_u32 v4, v3, 2, v0
	s_mov_b64 s[2:3], 0
.LBB197_37:                             ; =>This Inner Loop Header: Depth=1
	ds_read_b32 v0, v4
	v_add_u32_e32 v3, 0x80, v3
	v_cmp_le_i32_e32 vcc, s30, v3
	s_or_b64 s[2:3], vcc, s[2:3]
	s_waitcnt lgkmcnt(0)
	v_mul_f32_e32 v0, v2, v0
	ds_write_b32 v4, v0
	v_add_u32_e32 v4, 0x200, v4
	s_andn2_b64 exec, exec, s[2:3]
	s_cbranch_execnz .LBB197_37
.LBB197_38:
	s_or_b64 exec, exec, s[0:1]
	v_mov_b32_e32 v7, 0
	v_mov_b32_e32 v6, 0
	;; [unrolled: 1-line block ×16, first 2 shown]
	s_waitcnt lgkmcnt(0)
	s_barrier
	s_and_saveexec_b64 s[2:3], s[6:7]
	s_cbranch_execz .LBB197_74
; %bb.39:
	s_load_dword s6, s[10:11], 0x0
	s_ashr_i32 s1, s19, 31
	s_add_u32 s0, s26, s19
	v_and_b32_e32 v0, 12, v24
	s_addc_u32 s1, s27, s1
	s_add_i32 s14, s12, -1
	s_lshl_b64 s[8:9], s[24:25], 2
	v_mov_b32_e32 v23, 0
	v_lshl_or_b32 v100, v108, 4, v0
	v_lshlrev_b32_e32 v0, 4, v106
	s_add_u32 s8, s22, s8
	v_lshl_or_b32 v0, v108, 6, v0
	v_and_b32_e32 v2, 60, v46
	v_mov_b32_e32 v3, v23
	s_addc_u32 s9, s23, s9
	v_and_b32_e32 v22, 0xfc, v24
	s_waitcnt lgkmcnt(0)
	s_mov_b32 s7, s6
	v_or_b32_e32 v24, 0xf00, v24
	v_mov_b32_e32 v25, v23
	s_mov_b32 s15, s33
	v_add_u32_e32 v101, 0x410, v0
	v_lshl_add_u64 v[26:27], s[8:9], 0, v[2:3]
	s_mov_b64 s[8:9], 0
	v_mov_b64_e32 v[28:29], s[0:1]
	v_mov_b32_e32 v7, v23
	v_mov_b32_e32 v6, v23
	v_mov_b32_e32 v9, v23
	v_mov_b32_e32 v8, v23
	v_mov_b32_e32 v11, v23
	v_mov_b32_e32 v10, v23
	v_mov_b32_e32 v13, v23
	v_mov_b32_e32 v12, v23
	v_mov_b32_e32 v15, v23
	v_mov_b32_e32 v14, v23
	v_mov_b32_e32 v17, v23
	v_mov_b32_e32 v16, v23
	v_mov_b32_e32 v19, v23
	v_mov_b32_e32 v18, v23
	v_mov_b32_e32 v21, v23
	v_mov_b32_e32 v20, v23
	s_branch .LBB197_41
.LBB197_40:                             ;   in Loop: Header=BB197_41 Depth=1
	s_or_b64 exec, exec, s[0:1]
	s_waitcnt lgkmcnt(0)
	v_mul_f32_e32 v0, v2, v94
	v_fmac_f32_e32 v0, v3, v95
	v_fmac_f32_e32 v0, v4, v92
	v_fmac_f32_e32 v0, v5, v93
	v_add_f32_e32 v6, v6, v0
	v_mul_f32_e32 v0, v2, v90
	v_fmac_f32_e32 v0, v3, v91
	v_fmac_f32_e32 v0, v4, v88
	v_fmac_f32_e32 v0, v5, v89
	v_add_f32_e32 v9, v9, v0
	;; [unrolled: 5-line block ×14, first 2 shown]
	v_mul_f32_e32 v0, v2, v32
	v_fmac_f32_e32 v0, v3, v33
	v_fmac_f32_e32 v0, v4, v30
	;; [unrolled: 1-line block ×3, first 2 shown]
	v_pk_mul_f32 v[2:3], v[2:3], v[48:49]
	v_add_f32_e32 v20, v20, v0
	v_pk_mul_f32 v[4:5], v[4:5], v[42:43]
	v_add_f32_e32 v0, v3, v2
	v_add_f32_e32 v0, v4, v0
	v_add_u32_e32 v108, 2, v108
	v_add_f32_e32 v0, v5, v0
	v_cmp_le_i32_e32 vcc, s12, v108
	v_add_f32_e32 v7, v7, v0
	v_add_u32_e32 v100, 32, v100
	v_add_u32_e32 v101, 0x80, v101
	s_or_b64 s[8:9], vcc, s[8:9]
	v_lshl_add_u64 v[26:27], v[26:27], 0, 8
	s_andn2_b64 exec, exec, s[8:9]
	s_cbranch_execz .LBB197_73
.LBB197_41:                             ; =>This Inner Loop Header: Depth=1
	global_load_dword v0, v[26:27], off
	ds_read_b128 v[2:5], v101
	v_cmp_eq_u32_e32 vcc, s14, v108
	v_add_u32_e32 v102, 1, v100
	v_add_u32_e32 v103, 2, v100
	;; [unrolled: 1-line block ×3, first 2 shown]
	s_waitcnt vmcnt(0)
	v_mad_i64_i32 v[42:43], s[0:1], v0, s13, v[28:29]
	v_lshl_add_u64 v[48:49], v[42:43], 0, v[22:23]
	global_load_dword v0, v[48:49], off
	s_waitcnt vmcnt(0)
	v_and_b32_e32 v1, 0xffff, v0
	v_lshrrev_b32_e32 v0, 16, v0
	v_cvt_pk_f32_fp8_e32 v[30:31], v1
	v_cvt_pk_f32_fp8_e32 v[34:35], v0
	v_pk_mul_f32 v[32:33], s[6:7], v[30:31]
	v_pk_mul_f32 v[30:31], s[6:7], v[34:35]
	s_and_saveexec_b64 s[10:11], vcc
; %bb.42:                               ;   in Loop: Header=BB197_41 Depth=1
	v_cmp_gt_i32_e64 s[0:1], s33, v100
	s_nop 1
	v_cndmask_b32_e64 v32, 0, v32, s[0:1]
	v_cmp_gt_i32_e64 s[0:1], s33, v102
	s_nop 1
	v_cndmask_b32_e64 v33, 0, v33, s[0:1]
	v_cmp_gt_i32_e64 s[0:1], s33, v103
	s_nop 1
	v_cndmask_b32_e64 v30, 0, v30, s[0:1]
	v_cmp_gt_i32_e64 s[0:1], s33, v104
	s_nop 1
	v_cndmask_b32_e64 v31, 0, v31, s[0:1]
; %bb.43:                               ;   in Loop: Header=BB197_41 Depth=1
	s_or_b64 exec, exec, s[10:11]
	global_load_dword v0, v[48:49], off offset:256
	s_waitcnt vmcnt(0)
	v_and_b32_e32 v1, 0xffff, v0
	v_lshrrev_b32_e32 v0, 16, v0
	v_cvt_pk_f32_fp8_e32 v[34:35], v1
	v_cvt_pk_f32_fp8_e32 v[38:39], v0
	v_pk_mul_f32 v[36:37], s[6:7], v[34:35]
	v_pk_mul_f32 v[34:35], s[6:7], v[38:39]
	s_and_saveexec_b64 s[10:11], vcc
; %bb.44:                               ;   in Loop: Header=BB197_41 Depth=1
	v_cmp_gt_i32_e64 s[0:1], s33, v100
	s_nop 1
	v_cndmask_b32_e64 v36, 0, v36, s[0:1]
	v_cmp_gt_i32_e64 s[0:1], s33, v102
	s_nop 1
	v_cndmask_b32_e64 v37, 0, v37, s[0:1]
	v_cmp_gt_i32_e64 s[0:1], s33, v103
	s_nop 1
	v_cndmask_b32_e64 v34, 0, v34, s[0:1]
	v_cmp_gt_i32_e64 s[0:1], s33, v104
	s_nop 1
	v_cndmask_b32_e64 v35, 0, v35, s[0:1]
; %bb.45:                               ;   in Loop: Header=BB197_41 Depth=1
	s_or_b64 exec, exec, s[10:11]
	global_load_dword v0, v[48:49], off offset:512
	;; [unrolled: 24-line block ×14, first 2 shown]
	s_waitcnt vmcnt(0)
	v_and_b32_e32 v1, 0xffff, v0
	v_lshrrev_b32_e32 v0, 16, v0
	v_cvt_pk_f32_fp8_e32 v[48:49], v1
	v_cvt_pk_f32_fp8_e32 v[92:93], v0
	v_pk_mul_f32 v[94:95], s[6:7], v[48:49]
	v_pk_mul_f32 v[92:93], s[6:7], v[92:93]
	s_and_saveexec_b64 s[10:11], vcc
; %bb.70:                               ;   in Loop: Header=BB197_41 Depth=1
	v_cmp_gt_i32_e64 s[0:1], s33, v100
	s_nop 1
	v_cndmask_b32_e64 v94, 0, v94, s[0:1]
	v_cmp_gt_i32_e64 s[0:1], s33, v102
	s_nop 1
	v_cndmask_b32_e64 v95, 0, v95, s[0:1]
	;; [unrolled: 3-line block ×4, first 2 shown]
; %bb.71:                               ;   in Loop: Header=BB197_41 Depth=1
	s_or_b64 exec, exec, s[10:11]
	v_lshl_add_u64 v[42:43], v[42:43], 0, v[24:25]
	global_load_dword v0, v[42:43], off
	s_waitcnt vmcnt(0)
	v_and_b32_e32 v1, 0xffff, v0
	v_lshrrev_b32_e32 v0, 16, v0
	v_cvt_pk_f32_fp8_e32 v[42:43], v1
	v_cvt_pk_f32_fp8_e32 v[104:105], v0
	v_pk_mul_f32 v[48:49], s[6:7], v[42:43]
	v_pk_mul_f32 v[42:43], s[6:7], v[104:105]
	s_and_saveexec_b64 s[0:1], vcc
	s_cbranch_execz .LBB197_40
; %bb.72:                               ;   in Loop: Header=BB197_41 Depth=1
	v_cmp_gt_i32_e32 vcc, s15, v102
	v_or_b32_e32 v0, 3, v100
	v_or_b32_e32 v1, 2, v100
	v_cndmask_b32_e32 v49, 0, v49, vcc
	v_cmp_gt_i32_e32 vcc, s33, v100
	s_nop 1
	v_cndmask_b32_e32 v48, 0, v48, vcc
	v_cmp_gt_i32_e32 vcc, s15, v0
	s_nop 1
	;; [unrolled: 3-line block ×3, first 2 shown]
	v_cndmask_b32_e32 v42, 0, v42, vcc
	s_branch .LBB197_40
.LBB197_73:
	s_or_b64 exec, exec, s[8:9]
.LBB197_74:
	s_or_b64 exec, exec, s[2:3]
	ds_bpermute_b32 v4, v99, v18
	ds_bpermute_b32 v5, v99, v19
	ds_bpermute_b32 v2, v99, v20
	ds_bpermute_b32 v3, v99, v21
	ds_bpermute_b32 v22, v99, v16
	ds_bpermute_b32 v23, v99, v17
	s_waitcnt lgkmcnt(4)
	v_pk_add_f32 v[4:5], v[18:19], v[4:5]
	ds_bpermute_b32 v18, v98, v4
	ds_bpermute_b32 v19, v98, v5
	s_waitcnt lgkmcnt(4)
	v_pk_add_f32 v[2:3], v[20:21], v[2:3]
	ds_bpermute_b32 v20, v98, v2
	ds_bpermute_b32 v21, v98, v3
	s_waitcnt lgkmcnt(4)
	v_pk_add_f32 v[16:17], v[16:17], v[22:23]
	s_waitcnt lgkmcnt(2)
	v_pk_add_f32 v[4:5], v[4:5], v[18:19]
	ds_bpermute_b32 v18, v99, v12
	ds_bpermute_b32 v19, v99, v13
	;; [unrolled: 1-line block ×4, first 2 shown]
	s_waitcnt lgkmcnt(4)
	v_pk_add_f32 v[2:3], v[2:3], v[20:21]
	ds_bpermute_b32 v20, v98, v16
	s_waitcnt lgkmcnt(3)
	v_pk_add_f32 v[12:13], v[12:13], v[18:19]
	ds_bpermute_b32 v18, v99, v10
	ds_bpermute_b32 v19, v99, v11
	ds_bpermute_b32 v21, v98, v17
	ds_bpermute_b32 v24, v99, v8
	ds_bpermute_b32 v25, v99, v9
	ds_bpermute_b32 v26, v99, v6
	s_waitcnt lgkmcnt(4)
	v_pk_add_f32 v[10:11], v[10:11], v[18:19]
	ds_bpermute_b32 v27, v99, v7
	ds_bpermute_b32 v18, v98, v10
	;; [unrolled: 1-line block ×3, first 2 shown]
	v_pk_add_f32 v[14:15], v[14:15], v[22:23]
	s_waitcnt lgkmcnt(6)
	v_pk_add_f32 v[16:17], v[16:17], v[20:21]
	ds_bpermute_b32 v20, v98, v14
	ds_bpermute_b32 v21, v98, v15
	s_waitcnt lgkmcnt(6)
	v_pk_add_f32 v[8:9], v[8:9], v[24:25]
	ds_bpermute_b32 v22, v98, v12
	ds_bpermute_b32 v23, v98, v13
	;; [unrolled: 1-line block ×4, first 2 shown]
	s_waitcnt lgkmcnt(8)
	v_pk_add_f32 v[6:7], v[6:7], v[26:27]
	s_waitcnt lgkmcnt(6)
	v_pk_add_f32 v[10:11], v[10:11], v[18:19]
	ds_bpermute_b32 v18, v98, v6
	ds_bpermute_b32 v19, v98, v7
	s_waitcnt lgkmcnt(6)
	v_pk_add_f32 v[14:15], v[14:15], v[20:21]
	v_and_b32_e32 v20, 0x3c3, v96
	s_waitcnt lgkmcnt(4)
	v_pk_add_f32 v[12:13], v[12:13], v[22:23]
	s_waitcnt lgkmcnt(2)
	v_pk_add_f32 v[8:9], v[8:9], v[24:25]
	v_cmp_ne_u32_e32 vcc, 64, v20
	s_waitcnt lgkmcnt(0)
	s_barrier
	s_and_saveexec_b64 s[0:1], vcc
	s_xor_b64 s[0:1], exec, s[0:1]
; %bb.75:
                                        ; implicit-def: $vgpr67
; %bb.76:
	s_or_saveexec_b64 s[0:1], s[0:1]
	v_pk_add_f32 v[6:7], v[6:7], v[18:19]
	s_xor_b64 exec, exec, s[0:1]
	s_cbranch_execz .LBB197_78
; %bb.77:
	v_add_u32_e32 v0, 0x410, v67
	ds_write2_b32 v0, v2, v3 offset1:16
	ds_write2_b32 v0, v4, v5 offset0:32 offset1:48
	ds_write2_b32 v0, v16, v17 offset0:64 offset1:80
	;; [unrolled: 1-line block ×7, first 2 shown]
.LBB197_78:
	s_or_b64 exec, exec, s[0:1]
	v_cmp_gt_u32_e32 vcc, 64, v96
	s_waitcnt lgkmcnt(0)
	s_barrier
	s_and_saveexec_b64 s[0:1], vcc
	s_cbranch_execz .LBB197_97
; %bb.79:
	v_mov_b32_e32 v0, 0x410
	v_cmp_eq_u32_e32 vcc, 0, v106
	v_lshl_add_u32 v0, v97, 2, v0
	s_and_saveexec_b64 s[2:3], vcc
	s_cbranch_execnz .LBB197_100
; %bb.80:
	s_or_b64 exec, exec, s[2:3]
	s_and_saveexec_b64 s[2:3], vcc
	s_cbranch_execnz .LBB197_101
.LBB197_81:
	s_or_b64 exec, exec, s[2:3]
	s_and_saveexec_b64 s[2:3], vcc
	s_cbranch_execnz .LBB197_102
.LBB197_82:
	s_or_b64 exec, exec, s[2:3]
	s_and_saveexec_b64 s[2:3], vcc
	s_cbranch_execnz .LBB197_103
.LBB197_83:
	s_or_b64 exec, exec, s[2:3]
	s_and_saveexec_b64 s[2:3], vcc
	s_cbranch_execnz .LBB197_104
.LBB197_84:
	s_or_b64 exec, exec, s[2:3]
	s_and_saveexec_b64 s[2:3], vcc
	s_cbranch_execnz .LBB197_105
.LBB197_85:
	s_or_b64 exec, exec, s[2:3]
	s_and_saveexec_b64 s[2:3], vcc
	s_cbranch_execnz .LBB197_106
.LBB197_86:
	s_or_b64 exec, exec, s[2:3]
	s_and_saveexec_b64 s[2:3], vcc
	s_cbranch_execnz .LBB197_107
.LBB197_87:
	s_or_b64 exec, exec, s[2:3]
	s_and_saveexec_b64 s[2:3], vcc
	s_cbranch_execnz .LBB197_108
.LBB197_88:
	s_or_b64 exec, exec, s[2:3]
	s_and_saveexec_b64 s[2:3], vcc
	s_cbranch_execnz .LBB197_109
.LBB197_89:
	s_or_b64 exec, exec, s[2:3]
	s_and_saveexec_b64 s[2:3], vcc
	s_cbranch_execnz .LBB197_110
.LBB197_90:
	s_or_b64 exec, exec, s[2:3]
	s_and_saveexec_b64 s[2:3], vcc
	s_cbranch_execnz .LBB197_111
.LBB197_91:
	s_or_b64 exec, exec, s[2:3]
	s_and_saveexec_b64 s[2:3], vcc
	s_cbranch_execnz .LBB197_112
.LBB197_92:
	s_or_b64 exec, exec, s[2:3]
	s_and_saveexec_b64 s[2:3], vcc
	s_cbranch_execnz .LBB197_113
.LBB197_93:
	s_or_b64 exec, exec, s[2:3]
	s_and_saveexec_b64 s[2:3], vcc
	s_cbranch_execnz .LBB197_114
.LBB197_94:
	s_or_b64 exec, exec, s[2:3]
	s_and_saveexec_b64 s[2:3], vcc
	s_cbranch_execz .LBB197_96
.LBB197_95:
	ds_read_b32 v0, v0 offset:960
	s_waitcnt lgkmcnt(0)
	v_add_f32_e32 v7, v7, v0
.LBB197_96:
	s_or_b64 exec, exec, s[2:3]
.LBB197_97:
	s_or_b64 exec, exec, s[0:1]
	v_cmp_eq_u32_e32 vcc, 0, v20
	s_barrier
	s_and_saveexec_b64 s[0:1], vcc
	s_cbranch_execz .LBB197_99
; %bb.98:
	s_mul_i32 s0, s16, s17
	s_mul_i32 s0, s0, s5
	s_lshl_b32 s0, s0, 8
	s_ashr_i32 s1, s0, 31
	s_lshl_b64 s[0:1], s[0:1], 2
	s_add_u32 s2, s20, s0
	s_mul_i32 s0, s17, s18
	s_addc_u32 s3, s21, s1
	s_ashr_i32 s1, s0, 31
	s_lshl_b64 s[0:1], s[0:1], 2
	s_add_u32 s2, s2, s0
	s_addc_u32 s3, s3, s1
	s_lshl_b32 s0, s4, 8
	s_ashr_i32 s1, s0, 31
	s_lshl_b64 s[0:1], s[0:1], 2
	s_add_u32 s0, s2, s0
	s_addc_u32 s1, s3, s1
	global_store_dword v66, v2, s[0:1]
	global_store_dword v66, v3, s[0:1] offset:64
	global_store_dword v66, v4, s[0:1] offset:128
	;; [unrolled: 1-line block ×15, first 2 shown]
.LBB197_99:
	s_endpgm
.LBB197_100:
	ds_read_b32 v1, v0
	s_waitcnt lgkmcnt(0)
	v_add_f32_e32 v2, v2, v1
	s_or_b64 exec, exec, s[2:3]
	s_and_saveexec_b64 s[2:3], vcc
	s_cbranch_execz .LBB197_81
.LBB197_101:
	ds_read_b32 v1, v0 offset:64
	s_waitcnt lgkmcnt(0)
	v_add_f32_e32 v3, v3, v1
	s_or_b64 exec, exec, s[2:3]
	s_and_saveexec_b64 s[2:3], vcc
	s_cbranch_execz .LBB197_82
.LBB197_102:
	ds_read_b32 v1, v0 offset:128
	s_waitcnt lgkmcnt(0)
	v_add_f32_e32 v4, v4, v1
	s_or_b64 exec, exec, s[2:3]
	s_and_saveexec_b64 s[2:3], vcc
	s_cbranch_execz .LBB197_83
.LBB197_103:
	ds_read_b32 v1, v0 offset:192
	s_waitcnt lgkmcnt(0)
	v_add_f32_e32 v5, v5, v1
	s_or_b64 exec, exec, s[2:3]
	s_and_saveexec_b64 s[2:3], vcc
	s_cbranch_execz .LBB197_84
.LBB197_104:
	ds_read_b32 v1, v0 offset:256
	s_waitcnt lgkmcnt(0)
	v_add_f32_e32 v16, v16, v1
	s_or_b64 exec, exec, s[2:3]
	s_and_saveexec_b64 s[2:3], vcc
	s_cbranch_execz .LBB197_85
.LBB197_105:
	ds_read_b32 v1, v0 offset:320
	s_waitcnt lgkmcnt(0)
	v_add_f32_e32 v17, v17, v1
	s_or_b64 exec, exec, s[2:3]
	s_and_saveexec_b64 s[2:3], vcc
	s_cbranch_execz .LBB197_86
.LBB197_106:
	ds_read_b32 v1, v0 offset:384
	s_waitcnt lgkmcnt(0)
	v_add_f32_e32 v14, v14, v1
	s_or_b64 exec, exec, s[2:3]
	s_and_saveexec_b64 s[2:3], vcc
	s_cbranch_execz .LBB197_87
.LBB197_107:
	ds_read_b32 v1, v0 offset:448
	s_waitcnt lgkmcnt(0)
	v_add_f32_e32 v15, v15, v1
	s_or_b64 exec, exec, s[2:3]
	s_and_saveexec_b64 s[2:3], vcc
	s_cbranch_execz .LBB197_88
.LBB197_108:
	ds_read_b32 v1, v0 offset:512
	s_waitcnt lgkmcnt(0)
	v_add_f32_e32 v12, v12, v1
	s_or_b64 exec, exec, s[2:3]
	s_and_saveexec_b64 s[2:3], vcc
	s_cbranch_execz .LBB197_89
.LBB197_109:
	ds_read_b32 v1, v0 offset:576
	s_waitcnt lgkmcnt(0)
	v_add_f32_e32 v13, v13, v1
	s_or_b64 exec, exec, s[2:3]
	s_and_saveexec_b64 s[2:3], vcc
	s_cbranch_execz .LBB197_90
.LBB197_110:
	ds_read_b32 v1, v0 offset:640
	s_waitcnt lgkmcnt(0)
	v_add_f32_e32 v10, v10, v1
	s_or_b64 exec, exec, s[2:3]
	s_and_saveexec_b64 s[2:3], vcc
	s_cbranch_execz .LBB197_91
.LBB197_111:
	ds_read_b32 v1, v0 offset:704
	s_waitcnt lgkmcnt(0)
	v_add_f32_e32 v11, v11, v1
	s_or_b64 exec, exec, s[2:3]
	s_and_saveexec_b64 s[2:3], vcc
	s_cbranch_execz .LBB197_92
.LBB197_112:
	ds_read_b32 v1, v0 offset:768
	s_waitcnt lgkmcnt(0)
	v_add_f32_e32 v8, v8, v1
	s_or_b64 exec, exec, s[2:3]
	s_and_saveexec_b64 s[2:3], vcc
	s_cbranch_execz .LBB197_93
.LBB197_113:
	ds_read_b32 v1, v0 offset:832
	s_waitcnt lgkmcnt(0)
	v_add_f32_e32 v9, v9, v1
	s_or_b64 exec, exec, s[2:3]
	s_and_saveexec_b64 s[2:3], vcc
	s_cbranch_execz .LBB197_94
.LBB197_114:
	ds_read_b32 v1, v0 offset:896
	s_waitcnt lgkmcnt(0)
	v_add_f32_e32 v6, v6, v1
	s_or_b64 exec, exec, s[2:3]
	s_and_saveexec_b64 s[2:3], vcc
	s_cbranch_execnz .LBB197_95
	s_branch .LBB197_96
	.section	.rodata,"a",@progbits
	.p2align	6, 0x0
	.amdhsa_kernel _ZN4vllm25paged_attention_v1_kernelIfhLi256ELi16ELi128ELNS_18Fp8KVCacheDataTypeE1ELb0EEEvPT_PKS2_PKT0_S8_ifPKiSA_iPKfiiiSC_SC_iiiii
		.amdhsa_group_segment_fixed_size 1040
		.amdhsa_private_segment_fixed_size 84
		.amdhsa_kernarg_size 384
		.amdhsa_user_sgpr_count 2
		.amdhsa_user_sgpr_dispatch_ptr 0
		.amdhsa_user_sgpr_queue_ptr 0
		.amdhsa_user_sgpr_kernarg_segment_ptr 1
		.amdhsa_user_sgpr_dispatch_id 0
		.amdhsa_user_sgpr_kernarg_preload_length 0
		.amdhsa_user_sgpr_kernarg_preload_offset 0
		.amdhsa_user_sgpr_private_segment_size 0
		.amdhsa_uses_dynamic_stack 0
		.amdhsa_enable_private_segment 1
		.amdhsa_system_sgpr_workgroup_id_x 1
		.amdhsa_system_sgpr_workgroup_id_y 1
		.amdhsa_system_sgpr_workgroup_id_z 1
		.amdhsa_system_sgpr_workgroup_info 0
		.amdhsa_system_vgpr_workitem_id 0
		.amdhsa_next_free_vgpr 128
		.amdhsa_next_free_sgpr 37
		.amdhsa_accum_offset 128
		.amdhsa_reserve_vcc 1
		.amdhsa_float_round_mode_32 0
		.amdhsa_float_round_mode_16_64 0
		.amdhsa_float_denorm_mode_32 3
		.amdhsa_float_denorm_mode_16_64 3
		.amdhsa_dx10_clamp 1
		.amdhsa_ieee_mode 1
		.amdhsa_fp16_overflow 0
		.amdhsa_tg_split 0
		.amdhsa_exception_fp_ieee_invalid_op 0
		.amdhsa_exception_fp_denorm_src 0
		.amdhsa_exception_fp_ieee_div_zero 0
		.amdhsa_exception_fp_ieee_overflow 0
		.amdhsa_exception_fp_ieee_underflow 0
		.amdhsa_exception_fp_ieee_inexact 0
		.amdhsa_exception_int_div_zero 0
	.end_amdhsa_kernel
	.section	.text._ZN4vllm25paged_attention_v1_kernelIfhLi256ELi16ELi128ELNS_18Fp8KVCacheDataTypeE1ELb0EEEvPT_PKS2_PKT0_S8_ifPKiSA_iPKfiiiSC_SC_iiiii,"axG",@progbits,_ZN4vllm25paged_attention_v1_kernelIfhLi256ELi16ELi128ELNS_18Fp8KVCacheDataTypeE1ELb0EEEvPT_PKS2_PKT0_S8_ifPKiSA_iPKfiiiSC_SC_iiiii,comdat
.Lfunc_end197:
	.size	_ZN4vllm25paged_attention_v1_kernelIfhLi256ELi16ELi128ELNS_18Fp8KVCacheDataTypeE1ELb0EEEvPT_PKS2_PKT0_S8_ifPKiSA_iPKfiiiSC_SC_iiiii, .Lfunc_end197-_ZN4vllm25paged_attention_v1_kernelIfhLi256ELi16ELi128ELNS_18Fp8KVCacheDataTypeE1ELb0EEEvPT_PKS2_PKT0_S8_ifPKiSA_iPKfiiiSC_SC_iiiii
                                        ; -- End function
	.set _ZN4vllm25paged_attention_v1_kernelIfhLi256ELi16ELi128ELNS_18Fp8KVCacheDataTypeE1ELb0EEEvPT_PKS2_PKT0_S8_ifPKiSA_iPKfiiiSC_SC_iiiii.num_vgpr, 128
	.set _ZN4vllm25paged_attention_v1_kernelIfhLi256ELi16ELi128ELNS_18Fp8KVCacheDataTypeE1ELb0EEEvPT_PKS2_PKT0_S8_ifPKiSA_iPKfiiiSC_SC_iiiii.num_agpr, 0
	.set _ZN4vllm25paged_attention_v1_kernelIfhLi256ELi16ELi128ELNS_18Fp8KVCacheDataTypeE1ELb0EEEvPT_PKS2_PKT0_S8_ifPKiSA_iPKfiiiSC_SC_iiiii.numbered_sgpr, 37
	.set _ZN4vllm25paged_attention_v1_kernelIfhLi256ELi16ELi128ELNS_18Fp8KVCacheDataTypeE1ELb0EEEvPT_PKS2_PKT0_S8_ifPKiSA_iPKfiiiSC_SC_iiiii.num_named_barrier, 0
	.set _ZN4vllm25paged_attention_v1_kernelIfhLi256ELi16ELi128ELNS_18Fp8KVCacheDataTypeE1ELb0EEEvPT_PKS2_PKT0_S8_ifPKiSA_iPKfiiiSC_SC_iiiii.private_seg_size, 84
	.set _ZN4vllm25paged_attention_v1_kernelIfhLi256ELi16ELi128ELNS_18Fp8KVCacheDataTypeE1ELb0EEEvPT_PKS2_PKT0_S8_ifPKiSA_iPKfiiiSC_SC_iiiii.uses_vcc, 1
	.set _ZN4vllm25paged_attention_v1_kernelIfhLi256ELi16ELi128ELNS_18Fp8KVCacheDataTypeE1ELb0EEEvPT_PKS2_PKT0_S8_ifPKiSA_iPKfiiiSC_SC_iiiii.uses_flat_scratch, 0
	.set _ZN4vllm25paged_attention_v1_kernelIfhLi256ELi16ELi128ELNS_18Fp8KVCacheDataTypeE1ELb0EEEvPT_PKS2_PKT0_S8_ifPKiSA_iPKfiiiSC_SC_iiiii.has_dyn_sized_stack, 0
	.set _ZN4vllm25paged_attention_v1_kernelIfhLi256ELi16ELi128ELNS_18Fp8KVCacheDataTypeE1ELb0EEEvPT_PKS2_PKT0_S8_ifPKiSA_iPKfiiiSC_SC_iiiii.has_recursion, 0
	.set _ZN4vllm25paged_attention_v1_kernelIfhLi256ELi16ELi128ELNS_18Fp8KVCacheDataTypeE1ELb0EEEvPT_PKS2_PKT0_S8_ifPKiSA_iPKfiiiSC_SC_iiiii.has_indirect_call, 0
	.section	.AMDGPU.csdata,"",@progbits
; Kernel info:
; codeLenInByte = 8628
; TotalNumSgprs: 43
; NumVgprs: 128
; NumAgprs: 0
; TotalNumVgprs: 128
; ScratchSize: 84
; MemoryBound: 0
; FloatMode: 240
; IeeeMode: 1
; LDSByteSize: 1040 bytes/workgroup (compile time only)
; SGPRBlocks: 5
; VGPRBlocks: 15
; NumSGPRsForWavesPerEU: 43
; NumVGPRsForWavesPerEU: 128
; AccumOffset: 128
; Occupancy: 4
; WaveLimiterHint : 1
; COMPUTE_PGM_RSRC2:SCRATCH_EN: 1
; COMPUTE_PGM_RSRC2:USER_SGPR: 2
; COMPUTE_PGM_RSRC2:TRAP_HANDLER: 0
; COMPUTE_PGM_RSRC2:TGID_X_EN: 1
; COMPUTE_PGM_RSRC2:TGID_Y_EN: 1
; COMPUTE_PGM_RSRC2:TGID_Z_EN: 1
; COMPUTE_PGM_RSRC2:TIDIG_COMP_CNT: 0
; COMPUTE_PGM_RSRC3_GFX90A:ACCUM_OFFSET: 31
; COMPUTE_PGM_RSRC3_GFX90A:TG_SPLIT: 0
	.section	.text._ZN4vllm25paged_attention_v1_kernelIfhLi32ELi32ELi128ELNS_18Fp8KVCacheDataTypeE1ELb1EEEvPT_PKS2_PKT0_S8_ifPKiSA_iPKfiiiSC_SC_iiiii,"axG",@progbits,_ZN4vllm25paged_attention_v1_kernelIfhLi32ELi32ELi128ELNS_18Fp8KVCacheDataTypeE1ELb1EEEvPT_PKS2_PKT0_S8_ifPKiSA_iPKfiiiSC_SC_iiiii,comdat
	.protected	_ZN4vllm25paged_attention_v1_kernelIfhLi32ELi32ELi128ELNS_18Fp8KVCacheDataTypeE1ELb1EEEvPT_PKS2_PKT0_S8_ifPKiSA_iPKfiiiSC_SC_iiiii ; -- Begin function _ZN4vllm25paged_attention_v1_kernelIfhLi32ELi32ELi128ELNS_18Fp8KVCacheDataTypeE1ELb1EEEvPT_PKS2_PKT0_S8_ifPKiSA_iPKfiiiSC_SC_iiiii
	.globl	_ZN4vllm25paged_attention_v1_kernelIfhLi32ELi32ELi128ELNS_18Fp8KVCacheDataTypeE1ELb1EEEvPT_PKS2_PKT0_S8_ifPKiSA_iPKfiiiSC_SC_iiiii
	.p2align	8
	.type	_ZN4vllm25paged_attention_v1_kernelIfhLi32ELi32ELi128ELNS_18Fp8KVCacheDataTypeE1ELb1EEEvPT_PKS2_PKT0_S8_ifPKiSA_iPKfiiiSC_SC_iiiii,@function
_ZN4vllm25paged_attention_v1_kernelIfhLi32ELi32ELi128ELNS_18Fp8KVCacheDataTypeE1ELb1EEEvPT_PKS2_PKT0_S8_ifPKiSA_iPKfiiiSC_SC_iiiii: ; @_ZN4vllm25paged_attention_v1_kernelIfhLi32ELi32ELi128ELNS_18Fp8KVCacheDataTypeE1ELb1EEEvPT_PKS2_PKT0_S8_ifPKiSA_iPKfiiiSC_SC_iiiii
; %bb.0:
	s_load_dword s5, s[0:1], 0x80
	s_load_dwordx2 s[6:7], s[0:1], 0x30
	s_load_dwordx2 s[36:37], s[0:1], 0x20
	s_mov_b32 s10, s3
	s_ashr_i32 s11, s3, 31
	s_lshl_b64 s[8:9], s[10:11], 2
	s_waitcnt lgkmcnt(0)
	s_add_u32 s6, s6, s8
	s_addc_u32 s7, s7, s9
	s_abs_i32 s3, s36
	v_cvt_f32_u32_e32 v1, s3
	s_sub_i32 s11, 0, s3
	s_abs_i32 s9, s5
	s_xor_b32 s8, s5, s36
	v_rcp_iflag_f32_e32 v1, v1
	s_ashr_i32 s8, s8, 31
	s_mov_b32 s44, 0
	v_mul_f32_e32 v1, 0x4f7ffffe, v1
	v_cvt_u32_f32_e32 v1, v1
	s_nop 0
	v_readfirstlane_b32 s12, v1
	s_mul_i32 s11, s11, s12
	s_mul_hi_u32 s11, s12, s11
	s_add_i32 s12, s12, s11
	s_mul_hi_u32 s11, s9, s12
	s_mul_i32 s12, s11, s3
	s_sub_i32 s9, s9, s12
	s_add_i32 s12, s11, 1
	s_sub_i32 s13, s9, s3
	s_cmp_ge_u32 s9, s3
	s_cselect_b32 s11, s12, s11
	s_cselect_b32 s9, s13, s9
	s_add_i32 s12, s11, 1
	s_cmp_ge_u32 s9, s3
	s_cselect_b32 s3, s12, s11
	s_xor_b32 s3, s3, s8
	s_sub_i32 s14, s3, s8
	s_abs_i32 s11, s14
	v_cvt_f32_u32_e32 v1, s11
	s_load_dwordx2 s[8:9], s[0:1], 0x40
	s_sub_i32 s3, 0, s11
	s_abs_i32 s12, s2
	v_rcp_iflag_f32_e32 v1, v1
	s_nop 0
	v_mul_f32_e32 v1, 0x4f7ffffe, v1
	v_cvt_u32_f32_e32 v1, v1
	s_nop 0
	v_readfirstlane_b32 s13, v1
	s_mul_i32 s3, s3, s13
	s_mul_hi_u32 s3, s13, s3
	s_add_i32 s13, s13, s3
	s_waitcnt lgkmcnt(0)
	s_cmp_eq_u64 s[8:9], 0
	s_mul_hi_u32 s13, s12, s13
	s_cbranch_scc1 .LBB198_2
; %bb.1:
	s_ashr_i32 s3, s2, 31
	s_lshl_b64 s[16:17], s[2:3], 2
	s_add_u32 s8, s8, s16
	s_addc_u32 s9, s9, s17
	s_load_dword s44, s[8:9], 0x0
.LBB198_2:
	s_load_dword s33, s[6:7], 0x0
	s_load_dwordx4 s[16:19], s[0:1], 0x48
	s_ashr_i32 s8, s2, 31
	s_ashr_i32 s9, s14, 31
	v_and_b32_e32 v2, 1, v0
	s_lshl_b32 s24, s2, 5
	v_cmp_gt_u32_e32 vcc, 16, v0
	v_lshlrev_b32_e32 v10, 2, v0
	s_and_saveexec_b64 s[6:7], vcc
	s_cbranch_execz .LBB198_4
; %bb.3:
	s_load_dwordx2 s[14:15], s[0:1], 0x8
	s_waitcnt lgkmcnt(0)
	s_mul_i32 s20, s16, s10
	s_ashr_i32 s21, s20, 31
	s_lshl_b64 s[20:21], s[20:21], 2
	v_lshlrev_b32_e32 v1, 3, v0
	s_add_u32 s3, s14, s20
	s_addc_u32 s16, s15, s21
	s_ashr_i32 s25, s24, 31
	s_lshl_b64 s[14:15], s[24:25], 2
	s_add_u32 s14, s3, s14
	s_addc_u32 s15, s16, s15
	global_load_dwordx2 v[4:5], v1, s[14:15]
	v_and_b32_e32 v1, 0xff8, v10
	v_lshl_add_u32 v1, v2, 6, v1
	s_waitcnt vmcnt(0)
	ds_write_b64 v1, v[4:5]
.LBB198_4:
	s_or_b64 exec, exec, s[6:7]
	s_mul_i32 s7, s13, s11
	s_sub_i32 s7, s12, s7
	s_xor_b32 s6, s8, s9
	s_add_i32 s8, s13, 1
	s_sub_i32 s9, s7, s11
	s_load_dwordx4 s[20:23], s[0:1], 0x68
	s_load_dword s3, s[0:1], 0x78
	s_cmp_ge_u32 s7, s11
	s_cselect_b32 s8, s8, s13
	s_cselect_b32 s7, s9, s7
	s_add_i32 s9, s8, 1
	s_cmp_ge_u32 s7, s11
	s_cselect_b32 s7, s9, s8
	s_waitcnt lgkmcnt(0)
	s_abs_i32 s25, s23
	v_cvt_f32_u32_e32 v1, s25
	s_xor_b32 s7, s7, s6
	s_sub_i32 s43, s7, s6
	s_sub_i32 s6, 0, s25
	v_rcp_iflag_f32_e32 v1, v1
	s_add_i32 s11, s33, -1
	s_abs_i32 s8, s11
	v_mul_f32_e32 v1, 0x4f7ffffe, v1
	v_cvt_u32_f32_e32 v1, v1
	s_barrier
	v_readfirstlane_b32 s42, v1
	s_mul_i32 s6, s6, s42
	s_mul_hi_u32 s6, s42, s6
	s_add_i32 s42, s42, s6
	s_cmp_lt_i32 s3, 0
	s_mul_hi_u32 s9, s8, s42
	s_cbranch_scc0 .LBB198_6
; %bb.5:
	s_mul_i32 s6, s20, s36
	s_add_i32 s6, s43, s6
	s_mul_i32 s6, s6, s3
	s_sub_i32 s36, 1, s6
	s_mov_b64 s[6:7], 0
	s_branch .LBB198_7
.LBB198_6:
	s_mov_b64 s[6:7], -1
                                        ; implicit-def: $sgpr36
.LBB198_7:
	s_load_dwordx2 s[28:29], s[0:1], 0x28
	s_ashr_i32 s16, s11, 31
	s_andn2_b64 vcc, exec, s[6:7]
	s_ashr_i32 s23, s23, 31
	s_cbranch_vccnz .LBB198_9
; %bb.8:
	s_mul_i32 s6, s5, s20
	s_add_i32 s2, s6, s2
	s_mul_i32 s2, s2, s3
	s_add_i32 s36, s2, 1
.LBB198_9:
	s_load_dword s2, s[0:1], 0x38
	s_load_dwordx2 s[26:27], s[0:1], 0x0
	s_load_dwordx2 s[34:35], s[0:1], 0x18
	s_load_dword s11, s[0:1], 0x88
	s_load_dwordx4 s[12:15], s[0:1], 0x58
	s_mul_i32 s3, s9, s25
	s_waitcnt lgkmcnt(0)
	s_mul_i32 s30, s2, s10
	s_sub_i32 s3, s8, s3
	s_ashr_i32 s31, s30, 31
	s_xor_b32 s2, s16, s23
	s_add_i32 s6, s9, 1
	s_sub_i32 s7, s3, s25
	s_cmp_ge_u32 s3, s25
	s_cselect_b32 s6, s6, s9
	s_cselect_b32 s3, s7, s3
	s_add_i32 s7, s6, 1
	s_cmp_ge_u32 s3, s25
	s_cselect_b32 s3, s7, s6
	s_xor_b32 s3, s3, s2
	s_sub_i32 s16, s3, s2
	s_add_i32 s2, s33, 31
	s_ashr_i32 s3, s2, 31
	s_lshr_b32 s3, s3, 27
	s_add_i32 s2, s2, s3
	s_ashr_i32 s20, s2, 5
	v_lshrrev_b32_e32 v1, 6, v0
	v_cmp_gt_i32_e64 s[6:7], s20, v1
	v_mov_b32_e32 v9, 0xff7fffff
	s_mul_i32 s43, s43, s18
	v_lshrrev_b32_e32 v12, 4, v0
	v_lshlrev_b32_e32 v30, 5, v1
	v_mbcnt_lo_u32_b32 v6, -1, 0
	s_and_saveexec_b64 s[18:19], s[6:7]
	s_cbranch_execz .LBB198_21
; %bb.10:
	s_load_dwordx2 s[0:1], s[0:1], 0x10
	s_sub_i32 s45, s16, s21
	s_ashr_i32 s2, s43, 31
	v_bfe_u32 v7, v0, 1, 5
	v_mov_b32_e32 v5, 0
	s_waitcnt lgkmcnt(0)
	s_add_u32 s0, s0, s43
	s_addc_u32 s1, s1, s2
	s_abs_i32 s46, s22
	v_cvt_f32_u32_e32 v3, s46
	v_lshlrev_b32_e32 v4, 4, v7
	v_lshl_add_u64 v[14:15], s[0:1], 0, v[4:5]
	s_sub_i32 s0, 0, s46
	v_rcp_iflag_f32_e32 v3, v3
	v_cmp_eq_u32_e32 vcc, 0, v2
	v_lshlrev_b32_e32 v8, 6, v2
	v_lshlrev_b32_e32 v4, 1, v2
	v_mul_f32_e32 v3, 0x4f7ffffe, v3
	v_cvt_u32_f32_e32 v3, v3
	v_subrev_u32_e32 v9, s33, v7
	v_mbcnt_hi_u32_b32 v17, -1, v6
	s_mov_b32 s47, s17
	v_mul_lo_u32 v2, s0, v3
	v_mul_hi_u32 v2, v3, v2
	v_add_u32_e32 v11, v3, v2
	v_lshl_add_u64 v[2:3], v[14:15], 0, v[4:5]
	s_lshl_b64 s[0:1], s[30:31], 2
	v_add_u32_e32 v14, 1, v9
	v_lshlrev_b32_e32 v9, 2, v7
	s_add_u32 s0, s28, s0
	v_lshl_or_b32 v9, v1, 7, v9
	v_and_b32_e32 v4, 60, v12
	s_addc_u32 s1, s29, s1
	v_add_u32_e32 v15, 0x90, v9
	v_and_b32_e32 v9, 64, v17
	v_cmp_neq_f32_e64 s[2:3], s44, 0
	v_lshl_add_u64 v[4:5], s[0:1], 0, v[4:5]
	v_lshlrev_b32_e32 v13, 5, v1
	v_mov_b32_e32 v16, 0xff7fffff
	s_mov_b64 s[38:39], 0
	v_xor_b32_e32 v18, 1, v17
	v_add_u32_e32 v19, 64, v9
	v_mov_b32_e32 v9, 0xff7fffff
	v_mov_b32_e32 v20, v1
	s_branch .LBB198_13
.LBB198_11:                             ;   in Loop: Header=BB198_13 Depth=1
	s_or_b64 exec, exec, s[40:41]
.LBB198_12:                             ;   in Loop: Header=BB198_13 Depth=1
	s_or_b64 exec, exec, s[8:9]
	v_add_u32_e32 v20, 2, v20
	v_cmp_le_i32_e64 s[0:1], s20, v20
	v_lshl_add_u64 v[4:5], v[4:5], 0, 8
	v_add_u32_e32 v13, 64, v13
	s_or_b64 s[38:39], s[0:1], s[38:39]
	v_add_u32_e32 v15, 0x100, v15
	s_andn2_b64 exec, exec, s[38:39]
	s_cbranch_execz .LBB198_20
.LBB198_13:                             ; =>This Inner Loop Header: Depth=1
	v_mul_hi_u32 v21, v13, s42
	s_waitcnt lgkmcnt(0)
	v_mul_lo_u32 v22, v21, s25
	v_sub_u32_e32 v22, v13, v22
	v_add_u32_e32 v23, 1, v21
	v_cmp_le_u32_e64 s[0:1], s25, v22
	s_nop 1
	v_cndmask_b32_e64 v21, v21, v23, s[0:1]
	v_subrev_u32_e32 v23, s25, v22
	v_cndmask_b32_e64 v22, v22, v23, s[0:1]
	v_add_u32_e32 v23, 1, v21
	v_cmp_le_u32_e64 s[0:1], s25, v22
	s_nop 1
	v_cndmask_b32_e64 v21, v21, v23, s[0:1]
	v_xor_b32_e32 v21, s23, v21
	v_subrev_u32_e32 v21, s23, v21
	v_add_u32_e32 v22, s36, v21
	v_sub_u32_e32 v24, 0, v22
	v_ashrrev_i32_e32 v23, 31, v22
	v_max_i32_e32 v22, v22, v24
	v_mul_hi_u32 v24, v22, v11
	v_mul_lo_u32 v24, v24, s46
	v_sub_u32_e32 v22, v22, v24
	v_subrev_u32_e32 v24, s46, v22
	v_cmp_le_u32_e64 s[0:1], s46, v22
	v_cmp_ge_i32_e64 s[8:9], s45, v21
	s_nop 0
	v_cndmask_b32_e64 v22, v22, v24, s[0:1]
	v_subrev_u32_e32 v24, s46, v22
	v_cmp_le_u32_e64 s[0:1], s46, v22
	s_nop 1
	v_cndmask_b32_e64 v22, v22, v24, s[0:1]
	v_xor_b32_e32 v22, v22, v23
	v_sub_u32_e32 v22, v22, v23
	v_cmp_ne_u32_e64 s[0:1], 0, v22
	s_and_b64 s[0:1], s[0:1], s[8:9]
	s_and_saveexec_b64 s[8:9], s[0:1]
	s_xor_b64 s[0:1], exec, s[8:9]
	s_cbranch_execz .LBB198_17
; %bb.14:                               ;   in Loop: Header=BB198_13 Depth=1
	s_and_saveexec_b64 s[8:9], vcc
; %bb.15:                               ;   in Loop: Header=BB198_13 Depth=1
	ds_write_b32 v15, v16
; %bb.16:                               ;   in Loop: Header=BB198_13 Depth=1
	s_or_b64 exec, exec, s[8:9]
.LBB198_17:                             ;   in Loop: Header=BB198_13 Depth=1
	s_andn2_saveexec_b64 s[8:9], s[0:1]
	s_cbranch_execz .LBB198_12
; %bb.18:                               ;   in Loop: Header=BB198_13 Depth=1
	global_load_dword v21, v[4:5], off
	s_waitcnt vmcnt(0)
	v_mad_i64_i32 v[22:23], s[0:1], v21, s47, v[2:3]
	global_load_ushort v21, v[22:23], off
	global_load_ushort v31, v[22:23], off offset:4
	global_load_ushort v44, v[22:23], off offset:8
	;; [unrolled: 1-line block ×7, first 2 shown]
	v_cmp_lt_i32_e64 s[0:1], v18, v19
	ds_read_b128 v[22:25], v8
	ds_read_b128 v[26:29], v8 offset:16
	ds_read_b128 v[32:35], v8 offset:32
	;; [unrolled: 1-line block ×3, first 2 shown]
	v_cndmask_b32_e64 v40, v17, v18, s[0:1]
	s_load_dword s0, s[12:13], 0x0
	v_lshlrev_b32_e32 v56, 2, v40
	s_waitcnt vmcnt(7)
	v_cvt_pk_f32_fp8_e32 v[40:41], v21
	s_waitcnt vmcnt(6)
	v_cvt_pk_f32_fp8_e32 v[42:43], v31
	;; [unrolled: 2-line block ×5, first 2 shown]
	s_waitcnt lgkmcnt(0)
	v_pk_mul_f32 v[42:43], s[0:1], v[42:43] op_sel_hi:[0,1]
	s_waitcnt vmcnt(2)
	v_cvt_pk_f32_fp8_e32 v[50:51], v50
	v_pk_mul_f32 v[40:41], v[40:41], s[0:1] op_sel_hi:[1,0]
	v_mul_f32_e32 v21, v24, v42
	v_mul_f32_e32 v24, v25, v43
	s_waitcnt vmcnt(1)
	v_cvt_pk_f32_fp8_e32 v[52:53], v52
	v_pk_mul_f32 v[44:45], s[0:1], v[44:45] op_sel_hi:[0,1]
	v_fmac_f32_e32 v21, v22, v40
	v_fmac_f32_e32 v24, v23, v41
	s_waitcnt vmcnt(0)
	v_cvt_pk_f32_fp8_e32 v[54:55], v54
	v_pk_mul_f32 v[46:47], s[0:1], v[46:47] op_sel_hi:[0,1]
	v_fmac_f32_e32 v21, v26, v44
	v_fmac_f32_e32 v24, v27, v45
	v_pk_mul_f32 v[48:49], s[0:1], v[48:49] op_sel_hi:[0,1]
	v_fmac_f32_e32 v21, v28, v46
	v_fmac_f32_e32 v24, v29, v47
	;; [unrolled: 3-line block ×5, first 2 shown]
	v_fmac_f32_e32 v21, v38, v54
	v_fmac_f32_e32 v24, v39, v55
	v_add_f32_e32 v21, v21, v24
	ds_bpermute_b32 v22, v56, v21
	s_and_saveexec_b64 s[40:41], vcc
	s_cbranch_execz .LBB198_11
; %bb.19:                               ;   in Loop: Header=BB198_13 Depth=1
	v_add_u32_e32 v23, v14, v13
	v_cvt_f32_i32_e32 v23, v23
	s_waitcnt lgkmcnt(0)
	v_add_f32_e32 v21, v21, v22
	v_add_u32_e32 v24, v7, v13
	v_cmp_gt_i32_e64 s[0:1], s33, v24
	v_mul_f32_e32 v22, s44, v23
	v_cndmask_b32_e64 v22, 0, v22, s[2:3]
	v_fmac_f32_e32 v22, s37, v21
	v_cndmask_b32_e64 v21, 0, v22, s[0:1]
	ds_write_b32 v15, v21
	v_max_f32_e32 v21, v9, v9
	v_max_f32_e32 v21, v21, v22
	v_cndmask_b32_e64 v9, v9, v21, s[0:1]
	s_branch .LBB198_11
.LBB198_20:
	s_or_b64 exec, exec, s[38:39]
.LBB198_21:
	s_or_b64 exec, exec, s[18:19]
	v_mbcnt_hi_u32_b32 v2, -1, v6
	v_and_b32_e32 v8, 64, v2
	v_add_u32_e32 v11, 64, v8
	v_xor_b32_e32 v3, 32, v2
	v_cmp_lt_i32_e32 vcc, v3, v11
	v_xor_b32_e32 v6, 16, v2
	v_max_f32_e32 v5, v9, v9
	v_cndmask_b32_e32 v3, v2, v3, vcc
	v_lshlrev_b32_e32 v3, 2, v3
	ds_bpermute_b32 v4, v3, v9
	v_cmp_lt_i32_e32 vcc, v6, v11
	v_xor_b32_e32 v7, 8, v2
	v_xor_b32_e32 v9, 4, v2
	v_and_b32_e32 v31, 63, v0
	s_waitcnt lgkmcnt(0)
	v_max_f32_e32 v4, v4, v4
	v_max_f32_e32 v5, v5, v4
	v_cndmask_b32_e32 v4, v2, v6, vcc
	v_lshlrev_b32_e32 v4, 2, v4
	ds_bpermute_b32 v6, v4, v5
	v_cmp_lt_i32_e32 vcc, v7, v11
	s_waitcnt lgkmcnt(0)
	v_max_f32_e32 v6, v6, v6
	v_max_f32_e32 v6, v5, v6
	v_cndmask_b32_e32 v5, v2, v7, vcc
	v_lshlrev_b32_e32 v5, 2, v5
	ds_bpermute_b32 v7, v5, v6
	v_cmp_lt_i32_e32 vcc, v9, v11
	s_waitcnt lgkmcnt(0)
	v_max_f32_e32 v7, v7, v7
	v_max_f32_e32 v6, v6, v7
	v_cndmask_b32_e32 v7, v2, v9, vcc
	v_lshlrev_b32_e32 v32, 2, v7
	ds_bpermute_b32 v7, v32, v6
	v_xor_b32_e32 v9, 2, v2
	v_cmp_lt_i32_e32 vcc, v9, v11
	s_waitcnt lgkmcnt(0)
	v_max_f32_e32 v7, v7, v7
	v_max_f32_e32 v7, v6, v7
	v_cndmask_b32_e32 v6, v2, v9, vcc
	v_lshlrev_b32_e32 v33, 2, v6
	ds_bpermute_b32 v9, v33, v7
	v_cmp_eq_u32_e32 vcc, 0, v31
	v_lshlrev_b32_e32 v6, 2, v1
	s_and_saveexec_b64 s[0:1], vcc
	s_cbranch_execz .LBB198_23
; %bb.22:
	s_waitcnt lgkmcnt(0)
	v_max_f32_e32 v9, v9, v9
	v_max_f32_e32 v7, v7, v7
	v_max_f32_e32 v7, v7, v9
	ds_write_b32 v6, v7 offset:128
.LBB198_23:
	s_or_b64 exec, exec, s[0:1]
	v_cmp_gt_u32_e64 s[0:1], 2, v31
	s_waitcnt lgkmcnt(0)
	v_mov_b32_e32 v9, 0xff7fffff
	v_lshlrev_b32_e32 v7, 2, v31
	s_barrier
	s_and_saveexec_b64 s[2:3], s[0:1]
; %bb.24:
	ds_read_b32 v9, v7 offset:128
; %bb.25:
	s_or_b64 exec, exec, s[2:3]
	v_xor_b32_e32 v13, 1, v2
	v_cmp_lt_i32_e64 s[2:3], v13, v11
	v_lshlrev_b32_e32 v8, 2, v8
	s_nop 0
	v_cndmask_b32_e64 v11, v2, v13, s[2:3]
	v_lshlrev_b32_e32 v34, 2, v11
	s_waitcnt lgkmcnt(0)
	ds_bpermute_b32 v11, v34, v9
	v_max_f32_e32 v9, v9, v9
	s_lshl_b32 s2, s20, 5
	s_min_i32 s37, s2, s33
	v_cmp_gt_i32_e64 s[2:3], s37, v0
	s_waitcnt lgkmcnt(0)
	v_max_f32_e32 v11, v11, v11
	v_max_f32_e32 v9, v9, v11
	ds_bpermute_b32 v9, v8, v9
	v_mov_b32_e32 v8, 0
	s_and_saveexec_b64 s[12:13], s[2:3]
	s_cbranch_execz .LBB198_29
; %bb.26:
	v_mov_b32_e32 v8, 0x90
	v_lshl_add_u32 v11, v0, 2, v8
	v_mov_b32_e32 v8, 0
	s_mov_b64 s[18:19], 0
	v_mov_b32_e32 v13, v0
.LBB198_27:                             ; =>This Inner Loop Header: Depth=1
	ds_read_b32 v14, v11
	v_add_u32_e32 v13, 0x80, v13
	v_cmp_le_i32_e64 s[8:9], s37, v13
	s_or_b64 s[18:19], s[8:9], s[18:19]
	s_waitcnt lgkmcnt(0)
	v_sub_f32_e32 v14, v14, v9
	v_mul_f32_e32 v14, 0x3fb8aa3b, v14
	v_exp_f32_e32 v14, v14
	ds_write_b32 v11, v14
	v_add_f32_e32 v8, v8, v14
	v_add_u32_e32 v11, 0x200, v11
	s_andn2_b64 exec, exec, s[18:19]
	s_cbranch_execnz .LBB198_27
; %bb.28:
	s_or_b64 exec, exec, s[18:19]
.LBB198_29:
	s_or_b64 exec, exec, s[12:13]
	ds_bpermute_b32 v3, v3, v8
	s_waitcnt lgkmcnt(0)
	v_add_f32_e32 v3, v8, v3
	ds_bpermute_b32 v4, v4, v3
	s_waitcnt lgkmcnt(0)
	v_add_f32_e32 v3, v3, v4
	;; [unrolled: 3-line block ×6, first 2 shown]
	s_and_saveexec_b64 s[8:9], vcc
; %bb.30:
	ds_write_b32 v6, v3 offset:136
; %bb.31:
	s_or_b64 exec, exec, s[8:9]
	s_waitcnt lgkmcnt(0)
	s_barrier
	s_and_saveexec_b64 s[8:9], s[0:1]
; %bb.32:
	ds_read_b32 v3, v7 offset:136
; %bb.33:
	s_or_b64 exec, exec, s[8:9]
	s_waitcnt lgkmcnt(0)
	ds_bpermute_b32 v4, v34, v3
	v_lshlrev_b32_e32 v2, 2, v2
	v_and_b32_e32 v2, 0x100, v2
	s_waitcnt lgkmcnt(0)
	v_add_f32_e32 v3, v3, v4
	ds_bpermute_b32 v2, v2, v3
	s_and_saveexec_b64 s[0:1], s[2:3]
	s_cbranch_execz .LBB198_46
; %bb.34:
	s_waitcnt lgkmcnt(0)
	v_add_f32_e32 v2, 0x358637bd, v2
	v_div_scale_f32 v3, s[2:3], v2, v2, 1.0
	v_rcp_f32_e32 v4, v3
	v_div_scale_f32 v5, vcc, 1.0, v2, 1.0
	s_movk_i32 s2, 0x7f
	v_fma_f32 v6, -v3, v4, 1.0
	v_fmac_f32_e32 v4, v6, v4
	v_mul_f32_e32 v6, v5, v4
	v_fma_f32 v7, -v3, v6, v5
	v_fmac_f32_e32 v6, v7, v4
	v_fma_f32 v3, -v3, v6, v5
	v_div_fmas_f32 v3, v3, v4, v6
	v_xad_u32 v4, v0, -1, s37
	v_div_fixup_f32 v2, v3, v2, 1.0
	v_cmp_lt_u32_e32 vcc, s2, v4
	s_mov_b64 s[8:9], -1
	v_mov_b32_e32 v3, v0
	s_and_saveexec_b64 s[2:3], vcc
	s_cbranch_execz .LBB198_43
; %bb.35:
	v_lshrrev_b32_e32 v4, 7, v4
	v_add_u32_e32 v6, -1, v4
	v_lshrrev_b32_e32 v5, 1, v6
	v_mov_b32_e32 v3, v2
	v_add_u32_e32 v5, 1, v5
	v_cmp_lt_u32_e32 vcc, 13, v6
	v_mov_b32_e32 v8, 0
	s_and_saveexec_b64 s[8:9], vcc
	s_cbranch_execz .LBB198_39
; %bb.36:
	v_mov_b32_e32 v7, 0x90
	v_and_b32_e32 v6, -8, v5
	v_lshl_add_u32 v7, v0, 2, v7
	s_mov_b32 s18, 0
	s_mov_b64 s[12:13], 0
.LBB198_37:                             ; =>This Inner Loop Header: Depth=1
	ds_read2st64_b32 v[8:9], v7 offset1:2
	ds_read2st64_b32 v[14:15], v7 offset0:4 offset1:6
	ds_read2st64_b32 v[16:17], v7 offset0:8 offset1:10
	;; [unrolled: 1-line block ×3, first 2 shown]
	v_add_u32_e32 v6, -8, v6
	s_waitcnt lgkmcnt(3)
	v_pk_mul_f32 v[8:9], v[2:3], v[8:9]
	s_waitcnt lgkmcnt(2)
	v_pk_mul_f32 v[14:15], v[2:3], v[14:15]
	ds_write2st64_b32 v7, v8, v9 offset1:2
	ds_write2st64_b32 v7, v14, v15 offset0:4 offset1:6
	ds_read2st64_b32 v[14:15], v7 offset0:16 offset1:18
	s_waitcnt lgkmcnt(4)
	v_pk_mul_f32 v[8:9], v[2:3], v[16:17]
	ds_write2st64_b32 v7, v8, v9 offset0:8 offset1:10
	s_waitcnt lgkmcnt(4)
	v_pk_mul_f32 v[8:9], v[2:3], v[18:19]
	ds_write2st64_b32 v7, v8, v9 offset0:12 offset1:14
	ds_read2st64_b32 v[8:9], v7 offset0:20 offset1:22
	s_waitcnt lgkmcnt(3)
	v_pk_mul_f32 v[14:15], v[2:3], v[14:15]
	ds_read2st64_b32 v[16:17], v7 offset0:24 offset1:26
	ds_write2st64_b32 v7, v14, v15 offset0:16 offset1:18
	ds_read2st64_b32 v[14:15], v7 offset0:28 offset1:30
	s_waitcnt lgkmcnt(3)
	v_pk_mul_f32 v[8:9], v[2:3], v[8:9]
	ds_write2st64_b32 v7, v8, v9 offset0:20 offset1:22
	s_waitcnt lgkmcnt(3)
	v_pk_mul_f32 v[8:9], v[2:3], v[16:17]
	ds_write2st64_b32 v7, v8, v9 offset0:24 offset1:26
	s_waitcnt lgkmcnt(2)
	v_pk_mul_f32 v[8:9], v[2:3], v[14:15]
	s_add_i32 s18, s18, 16
	v_cmp_eq_u32_e32 vcc, 0, v6
	ds_write2st64_b32 v7, v8, v9 offset0:28 offset1:30
	v_add_u32_e32 v7, 0x2000, v7
	s_or_b64 s[12:13], vcc, s[12:13]
	v_mov_b32_e32 v8, s18
	s_andn2_b64 exec, exec, s[12:13]
	s_cbranch_execnz .LBB198_37
; %bb.38:
	s_or_b64 exec, exec, s[12:13]
.LBB198_39:
	s_or_b64 exec, exec, s[8:9]
	v_and_b32_e32 v5, 7, v5
	v_cmp_ne_u32_e32 vcc, 0, v5
	s_and_saveexec_b64 s[8:9], vcc
	s_cbranch_execz .LBB198_42
; %bb.40:
	v_lshlrev_b32_e32 v6, 9, v8
	s_movk_i32 s12, 0x90
	v_add3_u32 v6, v6, v10, s12
	s_mov_b64 s[12:13], 0
.LBB198_41:                             ; =>This Inner Loop Header: Depth=1
	ds_read2st64_b32 v[8:9], v6 offset1:2
	v_add_u32_e32 v5, -1, v5
	v_cmp_eq_u32_e32 vcc, 0, v5
	s_or_b64 s[12:13], vcc, s[12:13]
	s_waitcnt lgkmcnt(0)
	v_pk_mul_f32 v[8:9], v[2:3], v[8:9]
	ds_write2st64_b32 v6, v8, v9 offset1:2
	v_add_u32_e32 v6, 0x400, v6
	s_andn2_b64 exec, exec, s[12:13]
	s_cbranch_execnz .LBB198_41
.LBB198_42:
	s_or_b64 exec, exec, s[8:9]
	v_add_u32_e32 v4, 1, v4
	v_and_b32_e32 v5, 0x3fffffe, v4
	v_cmp_ne_u32_e32 vcc, v4, v5
	v_lshl_add_u32 v3, v5, 7, v0
	s_orn2_b64 s[8:9], vcc, exec
.LBB198_43:
	s_or_b64 exec, exec, s[2:3]
	s_and_b64 exec, exec, s[8:9]
	s_cbranch_execz .LBB198_46
; %bb.44:
	v_mov_b32_e32 v4, 0x90
	v_lshl_add_u32 v4, v3, 2, v4
	s_mov_b64 s[2:3], 0
.LBB198_45:                             ; =>This Inner Loop Header: Depth=1
	ds_read_b32 v5, v4
	v_add_u32_e32 v3, 0x80, v3
	v_cmp_le_i32_e32 vcc, s37, v3
	s_or_b64 s[2:3], vcc, s[2:3]
	s_waitcnt lgkmcnt(0)
	v_mul_f32_e32 v5, v2, v5
	ds_write_b32 v4, v5
	v_add_u32_e32 v4, 0x200, v4
	s_andn2_b64 exec, exec, s[2:3]
	s_cbranch_execnz .LBB198_45
.LBB198_46:
	s_or_b64 exec, exec, s[0:1]
	v_mov_b32_e32 v9, 0
	v_and_b32_e32 v35, 7, v0
	v_mov_b32_e32 v8, 0
	v_mov_b32_e32 v7, 0
	;; [unrolled: 1-line block ×3, first 2 shown]
	s_waitcnt lgkmcnt(0)
	s_barrier
	s_and_saveexec_b64 s[2:3], s[6:7]
	s_cbranch_execz .LBB198_60
; %bb.47:
	s_sub_i32 s18, s16, s21
	s_ashr_i32 s1, s43, 31
	s_add_u32 s0, s34, s43
	s_addc_u32 s1, s35, s1
	s_abs_i32 s19, s22
	v_cvt_f32_u32_e32 v2, s19
	v_and_b32_e32 v6, 0xfc, v10
	v_mov_b32_e32 v7, 0
	v_and_b32_e32 v36, 28, v10
	v_rcp_iflag_f32_e32 v2, v2
	v_lshl_add_u64 v[10:11], s[0:1], 0, v[6:7]
	s_sub_i32 s0, 0, s19
	s_add_i32 s22, s20, -1
	v_mul_f32_e32 v2, 0x4f7ffffe, v2
	v_cvt_u32_f32_e32 v2, v2
	v_and_b32_e32 v6, 60, v12
	s_mov_b32 s21, s17
	s_mov_b32 s34, s33
	v_mul_lo_u32 v3, s0, v2
	v_mul_hi_u32 v3, v2, v3
	s_lshl_b64 s[0:1], s[30:31], 2
	v_add_u32_e32 v37, v2, v3
	s_add_u32 s0, s28, s0
	v_lshlrev_b32_e32 v2, 4, v35
	s_addc_u32 s1, s29, s1
	v_lshl_or_b32 v2, v1, 7, v2
	v_lshl_add_u64 v[12:13], s[0:1], 0, v[6:7]
	v_add_u32_e32 v38, 0x90, v2
	s_mov_b64 s[6:7], 0
	v_mov_b32_e32 v6, v7
	v_mov_b32_e32 v8, v7
	;; [unrolled: 1-line block ×3, first 2 shown]
	s_branch .LBB198_50
.LBB198_48:                             ;   in Loop: Header=BB198_50 Depth=1
	s_or_b64 exec, exec, s[0:1]
	v_mul_f32_e32 v26, v2, v26
	v_mul_f32_e32 v22, v2, v22
	;; [unrolled: 1-line block ×3, first 2 shown]
	v_fmac_f32_e32 v26, v3, v27
	v_fmac_f32_e32 v22, v3, v23
	;; [unrolled: 1-line block ×6, first 2 shown]
	v_pk_mul_f32 v[2:3], v[2:3], v[28:29]
	v_fmac_f32_e32 v26, v5, v25
	v_fmac_f32_e32 v22, v5, v21
	;; [unrolled: 1-line block ×3, first 2 shown]
	v_pk_mul_f32 v[4:5], v[4:5], v[18:19]
	v_add_f32_e32 v2, v3, v2
	v_add_f32_e32 v2, v4, v2
	;; [unrolled: 1-line block ×7, first 2 shown]
.LBB198_49:                             ;   in Loop: Header=BB198_50 Depth=1
	s_or_b64 exec, exec, s[8:9]
	v_add_u32_e32 v1, 2, v1
	v_cmp_le_i32_e32 vcc, s20, v1
	v_lshl_add_u64 v[12:13], v[12:13], 0, 8
	v_add_u32_e32 v30, 64, v30
	s_or_b64 s[6:7], vcc, s[6:7]
	v_add_u32_e32 v38, 0x100, v38
	s_andn2_b64 exec, exec, s[6:7]
	s_cbranch_execz .LBB198_59
.LBB198_50:                             ; =>This Inner Loop Header: Depth=1
	v_mul_hi_u32 v2, v30, s42
	v_mul_lo_u32 v3, v2, s25
	v_sub_u32_e32 v3, v30, v3
	v_add_u32_e32 v4, 1, v2
	v_cmp_le_u32_e32 vcc, s25, v3
	s_nop 1
	v_cndmask_b32_e32 v2, v2, v4, vcc
	v_subrev_u32_e32 v4, s25, v3
	v_cndmask_b32_e32 v3, v3, v4, vcc
	v_add_u32_e32 v4, 1, v2
	v_cmp_le_u32_e32 vcc, s25, v3
	s_nop 1
	v_cndmask_b32_e32 v2, v2, v4, vcc
	v_xor_b32_e32 v2, s23, v2
	v_subrev_u32_e32 v2, s23, v2
	v_add_u32_e32 v3, s36, v2
	v_sub_u32_e32 v5, 0, v3
	v_ashrrev_i32_e32 v4, 31, v3
	v_max_i32_e32 v3, v3, v5
	v_mul_hi_u32 v5, v3, v37
	v_mul_lo_u32 v5, v5, s19
	v_sub_u32_e32 v3, v3, v5
	v_subrev_u32_e32 v5, s19, v3
	v_cmp_le_u32_e32 vcc, s19, v3
	v_cmp_lt_i32_e64 s[0:1], s18, v2
	s_nop 0
	v_cndmask_b32_e32 v3, v3, v5, vcc
	v_subrev_u32_e32 v5, s19, v3
	v_cmp_le_u32_e32 vcc, s19, v3
	s_nop 1
	v_cndmask_b32_e32 v3, v3, v5, vcc
	v_xor_b32_e32 v3, v3, v4
	v_sub_u32_e32 v3, v3, v4
	v_cmp_eq_u32_e32 vcc, 0, v3
	s_or_b64 s[0:1], vcc, s[0:1]
	s_and_saveexec_b64 s[8:9], s[0:1]
	s_cbranch_execz .LBB198_49
; %bb.51:                               ;   in Loop: Header=BB198_50 Depth=1
	global_load_dword v2, v[12:13], off
	s_load_dword s12, s[14:15], 0x0
	v_add_u32_e32 v39, v36, v30
	v_cmp_eq_u32_e32 vcc, s22, v1
	v_add_u32_e32 v40, 1, v39
	v_add_u32_e32 v28, 2, v39
	;; [unrolled: 1-line block ×3, first 2 shown]
	s_waitcnt vmcnt(0)
	v_mad_i64_i32 v[18:19], s[0:1], v2, s21, v[10:11]
	global_load_dword v14, v[18:19], off
	ds_read_b128 v[2:5], v38
	s_waitcnt vmcnt(0)
	v_and_b32_e32 v15, 0xffff, v14
	v_lshrrev_b32_e32 v16, 16, v14
	v_cvt_pk_f32_fp8_e32 v[14:15], v15
	v_cvt_pk_f32_fp8_e32 v[20:21], v16
	s_waitcnt lgkmcnt(0)
	v_pk_mul_f32 v[16:17], v[14:15], s[12:13] op_sel_hi:[1,0]
	v_pk_mul_f32 v[14:15], s[12:13], v[20:21] op_sel_hi:[0,1]
	s_and_saveexec_b64 s[16:17], vcc
; %bb.52:                               ;   in Loop: Header=BB198_50 Depth=1
	v_cmp_gt_i32_e64 s[0:1], s33, v39
	s_nop 1
	v_cndmask_b32_e64 v16, 0, v16, s[0:1]
	v_cmp_gt_i32_e64 s[0:1], s33, v40
	s_nop 1
	v_cndmask_b32_e64 v17, 0, v17, s[0:1]
	;; [unrolled: 3-line block ×4, first 2 shown]
; %bb.53:                               ;   in Loop: Header=BB198_50 Depth=1
	s_or_b64 exec, exec, s[16:17]
	global_load_dword v20, v[18:19], off offset:256
	s_mov_b32 s13, s12
	s_waitcnt vmcnt(0)
	v_and_b32_e32 v21, 0xffff, v20
	v_lshrrev_b32_e32 v22, 16, v20
	v_cvt_pk_f32_fp8_e32 v[20:21], v21
	v_cvt_pk_f32_fp8_e32 v[24:25], v22
	v_pk_mul_f32 v[22:23], s[12:13], v[20:21]
	v_pk_mul_f32 v[20:21], s[12:13], v[24:25]
	s_and_saveexec_b64 s[16:17], vcc
; %bb.54:                               ;   in Loop: Header=BB198_50 Depth=1
	v_cmp_gt_i32_e64 s[0:1], s33, v39
	s_nop 1
	v_cndmask_b32_e64 v22, 0, v22, s[0:1]
	v_cmp_gt_i32_e64 s[0:1], s33, v40
	s_nop 1
	v_cndmask_b32_e64 v23, 0, v23, s[0:1]
	;; [unrolled: 3-line block ×4, first 2 shown]
; %bb.55:                               ;   in Loop: Header=BB198_50 Depth=1
	s_or_b64 exec, exec, s[16:17]
	global_load_dword v24, v[18:19], off offset:512
	s_waitcnt vmcnt(0)
	v_and_b32_e32 v25, 0xffff, v24
	v_lshrrev_b32_e32 v26, 16, v24
	v_cvt_pk_f32_fp8_e32 v[24:25], v25
	v_cvt_pk_f32_fp8_e32 v[42:43], v26
	v_pk_mul_f32 v[26:27], s[12:13], v[24:25]
	v_pk_mul_f32 v[24:25], s[12:13], v[42:43]
	s_and_saveexec_b64 s[16:17], vcc
; %bb.56:                               ;   in Loop: Header=BB198_50 Depth=1
	v_cmp_gt_i32_e64 s[0:1], s33, v39
	s_nop 1
	v_cndmask_b32_e64 v26, 0, v26, s[0:1]
	v_cmp_gt_i32_e64 s[0:1], s33, v40
	s_nop 1
	v_cndmask_b32_e64 v27, 0, v27, s[0:1]
	;; [unrolled: 3-line block ×4, first 2 shown]
; %bb.57:                               ;   in Loop: Header=BB198_50 Depth=1
	s_or_b64 exec, exec, s[16:17]
	global_load_dword v18, v[18:19], off offset:768
	s_waitcnt vmcnt(0)
	v_and_b32_e32 v19, 0xffff, v18
	v_lshrrev_b32_e32 v28, 16, v18
	v_cvt_pk_f32_fp8_e32 v[18:19], v19
	v_cvt_pk_f32_fp8_e32 v[42:43], v28
	v_pk_mul_f32 v[28:29], s[12:13], v[18:19]
	v_pk_mul_f32 v[18:19], s[12:13], v[42:43]
	s_and_saveexec_b64 s[0:1], vcc
	s_cbranch_execz .LBB198_48
; %bb.58:                               ;   in Loop: Header=BB198_50 Depth=1
	v_cmp_gt_i32_e32 vcc, s34, v40
	v_or_b32_e32 v40, 3, v39
	s_nop 0
	v_cndmask_b32_e32 v29, 0, v29, vcc
	v_cmp_gt_i32_e32 vcc, s33, v39
	v_or_b32_e32 v39, 2, v39
	s_nop 0
	v_cndmask_b32_e32 v28, 0, v28, vcc
	v_cmp_gt_i32_e32 vcc, s34, v40
	s_nop 1
	v_cndmask_b32_e32 v19, 0, v19, vcc
	v_cmp_gt_i32_e32 vcc, s33, v39
	s_nop 1
	v_cndmask_b32_e32 v18, 0, v18, vcc
	s_branch .LBB198_48
.LBB198_59:
	s_or_b64 exec, exec, s[6:7]
.LBB198_60:
	s_or_b64 exec, exec, s[2:3]
	ds_bpermute_b32 v2, v32, v6
	ds_bpermute_b32 v3, v32, v7
	;; [unrolled: 1-line block ×4, first 2 shown]
	v_and_b32_e32 v1, 0x3c7, v0
	v_cmp_ne_u32_e32 vcc, 64, v1
	s_waitcnt lgkmcnt(2)
	v_pk_add_f32 v[2:3], v[6:7], v[2:3]
	ds_bpermute_b32 v6, v33, v2
	ds_bpermute_b32 v7, v33, v3
	s_waitcnt lgkmcnt(2)
	v_pk_add_f32 v[4:5], v[8:9], v[4:5]
	ds_bpermute_b32 v8, v33, v4
	ds_bpermute_b32 v9, v33, v5
	;; [unrolled: 4-line block ×3, first 2 shown]
	v_pk_add_f32 v[4:5], v[4:5], v[8:9]
	ds_bpermute_b32 v6, v34, v4
	ds_bpermute_b32 v7, v34, v5
	s_barrier
	s_waitcnt lgkmcnt(2)
	v_pk_add_f32 v[2:3], v[2:3], v[10:11]
	s_waitcnt lgkmcnt(0)
	s_and_saveexec_b64 s[0:1], vcc
	s_xor_b64 s[0:1], exec, s[0:1]
; %bb.61:
                                        ; implicit-def: $vgpr31
; %bb.62:
	s_or_saveexec_b64 s[0:1], s[0:1]
	v_pk_add_f32 v[4:5], v[4:5], v[6:7]
	s_xor_b64 exec, exec, s[0:1]
	s_cbranch_execz .LBB198_64
; %bb.63:
	v_lshrrev_b32_e32 v6, 1, v31
	v_add_u32_e32 v6, 0x90, v6
	ds_write2_b32 v6, v2, v3 offset1:8
	ds_write2_b32 v6, v4, v5 offset0:16 offset1:24
.LBB198_64:
	s_or_b64 exec, exec, s[0:1]
	v_cmp_gt_u32_e32 vcc, 64, v0
	v_lshrrev_b32_e32 v0, 3, v0
	s_waitcnt lgkmcnt(0)
	s_barrier
	s_and_saveexec_b64 s[0:1], vcc
	s_cbranch_execz .LBB198_71
; %bb.65:
	v_mov_b32_e32 v6, 0x90
	v_cmp_eq_u32_e32 vcc, 0, v35
	v_lshl_add_u32 v6, v0, 2, v6
	s_and_saveexec_b64 s[2:3], vcc
	s_cbranch_execnz .LBB198_74
; %bb.66:
	s_or_b64 exec, exec, s[2:3]
	s_and_saveexec_b64 s[2:3], vcc
	s_cbranch_execnz .LBB198_75
.LBB198_67:
	s_or_b64 exec, exec, s[2:3]
	s_and_saveexec_b64 s[2:3], vcc
	s_cbranch_execnz .LBB198_76
.LBB198_68:
	s_or_b64 exec, exec, s[2:3]
	s_and_saveexec_b64 s[2:3], vcc
	s_cbranch_execz .LBB198_70
.LBB198_69:
	ds_read_b32 v6, v6 offset:96
	s_waitcnt lgkmcnt(0)
	v_add_f32_e32 v5, v5, v6
.LBB198_70:
	s_or_b64 exec, exec, s[2:3]
.LBB198_71:
	s_or_b64 exec, exec, s[0:1]
	v_cmp_eq_u32_e32 vcc, 0, v1
	s_barrier
	s_and_saveexec_b64 s[0:1], vcc
	s_cbranch_execz .LBB198_73
; %bb.72:
	s_mul_i32 s0, s10, s11
	s_mul_i32 s0, s0, s5
	s_lshl_b32 s0, s0, 5
	s_ashr_i32 s1, s0, 31
	s_lshl_b64 s[0:1], s[0:1], 2
	s_add_u32 s2, s26, s0
	s_mul_i32 s0, s11, s24
	s_addc_u32 s3, s27, s1
	s_ashr_i32 s1, s0, 31
	s_lshl_b64 s[0:1], s[0:1], 2
	s_add_u32 s2, s2, s0
	s_addc_u32 s3, s3, s1
	s_lshl_b32 s0, s4, 5
	s_ashr_i32 s1, s0, 31
	s_lshl_b64 s[0:1], s[0:1], 2
	s_add_u32 s0, s2, s0
	s_addc_u32 s1, s3, s1
	v_lshlrev_b32_e32 v0, 2, v0
	global_store_dword v0, v2, s[0:1]
	global_store_dword v0, v3, s[0:1] offset:32
	global_store_dword v0, v4, s[0:1] offset:64
	;; [unrolled: 1-line block ×3, first 2 shown]
.LBB198_73:
	s_endpgm
.LBB198_74:
	ds_read_b32 v7, v6
	s_waitcnt lgkmcnt(0)
	v_add_f32_e32 v2, v2, v7
	s_or_b64 exec, exec, s[2:3]
	s_and_saveexec_b64 s[2:3], vcc
	s_cbranch_execz .LBB198_67
.LBB198_75:
	ds_read_b32 v7, v6 offset:32
	s_waitcnt lgkmcnt(0)
	v_add_f32_e32 v3, v3, v7
	s_or_b64 exec, exec, s[2:3]
	s_and_saveexec_b64 s[2:3], vcc
	s_cbranch_execz .LBB198_68
.LBB198_76:
	ds_read_b32 v7, v6 offset:64
	s_waitcnt lgkmcnt(0)
	v_add_f32_e32 v4, v4, v7
	s_or_b64 exec, exec, s[2:3]
	s_and_saveexec_b64 s[2:3], vcc
	s_cbranch_execnz .LBB198_69
	s_branch .LBB198_70
	.section	.rodata,"a",@progbits
	.p2align	6, 0x0
	.amdhsa_kernel _ZN4vllm25paged_attention_v1_kernelIfhLi32ELi32ELi128ELNS_18Fp8KVCacheDataTypeE1ELb1EEEvPT_PKS2_PKT0_S8_ifPKiSA_iPKfiiiSC_SC_iiiii
		.amdhsa_group_segment_fixed_size 144
		.amdhsa_private_segment_fixed_size 0
		.amdhsa_kernarg_size 384
		.amdhsa_user_sgpr_count 2
		.amdhsa_user_sgpr_dispatch_ptr 0
		.amdhsa_user_sgpr_queue_ptr 0
		.amdhsa_user_sgpr_kernarg_segment_ptr 1
		.amdhsa_user_sgpr_dispatch_id 0
		.amdhsa_user_sgpr_kernarg_preload_length 0
		.amdhsa_user_sgpr_kernarg_preload_offset 0
		.amdhsa_user_sgpr_private_segment_size 0
		.amdhsa_uses_dynamic_stack 0
		.amdhsa_enable_private_segment 0
		.amdhsa_system_sgpr_workgroup_id_x 1
		.amdhsa_system_sgpr_workgroup_id_y 1
		.amdhsa_system_sgpr_workgroup_id_z 1
		.amdhsa_system_sgpr_workgroup_info 0
		.amdhsa_system_vgpr_workitem_id 0
		.amdhsa_next_free_vgpr 57
		.amdhsa_next_free_sgpr 48
		.amdhsa_accum_offset 60
		.amdhsa_reserve_vcc 1
		.amdhsa_float_round_mode_32 0
		.amdhsa_float_round_mode_16_64 0
		.amdhsa_float_denorm_mode_32 3
		.amdhsa_float_denorm_mode_16_64 3
		.amdhsa_dx10_clamp 1
		.amdhsa_ieee_mode 1
		.amdhsa_fp16_overflow 0
		.amdhsa_tg_split 0
		.amdhsa_exception_fp_ieee_invalid_op 0
		.amdhsa_exception_fp_denorm_src 0
		.amdhsa_exception_fp_ieee_div_zero 0
		.amdhsa_exception_fp_ieee_overflow 0
		.amdhsa_exception_fp_ieee_underflow 0
		.amdhsa_exception_fp_ieee_inexact 0
		.amdhsa_exception_int_div_zero 0
	.end_amdhsa_kernel
	.section	.text._ZN4vllm25paged_attention_v1_kernelIfhLi32ELi32ELi128ELNS_18Fp8KVCacheDataTypeE1ELb1EEEvPT_PKS2_PKT0_S8_ifPKiSA_iPKfiiiSC_SC_iiiii,"axG",@progbits,_ZN4vllm25paged_attention_v1_kernelIfhLi32ELi32ELi128ELNS_18Fp8KVCacheDataTypeE1ELb1EEEvPT_PKS2_PKT0_S8_ifPKiSA_iPKfiiiSC_SC_iiiii,comdat
.Lfunc_end198:
	.size	_ZN4vllm25paged_attention_v1_kernelIfhLi32ELi32ELi128ELNS_18Fp8KVCacheDataTypeE1ELb1EEEvPT_PKS2_PKT0_S8_ifPKiSA_iPKfiiiSC_SC_iiiii, .Lfunc_end198-_ZN4vllm25paged_attention_v1_kernelIfhLi32ELi32ELi128ELNS_18Fp8KVCacheDataTypeE1ELb1EEEvPT_PKS2_PKT0_S8_ifPKiSA_iPKfiiiSC_SC_iiiii
                                        ; -- End function
	.set _ZN4vllm25paged_attention_v1_kernelIfhLi32ELi32ELi128ELNS_18Fp8KVCacheDataTypeE1ELb1EEEvPT_PKS2_PKT0_S8_ifPKiSA_iPKfiiiSC_SC_iiiii.num_vgpr, 57
	.set _ZN4vllm25paged_attention_v1_kernelIfhLi32ELi32ELi128ELNS_18Fp8KVCacheDataTypeE1ELb1EEEvPT_PKS2_PKT0_S8_ifPKiSA_iPKfiiiSC_SC_iiiii.num_agpr, 0
	.set _ZN4vllm25paged_attention_v1_kernelIfhLi32ELi32ELi128ELNS_18Fp8KVCacheDataTypeE1ELb1EEEvPT_PKS2_PKT0_S8_ifPKiSA_iPKfiiiSC_SC_iiiii.numbered_sgpr, 48
	.set _ZN4vllm25paged_attention_v1_kernelIfhLi32ELi32ELi128ELNS_18Fp8KVCacheDataTypeE1ELb1EEEvPT_PKS2_PKT0_S8_ifPKiSA_iPKfiiiSC_SC_iiiii.num_named_barrier, 0
	.set _ZN4vllm25paged_attention_v1_kernelIfhLi32ELi32ELi128ELNS_18Fp8KVCacheDataTypeE1ELb1EEEvPT_PKS2_PKT0_S8_ifPKiSA_iPKfiiiSC_SC_iiiii.private_seg_size, 0
	.set _ZN4vllm25paged_attention_v1_kernelIfhLi32ELi32ELi128ELNS_18Fp8KVCacheDataTypeE1ELb1EEEvPT_PKS2_PKT0_S8_ifPKiSA_iPKfiiiSC_SC_iiiii.uses_vcc, 1
	.set _ZN4vllm25paged_attention_v1_kernelIfhLi32ELi32ELi128ELNS_18Fp8KVCacheDataTypeE1ELb1EEEvPT_PKS2_PKT0_S8_ifPKiSA_iPKfiiiSC_SC_iiiii.uses_flat_scratch, 0
	.set _ZN4vllm25paged_attention_v1_kernelIfhLi32ELi32ELi128ELNS_18Fp8KVCacheDataTypeE1ELb1EEEvPT_PKS2_PKT0_S8_ifPKiSA_iPKfiiiSC_SC_iiiii.has_dyn_sized_stack, 0
	.set _ZN4vllm25paged_attention_v1_kernelIfhLi32ELi32ELi128ELNS_18Fp8KVCacheDataTypeE1ELb1EEEvPT_PKS2_PKT0_S8_ifPKiSA_iPKfiiiSC_SC_iiiii.has_recursion, 0
	.set _ZN4vllm25paged_attention_v1_kernelIfhLi32ELi32ELi128ELNS_18Fp8KVCacheDataTypeE1ELb1EEEvPT_PKS2_PKT0_S8_ifPKiSA_iPKfiiiSC_SC_iiiii.has_indirect_call, 0
	.section	.AMDGPU.csdata,"",@progbits
; Kernel info:
; codeLenInByte = 4760
; TotalNumSgprs: 54
; NumVgprs: 57
; NumAgprs: 0
; TotalNumVgprs: 57
; ScratchSize: 0
; MemoryBound: 0
; FloatMode: 240
; IeeeMode: 1
; LDSByteSize: 144 bytes/workgroup (compile time only)
; SGPRBlocks: 6
; VGPRBlocks: 7
; NumSGPRsForWavesPerEU: 54
; NumVGPRsForWavesPerEU: 57
; AccumOffset: 60
; Occupancy: 8
; WaveLimiterHint : 1
; COMPUTE_PGM_RSRC2:SCRATCH_EN: 0
; COMPUTE_PGM_RSRC2:USER_SGPR: 2
; COMPUTE_PGM_RSRC2:TRAP_HANDLER: 0
; COMPUTE_PGM_RSRC2:TGID_X_EN: 1
; COMPUTE_PGM_RSRC2:TGID_Y_EN: 1
; COMPUTE_PGM_RSRC2:TGID_Z_EN: 1
; COMPUTE_PGM_RSRC2:TIDIG_COMP_CNT: 0
; COMPUTE_PGM_RSRC3_GFX90A:ACCUM_OFFSET: 14
; COMPUTE_PGM_RSRC3_GFX90A:TG_SPLIT: 0
	.section	.text._ZN4vllm25paged_attention_v1_kernelIfhLi64ELi32ELi128ELNS_18Fp8KVCacheDataTypeE1ELb1EEEvPT_PKS2_PKT0_S8_ifPKiSA_iPKfiiiSC_SC_iiiii,"axG",@progbits,_ZN4vllm25paged_attention_v1_kernelIfhLi64ELi32ELi128ELNS_18Fp8KVCacheDataTypeE1ELb1EEEvPT_PKS2_PKT0_S8_ifPKiSA_iPKfiiiSC_SC_iiiii,comdat
	.protected	_ZN4vllm25paged_attention_v1_kernelIfhLi64ELi32ELi128ELNS_18Fp8KVCacheDataTypeE1ELb1EEEvPT_PKS2_PKT0_S8_ifPKiSA_iPKfiiiSC_SC_iiiii ; -- Begin function _ZN4vllm25paged_attention_v1_kernelIfhLi64ELi32ELi128ELNS_18Fp8KVCacheDataTypeE1ELb1EEEvPT_PKS2_PKT0_S8_ifPKiSA_iPKfiiiSC_SC_iiiii
	.globl	_ZN4vllm25paged_attention_v1_kernelIfhLi64ELi32ELi128ELNS_18Fp8KVCacheDataTypeE1ELb1EEEvPT_PKS2_PKT0_S8_ifPKiSA_iPKfiiiSC_SC_iiiii
	.p2align	8
	.type	_ZN4vllm25paged_attention_v1_kernelIfhLi64ELi32ELi128ELNS_18Fp8KVCacheDataTypeE1ELb1EEEvPT_PKS2_PKT0_S8_ifPKiSA_iPKfiiiSC_SC_iiiii,@function
_ZN4vllm25paged_attention_v1_kernelIfhLi64ELi32ELi128ELNS_18Fp8KVCacheDataTypeE1ELb1EEEvPT_PKS2_PKT0_S8_ifPKiSA_iPKfiiiSC_SC_iiiii: ; @_ZN4vllm25paged_attention_v1_kernelIfhLi64ELi32ELi128ELNS_18Fp8KVCacheDataTypeE1ELb1EEEvPT_PKS2_PKT0_S8_ifPKiSA_iPKfiiiSC_SC_iiiii
; %bb.0:
	s_load_dword s5, s[0:1], 0x80
	s_load_dwordx2 s[6:7], s[0:1], 0x30
	s_load_dwordx2 s[36:37], s[0:1], 0x20
	s_mov_b32 s10, s3
	s_ashr_i32 s11, s3, 31
	s_lshl_b64 s[8:9], s[10:11], 2
	s_waitcnt lgkmcnt(0)
	s_add_u32 s6, s6, s8
	s_addc_u32 s7, s7, s9
	s_abs_i32 s3, s36
	v_cvt_f32_u32_e32 v1, s3
	s_sub_i32 s11, 0, s3
	s_abs_i32 s9, s5
	s_xor_b32 s8, s5, s36
	v_rcp_iflag_f32_e32 v1, v1
	s_ashr_i32 s8, s8, 31
	s_mov_b32 s44, 0
	v_mul_f32_e32 v1, 0x4f7ffffe, v1
	v_cvt_u32_f32_e32 v1, v1
	s_nop 0
	v_readfirstlane_b32 s12, v1
	s_mul_i32 s11, s11, s12
	s_mul_hi_u32 s11, s12, s11
	s_add_i32 s12, s12, s11
	s_mul_hi_u32 s11, s9, s12
	s_mul_i32 s12, s11, s3
	s_sub_i32 s9, s9, s12
	s_add_i32 s12, s11, 1
	s_sub_i32 s13, s9, s3
	s_cmp_ge_u32 s9, s3
	s_cselect_b32 s11, s12, s11
	s_cselect_b32 s9, s13, s9
	s_add_i32 s12, s11, 1
	s_cmp_ge_u32 s9, s3
	s_cselect_b32 s3, s12, s11
	s_xor_b32 s3, s3, s8
	s_sub_i32 s14, s3, s8
	s_abs_i32 s11, s14
	v_cvt_f32_u32_e32 v1, s11
	s_load_dwordx2 s[8:9], s[0:1], 0x40
	s_sub_i32 s3, 0, s11
	s_abs_i32 s12, s2
	v_rcp_iflag_f32_e32 v1, v1
	s_nop 0
	v_mul_f32_e32 v1, 0x4f7ffffe, v1
	v_cvt_u32_f32_e32 v1, v1
	s_nop 0
	v_readfirstlane_b32 s13, v1
	s_mul_i32 s3, s3, s13
	s_mul_hi_u32 s3, s13, s3
	s_add_i32 s13, s13, s3
	s_waitcnt lgkmcnt(0)
	s_cmp_eq_u64 s[8:9], 0
	s_mul_hi_u32 s13, s12, s13
	s_cbranch_scc1 .LBB199_2
; %bb.1:
	s_ashr_i32 s3, s2, 31
	s_lshl_b64 s[16:17], s[2:3], 2
	s_add_u32 s8, s8, s16
	s_addc_u32 s9, s9, s17
	s_load_dword s44, s[8:9], 0x0
.LBB199_2:
	s_load_dword s33, s[6:7], 0x0
	s_load_dwordx4 s[16:19], s[0:1], 0x48
	s_ashr_i32 s8, s2, 31
	s_ashr_i32 s9, s14, 31
	v_and_b32_e32 v2, 1, v0
	s_lshl_b32 s24, s2, 6
	v_cmp_gt_u32_e32 vcc, 32, v0
	v_lshlrev_b32_e32 v14, 2, v0
	s_and_saveexec_b64 s[6:7], vcc
	s_cbranch_execz .LBB199_4
; %bb.3:
	s_load_dwordx2 s[14:15], s[0:1], 0x8
	s_waitcnt lgkmcnt(0)
	s_mul_i32 s20, s16, s10
	s_ashr_i32 s21, s20, 31
	s_lshl_b64 s[20:21], s[20:21], 2
	v_lshlrev_b32_e32 v1, 3, v0
	s_add_u32 s3, s14, s20
	s_addc_u32 s16, s15, s21
	s_ashr_i32 s25, s24, 31
	s_lshl_b64 s[14:15], s[24:25], 2
	s_add_u32 s14, s3, s14
	s_addc_u32 s15, s16, s15
	global_load_dwordx2 v[4:5], v1, s[14:15]
	v_and_b32_e32 v1, 0xff8, v14
	v_lshl_add_u32 v1, v2, 7, v1
	s_waitcnt vmcnt(0)
	ds_write_b64 v1, v[4:5]
.LBB199_4:
	s_or_b64 exec, exec, s[6:7]
	s_mul_i32 s7, s13, s11
	s_sub_i32 s7, s12, s7
	s_xor_b32 s6, s8, s9
	s_add_i32 s8, s13, 1
	s_sub_i32 s9, s7, s11
	s_load_dwordx4 s[20:23], s[0:1], 0x68
	s_load_dword s3, s[0:1], 0x78
	s_cmp_ge_u32 s7, s11
	s_cselect_b32 s8, s8, s13
	s_cselect_b32 s7, s9, s7
	s_add_i32 s9, s8, 1
	s_cmp_ge_u32 s7, s11
	s_cselect_b32 s7, s9, s8
	s_waitcnt lgkmcnt(0)
	s_abs_i32 s25, s23
	v_cvt_f32_u32_e32 v1, s25
	s_xor_b32 s7, s7, s6
	s_sub_i32 s43, s7, s6
	s_sub_i32 s6, 0, s25
	v_rcp_iflag_f32_e32 v1, v1
	s_add_i32 s11, s33, -1
	s_abs_i32 s8, s11
	v_mul_f32_e32 v1, 0x4f7ffffe, v1
	v_cvt_u32_f32_e32 v1, v1
	s_barrier
	v_readfirstlane_b32 s42, v1
	s_mul_i32 s6, s6, s42
	s_mul_hi_u32 s6, s42, s6
	s_add_i32 s42, s42, s6
	s_cmp_lt_i32 s3, 0
	s_mul_hi_u32 s9, s8, s42
	s_cbranch_scc0 .LBB199_6
; %bb.5:
	s_mul_i32 s6, s20, s36
	s_add_i32 s6, s43, s6
	s_mul_i32 s6, s6, s3
	s_sub_i32 s36, 1, s6
	s_mov_b64 s[6:7], 0
	s_branch .LBB199_7
.LBB199_6:
	s_mov_b64 s[6:7], -1
                                        ; implicit-def: $sgpr36
.LBB199_7:
	s_load_dwordx2 s[28:29], s[0:1], 0x28
	s_ashr_i32 s16, s11, 31
	s_andn2_b64 vcc, exec, s[6:7]
	s_ashr_i32 s23, s23, 31
	s_cbranch_vccnz .LBB199_9
; %bb.8:
	s_mul_i32 s6, s5, s20
	s_add_i32 s2, s6, s2
	s_mul_i32 s2, s2, s3
	s_add_i32 s36, s2, 1
.LBB199_9:
	s_load_dword s2, s[0:1], 0x38
	s_load_dwordx2 s[26:27], s[0:1], 0x0
	s_load_dwordx2 s[34:35], s[0:1], 0x18
	s_load_dword s11, s[0:1], 0x88
	s_load_dwordx4 s[12:15], s[0:1], 0x58
	s_mul_i32 s3, s9, s25
	s_waitcnt lgkmcnt(0)
	s_mul_i32 s30, s2, s10
	s_sub_i32 s3, s8, s3
	s_ashr_i32 s31, s30, 31
	s_xor_b32 s2, s16, s23
	s_add_i32 s6, s9, 1
	s_sub_i32 s7, s3, s25
	s_cmp_ge_u32 s3, s25
	s_cselect_b32 s6, s6, s9
	s_cselect_b32 s3, s7, s3
	s_add_i32 s7, s6, 1
	s_cmp_ge_u32 s3, s25
	s_cselect_b32 s3, s7, s6
	s_xor_b32 s3, s3, s2
	s_sub_i32 s16, s3, s2
	s_add_i32 s2, s33, 31
	s_ashr_i32 s3, s2, 31
	s_lshr_b32 s3, s3, 27
	s_add_i32 s2, s2, s3
	s_ashr_i32 s20, s2, 5
	v_lshrrev_b32_e32 v1, 6, v0
	v_cmp_gt_i32_e64 s[6:7], s20, v1
	v_mov_b32_e32 v13, 0xff7fffff
	s_mul_i32 s43, s43, s18
	v_lshrrev_b32_e32 v16, 4, v0
	v_lshlrev_b32_e32 v50, 5, v1
	v_mbcnt_lo_u32_b32 v10, -1, 0
	s_and_saveexec_b64 s[18:19], s[6:7]
	s_cbranch_execz .LBB199_21
; %bb.10:
	s_load_dwordx2 s[0:1], s[0:1], 0x10
	s_sub_i32 s45, s16, s21
	s_ashr_i32 s2, s43, 31
	v_bfe_u32 v11, v0, 1, 5
	v_mov_b32_e32 v5, 0
	s_waitcnt lgkmcnt(0)
	s_add_u32 s0, s0, s43
	s_addc_u32 s1, s1, s2
	s_abs_i32 s46, s22
	v_cvt_f32_u32_e32 v3, s46
	v_lshlrev_b32_e32 v4, 4, v11
	v_lshl_add_u64 v[6:7], s[0:1], 0, v[4:5]
	s_sub_i32 s0, 0, s46
	v_rcp_iflag_f32_e32 v3, v3
	v_cmp_eq_u32_e32 vcc, 0, v2
	v_lshlrev_b32_e32 v12, 7, v2
	v_lshlrev_b32_e32 v4, 1, v2
	v_mul_f32_e32 v3, 0x4f7ffffe, v3
	v_cvt_u32_f32_e32 v3, v3
	v_mbcnt_hi_u32_b32 v21, -1, v10
	v_lshl_add_u64 v[6:7], v[6:7], 0, v[4:5]
	v_and_b32_e32 v4, 60, v16
	v_mul_lo_u32 v2, s0, v3
	v_mul_hi_u32 v2, v3, v2
	v_add_u32_e32 v15, v3, v2
	v_subrev_u32_e32 v2, s33, v11
	s_lshl_b64 s[0:1], s[30:31], 2
	v_add_u32_e32 v18, 1, v2
	v_lshlrev_b32_e32 v2, 2, v11
	s_add_u32 s0, s28, s0
	v_lshl_or_b32 v2, v1, 7, v2
	s_addc_u32 s1, s29, s1
	v_add_u32_e32 v19, 0x110, v2
	v_and_b32_e32 v2, 64, v21
	s_mov_b32 s47, s17
	v_cmp_neq_f32_e64 s[2:3], s44, 0
	v_lshl_add_u64 v[8:9], s[0:1], 0, v[4:5]
	v_lshlrev_b32_e32 v17, 5, v1
	v_mov_b32_e32 v20, 0xff7fffff
	s_mov_b64 s[38:39], 0
	v_xor_b32_e32 v22, 1, v21
	v_add_u32_e32 v23, 64, v2
	v_mov_b32_e32 v13, 0xff7fffff
	v_mov_b32_e32 v24, v1
	s_branch .LBB199_13
.LBB199_11:                             ;   in Loop: Header=BB199_13 Depth=1
	s_or_b64 exec, exec, s[40:41]
.LBB199_12:                             ;   in Loop: Header=BB199_13 Depth=1
	s_or_b64 exec, exec, s[8:9]
	v_add_u32_e32 v24, 2, v24
	v_cmp_le_i32_e64 s[0:1], s20, v24
	v_lshl_add_u64 v[8:9], v[8:9], 0, 8
	v_add_u32_e32 v17, 64, v17
	s_or_b64 s[38:39], s[0:1], s[38:39]
	v_add_u32_e32 v19, 0x100, v19
	s_andn2_b64 exec, exec, s[38:39]
	s_cbranch_execz .LBB199_20
.LBB199_13:                             ; =>This Inner Loop Header: Depth=1
	v_mul_hi_u32 v2, v17, s42
	s_waitcnt lgkmcnt(0)
	v_mul_lo_u32 v3, v2, s25
	v_sub_u32_e32 v3, v17, v3
	v_add_u32_e32 v4, 1, v2
	v_cmp_le_u32_e64 s[0:1], s25, v3
	s_nop 1
	v_cndmask_b32_e64 v2, v2, v4, s[0:1]
	v_subrev_u32_e32 v4, s25, v3
	v_cndmask_b32_e64 v3, v3, v4, s[0:1]
	v_add_u32_e32 v4, 1, v2
	v_cmp_le_u32_e64 s[0:1], s25, v3
	s_nop 1
	v_cndmask_b32_e64 v2, v2, v4, s[0:1]
	v_xor_b32_e32 v2, s23, v2
	v_subrev_u32_e32 v2, s23, v2
	v_add_u32_e32 v3, s36, v2
	v_sub_u32_e32 v5, 0, v3
	v_ashrrev_i32_e32 v4, 31, v3
	v_max_i32_e32 v3, v3, v5
	v_mul_hi_u32 v5, v3, v15
	v_mul_lo_u32 v5, v5, s46
	v_sub_u32_e32 v3, v3, v5
	v_subrev_u32_e32 v5, s46, v3
	v_cmp_le_u32_e64 s[0:1], s46, v3
	v_cmp_ge_i32_e64 s[8:9], s45, v2
	s_nop 0
	v_cndmask_b32_e64 v3, v3, v5, s[0:1]
	v_subrev_u32_e32 v5, s46, v3
	v_cmp_le_u32_e64 s[0:1], s46, v3
	s_nop 1
	v_cndmask_b32_e64 v3, v3, v5, s[0:1]
	v_xor_b32_e32 v3, v3, v4
	v_sub_u32_e32 v3, v3, v4
	v_cmp_ne_u32_e64 s[0:1], 0, v3
	s_and_b64 s[0:1], s[0:1], s[8:9]
	s_and_saveexec_b64 s[8:9], s[0:1]
	s_xor_b64 s[0:1], exec, s[8:9]
	s_cbranch_execz .LBB199_17
; %bb.14:                               ;   in Loop: Header=BB199_13 Depth=1
	s_and_saveexec_b64 s[8:9], vcc
; %bb.15:                               ;   in Loop: Header=BB199_13 Depth=1
	ds_write_b32 v19, v20
; %bb.16:                               ;   in Loop: Header=BB199_13 Depth=1
	s_or_b64 exec, exec, s[8:9]
.LBB199_17:                             ;   in Loop: Header=BB199_13 Depth=1
	s_andn2_saveexec_b64 s[8:9], s[0:1]
	s_cbranch_execz .LBB199_12
; %bb.18:                               ;   in Loop: Header=BB199_13 Depth=1
	global_load_dword v2, v[8:9], off
	s_waitcnt vmcnt(0)
	v_mad_i64_i32 v[2:3], s[0:1], v2, s47, v[6:7]
	global_load_ushort v25, v[2:3], off offset:4
	global_load_ushort v51, v[2:3], off offset:8
	;; [unrolled: 1-line block ×7, first 2 shown]
	global_load_ushort v58, v[2:3], off
	global_load_ushort v72, v[2:3], off offset:1024
	global_load_ushort v74, v[2:3], off offset:1028
	;; [unrolled: 1-line block ×8, first 2 shown]
	v_cmp_lt_i32_e64 s[0:1], v22, v23
	ds_read_b128 v[26:29], v12
	ds_read_b128 v[30:33], v12 offset:16
	ds_read_b128 v[34:37], v12 offset:32
	;; [unrolled: 1-line block ×7, first 2 shown]
	s_load_dword s40, s[12:13], 0x0
	v_cndmask_b32_e64 v56, v21, v22, s[0:1]
	v_lshlrev_b32_e32 v88, 2, v56
	s_waitcnt vmcnt(15)
	v_cvt_pk_f32_fp8_e32 v[56:57], v25
	s_waitcnt vmcnt(14)
	v_cvt_pk_f32_fp8_e32 v[60:61], v51
	;; [unrolled: 2-line block ×4, first 2 shown]
	s_waitcnt lgkmcnt(0)
	v_pk_mul_f32 v[56:57], s[40:41], v[56:57] op_sel_hi:[0,1]
	s_waitcnt vmcnt(11)
	v_cvt_pk_f32_fp8_e32 v[66:67], v66
	v_mul_f32_e32 v25, v28, v56
	s_waitcnt vmcnt(8)
	v_cvt_pk_f32_fp8_e32 v[58:59], v58
	v_mul_f32_e32 v28, v29, v57
	v_cvt_pk_f32_fp8_e32 v[68:69], v68
	v_pk_mul_f32 v[60:61], s[40:41], v[60:61] op_sel_hi:[0,1]
	v_pk_mul_f32 v[58:59], v[58:59], s[40:41] op_sel_hi:[1,0]
	v_cvt_pk_f32_fp8_e32 v[70:71], v70
	v_fmac_f32_e32 v25, v26, v58
	v_fmac_f32_e32 v28, v27, v59
	v_pk_mul_f32 v[62:63], s[40:41], v[62:63] op_sel_hi:[0,1]
	v_fmac_f32_e32 v25, v30, v60
	v_fmac_f32_e32 v28, v31, v61
	s_waitcnt vmcnt(7)
	v_cvt_pk_f32_fp8_e32 v[72:73], v72
	v_pk_mul_f32 v[64:65], s[40:41], v[64:65] op_sel_hi:[0,1]
	v_fmac_f32_e32 v25, v32, v62
	v_fmac_f32_e32 v28, v33, v63
	s_waitcnt vmcnt(6)
	v_cvt_pk_f32_fp8_e32 v[74:75], v74
	v_pk_mul_f32 v[66:67], s[40:41], v[66:67] op_sel_hi:[0,1]
	v_fmac_f32_e32 v25, v34, v64
	v_fmac_f32_e32 v28, v35, v65
	s_waitcnt vmcnt(5)
	v_cvt_pk_f32_fp8_e32 v[76:77], v76
	v_pk_mul_f32 v[68:69], s[40:41], v[68:69] op_sel_hi:[0,1]
	v_fmac_f32_e32 v25, v36, v66
	v_fmac_f32_e32 v28, v37, v67
	s_waitcnt vmcnt(4)
	v_cvt_pk_f32_fp8_e32 v[78:79], v78
	v_pk_mul_f32 v[70:71], s[40:41], v[70:71] op_sel_hi:[0,1]
	v_fmac_f32_e32 v25, v38, v68
	v_fmac_f32_e32 v28, v39, v69
	s_waitcnt vmcnt(3)
	v_cvt_pk_f32_fp8_e32 v[80:81], v80
	v_pk_mul_f32 v[72:73], s[40:41], v[72:73] op_sel_hi:[0,1]
	v_fmac_f32_e32 v25, v40, v70
	v_fmac_f32_e32 v28, v41, v71
	s_waitcnt vmcnt(2)
	v_cvt_pk_f32_fp8_e32 v[82:83], v82
	v_pk_mul_f32 v[74:75], s[40:41], v[74:75] op_sel_hi:[0,1]
	v_fmac_f32_e32 v25, v42, v72
	v_fmac_f32_e32 v28, v43, v73
	s_waitcnt vmcnt(1)
	v_cvt_pk_f32_fp8_e32 v[84:85], v84
	v_pk_mul_f32 v[76:77], s[40:41], v[76:77] op_sel_hi:[0,1]
	v_fmac_f32_e32 v25, v44, v74
	v_fmac_f32_e32 v28, v45, v75
	s_waitcnt vmcnt(0)
	v_cvt_pk_f32_fp8_e32 v[86:87], v86
	v_pk_mul_f32 v[78:79], s[40:41], v[78:79] op_sel_hi:[0,1]
	v_fmac_f32_e32 v25, v46, v76
	v_fmac_f32_e32 v28, v47, v77
	v_pk_mul_f32 v[80:81], s[40:41], v[80:81] op_sel_hi:[0,1]
	v_fmac_f32_e32 v25, v48, v78
	v_fmac_f32_e32 v28, v49, v79
	v_pk_mul_f32 v[82:83], s[40:41], v[82:83] op_sel_hi:[0,1]
	v_fmac_f32_e32 v25, v52, v80
	v_fmac_f32_e32 v28, v53, v81
	v_pk_mul_f32 v[84:85], s[40:41], v[84:85] op_sel_hi:[0,1]
	v_fmac_f32_e32 v25, v54, v82
	v_fmac_f32_e32 v28, v55, v83
	v_pk_mul_f32 v[86:87], s[40:41], v[86:87] op_sel_hi:[0,1]
	v_fmac_f32_e32 v25, v2, v84
	v_fmac_f32_e32 v28, v3, v85
	v_fmac_f32_e32 v25, v4, v86
	v_fmac_f32_e32 v28, v5, v87
	v_add_f32_e32 v2, v25, v28
	ds_bpermute_b32 v3, v88, v2
	s_and_saveexec_b64 s[40:41], vcc
	s_cbranch_execz .LBB199_11
; %bb.19:                               ;   in Loop: Header=BB199_13 Depth=1
	v_add_u32_e32 v4, v18, v17
	v_cvt_f32_i32_e32 v4, v4
	s_waitcnt lgkmcnt(0)
	v_add_f32_e32 v2, v2, v3
	v_add_u32_e32 v5, v11, v17
	v_cmp_gt_i32_e64 s[0:1], s33, v5
	v_mul_f32_e32 v3, s44, v4
	v_cndmask_b32_e64 v3, 0, v3, s[2:3]
	v_fmac_f32_e32 v3, s37, v2
	v_cndmask_b32_e64 v2, 0, v3, s[0:1]
	ds_write_b32 v19, v2
	v_max_f32_e32 v2, v13, v13
	v_max_f32_e32 v2, v2, v3
	v_cndmask_b32_e64 v13, v13, v2, s[0:1]
	s_branch .LBB199_11
.LBB199_20:
	s_or_b64 exec, exec, s[38:39]
.LBB199_21:
	s_or_b64 exec, exec, s[18:19]
	v_mbcnt_hi_u32_b32 v2, -1, v10
	v_and_b32_e32 v8, 64, v2
	v_add_u32_e32 v9, 64, v8
	s_waitcnt lgkmcnt(0)
	v_xor_b32_e32 v3, 32, v2
	v_cmp_lt_i32_e32 vcc, v3, v9
	v_xor_b32_e32 v6, 16, v2
	v_max_f32_e32 v5, v13, v13
	v_cndmask_b32_e32 v3, v2, v3, vcc
	v_lshlrev_b32_e32 v3, 2, v3
	ds_bpermute_b32 v4, v3, v13
	v_cmp_lt_i32_e32 vcc, v6, v9
	v_xor_b32_e32 v7, 8, v2
	v_xor_b32_e32 v10, 4, v2
	v_and_b32_e32 v51, 63, v0
	s_waitcnt lgkmcnt(0)
	v_max_f32_e32 v4, v4, v4
	v_max_f32_e32 v5, v5, v4
	v_cndmask_b32_e32 v4, v2, v6, vcc
	v_lshlrev_b32_e32 v4, 2, v4
	ds_bpermute_b32 v6, v4, v5
	v_cmp_lt_i32_e32 vcc, v7, v9
	s_waitcnt lgkmcnt(0)
	v_max_f32_e32 v6, v6, v6
	v_max_f32_e32 v6, v5, v6
	v_cndmask_b32_e32 v5, v2, v7, vcc
	v_lshlrev_b32_e32 v5, 2, v5
	ds_bpermute_b32 v7, v5, v6
	v_cmp_lt_i32_e32 vcc, v10, v9
	s_waitcnt lgkmcnt(0)
	v_max_f32_e32 v7, v7, v7
	v_max_f32_e32 v6, v6, v7
	v_cndmask_b32_e32 v7, v2, v10, vcc
	v_lshlrev_b32_e32 v52, 2, v7
	ds_bpermute_b32 v7, v52, v6
	v_xor_b32_e32 v10, 2, v2
	v_cmp_lt_i32_e32 vcc, v10, v9
	s_waitcnt lgkmcnt(0)
	v_max_f32_e32 v7, v7, v7
	v_max_f32_e32 v7, v6, v7
	v_cndmask_b32_e32 v6, v2, v10, vcc
	v_lshlrev_b32_e32 v53, 2, v6
	ds_bpermute_b32 v10, v53, v7
	v_cmp_eq_u32_e32 vcc, 0, v51
	v_lshlrev_b32_e32 v6, 2, v1
	s_and_saveexec_b64 s[0:1], vcc
	s_cbranch_execz .LBB199_23
; %bb.22:
	s_waitcnt lgkmcnt(0)
	v_max_f32_e32 v10, v10, v10
	v_max_f32_e32 v7, v7, v7
	v_max_f32_e32 v7, v7, v10
	ds_write_b32 v6, v7 offset:256
.LBB199_23:
	s_or_b64 exec, exec, s[0:1]
	v_cmp_gt_u32_e64 s[0:1], 2, v51
	s_waitcnt lgkmcnt(0)
	v_mov_b32_e32 v10, 0xff7fffff
	v_lshlrev_b32_e32 v7, 2, v51
	s_barrier
	s_and_saveexec_b64 s[2:3], s[0:1]
; %bb.24:
	ds_read_b32 v10, v7 offset:256
; %bb.25:
	s_or_b64 exec, exec, s[2:3]
	v_xor_b32_e32 v11, 1, v2
	v_cmp_lt_i32_e64 s[2:3], v11, v9
	v_lshlrev_b32_e32 v8, 2, v8
	s_nop 0
	v_cndmask_b32_e64 v9, v2, v11, s[2:3]
	v_lshlrev_b32_e32 v54, 2, v9
	s_waitcnt lgkmcnt(0)
	ds_bpermute_b32 v9, v54, v10
	v_max_f32_e32 v10, v10, v10
	s_lshl_b32 s2, s20, 5
	s_min_i32 s37, s2, s33
	v_cmp_gt_i32_e64 s[2:3], s37, v0
	s_waitcnt lgkmcnt(0)
	v_max_f32_e32 v9, v9, v9
	v_max_f32_e32 v9, v10, v9
	ds_bpermute_b32 v9, v8, v9
	v_mov_b32_e32 v8, 0
	s_and_saveexec_b64 s[12:13], s[2:3]
	s_cbranch_execz .LBB199_29
; %bb.26:
	v_mov_b32_e32 v8, 0x110
	v_lshl_add_u32 v10, v0, 2, v8
	v_mov_b32_e32 v8, 0
	s_mov_b64 s[18:19], 0
	v_mov_b32_e32 v11, v0
.LBB199_27:                             ; =>This Inner Loop Header: Depth=1
	ds_read_b32 v12, v10
	v_add_u32_e32 v11, 0x80, v11
	v_cmp_le_i32_e64 s[8:9], s37, v11
	s_or_b64 s[18:19], s[8:9], s[18:19]
	s_waitcnt lgkmcnt(0)
	v_sub_f32_e32 v12, v12, v9
	v_mul_f32_e32 v12, 0x3fb8aa3b, v12
	v_exp_f32_e32 v12, v12
	ds_write_b32 v10, v12
	v_add_f32_e32 v8, v8, v12
	v_add_u32_e32 v10, 0x200, v10
	s_andn2_b64 exec, exec, s[18:19]
	s_cbranch_execnz .LBB199_27
; %bb.28:
	s_or_b64 exec, exec, s[18:19]
.LBB199_29:
	s_or_b64 exec, exec, s[12:13]
	ds_bpermute_b32 v3, v3, v8
	s_waitcnt lgkmcnt(0)
	v_add_f32_e32 v3, v8, v3
	ds_bpermute_b32 v4, v4, v3
	s_waitcnt lgkmcnt(0)
	v_add_f32_e32 v3, v3, v4
	;; [unrolled: 3-line block ×6, first 2 shown]
	s_and_saveexec_b64 s[8:9], vcc
; %bb.30:
	ds_write_b32 v6, v3 offset:264
; %bb.31:
	s_or_b64 exec, exec, s[8:9]
	s_waitcnt lgkmcnt(0)
	s_barrier
	s_and_saveexec_b64 s[8:9], s[0:1]
; %bb.32:
	ds_read_b32 v3, v7 offset:264
; %bb.33:
	s_or_b64 exec, exec, s[8:9]
	s_waitcnt lgkmcnt(0)
	ds_bpermute_b32 v4, v54, v3
	v_lshlrev_b32_e32 v2, 2, v2
	v_and_b32_e32 v2, 0x100, v2
	s_waitcnt lgkmcnt(0)
	v_add_f32_e32 v3, v3, v4
	ds_bpermute_b32 v2, v2, v3
	s_and_saveexec_b64 s[0:1], s[2:3]
	s_cbranch_execz .LBB199_46
; %bb.34:
	s_waitcnt lgkmcnt(0)
	v_add_f32_e32 v2, 0x358637bd, v2
	v_div_scale_f32 v3, s[2:3], v2, v2, 1.0
	v_rcp_f32_e32 v4, v3
	v_div_scale_f32 v5, vcc, 1.0, v2, 1.0
	s_movk_i32 s2, 0x7f
	v_fma_f32 v6, -v3, v4, 1.0
	v_fmac_f32_e32 v4, v6, v4
	v_mul_f32_e32 v6, v5, v4
	v_fma_f32 v7, -v3, v6, v5
	v_fmac_f32_e32 v6, v7, v4
	v_fma_f32 v3, -v3, v6, v5
	v_div_fmas_f32 v3, v3, v4, v6
	v_xad_u32 v4, v0, -1, s37
	v_div_fixup_f32 v2, v3, v2, 1.0
	v_cmp_lt_u32_e32 vcc, s2, v4
	s_mov_b64 s[8:9], -1
	v_mov_b32_e32 v3, v0
	s_and_saveexec_b64 s[2:3], vcc
	s_cbranch_execz .LBB199_43
; %bb.35:
	v_lshrrev_b32_e32 v4, 7, v4
	v_add_u32_e32 v6, -1, v4
	v_lshrrev_b32_e32 v5, 1, v6
	v_mov_b32_e32 v3, v2
	v_add_u32_e32 v5, 1, v5
	v_cmp_lt_u32_e32 vcc, 13, v6
	v_mov_b32_e32 v8, 0
	s_and_saveexec_b64 s[8:9], vcc
	s_cbranch_execz .LBB199_39
; %bb.36:
	v_mov_b32_e32 v7, 0x110
	v_and_b32_e32 v6, -8, v5
	v_lshl_add_u32 v7, v0, 2, v7
	s_mov_b32 s18, 0
	s_mov_b64 s[12:13], 0
.LBB199_37:                             ; =>This Inner Loop Header: Depth=1
	ds_read2st64_b32 v[8:9], v7 offset1:2
	ds_read2st64_b32 v[10:11], v7 offset0:4 offset1:6
	ds_read2st64_b32 v[12:13], v7 offset0:8 offset1:10
	;; [unrolled: 1-line block ×3, first 2 shown]
	v_add_u32_e32 v6, -8, v6
	s_waitcnt lgkmcnt(3)
	v_pk_mul_f32 v[8:9], v[2:3], v[8:9]
	s_waitcnt lgkmcnt(2)
	v_pk_mul_f32 v[10:11], v[2:3], v[10:11]
	ds_write2st64_b32 v7, v8, v9 offset1:2
	ds_write2st64_b32 v7, v10, v11 offset0:4 offset1:6
	ds_read2st64_b32 v[10:11], v7 offset0:16 offset1:18
	s_waitcnt lgkmcnt(4)
	v_pk_mul_f32 v[8:9], v[2:3], v[12:13]
	ds_write2st64_b32 v7, v8, v9 offset0:8 offset1:10
	s_waitcnt lgkmcnt(4)
	v_pk_mul_f32 v[8:9], v[2:3], v[18:19]
	ds_write2st64_b32 v7, v8, v9 offset0:12 offset1:14
	ds_read2st64_b32 v[8:9], v7 offset0:20 offset1:22
	s_waitcnt lgkmcnt(3)
	v_pk_mul_f32 v[10:11], v[2:3], v[10:11]
	ds_read2st64_b32 v[12:13], v7 offset0:24 offset1:26
	ds_write2st64_b32 v7, v10, v11 offset0:16 offset1:18
	ds_read2st64_b32 v[10:11], v7 offset0:28 offset1:30
	s_waitcnt lgkmcnt(3)
	v_pk_mul_f32 v[8:9], v[2:3], v[8:9]
	ds_write2st64_b32 v7, v8, v9 offset0:20 offset1:22
	s_waitcnt lgkmcnt(3)
	v_pk_mul_f32 v[8:9], v[2:3], v[12:13]
	ds_write2st64_b32 v7, v8, v9 offset0:24 offset1:26
	s_waitcnt lgkmcnt(2)
	v_pk_mul_f32 v[8:9], v[2:3], v[10:11]
	s_add_i32 s18, s18, 16
	v_cmp_eq_u32_e32 vcc, 0, v6
	ds_write2st64_b32 v7, v8, v9 offset0:28 offset1:30
	v_add_u32_e32 v7, 0x2000, v7
	s_or_b64 s[12:13], vcc, s[12:13]
	v_mov_b32_e32 v8, s18
	s_andn2_b64 exec, exec, s[12:13]
	s_cbranch_execnz .LBB199_37
; %bb.38:
	s_or_b64 exec, exec, s[12:13]
.LBB199_39:
	s_or_b64 exec, exec, s[8:9]
	v_and_b32_e32 v5, 7, v5
	v_cmp_ne_u32_e32 vcc, 0, v5
	s_and_saveexec_b64 s[8:9], vcc
	s_cbranch_execz .LBB199_42
; %bb.40:
	v_lshlrev_b32_e32 v6, 9, v8
	s_movk_i32 s12, 0x110
	v_add3_u32 v6, v6, v14, s12
	s_mov_b64 s[12:13], 0
.LBB199_41:                             ; =>This Inner Loop Header: Depth=1
	ds_read2st64_b32 v[8:9], v6 offset1:2
	v_add_u32_e32 v5, -1, v5
	v_cmp_eq_u32_e32 vcc, 0, v5
	s_or_b64 s[12:13], vcc, s[12:13]
	s_waitcnt lgkmcnt(0)
	v_pk_mul_f32 v[8:9], v[2:3], v[8:9]
	ds_write2st64_b32 v6, v8, v9 offset1:2
	v_add_u32_e32 v6, 0x400, v6
	s_andn2_b64 exec, exec, s[12:13]
	s_cbranch_execnz .LBB199_41
.LBB199_42:
	s_or_b64 exec, exec, s[8:9]
	v_add_u32_e32 v4, 1, v4
	v_and_b32_e32 v5, 0x3fffffe, v4
	v_cmp_ne_u32_e32 vcc, v4, v5
	v_lshl_add_u32 v3, v5, 7, v0
	s_orn2_b64 s[8:9], vcc, exec
.LBB199_43:
	s_or_b64 exec, exec, s[2:3]
	s_and_b64 exec, exec, s[8:9]
	s_cbranch_execz .LBB199_46
; %bb.44:
	v_mov_b32_e32 v4, 0x110
	v_lshl_add_u32 v4, v3, 2, v4
	s_mov_b64 s[2:3], 0
.LBB199_45:                             ; =>This Inner Loop Header: Depth=1
	ds_read_b32 v5, v4
	v_add_u32_e32 v3, 0x80, v3
	v_cmp_le_i32_e32 vcc, s37, v3
	s_or_b64 s[2:3], vcc, s[2:3]
	s_waitcnt lgkmcnt(0)
	v_mul_f32_e32 v5, v2, v5
	ds_write_b32 v4, v5
	v_add_u32_e32 v4, 0x200, v4
	s_andn2_b64 exec, exec, s[2:3]
	s_cbranch_execnz .LBB199_45
.LBB199_46:
	s_or_b64 exec, exec, s[0:1]
	v_mov_b32_e32 v7, 0
	v_and_b32_e32 v55, 7, v0
	v_mov_b32_e32 v6, 0
	v_mov_b32_e32 v11, 0
	;; [unrolled: 1-line block ×7, first 2 shown]
	s_waitcnt lgkmcnt(0)
	s_barrier
	s_and_saveexec_b64 s[2:3], s[6:7]
	s_cbranch_execz .LBB199_68
; %bb.47:
	s_sub_i32 s18, s16, s21
	s_ashr_i32 s1, s43, 31
	s_add_u32 s0, s34, s43
	s_addc_u32 s1, s35, s1
	s_abs_i32 s19, s22
	v_cvt_f32_u32_e32 v2, s19
	v_and_b32_e32 v8, 0xfc, v14
	v_mov_b32_e32 v9, 0
	v_and_b32_e32 v56, 28, v14
	v_rcp_iflag_f32_e32 v2, v2
	v_lshl_add_u64 v[14:15], s[0:1], 0, v[8:9]
	s_sub_i32 s0, 0, s19
	s_add_i32 s22, s20, -1
	v_mul_f32_e32 v2, 0x4f7ffffe, v2
	v_cvt_u32_f32_e32 v2, v2
	v_and_b32_e32 v8, 60, v16
	s_mov_b32 s21, s17
	s_mov_b32 s34, s33
	v_mul_lo_u32 v3, s0, v2
	v_mul_hi_u32 v3, v2, v3
	s_lshl_b64 s[0:1], s[30:31], 2
	v_add_u32_e32 v57, v2, v3
	s_add_u32 s0, s28, s0
	v_lshlrev_b32_e32 v2, 4, v55
	s_addc_u32 s1, s29, s1
	v_lshl_or_b32 v2, v1, 7, v2
	v_lshl_add_u64 v[16:17], s[0:1], 0, v[8:9]
	v_add_u32_e32 v58, 0x110, v2
	s_mov_b64 s[6:7], 0
	v_mov_b32_e32 v8, v9
	v_mov_b32_e32 v12, v9
	;; [unrolled: 1-line block ×7, first 2 shown]
	s_branch .LBB199_50
.LBB199_48:                             ;   in Loop: Header=BB199_50 Depth=1
	s_or_b64 exec, exec, s[0:1]
	v_mul_f32_e32 v48, v2, v48
	v_mul_f32_e32 v42, v2, v42
	;; [unrolled: 1-line block ×7, first 2 shown]
	v_fmac_f32_e32 v48, v3, v49
	v_fmac_f32_e32 v42, v3, v43
	v_fmac_f32_e32 v38, v3, v39
	v_fmac_f32_e32 v34, v3, v35
	v_fmac_f32_e32 v30, v3, v31
	v_fmac_f32_e32 v24, v3, v25
	v_fmac_f32_e32 v20, v3, v21
	v_fmac_f32_e32 v48, v4, v46
	v_fmac_f32_e32 v42, v4, v40
	v_fmac_f32_e32 v38, v4, v36
	v_fmac_f32_e32 v34, v4, v32
	v_fmac_f32_e32 v30, v4, v28
	v_fmac_f32_e32 v24, v4, v22
	v_fmac_f32_e32 v20, v4, v18
	v_pk_mul_f32 v[2:3], v[2:3], v[44:45]
	v_fmac_f32_e32 v48, v5, v47
	v_fmac_f32_e32 v42, v5, v41
	;; [unrolled: 1-line block ×7, first 2 shown]
	v_pk_mul_f32 v[4:5], v[4:5], v[26:27]
	v_add_f32_e32 v2, v3, v2
	v_add_f32_e32 v2, v4, v2
	;; [unrolled: 1-line block ×11, first 2 shown]
.LBB199_49:                             ;   in Loop: Header=BB199_50 Depth=1
	s_or_b64 exec, exec, s[8:9]
	v_add_u32_e32 v1, 2, v1
	v_cmp_le_i32_e32 vcc, s20, v1
	v_lshl_add_u64 v[16:17], v[16:17], 0, 8
	v_add_u32_e32 v50, 64, v50
	s_or_b64 s[6:7], vcc, s[6:7]
	v_add_u32_e32 v58, 0x100, v58
	s_andn2_b64 exec, exec, s[6:7]
	s_cbranch_execz .LBB199_67
.LBB199_50:                             ; =>This Inner Loop Header: Depth=1
	v_mul_hi_u32 v2, v50, s42
	v_mul_lo_u32 v3, v2, s25
	v_sub_u32_e32 v3, v50, v3
	v_add_u32_e32 v4, 1, v2
	v_cmp_le_u32_e32 vcc, s25, v3
	s_nop 1
	v_cndmask_b32_e32 v2, v2, v4, vcc
	v_subrev_u32_e32 v4, s25, v3
	v_cndmask_b32_e32 v3, v3, v4, vcc
	v_add_u32_e32 v4, 1, v2
	v_cmp_le_u32_e32 vcc, s25, v3
	s_nop 1
	v_cndmask_b32_e32 v2, v2, v4, vcc
	v_xor_b32_e32 v2, s23, v2
	v_subrev_u32_e32 v2, s23, v2
	v_add_u32_e32 v3, s36, v2
	v_sub_u32_e32 v5, 0, v3
	v_ashrrev_i32_e32 v4, 31, v3
	v_max_i32_e32 v3, v3, v5
	v_mul_hi_u32 v5, v3, v57
	v_mul_lo_u32 v5, v5, s19
	v_sub_u32_e32 v3, v3, v5
	v_subrev_u32_e32 v5, s19, v3
	v_cmp_le_u32_e32 vcc, s19, v3
	v_cmp_lt_i32_e64 s[0:1], s18, v2
	s_nop 0
	v_cndmask_b32_e32 v3, v3, v5, vcc
	v_subrev_u32_e32 v5, s19, v3
	v_cmp_le_u32_e32 vcc, s19, v3
	s_nop 1
	v_cndmask_b32_e32 v3, v3, v5, vcc
	v_xor_b32_e32 v3, v3, v4
	v_sub_u32_e32 v3, v3, v4
	v_cmp_eq_u32_e32 vcc, 0, v3
	s_or_b64 s[0:1], vcc, s[0:1]
	s_and_saveexec_b64 s[8:9], s[0:1]
	s_cbranch_execz .LBB199_49
; %bb.51:                               ;   in Loop: Header=BB199_50 Depth=1
	global_load_dword v2, v[16:17], off
	s_load_dword s12, s[14:15], 0x0
	v_add_u32_e32 v59, v56, v50
	v_cmp_eq_u32_e32 vcc, s22, v1
	v_add_u32_e32 v60, 1, v59
	v_add_u32_e32 v44, 2, v59
	;; [unrolled: 1-line block ×3, first 2 shown]
	s_waitcnt vmcnt(0)
	v_mad_i64_i32 v[26:27], s[0:1], v2, s21, v[14:15]
	global_load_dword v18, v[26:27], off
	ds_read_b128 v[2:5], v58
	s_waitcnt vmcnt(0)
	v_and_b32_e32 v19, 0xffff, v18
	v_lshrrev_b32_e32 v20, 16, v18
	v_cvt_pk_f32_fp8_e32 v[18:19], v19
	v_cvt_pk_f32_fp8_e32 v[22:23], v20
	s_waitcnt lgkmcnt(0)
	v_pk_mul_f32 v[20:21], v[18:19], s[12:13] op_sel_hi:[1,0]
	v_pk_mul_f32 v[18:19], s[12:13], v[22:23] op_sel_hi:[0,1]
	s_and_saveexec_b64 s[16:17], vcc
; %bb.52:                               ;   in Loop: Header=BB199_50 Depth=1
	v_cmp_gt_i32_e64 s[0:1], s33, v59
	s_nop 1
	v_cndmask_b32_e64 v20, 0, v20, s[0:1]
	v_cmp_gt_i32_e64 s[0:1], s33, v60
	s_nop 1
	v_cndmask_b32_e64 v21, 0, v21, s[0:1]
	;; [unrolled: 3-line block ×4, first 2 shown]
; %bb.53:                               ;   in Loop: Header=BB199_50 Depth=1
	s_or_b64 exec, exec, s[16:17]
	global_load_dword v22, v[26:27], off offset:256
	s_mov_b32 s13, s12
	s_waitcnt vmcnt(0)
	v_and_b32_e32 v23, 0xffff, v22
	v_lshrrev_b32_e32 v24, 16, v22
	v_cvt_pk_f32_fp8_e32 v[22:23], v23
	v_cvt_pk_f32_fp8_e32 v[28:29], v24
	v_pk_mul_f32 v[24:25], s[12:13], v[22:23]
	v_pk_mul_f32 v[22:23], s[12:13], v[28:29]
	s_and_saveexec_b64 s[16:17], vcc
; %bb.54:                               ;   in Loop: Header=BB199_50 Depth=1
	v_cmp_gt_i32_e64 s[0:1], s33, v59
	s_nop 1
	v_cndmask_b32_e64 v24, 0, v24, s[0:1]
	v_cmp_gt_i32_e64 s[0:1], s33, v60
	s_nop 1
	v_cndmask_b32_e64 v25, 0, v25, s[0:1]
	v_cmp_gt_i32_e64 s[0:1], s33, v44
	s_nop 1
	v_cndmask_b32_e64 v22, 0, v22, s[0:1]
	v_cmp_gt_i32_e64 s[0:1], s33, v45
	s_nop 1
	v_cndmask_b32_e64 v23, 0, v23, s[0:1]
; %bb.55:                               ;   in Loop: Header=BB199_50 Depth=1
	s_or_b64 exec, exec, s[16:17]
	global_load_dword v28, v[26:27], off offset:512
	s_waitcnt vmcnt(0)
	v_and_b32_e32 v29, 0xffff, v28
	v_lshrrev_b32_e32 v30, 16, v28
	v_cvt_pk_f32_fp8_e32 v[28:29], v29
	v_cvt_pk_f32_fp8_e32 v[32:33], v30
	v_pk_mul_f32 v[30:31], s[12:13], v[28:29]
	v_pk_mul_f32 v[28:29], s[12:13], v[32:33]
	s_and_saveexec_b64 s[16:17], vcc
; %bb.56:                               ;   in Loop: Header=BB199_50 Depth=1
	v_cmp_gt_i32_e64 s[0:1], s33, v59
	s_nop 1
	v_cndmask_b32_e64 v30, 0, v30, s[0:1]
	v_cmp_gt_i32_e64 s[0:1], s33, v60
	s_nop 1
	v_cndmask_b32_e64 v31, 0, v31, s[0:1]
	v_cmp_gt_i32_e64 s[0:1], s33, v44
	s_nop 1
	v_cndmask_b32_e64 v28, 0, v28, s[0:1]
	v_cmp_gt_i32_e64 s[0:1], s33, v45
	s_nop 1
	v_cndmask_b32_e64 v29, 0, v29, s[0:1]
; %bb.57:                               ;   in Loop: Header=BB199_50 Depth=1
	s_or_b64 exec, exec, s[16:17]
	global_load_dword v32, v[26:27], off offset:768
	;; [unrolled: 24-line block ×6, first 2 shown]
	s_waitcnt vmcnt(0)
	v_and_b32_e32 v27, 0xffff, v26
	v_lshrrev_b32_e32 v44, 16, v26
	v_cvt_pk_f32_fp8_e32 v[26:27], v27
	v_cvt_pk_f32_fp8_e32 v[62:63], v44
	v_pk_mul_f32 v[44:45], s[12:13], v[26:27]
	v_pk_mul_f32 v[26:27], s[12:13], v[62:63]
	s_and_saveexec_b64 s[0:1], vcc
	s_cbranch_execz .LBB199_48
; %bb.66:                               ;   in Loop: Header=BB199_50 Depth=1
	v_cmp_gt_i32_e32 vcc, s34, v60
	v_or_b32_e32 v60, 3, v59
	s_nop 0
	v_cndmask_b32_e32 v45, 0, v45, vcc
	v_cmp_gt_i32_e32 vcc, s33, v59
	v_or_b32_e32 v59, 2, v59
	s_nop 0
	v_cndmask_b32_e32 v44, 0, v44, vcc
	v_cmp_gt_i32_e32 vcc, s34, v60
	s_nop 1
	v_cndmask_b32_e32 v27, 0, v27, vcc
	v_cmp_gt_i32_e32 vcc, s33, v59
	s_nop 1
	v_cndmask_b32_e32 v26, 0, v26, vcc
	s_branch .LBB199_48
.LBB199_67:
	s_or_b64 exec, exec, s[6:7]
.LBB199_68:
	s_or_b64 exec, exec, s[2:3]
	ds_bpermute_b32 v4, v52, v12
	ds_bpermute_b32 v5, v52, v13
	;; [unrolled: 1-line block ×6, first 2 shown]
	s_waitcnt lgkmcnt(4)
	v_pk_add_f32 v[4:5], v[12:13], v[4:5]
	ds_bpermute_b32 v12, v53, v4
	ds_bpermute_b32 v13, v53, v5
	s_waitcnt lgkmcnt(4)
	v_pk_add_f32 v[2:3], v[8:9], v[2:3]
	ds_bpermute_b32 v8, v53, v2
	ds_bpermute_b32 v9, v53, v3
	;; [unrolled: 4-line block ×4, first 2 shown]
	s_waitcnt lgkmcnt(4)
	v_pk_add_f32 v[2:3], v[2:3], v[8:9]
	s_waitcnt lgkmcnt(2)
	v_pk_add_f32 v[16:17], v[6:7], v[16:17]
	ds_bpermute_b32 v8, v54, v2
	ds_bpermute_b32 v9, v54, v3
	s_waitcnt lgkmcnt(2)
	v_pk_add_f32 v[10:11], v[10:11], v[12:13]
	ds_bpermute_b32 v18, v53, v16
	ds_bpermute_b32 v19, v53, v17
	;; [unrolled: 1-line block ×6, first 2 shown]
	s_waitcnt lgkmcnt(6)
	v_pk_add_f32 v[6:7], v[2:3], v[8:9]
	s_waitcnt lgkmcnt(4)
	v_pk_add_f32 v[8:9], v[16:17], v[18:19]
	s_waitcnt lgkmcnt(2)
	v_pk_add_f32 v[2:3], v[10:11], v[12:13]
	ds_bpermute_b32 v10, v54, v8
	ds_bpermute_b32 v11, v54, v9
	v_and_b32_e32 v1, 0x3c7, v0
	s_waitcnt lgkmcnt(2)
	v_pk_add_f32 v[4:5], v[4:5], v[14:15]
	v_cmp_ne_u32_e32 vcc, 64, v1
	s_waitcnt lgkmcnt(0)
	s_barrier
	s_and_saveexec_b64 s[0:1], vcc
	s_xor_b64 s[0:1], exec, s[0:1]
; %bb.69:
                                        ; implicit-def: $vgpr51
; %bb.70:
	s_or_saveexec_b64 s[0:1], s[0:1]
	v_pk_add_f32 v[8:9], v[8:9], v[10:11]
	s_xor_b64 exec, exec, s[0:1]
	s_cbranch_execz .LBB199_72
; %bb.71:
	v_lshrrev_b32_e32 v10, 1, v51
	v_add_u32_e32 v10, 0x110, v10
	ds_write2_b32 v10, v6, v7 offset1:8
	ds_write2_b32 v10, v4, v5 offset0:16 offset1:24
	ds_write2_b32 v10, v2, v3 offset0:32 offset1:40
	;; [unrolled: 1-line block ×3, first 2 shown]
.LBB199_72:
	s_or_b64 exec, exec, s[0:1]
	v_cmp_gt_u32_e32 vcc, 64, v0
	v_lshrrev_b32_e32 v0, 3, v0
	s_waitcnt lgkmcnt(0)
	s_barrier
	s_and_saveexec_b64 s[0:1], vcc
	s_cbranch_execz .LBB199_83
; %bb.73:
	v_mov_b32_e32 v10, 0x110
	v_cmp_eq_u32_e32 vcc, 0, v55
	v_lshl_add_u32 v10, v0, 2, v10
	s_and_saveexec_b64 s[2:3], vcc
	s_cbranch_execnz .LBB199_86
; %bb.74:
	s_or_b64 exec, exec, s[2:3]
	s_and_saveexec_b64 s[2:3], vcc
	s_cbranch_execnz .LBB199_87
.LBB199_75:
	s_or_b64 exec, exec, s[2:3]
	s_and_saveexec_b64 s[2:3], vcc
	s_cbranch_execnz .LBB199_88
.LBB199_76:
	s_or_b64 exec, exec, s[2:3]
	s_and_saveexec_b64 s[2:3], vcc
	s_cbranch_execnz .LBB199_89
.LBB199_77:
	s_or_b64 exec, exec, s[2:3]
	s_and_saveexec_b64 s[2:3], vcc
	s_cbranch_execnz .LBB199_90
.LBB199_78:
	s_or_b64 exec, exec, s[2:3]
	s_and_saveexec_b64 s[2:3], vcc
	s_cbranch_execnz .LBB199_91
.LBB199_79:
	s_or_b64 exec, exec, s[2:3]
	s_and_saveexec_b64 s[2:3], vcc
	s_cbranch_execnz .LBB199_92
.LBB199_80:
	s_or_b64 exec, exec, s[2:3]
	s_and_saveexec_b64 s[2:3], vcc
	s_cbranch_execz .LBB199_82
.LBB199_81:
	ds_read_b32 v10, v10 offset:224
	s_waitcnt lgkmcnt(0)
	v_add_f32_e32 v9, v9, v10
.LBB199_82:
	s_or_b64 exec, exec, s[2:3]
.LBB199_83:
	s_or_b64 exec, exec, s[0:1]
	v_cmp_eq_u32_e32 vcc, 0, v1
	s_barrier
	s_and_saveexec_b64 s[0:1], vcc
	s_cbranch_execz .LBB199_85
; %bb.84:
	s_mul_i32 s0, s10, s11
	s_mul_i32 s0, s0, s5
	s_lshl_b32 s0, s0, 6
	s_ashr_i32 s1, s0, 31
	s_lshl_b64 s[0:1], s[0:1], 2
	s_add_u32 s2, s26, s0
	s_mul_i32 s0, s11, s24
	s_addc_u32 s3, s27, s1
	s_ashr_i32 s1, s0, 31
	s_lshl_b64 s[0:1], s[0:1], 2
	s_add_u32 s2, s2, s0
	s_addc_u32 s3, s3, s1
	s_lshl_b32 s0, s4, 6
	s_ashr_i32 s1, s0, 31
	s_lshl_b64 s[0:1], s[0:1], 2
	s_add_u32 s0, s2, s0
	s_addc_u32 s1, s3, s1
	v_lshlrev_b32_e32 v0, 2, v0
	global_store_dword v0, v6, s[0:1]
	global_store_dword v0, v7, s[0:1] offset:32
	global_store_dword v0, v4, s[0:1] offset:64
	;; [unrolled: 1-line block ×7, first 2 shown]
.LBB199_85:
	s_endpgm
.LBB199_86:
	ds_read_b32 v11, v10
	s_waitcnt lgkmcnt(0)
	v_add_f32_e32 v6, v6, v11
	s_or_b64 exec, exec, s[2:3]
	s_and_saveexec_b64 s[2:3], vcc
	s_cbranch_execz .LBB199_75
.LBB199_87:
	ds_read_b32 v11, v10 offset:32
	s_waitcnt lgkmcnt(0)
	v_add_f32_e32 v7, v7, v11
	s_or_b64 exec, exec, s[2:3]
	s_and_saveexec_b64 s[2:3], vcc
	s_cbranch_execz .LBB199_76
.LBB199_88:
	ds_read_b32 v11, v10 offset:64
	s_waitcnt lgkmcnt(0)
	v_add_f32_e32 v4, v4, v11
	s_or_b64 exec, exec, s[2:3]
	s_and_saveexec_b64 s[2:3], vcc
	s_cbranch_execz .LBB199_77
.LBB199_89:
	ds_read_b32 v11, v10 offset:96
	s_waitcnt lgkmcnt(0)
	v_add_f32_e32 v5, v5, v11
	s_or_b64 exec, exec, s[2:3]
	s_and_saveexec_b64 s[2:3], vcc
	s_cbranch_execz .LBB199_78
.LBB199_90:
	ds_read_b32 v11, v10 offset:128
	s_waitcnt lgkmcnt(0)
	v_add_f32_e32 v2, v2, v11
	s_or_b64 exec, exec, s[2:3]
	s_and_saveexec_b64 s[2:3], vcc
	s_cbranch_execz .LBB199_79
.LBB199_91:
	ds_read_b32 v11, v10 offset:160
	s_waitcnt lgkmcnt(0)
	v_add_f32_e32 v3, v3, v11
	s_or_b64 exec, exec, s[2:3]
	s_and_saveexec_b64 s[2:3], vcc
	s_cbranch_execz .LBB199_80
.LBB199_92:
	ds_read_b32 v11, v10 offset:192
	s_waitcnt lgkmcnt(0)
	v_add_f32_e32 v8, v8, v11
	s_or_b64 exec, exec, s[2:3]
	s_and_saveexec_b64 s[2:3], vcc
	s_cbranch_execnz .LBB199_81
	s_branch .LBB199_82
	.section	.rodata,"a",@progbits
	.p2align	6, 0x0
	.amdhsa_kernel _ZN4vllm25paged_attention_v1_kernelIfhLi64ELi32ELi128ELNS_18Fp8KVCacheDataTypeE1ELb1EEEvPT_PKS2_PKT0_S8_ifPKiSA_iPKfiiiSC_SC_iiiii
		.amdhsa_group_segment_fixed_size 272
		.amdhsa_private_segment_fixed_size 0
		.amdhsa_kernarg_size 384
		.amdhsa_user_sgpr_count 2
		.amdhsa_user_sgpr_dispatch_ptr 0
		.amdhsa_user_sgpr_queue_ptr 0
		.amdhsa_user_sgpr_kernarg_segment_ptr 1
		.amdhsa_user_sgpr_dispatch_id 0
		.amdhsa_user_sgpr_kernarg_preload_length 0
		.amdhsa_user_sgpr_kernarg_preload_offset 0
		.amdhsa_user_sgpr_private_segment_size 0
		.amdhsa_uses_dynamic_stack 0
		.amdhsa_enable_private_segment 0
		.amdhsa_system_sgpr_workgroup_id_x 1
		.amdhsa_system_sgpr_workgroup_id_y 1
		.amdhsa_system_sgpr_workgroup_id_z 1
		.amdhsa_system_sgpr_workgroup_info 0
		.amdhsa_system_vgpr_workitem_id 0
		.amdhsa_next_free_vgpr 89
		.amdhsa_next_free_sgpr 48
		.amdhsa_accum_offset 92
		.amdhsa_reserve_vcc 1
		.amdhsa_float_round_mode_32 0
		.amdhsa_float_round_mode_16_64 0
		.amdhsa_float_denorm_mode_32 3
		.amdhsa_float_denorm_mode_16_64 3
		.amdhsa_dx10_clamp 1
		.amdhsa_ieee_mode 1
		.amdhsa_fp16_overflow 0
		.amdhsa_tg_split 0
		.amdhsa_exception_fp_ieee_invalid_op 0
		.amdhsa_exception_fp_denorm_src 0
		.amdhsa_exception_fp_ieee_div_zero 0
		.amdhsa_exception_fp_ieee_overflow 0
		.amdhsa_exception_fp_ieee_underflow 0
		.amdhsa_exception_fp_ieee_inexact 0
		.amdhsa_exception_int_div_zero 0
	.end_amdhsa_kernel
	.section	.text._ZN4vllm25paged_attention_v1_kernelIfhLi64ELi32ELi128ELNS_18Fp8KVCacheDataTypeE1ELb1EEEvPT_PKS2_PKT0_S8_ifPKiSA_iPKfiiiSC_SC_iiiii,"axG",@progbits,_ZN4vllm25paged_attention_v1_kernelIfhLi64ELi32ELi128ELNS_18Fp8KVCacheDataTypeE1ELb1EEEvPT_PKS2_PKT0_S8_ifPKiSA_iPKfiiiSC_SC_iiiii,comdat
.Lfunc_end199:
	.size	_ZN4vllm25paged_attention_v1_kernelIfhLi64ELi32ELi128ELNS_18Fp8KVCacheDataTypeE1ELb1EEEvPT_PKS2_PKT0_S8_ifPKiSA_iPKfiiiSC_SC_iiiii, .Lfunc_end199-_ZN4vllm25paged_attention_v1_kernelIfhLi64ELi32ELi128ELNS_18Fp8KVCacheDataTypeE1ELb1EEEvPT_PKS2_PKT0_S8_ifPKiSA_iPKfiiiSC_SC_iiiii
                                        ; -- End function
	.set _ZN4vllm25paged_attention_v1_kernelIfhLi64ELi32ELi128ELNS_18Fp8KVCacheDataTypeE1ELb1EEEvPT_PKS2_PKT0_S8_ifPKiSA_iPKfiiiSC_SC_iiiii.num_vgpr, 89
	.set _ZN4vllm25paged_attention_v1_kernelIfhLi64ELi32ELi128ELNS_18Fp8KVCacheDataTypeE1ELb1EEEvPT_PKS2_PKT0_S8_ifPKiSA_iPKfiiiSC_SC_iiiii.num_agpr, 0
	.set _ZN4vllm25paged_attention_v1_kernelIfhLi64ELi32ELi128ELNS_18Fp8KVCacheDataTypeE1ELb1EEEvPT_PKS2_PKT0_S8_ifPKiSA_iPKfiiiSC_SC_iiiii.numbered_sgpr, 48
	.set _ZN4vllm25paged_attention_v1_kernelIfhLi64ELi32ELi128ELNS_18Fp8KVCacheDataTypeE1ELb1EEEvPT_PKS2_PKT0_S8_ifPKiSA_iPKfiiiSC_SC_iiiii.num_named_barrier, 0
	.set _ZN4vllm25paged_attention_v1_kernelIfhLi64ELi32ELi128ELNS_18Fp8KVCacheDataTypeE1ELb1EEEvPT_PKS2_PKT0_S8_ifPKiSA_iPKfiiiSC_SC_iiiii.private_seg_size, 0
	.set _ZN4vllm25paged_attention_v1_kernelIfhLi64ELi32ELi128ELNS_18Fp8KVCacheDataTypeE1ELb1EEEvPT_PKS2_PKT0_S8_ifPKiSA_iPKfiiiSC_SC_iiiii.uses_vcc, 1
	.set _ZN4vllm25paged_attention_v1_kernelIfhLi64ELi32ELi128ELNS_18Fp8KVCacheDataTypeE1ELb1EEEvPT_PKS2_PKT0_S8_ifPKiSA_iPKfiiiSC_SC_iiiii.uses_flat_scratch, 0
	.set _ZN4vllm25paged_attention_v1_kernelIfhLi64ELi32ELi128ELNS_18Fp8KVCacheDataTypeE1ELb1EEEvPT_PKS2_PKT0_S8_ifPKiSA_iPKfiiiSC_SC_iiiii.has_dyn_sized_stack, 0
	.set _ZN4vllm25paged_attention_v1_kernelIfhLi64ELi32ELi128ELNS_18Fp8KVCacheDataTypeE1ELb1EEEvPT_PKS2_PKT0_S8_ifPKiSA_iPKfiiiSC_SC_iiiii.has_recursion, 0
	.set _ZN4vllm25paged_attention_v1_kernelIfhLi64ELi32ELi128ELNS_18Fp8KVCacheDataTypeE1ELb1EEEvPT_PKS2_PKT0_S8_ifPKiSA_iPKfiiiSC_SC_iiiii.has_indirect_call, 0
	.section	.AMDGPU.csdata,"",@progbits
; Kernel info:
; codeLenInByte = 6080
; TotalNumSgprs: 54
; NumVgprs: 89
; NumAgprs: 0
; TotalNumVgprs: 89
; ScratchSize: 0
; MemoryBound: 0
; FloatMode: 240
; IeeeMode: 1
; LDSByteSize: 272 bytes/workgroup (compile time only)
; SGPRBlocks: 6
; VGPRBlocks: 11
; NumSGPRsForWavesPerEU: 54
; NumVGPRsForWavesPerEU: 89
; AccumOffset: 92
; Occupancy: 5
; WaveLimiterHint : 1
; COMPUTE_PGM_RSRC2:SCRATCH_EN: 0
; COMPUTE_PGM_RSRC2:USER_SGPR: 2
; COMPUTE_PGM_RSRC2:TRAP_HANDLER: 0
; COMPUTE_PGM_RSRC2:TGID_X_EN: 1
; COMPUTE_PGM_RSRC2:TGID_Y_EN: 1
; COMPUTE_PGM_RSRC2:TGID_Z_EN: 1
; COMPUTE_PGM_RSRC2:TIDIG_COMP_CNT: 0
; COMPUTE_PGM_RSRC3_GFX90A:ACCUM_OFFSET: 22
; COMPUTE_PGM_RSRC3_GFX90A:TG_SPLIT: 0
	.section	.text._ZN4vllm25paged_attention_v1_kernelIfhLi80ELi32ELi128ELNS_18Fp8KVCacheDataTypeE1ELb1EEEvPT_PKS2_PKT0_S8_ifPKiSA_iPKfiiiSC_SC_iiiii,"axG",@progbits,_ZN4vllm25paged_attention_v1_kernelIfhLi80ELi32ELi128ELNS_18Fp8KVCacheDataTypeE1ELb1EEEvPT_PKS2_PKT0_S8_ifPKiSA_iPKfiiiSC_SC_iiiii,comdat
	.protected	_ZN4vllm25paged_attention_v1_kernelIfhLi80ELi32ELi128ELNS_18Fp8KVCacheDataTypeE1ELb1EEEvPT_PKS2_PKT0_S8_ifPKiSA_iPKfiiiSC_SC_iiiii ; -- Begin function _ZN4vllm25paged_attention_v1_kernelIfhLi80ELi32ELi128ELNS_18Fp8KVCacheDataTypeE1ELb1EEEvPT_PKS2_PKT0_S8_ifPKiSA_iPKfiiiSC_SC_iiiii
	.globl	_ZN4vllm25paged_attention_v1_kernelIfhLi80ELi32ELi128ELNS_18Fp8KVCacheDataTypeE1ELb1EEEvPT_PKS2_PKT0_S8_ifPKiSA_iPKfiiiSC_SC_iiiii
	.p2align	8
	.type	_ZN4vllm25paged_attention_v1_kernelIfhLi80ELi32ELi128ELNS_18Fp8KVCacheDataTypeE1ELb1EEEvPT_PKS2_PKT0_S8_ifPKiSA_iPKfiiiSC_SC_iiiii,@function
_ZN4vllm25paged_attention_v1_kernelIfhLi80ELi32ELi128ELNS_18Fp8KVCacheDataTypeE1ELb1EEEvPT_PKS2_PKT0_S8_ifPKiSA_iPKfiiiSC_SC_iiiii: ; @_ZN4vllm25paged_attention_v1_kernelIfhLi80ELi32ELi128ELNS_18Fp8KVCacheDataTypeE1ELb1EEEvPT_PKS2_PKT0_S8_ifPKiSA_iPKfiiiSC_SC_iiiii
; %bb.0:
	s_load_dword s5, s[0:1], 0x80
	s_load_dwordx2 s[6:7], s[0:1], 0x30
	s_load_dwordx2 s[36:37], s[0:1], 0x20
	s_mov_b32 s10, s3
	s_ashr_i32 s11, s3, 31
	s_lshl_b64 s[8:9], s[10:11], 2
	s_waitcnt lgkmcnt(0)
	s_add_u32 s6, s6, s8
	s_addc_u32 s7, s7, s9
	s_abs_i32 s3, s36
	v_cvt_f32_u32_e32 v1, s3
	s_sub_i32 s11, 0, s3
	s_abs_i32 s9, s5
	s_xor_b32 s8, s5, s36
	v_rcp_iflag_f32_e32 v1, v1
	s_ashr_i32 s8, s8, 31
	s_mov_b32 s45, 0
	v_mul_f32_e32 v1, 0x4f7ffffe, v1
	v_cvt_u32_f32_e32 v1, v1
	s_nop 0
	v_readfirstlane_b32 s12, v1
	s_mul_i32 s11, s11, s12
	s_mul_hi_u32 s11, s12, s11
	s_add_i32 s12, s12, s11
	s_mul_hi_u32 s11, s9, s12
	s_mul_i32 s12, s11, s3
	s_sub_i32 s9, s9, s12
	s_add_i32 s12, s11, 1
	s_sub_i32 s13, s9, s3
	s_cmp_ge_u32 s9, s3
	s_cselect_b32 s11, s12, s11
	s_cselect_b32 s9, s13, s9
	s_add_i32 s12, s11, 1
	s_cmp_ge_u32 s9, s3
	s_cselect_b32 s3, s12, s11
	s_xor_b32 s3, s3, s8
	s_sub_i32 s14, s3, s8
	s_abs_i32 s11, s14
	v_cvt_f32_u32_e32 v1, s11
	s_load_dwordx2 s[8:9], s[0:1], 0x40
	s_sub_i32 s3, 0, s11
	s_abs_i32 s12, s2
	v_rcp_iflag_f32_e32 v1, v1
	s_nop 0
	v_mul_f32_e32 v1, 0x4f7ffffe, v1
	v_cvt_u32_f32_e32 v1, v1
	s_nop 0
	v_readfirstlane_b32 s13, v1
	s_mul_i32 s3, s3, s13
	s_mul_hi_u32 s3, s13, s3
	s_add_i32 s13, s13, s3
	s_waitcnt lgkmcnt(0)
	s_cmp_eq_u64 s[8:9], 0
	s_mul_hi_u32 s13, s12, s13
	s_cbranch_scc1 .LBB200_2
; %bb.1:
	s_ashr_i32 s3, s2, 31
	s_lshl_b64 s[16:17], s[2:3], 2
	s_add_u32 s8, s8, s16
	s_addc_u32 s9, s9, s17
	s_load_dword s45, s[8:9], 0x0
.LBB200_2:
	s_load_dword s33, s[6:7], 0x0
	s_load_dwordx4 s[16:19], s[0:1], 0x48
	s_ashr_i32 s8, s2, 31
	s_ashr_i32 s9, s14, 31
	v_and_b32_e32 v2, 1, v0
	s_mul_i32 s24, s2, 0x50
	v_cmp_gt_u32_e32 vcc, 40, v0
	v_lshlrev_b32_e32 v38, 2, v0
	s_and_saveexec_b64 s[6:7], vcc
	s_cbranch_execz .LBB200_4
; %bb.3:
	s_load_dwordx2 s[14:15], s[0:1], 0x8
	s_waitcnt lgkmcnt(0)
	s_mul_i32 s20, s16, s10
	s_ashr_i32 s21, s20, 31
	s_lshl_b64 s[20:21], s[20:21], 2
	v_lshlrev_b32_e32 v1, 3, v0
	s_add_u32 s3, s14, s20
	s_addc_u32 s16, s15, s21
	s_ashr_i32 s25, s24, 31
	s_lshl_b64 s[14:15], s[24:25], 2
	s_add_u32 s14, s3, s14
	s_addc_u32 s15, s16, s15
	global_load_dwordx2 v[4:5], v1, s[14:15]
	v_and_b32_e32 v1, 0xff8, v38
	s_movk_i32 s3, 0xa0
	v_mad_u32_u24 v1, v2, s3, v1
	s_waitcnt vmcnt(0)
	ds_write_b64 v1, v[4:5]
.LBB200_4:
	s_or_b64 exec, exec, s[6:7]
	s_mul_i32 s7, s13, s11
	s_sub_i32 s7, s12, s7
	s_xor_b32 s6, s8, s9
	s_add_i32 s8, s13, 1
	s_sub_i32 s9, s7, s11
	s_load_dwordx4 s[20:23], s[0:1], 0x68
	s_load_dword s3, s[0:1], 0x78
	s_cmp_ge_u32 s7, s11
	s_cselect_b32 s8, s8, s13
	s_cselect_b32 s7, s9, s7
	s_add_i32 s9, s8, 1
	s_cmp_ge_u32 s7, s11
	s_cselect_b32 s7, s9, s8
	s_waitcnt lgkmcnt(0)
	s_abs_i32 s25, s23
	v_cvt_f32_u32_e32 v1, s25
	s_xor_b32 s7, s7, s6
	s_sub_i32 s44, s7, s6
	s_sub_i32 s6, 0, s25
	v_rcp_iflag_f32_e32 v1, v1
	s_add_i32 s11, s33, -1
	s_abs_i32 s8, s11
	v_mul_f32_e32 v1, 0x4f7ffffe, v1
	v_cvt_u32_f32_e32 v1, v1
	s_barrier
	v_readfirstlane_b32 s42, v1
	s_mul_i32 s6, s6, s42
	s_mul_hi_u32 s6, s42, s6
	s_add_i32 s42, s42, s6
	s_cmp_lt_i32 s3, 0
	s_mul_hi_u32 s9, s8, s42
	s_cbranch_scc0 .LBB200_6
; %bb.5:
	s_mul_i32 s6, s20, s36
	s_add_i32 s6, s44, s6
	s_mul_i32 s6, s6, s3
	s_sub_i32 s36, 1, s6
	s_mov_b64 s[6:7], 0
	s_branch .LBB200_7
.LBB200_6:
	s_mov_b64 s[6:7], -1
                                        ; implicit-def: $sgpr36
.LBB200_7:
	s_load_dwordx2 s[28:29], s[0:1], 0x28
	s_ashr_i32 s16, s11, 31
	s_andn2_b64 vcc, exec, s[6:7]
	s_ashr_i32 s23, s23, 31
	s_cbranch_vccnz .LBB200_9
; %bb.8:
	s_mul_i32 s6, s5, s20
	s_add_i32 s2, s6, s2
	s_mul_i32 s2, s2, s3
	s_add_i32 s36, s2, 1
.LBB200_9:
	s_load_dword s2, s[0:1], 0x38
	s_load_dwordx2 s[26:27], s[0:1], 0x0
	s_load_dwordx2 s[34:35], s[0:1], 0x18
	s_load_dword s11, s[0:1], 0x88
	s_load_dwordx4 s[12:15], s[0:1], 0x58
	s_mul_i32 s3, s9, s25
	s_waitcnt lgkmcnt(0)
	s_mul_i32 s30, s2, s10
	s_sub_i32 s3, s8, s3
	s_ashr_i32 s31, s30, 31
	s_xor_b32 s2, s16, s23
	s_add_i32 s6, s9, 1
	s_sub_i32 s7, s3, s25
	s_cmp_ge_u32 s3, s25
	s_cselect_b32 s6, s6, s9
	s_cselect_b32 s3, s7, s3
	s_add_i32 s7, s6, 1
	s_cmp_ge_u32 s3, s25
	s_cselect_b32 s3, s7, s6
	s_xor_b32 s3, s3, s2
	s_sub_i32 s43, s3, s2
	s_add_i32 s2, s33, 31
	s_ashr_i32 s3, s2, 31
	s_lshr_b32 s3, s3, 27
	s_add_i32 s2, s2, s3
	s_ashr_i32 s20, s2, 5
	v_lshrrev_b32_e32 v1, 6, v0
	v_cmp_gt_i32_e64 s[6:7], s20, v1
	v_mov_b32_e32 v43, 0xff7fffff
	s_mul_i32 s44, s44, s18
	v_lshrrev_b32_e32 v39, 4, v0
	v_lshlrev_b32_e32 v60, 5, v1
	v_mbcnt_lo_u32_b32 v40, -1, 0
	s_and_saveexec_b64 s[18:19], s[6:7]
	s_cbranch_execz .LBB200_21
; %bb.10:
	s_load_dwordx2 s[0:1], s[0:1], 0x10
	s_sub_i32 s46, s43, s21
	s_ashr_i32 s2, s44, 31
	v_bfe_u32 v41, v0, 1, 5
	v_mov_b32_e32 v5, 0
	s_waitcnt lgkmcnt(0)
	s_add_u32 s0, s0, s44
	s_addc_u32 s1, s1, s2
	s_abs_i32 s47, s22
	v_cvt_f32_u32_e32 v3, s47
	v_lshlrev_b32_e32 v4, 4, v41
	v_lshl_add_u64 v[6:7], s[0:1], 0, v[4:5]
	s_sub_i32 s0, 0, s47
	v_rcp_iflag_f32_e32 v3, v3
	v_cmp_eq_u32_e32 vcc, 0, v2
	v_mul_u32_u24_e32 v42, 0xa0, v2
	v_lshlrev_b32_e32 v4, 1, v2
	v_mul_f32_e32 v3, 0x4f7ffffe, v3
	v_cvt_u32_f32_e32 v3, v3
	v_mbcnt_hi_u32_b32 v49, -1, v40
	v_lshl_add_u64 v[34:35], v[6:7], 0, v[4:5]
	v_and_b32_e32 v4, 60, v39
	v_mul_lo_u32 v2, s0, v3
	v_mul_hi_u32 v2, v3, v2
	v_add_u32_e32 v44, v3, v2
	v_subrev_u32_e32 v2, s33, v41
	s_lshl_b64 s[0:1], s[30:31], 2
	v_add_u32_e32 v46, 1, v2
	v_lshlrev_b32_e32 v2, 2, v41
	s_add_u32 s0, s28, s0
	v_lshl_or_b32 v2, v1, 7, v2
	s_addc_u32 s1, s29, s1
	v_add_u32_e32 v47, 0x150, v2
	v_and_b32_e32 v2, 64, v49
	s_mov_b32 s48, s17
	v_cmp_neq_f32_e64 s[2:3], s45, 0
	v_lshl_add_u64 v[36:37], s[0:1], 0, v[4:5]
	v_lshlrev_b32_e32 v45, 5, v1
	v_mov_b32_e32 v48, 0xff7fffff
	s_mov_b64 s[38:39], 0
	v_xor_b32_e32 v50, 1, v49
	v_add_u32_e32 v51, 64, v2
	v_mov_b32_e32 v43, 0xff7fffff
	v_mov_b32_e32 v52, v1
	s_branch .LBB200_13
.LBB200_11:                             ;   in Loop: Header=BB200_13 Depth=1
	s_or_b64 exec, exec, s[40:41]
.LBB200_12:                             ;   in Loop: Header=BB200_13 Depth=1
	s_or_b64 exec, exec, s[8:9]
	v_add_u32_e32 v52, 2, v52
	v_cmp_le_i32_e64 s[0:1], s20, v52
	v_lshl_add_u64 v[36:37], v[36:37], 0, 8
	v_add_u32_e32 v45, 64, v45
	s_or_b64 s[38:39], s[0:1], s[38:39]
	v_add_u32_e32 v47, 0x100, v47
	s_andn2_b64 exec, exec, s[38:39]
	s_cbranch_execz .LBB200_20
.LBB200_13:                             ; =>This Inner Loop Header: Depth=1
	v_mul_hi_u32 v2, v45, s42
	s_waitcnt lgkmcnt(0)
	v_mul_lo_u32 v3, v2, s25
	v_sub_u32_e32 v3, v45, v3
	v_add_u32_e32 v4, 1, v2
	v_cmp_le_u32_e64 s[0:1], s25, v3
	s_nop 1
	v_cndmask_b32_e64 v2, v2, v4, s[0:1]
	v_subrev_u32_e32 v4, s25, v3
	v_cndmask_b32_e64 v3, v3, v4, s[0:1]
	v_add_u32_e32 v4, 1, v2
	v_cmp_le_u32_e64 s[0:1], s25, v3
	s_nop 1
	v_cndmask_b32_e64 v2, v2, v4, s[0:1]
	v_xor_b32_e32 v2, s23, v2
	v_subrev_u32_e32 v2, s23, v2
	v_add_u32_e32 v3, s36, v2
	v_sub_u32_e32 v5, 0, v3
	v_ashrrev_i32_e32 v4, 31, v3
	v_max_i32_e32 v3, v3, v5
	v_mul_hi_u32 v5, v3, v44
	v_mul_lo_u32 v5, v5, s47
	v_sub_u32_e32 v3, v3, v5
	v_subrev_u32_e32 v5, s47, v3
	v_cmp_le_u32_e64 s[0:1], s47, v3
	v_cmp_ge_i32_e64 s[8:9], s46, v2
	s_nop 0
	v_cndmask_b32_e64 v3, v3, v5, s[0:1]
	v_subrev_u32_e32 v5, s47, v3
	v_cmp_le_u32_e64 s[0:1], s47, v3
	s_nop 1
	v_cndmask_b32_e64 v3, v3, v5, s[0:1]
	v_xor_b32_e32 v3, v3, v4
	v_sub_u32_e32 v3, v3, v4
	v_cmp_ne_u32_e64 s[0:1], 0, v3
	s_and_b64 s[0:1], s[0:1], s[8:9]
	s_and_saveexec_b64 s[8:9], s[0:1]
	s_xor_b64 s[0:1], exec, s[8:9]
	s_cbranch_execz .LBB200_17
; %bb.14:                               ;   in Loop: Header=BB200_13 Depth=1
	s_and_saveexec_b64 s[8:9], vcc
; %bb.15:                               ;   in Loop: Header=BB200_13 Depth=1
	ds_write_b32 v47, v48
; %bb.16:                               ;   in Loop: Header=BB200_13 Depth=1
	s_or_b64 exec, exec, s[8:9]
.LBB200_17:                             ;   in Loop: Header=BB200_13 Depth=1
	s_andn2_saveexec_b64 s[8:9], s[0:1]
	s_cbranch_execz .LBB200_12
; %bb.18:                               ;   in Loop: Header=BB200_13 Depth=1
	global_load_dword v2, v[36:37], off
	s_waitcnt vmcnt(0)
	v_mad_i64_i32 v[2:3], s[0:1], v2, s48, v[34:35]
	global_load_ushort v53, v[2:3], off
	global_load_ushort v61, v[2:3], off offset:4
	global_load_ushort v68, v[2:3], off offset:8
	;; [unrolled: 1-line block ×19, first 2 shown]
	ds_read_b128 v[54:57], v42
	ds_read_b128 v[62:65], v42 offset:16
	ds_read_b128 v[30:33], v42 offset:32
	;; [unrolled: 1-line block ×5, first 2 shown]
	s_load_dword s16, s[12:13], 0x0
	v_cmp_lt_i32_e64 s[0:1], v50, v51
	ds_read_b128 v[10:13], v42 offset:96
	ds_read_b128 v[14:17], v42 offset:112
	;; [unrolled: 1-line block ×4, first 2 shown]
	v_cndmask_b32_e64 v58, v49, v50, s[0:1]
	v_lshlrev_b32_e32 v90, 2, v58
	s_waitcnt vmcnt(19)
	v_cvt_pk_f32_fp8_e32 v[58:59], v53
	s_waitcnt vmcnt(18)
	v_cvt_pk_f32_fp8_e32 v[66:67], v61
	;; [unrolled: 2-line block ×5, first 2 shown]
	s_waitcnt lgkmcnt(0)
	v_pk_mul_f32 v[66:67], s[16:17], v[66:67] op_sel_hi:[0,1]
	s_waitcnt vmcnt(14)
	v_cvt_pk_f32_fp8_e32 v[74:75], v74
	v_mul_f32_e32 v53, v56, v66
	v_mul_f32_e32 v61, v57, v67
	v_pk_mul_f32 v[58:59], v[58:59], s[16:17] op_sel_hi:[1,0]
	s_waitcnt vmcnt(13)
	v_cvt_pk_f32_fp8_e32 v[56:57], v76
	v_fmac_f32_e32 v53, v54, v58
	v_fmac_f32_e32 v61, v55, v59
	v_pk_mul_f32 v[68:69], s[16:17], v[68:69] op_sel_hi:[0,1]
	s_waitcnt vmcnt(12)
	v_cvt_pk_f32_fp8_e32 v[54:55], v77
	v_fmac_f32_e32 v53, v62, v68
	v_fmac_f32_e32 v61, v63, v69
	;; [unrolled: 5-line block ×3, first 2 shown]
	v_pk_mul_f32 v[72:73], s[16:17], v[72:73] op_sel_hi:[0,1]
	s_waitcnt vmcnt(10)
	v_cvt_pk_f32_fp8_e32 v[66:67], v79
	v_pk_mul_f32 v[74:75], s[16:17], v[74:75] op_sel_hi:[0,1]
	v_fmac_f32_e32 v53, v30, v72
	v_fmac_f32_e32 v61, v31, v73
	s_waitcnt vmcnt(9)
	v_cvt_pk_f32_fp8_e32 v[76:77], v80
	v_pk_mul_f32 v[56:57], s[16:17], v[56:57] op_sel_hi:[0,1]
	v_fmac_f32_e32 v53, v32, v74
	v_fmac_f32_e32 v61, v33, v75
	;; [unrolled: 5-line block ×11, first 2 shown]
	v_pk_mul_f32 v[70:71], s[16:17], v[70:71] op_sel_hi:[0,1]
	v_fmac_f32_e32 v53, v16, v64
	v_fmac_f32_e32 v61, v17, v65
	v_pk_mul_f32 v[82:83], s[16:17], v[82:83] op_sel_hi:[0,1]
	v_fmac_f32_e32 v53, v26, v70
	v_fmac_f32_e32 v61, v27, v71
	;; [unrolled: 3-line block ×4, first 2 shown]
	v_fmac_f32_e32 v53, v20, v86
	v_fmac_f32_e32 v61, v21, v87
	v_add_f32_e32 v2, v53, v61
	ds_bpermute_b32 v3, v90, v2
	s_and_saveexec_b64 s[40:41], vcc
	s_cbranch_execz .LBB200_11
; %bb.19:                               ;   in Loop: Header=BB200_13 Depth=1
	v_add_u32_e32 v4, v46, v45
	v_cvt_f32_i32_e32 v4, v4
	s_waitcnt lgkmcnt(0)
	v_add_f32_e32 v2, v2, v3
	v_add_u32_e32 v5, v41, v45
	v_cmp_gt_i32_e64 s[0:1], s33, v5
	v_mul_f32_e32 v3, s45, v4
	v_cndmask_b32_e64 v3, 0, v3, s[2:3]
	v_fmac_f32_e32 v3, s37, v2
	v_cndmask_b32_e64 v2, 0, v3, s[0:1]
	ds_write_b32 v47, v2
	v_max_f32_e32 v2, v43, v43
	v_max_f32_e32 v2, v2, v3
	v_cndmask_b32_e64 v43, v43, v2, s[0:1]
	s_branch .LBB200_11
.LBB200_20:
	s_or_b64 exec, exec, s[38:39]
.LBB200_21:
	s_or_b64 exec, exec, s[18:19]
	v_mbcnt_hi_u32_b32 v2, -1, v40
	v_and_b32_e32 v8, 64, v2
	v_add_u32_e32 v9, 64, v8
	s_waitcnt lgkmcnt(0)
	v_xor_b32_e32 v3, 32, v2
	v_cmp_lt_i32_e32 vcc, v3, v9
	v_xor_b32_e32 v6, 16, v2
	v_max_f32_e32 v5, v43, v43
	v_cndmask_b32_e32 v3, v2, v3, vcc
	v_lshlrev_b32_e32 v3, 2, v3
	ds_bpermute_b32 v4, v3, v43
	v_cmp_lt_i32_e32 vcc, v6, v9
	v_xor_b32_e32 v7, 8, v2
	v_xor_b32_e32 v10, 4, v2
	v_and_b32_e32 v61, 63, v0
	s_waitcnt lgkmcnt(0)
	v_max_f32_e32 v4, v4, v4
	v_max_f32_e32 v5, v5, v4
	v_cndmask_b32_e32 v4, v2, v6, vcc
	v_lshlrev_b32_e32 v4, 2, v4
	ds_bpermute_b32 v6, v4, v5
	v_cmp_lt_i32_e32 vcc, v7, v9
	s_waitcnt lgkmcnt(0)
	v_max_f32_e32 v6, v6, v6
	v_max_f32_e32 v6, v5, v6
	v_cndmask_b32_e32 v5, v2, v7, vcc
	v_lshlrev_b32_e32 v5, 2, v5
	ds_bpermute_b32 v7, v5, v6
	v_cmp_lt_i32_e32 vcc, v10, v9
	s_waitcnt lgkmcnt(0)
	v_max_f32_e32 v7, v7, v7
	v_max_f32_e32 v6, v6, v7
	v_cndmask_b32_e32 v7, v2, v10, vcc
	v_lshlrev_b32_e32 v62, 2, v7
	ds_bpermute_b32 v7, v62, v6
	v_xor_b32_e32 v10, 2, v2
	v_cmp_lt_i32_e32 vcc, v10, v9
	s_waitcnt lgkmcnt(0)
	v_max_f32_e32 v7, v7, v7
	v_max_f32_e32 v7, v6, v7
	v_cndmask_b32_e32 v6, v2, v10, vcc
	v_lshlrev_b32_e32 v63, 2, v6
	ds_bpermute_b32 v10, v63, v7
	v_cmp_eq_u32_e32 vcc, 0, v61
	v_lshlrev_b32_e32 v6, 2, v1
	s_and_saveexec_b64 s[0:1], vcc
	s_cbranch_execz .LBB200_23
; %bb.22:
	s_waitcnt lgkmcnt(0)
	v_max_f32_e32 v10, v10, v10
	v_max_f32_e32 v7, v7, v7
	;; [unrolled: 1-line block ×3, first 2 shown]
	ds_write_b32 v6, v7 offset:320
.LBB200_23:
	s_or_b64 exec, exec, s[0:1]
	v_cmp_gt_u32_e64 s[0:1], 2, v61
	s_waitcnt lgkmcnt(0)
	v_mov_b32_e32 v10, 0xff7fffff
	v_lshlrev_b32_e32 v7, 2, v61
	s_barrier
	s_and_saveexec_b64 s[2:3], s[0:1]
; %bb.24:
	ds_read_b32 v10, v7 offset:320
; %bb.25:
	s_or_b64 exec, exec, s[2:3]
	v_xor_b32_e32 v11, 1, v2
	v_cmp_lt_i32_e64 s[2:3], v11, v9
	v_lshlrev_b32_e32 v8, 2, v8
	s_nop 0
	v_cndmask_b32_e64 v9, v2, v11, s[2:3]
	v_lshlrev_b32_e32 v64, 2, v9
	s_waitcnt lgkmcnt(0)
	ds_bpermute_b32 v9, v64, v10
	v_max_f32_e32 v10, v10, v10
	s_lshl_b32 s2, s20, 5
	s_min_i32 s16, s2, s33
	v_cmp_gt_i32_e64 s[2:3], s16, v0
	s_waitcnt lgkmcnt(0)
	v_max_f32_e32 v9, v9, v9
	v_max_f32_e32 v9, v10, v9
	ds_bpermute_b32 v9, v8, v9
	v_mov_b32_e32 v8, 0
	s_and_saveexec_b64 s[12:13], s[2:3]
	s_cbranch_execz .LBB200_29
; %bb.26:
	v_mov_b32_e32 v8, 0x150
	v_lshl_add_u32 v10, v0, 2, v8
	v_mov_b32_e32 v8, 0
	s_mov_b64 s[18:19], 0
	v_mov_b32_e32 v11, v0
.LBB200_27:                             ; =>This Inner Loop Header: Depth=1
	ds_read_b32 v12, v10
	v_add_u32_e32 v11, 0x80, v11
	v_cmp_le_i32_e64 s[8:9], s16, v11
	s_or_b64 s[18:19], s[8:9], s[18:19]
	s_waitcnt lgkmcnt(0)
	v_sub_f32_e32 v12, v12, v9
	v_mul_f32_e32 v12, 0x3fb8aa3b, v12
	v_exp_f32_e32 v12, v12
	ds_write_b32 v10, v12
	v_add_f32_e32 v8, v8, v12
	v_add_u32_e32 v10, 0x200, v10
	s_andn2_b64 exec, exec, s[18:19]
	s_cbranch_execnz .LBB200_27
; %bb.28:
	s_or_b64 exec, exec, s[18:19]
.LBB200_29:
	s_or_b64 exec, exec, s[12:13]
	ds_bpermute_b32 v3, v3, v8
	s_waitcnt lgkmcnt(0)
	v_add_f32_e32 v3, v8, v3
	ds_bpermute_b32 v4, v4, v3
	s_waitcnt lgkmcnt(0)
	v_add_f32_e32 v3, v3, v4
	;; [unrolled: 3-line block ×6, first 2 shown]
	s_and_saveexec_b64 s[8:9], vcc
; %bb.30:
	ds_write_b32 v6, v3 offset:328
; %bb.31:
	s_or_b64 exec, exec, s[8:9]
	s_waitcnt lgkmcnt(0)
	s_barrier
	s_and_saveexec_b64 s[8:9], s[0:1]
; %bb.32:
	ds_read_b32 v3, v7 offset:328
; %bb.33:
	s_or_b64 exec, exec, s[8:9]
	s_waitcnt lgkmcnt(0)
	ds_bpermute_b32 v4, v64, v3
	v_lshlrev_b32_e32 v2, 2, v2
	v_and_b32_e32 v2, 0x100, v2
	s_waitcnt lgkmcnt(0)
	v_add_f32_e32 v3, v3, v4
	ds_bpermute_b32 v2, v2, v3
	s_and_saveexec_b64 s[0:1], s[2:3]
	s_cbranch_execz .LBB200_46
; %bb.34:
	s_waitcnt lgkmcnt(0)
	v_add_f32_e32 v2, 0x358637bd, v2
	v_div_scale_f32 v3, s[2:3], v2, v2, 1.0
	v_rcp_f32_e32 v4, v3
	v_div_scale_f32 v5, vcc, 1.0, v2, 1.0
	s_movk_i32 s2, 0x7f
	v_fma_f32 v6, -v3, v4, 1.0
	v_fmac_f32_e32 v4, v6, v4
	v_mul_f32_e32 v6, v5, v4
	v_fma_f32 v7, -v3, v6, v5
	v_fmac_f32_e32 v6, v7, v4
	v_fma_f32 v3, -v3, v6, v5
	v_div_fmas_f32 v3, v3, v4, v6
	v_xad_u32 v4, v0, -1, s16
	v_div_fixup_f32 v2, v3, v2, 1.0
	v_cmp_lt_u32_e32 vcc, s2, v4
	s_mov_b64 s[8:9], -1
	v_mov_b32_e32 v3, v0
	s_and_saveexec_b64 s[2:3], vcc
	s_cbranch_execz .LBB200_43
; %bb.35:
	v_lshrrev_b32_e32 v4, 7, v4
	v_add_u32_e32 v6, -1, v4
	v_lshrrev_b32_e32 v5, 1, v6
	v_mov_b32_e32 v3, v2
	v_add_u32_e32 v5, 1, v5
	v_cmp_lt_u32_e32 vcc, 13, v6
	v_mov_b32_e32 v8, 0
	s_and_saveexec_b64 s[8:9], vcc
	s_cbranch_execz .LBB200_39
; %bb.36:
	v_mov_b32_e32 v7, 0x150
	v_and_b32_e32 v6, -8, v5
	v_lshl_add_u32 v7, v0, 2, v7
	s_mov_b32 s18, 0
	s_mov_b64 s[12:13], 0
.LBB200_37:                             ; =>This Inner Loop Header: Depth=1
	ds_read2st64_b32 v[8:9], v7 offset1:2
	ds_read2st64_b32 v[10:11], v7 offset0:4 offset1:6
	ds_read2st64_b32 v[12:13], v7 offset0:8 offset1:10
	;; [unrolled: 1-line block ×3, first 2 shown]
	v_add_u32_e32 v6, -8, v6
	s_waitcnt lgkmcnt(3)
	v_pk_mul_f32 v[8:9], v[2:3], v[8:9]
	s_waitcnt lgkmcnt(2)
	v_pk_mul_f32 v[10:11], v[2:3], v[10:11]
	ds_write2st64_b32 v7, v8, v9 offset1:2
	ds_write2st64_b32 v7, v10, v11 offset0:4 offset1:6
	ds_read2st64_b32 v[10:11], v7 offset0:16 offset1:18
	s_waitcnt lgkmcnt(4)
	v_pk_mul_f32 v[8:9], v[2:3], v[12:13]
	ds_write2st64_b32 v7, v8, v9 offset0:8 offset1:10
	s_waitcnt lgkmcnt(4)
	v_pk_mul_f32 v[8:9], v[2:3], v[14:15]
	ds_write2st64_b32 v7, v8, v9 offset0:12 offset1:14
	ds_read2st64_b32 v[8:9], v7 offset0:20 offset1:22
	s_waitcnt lgkmcnt(3)
	v_pk_mul_f32 v[10:11], v[2:3], v[10:11]
	ds_read2st64_b32 v[12:13], v7 offset0:24 offset1:26
	ds_write2st64_b32 v7, v10, v11 offset0:16 offset1:18
	ds_read2st64_b32 v[10:11], v7 offset0:28 offset1:30
	s_waitcnt lgkmcnt(3)
	v_pk_mul_f32 v[8:9], v[2:3], v[8:9]
	ds_write2st64_b32 v7, v8, v9 offset0:20 offset1:22
	s_waitcnt lgkmcnt(3)
	v_pk_mul_f32 v[8:9], v[2:3], v[12:13]
	ds_write2st64_b32 v7, v8, v9 offset0:24 offset1:26
	s_waitcnt lgkmcnt(2)
	v_pk_mul_f32 v[8:9], v[2:3], v[10:11]
	s_add_i32 s18, s18, 16
	v_cmp_eq_u32_e32 vcc, 0, v6
	ds_write2st64_b32 v7, v8, v9 offset0:28 offset1:30
	v_add_u32_e32 v7, 0x2000, v7
	s_or_b64 s[12:13], vcc, s[12:13]
	v_mov_b32_e32 v8, s18
	s_andn2_b64 exec, exec, s[12:13]
	s_cbranch_execnz .LBB200_37
; %bb.38:
	s_or_b64 exec, exec, s[12:13]
.LBB200_39:
	s_or_b64 exec, exec, s[8:9]
	v_and_b32_e32 v5, 7, v5
	v_cmp_ne_u32_e32 vcc, 0, v5
	s_and_saveexec_b64 s[8:9], vcc
	s_cbranch_execz .LBB200_42
; %bb.40:
	v_lshlrev_b32_e32 v6, 9, v8
	s_movk_i32 s12, 0x150
	v_add3_u32 v6, v6, v38, s12
	s_mov_b64 s[12:13], 0
.LBB200_41:                             ; =>This Inner Loop Header: Depth=1
	ds_read2st64_b32 v[8:9], v6 offset1:2
	v_add_u32_e32 v5, -1, v5
	v_cmp_eq_u32_e32 vcc, 0, v5
	s_or_b64 s[12:13], vcc, s[12:13]
	s_waitcnt lgkmcnt(0)
	v_pk_mul_f32 v[8:9], v[2:3], v[8:9]
	ds_write2st64_b32 v6, v8, v9 offset1:2
	v_add_u32_e32 v6, 0x400, v6
	s_andn2_b64 exec, exec, s[12:13]
	s_cbranch_execnz .LBB200_41
.LBB200_42:
	s_or_b64 exec, exec, s[8:9]
	v_add_u32_e32 v4, 1, v4
	v_and_b32_e32 v5, 0x3fffffe, v4
	v_cmp_ne_u32_e32 vcc, v4, v5
	v_lshl_add_u32 v3, v5, 7, v0
	s_orn2_b64 s[8:9], vcc, exec
.LBB200_43:
	s_or_b64 exec, exec, s[2:3]
	s_and_b64 exec, exec, s[8:9]
	s_cbranch_execz .LBB200_46
; %bb.44:
	v_mov_b32_e32 v4, 0x150
	v_lshl_add_u32 v4, v3, 2, v4
	s_mov_b64 s[2:3], 0
.LBB200_45:                             ; =>This Inner Loop Header: Depth=1
	ds_read_b32 v5, v4
	v_add_u32_e32 v3, 0x80, v3
	v_cmp_le_i32_e32 vcc, s16, v3
	s_or_b64 s[2:3], vcc, s[2:3]
	s_waitcnt lgkmcnt(0)
	v_mul_f32_e32 v5, v2, v5
	ds_write_b32 v4, v5
	v_add_u32_e32 v4, 0x200, v4
	s_andn2_b64 exec, exec, s[2:3]
	s_cbranch_execnz .LBB200_45
.LBB200_46:
	s_or_b64 exec, exec, s[0:1]
	v_mov_b32_e32 v7, 0
	v_and_b32_e32 v65, 7, v0
	v_mov_b32_e32 v6, 0
	v_mov_b32_e32 v9, 0
	;; [unrolled: 1-line block ×9, first 2 shown]
	s_waitcnt lgkmcnt(0)
	s_barrier
	s_and_saveexec_b64 s[2:3], s[6:7]
	s_cbranch_execz .LBB200_72
; %bb.47:
	s_sub_i32 s18, s43, s21
	s_ashr_i32 s1, s44, 31
	s_add_u32 s0, s34, s44
	s_addc_u32 s1, s35, s1
	s_abs_i32 s19, s22
	v_cvt_f32_u32_e32 v2, s19
	v_and_b32_e32 v10, 0xfc, v38
	v_mov_b32_e32 v11, 0
	v_lshl_add_u64 v[16:17], s[0:1], 0, v[10:11]
	v_rcp_iflag_f32_e32 v2, v2
	s_sub_i32 s0, 0, s19
	s_add_i32 s22, s20, -1
	v_and_b32_e32 v10, 60, v39
	v_mul_f32_e32 v2, 0x4f7ffffe, v2
	v_cvt_u32_f32_e32 v2, v2
	v_and_b32_e32 v66, 28, v38
	s_mov_b32 s21, s17
	s_mov_b32 s34, s33
	v_mul_lo_u32 v3, s0, v2
	v_mul_hi_u32 v3, v2, v3
	s_lshl_b64 s[0:1], s[30:31], 2
	v_add_u32_e32 v67, v2, v3
	s_add_u32 s0, s28, s0
	v_lshlrev_b32_e32 v2, 4, v65
	s_addc_u32 s1, s29, s1
	v_lshl_or_b32 v2, v1, 7, v2
	v_lshl_add_u64 v[18:19], s[0:1], 0, v[10:11]
	v_add_u32_e32 v68, 0x150, v2
	s_mov_b64 s[6:7], 0
	v_mov_b32_e32 v10, v11
	v_mov_b32_e32 v14, v11
	;; [unrolled: 1-line block ×9, first 2 shown]
	s_branch .LBB200_50
.LBB200_48:                             ;   in Loop: Header=BB200_50 Depth=1
	s_or_b64 exec, exec, s[0:1]
	v_mul_f32_e32 v58, v2, v58
	v_mul_f32_e32 v52, v2, v52
	;; [unrolled: 1-line block ×9, first 2 shown]
	v_fmac_f32_e32 v58, v3, v59
	v_fmac_f32_e32 v52, v3, v53
	;; [unrolled: 1-line block ×18, first 2 shown]
	v_pk_mul_f32 v[2:3], v[2:3], v[54:55]
	v_fmac_f32_e32 v58, v5, v57
	v_fmac_f32_e32 v52, v5, v51
	;; [unrolled: 1-line block ×9, first 2 shown]
	v_pk_mul_f32 v[4:5], v[4:5], v[28:29]
	v_add_f32_e32 v2, v3, v2
	v_add_f32_e32 v2, v4, v2
	;; [unrolled: 1-line block ×13, first 2 shown]
.LBB200_49:                             ;   in Loop: Header=BB200_50 Depth=1
	s_or_b64 exec, exec, s[8:9]
	v_add_u32_e32 v1, 2, v1
	v_cmp_le_i32_e32 vcc, s20, v1
	v_lshl_add_u64 v[18:19], v[18:19], 0, 8
	v_add_u32_e32 v60, 64, v60
	s_or_b64 s[6:7], vcc, s[6:7]
	v_add_u32_e32 v68, 0x100, v68
	s_andn2_b64 exec, exec, s[6:7]
	s_cbranch_execz .LBB200_71
.LBB200_50:                             ; =>This Inner Loop Header: Depth=1
	v_mul_hi_u32 v2, v60, s42
	v_mul_lo_u32 v3, v2, s25
	v_sub_u32_e32 v3, v60, v3
	v_add_u32_e32 v4, 1, v2
	v_cmp_le_u32_e32 vcc, s25, v3
	s_nop 1
	v_cndmask_b32_e32 v2, v2, v4, vcc
	v_subrev_u32_e32 v4, s25, v3
	v_cndmask_b32_e32 v3, v3, v4, vcc
	v_add_u32_e32 v4, 1, v2
	v_cmp_le_u32_e32 vcc, s25, v3
	s_nop 1
	v_cndmask_b32_e32 v2, v2, v4, vcc
	v_xor_b32_e32 v2, s23, v2
	v_subrev_u32_e32 v2, s23, v2
	v_add_u32_e32 v3, s36, v2
	v_sub_u32_e32 v5, 0, v3
	v_ashrrev_i32_e32 v4, 31, v3
	v_max_i32_e32 v3, v3, v5
	v_mul_hi_u32 v5, v3, v67
	v_mul_lo_u32 v5, v5, s19
	v_sub_u32_e32 v3, v3, v5
	v_subrev_u32_e32 v5, s19, v3
	v_cmp_le_u32_e32 vcc, s19, v3
	v_cmp_lt_i32_e64 s[0:1], s18, v2
	s_nop 0
	v_cndmask_b32_e32 v3, v3, v5, vcc
	v_subrev_u32_e32 v5, s19, v3
	v_cmp_le_u32_e32 vcc, s19, v3
	s_nop 1
	v_cndmask_b32_e32 v3, v3, v5, vcc
	v_xor_b32_e32 v3, v3, v4
	v_sub_u32_e32 v3, v3, v4
	v_cmp_eq_u32_e32 vcc, 0, v3
	s_or_b64 s[0:1], vcc, s[0:1]
	s_and_saveexec_b64 s[8:9], s[0:1]
	s_cbranch_execz .LBB200_49
; %bb.51:                               ;   in Loop: Header=BB200_50 Depth=1
	global_load_dword v2, v[18:19], off
	s_load_dword s12, s[14:15], 0x0
	v_add_u32_e32 v69, v66, v60
	v_cmp_eq_u32_e32 vcc, s22, v1
	v_add_u32_e32 v70, 1, v69
	v_add_u32_e32 v54, 2, v69
	;; [unrolled: 1-line block ×3, first 2 shown]
	s_waitcnt vmcnt(0)
	v_mad_i64_i32 v[28:29], s[0:1], v2, s21, v[16:17]
	global_load_dword v20, v[28:29], off
	ds_read_b128 v[2:5], v68
	s_waitcnt vmcnt(0)
	v_and_b32_e32 v21, 0xffff, v20
	v_lshrrev_b32_e32 v22, 16, v20
	v_cvt_pk_f32_fp8_e32 v[20:21], v21
	v_cvt_pk_f32_fp8_e32 v[24:25], v22
	s_waitcnt lgkmcnt(0)
	v_pk_mul_f32 v[22:23], v[20:21], s[12:13] op_sel_hi:[1,0]
	v_pk_mul_f32 v[20:21], s[12:13], v[24:25] op_sel_hi:[0,1]
	s_and_saveexec_b64 s[16:17], vcc
; %bb.52:                               ;   in Loop: Header=BB200_50 Depth=1
	v_cmp_gt_i32_e64 s[0:1], s33, v69
	s_nop 1
	v_cndmask_b32_e64 v22, 0, v22, s[0:1]
	v_cmp_gt_i32_e64 s[0:1], s33, v70
	s_nop 1
	v_cndmask_b32_e64 v23, 0, v23, s[0:1]
	;; [unrolled: 3-line block ×4, first 2 shown]
; %bb.53:                               ;   in Loop: Header=BB200_50 Depth=1
	s_or_b64 exec, exec, s[16:17]
	global_load_dword v24, v[28:29], off offset:256
	s_mov_b32 s13, s12
	s_waitcnt vmcnt(0)
	v_and_b32_e32 v25, 0xffff, v24
	v_lshrrev_b32_e32 v26, 16, v24
	v_cvt_pk_f32_fp8_e32 v[24:25], v25
	v_cvt_pk_f32_fp8_e32 v[30:31], v26
	v_pk_mul_f32 v[26:27], s[12:13], v[24:25]
	v_pk_mul_f32 v[24:25], s[12:13], v[30:31]
	s_and_saveexec_b64 s[16:17], vcc
; %bb.54:                               ;   in Loop: Header=BB200_50 Depth=1
	v_cmp_gt_i32_e64 s[0:1], s33, v69
	s_nop 1
	v_cndmask_b32_e64 v26, 0, v26, s[0:1]
	v_cmp_gt_i32_e64 s[0:1], s33, v70
	s_nop 1
	v_cndmask_b32_e64 v27, 0, v27, s[0:1]
	v_cmp_gt_i32_e64 s[0:1], s33, v54
	s_nop 1
	v_cndmask_b32_e64 v24, 0, v24, s[0:1]
	v_cmp_gt_i32_e64 s[0:1], s33, v55
	s_nop 1
	v_cndmask_b32_e64 v25, 0, v25, s[0:1]
; %bb.55:                               ;   in Loop: Header=BB200_50 Depth=1
	s_or_b64 exec, exec, s[16:17]
	global_load_dword v30, v[28:29], off offset:512
	s_waitcnt vmcnt(0)
	v_and_b32_e32 v31, 0xffff, v30
	v_lshrrev_b32_e32 v32, 16, v30
	v_cvt_pk_f32_fp8_e32 v[30:31], v31
	v_cvt_pk_f32_fp8_e32 v[34:35], v32
	v_pk_mul_f32 v[32:33], s[12:13], v[30:31]
	v_pk_mul_f32 v[30:31], s[12:13], v[34:35]
	s_and_saveexec_b64 s[16:17], vcc
; %bb.56:                               ;   in Loop: Header=BB200_50 Depth=1
	v_cmp_gt_i32_e64 s[0:1], s33, v69
	s_nop 1
	v_cndmask_b32_e64 v32, 0, v32, s[0:1]
	v_cmp_gt_i32_e64 s[0:1], s33, v70
	s_nop 1
	v_cndmask_b32_e64 v33, 0, v33, s[0:1]
	v_cmp_gt_i32_e64 s[0:1], s33, v54
	s_nop 1
	v_cndmask_b32_e64 v30, 0, v30, s[0:1]
	v_cmp_gt_i32_e64 s[0:1], s33, v55
	s_nop 1
	v_cndmask_b32_e64 v31, 0, v31, s[0:1]
; %bb.57:                               ;   in Loop: Header=BB200_50 Depth=1
	s_or_b64 exec, exec, s[16:17]
	global_load_dword v34, v[28:29], off offset:768
	;; [unrolled: 24-line block ×8, first 2 shown]
	s_waitcnt vmcnt(0)
	v_and_b32_e32 v29, 0xffff, v28
	v_lshrrev_b32_e32 v54, 16, v28
	v_cvt_pk_f32_fp8_e32 v[28:29], v29
	v_cvt_pk_f32_fp8_e32 v[72:73], v54
	v_pk_mul_f32 v[54:55], s[12:13], v[28:29]
	v_pk_mul_f32 v[28:29], s[12:13], v[72:73]
	s_and_saveexec_b64 s[0:1], vcc
	s_cbranch_execz .LBB200_48
; %bb.70:                               ;   in Loop: Header=BB200_50 Depth=1
	v_cmp_gt_i32_e32 vcc, s34, v70
	v_or_b32_e32 v70, 3, v69
	s_nop 0
	v_cndmask_b32_e32 v55, 0, v55, vcc
	v_cmp_gt_i32_e32 vcc, s33, v69
	v_or_b32_e32 v69, 2, v69
	s_nop 0
	v_cndmask_b32_e32 v54, 0, v54, vcc
	v_cmp_gt_i32_e32 vcc, s34, v70
	s_nop 1
	v_cndmask_b32_e32 v29, 0, v29, vcc
	v_cmp_gt_i32_e32 vcc, s33, v69
	s_nop 1
	v_cndmask_b32_e32 v28, 0, v28, vcc
	s_branch .LBB200_48
.LBB200_71:
	s_or_b64 exec, exec, s[6:7]
.LBB200_72:
	s_or_b64 exec, exec, s[2:3]
	ds_bpermute_b32 v2, v62, v10
	ds_bpermute_b32 v3, v62, v11
	;; [unrolled: 1-line block ×6, first 2 shown]
	s_waitcnt lgkmcnt(4)
	v_pk_add_f32 v[2:3], v[10:11], v[2:3]
	ds_bpermute_b32 v18, v62, v8
	s_waitcnt lgkmcnt(3)
	v_pk_add_f32 v[12:13], v[12:13], v[16:17]
	ds_bpermute_b32 v19, v62, v9
	ds_bpermute_b32 v10, v63, v2
	;; [unrolled: 1-line block ×3, first 2 shown]
	s_waitcnt lgkmcnt(4)
	v_pk_add_f32 v[4:5], v[14:15], v[4:5]
	ds_bpermute_b32 v16, v63, v12
	ds_bpermute_b32 v17, v63, v13
	ds_bpermute_b32 v20, v62, v6
	ds_bpermute_b32 v21, v62, v7
	ds_bpermute_b32 v14, v63, v4
	ds_bpermute_b32 v15, v63, v5
	s_waitcnt lgkmcnt(8)
	v_pk_add_f32 v[8:9], v[8:9], v[18:19]
	s_waitcnt lgkmcnt(6)
	v_pk_add_f32 v[2:3], v[2:3], v[10:11]
	;; [unrolled: 2-line block ×3, first 2 shown]
	ds_bpermute_b32 v16, v63, v8
	ds_bpermute_b32 v17, v63, v9
	s_waitcnt lgkmcnt(4)
	v_pk_add_f32 v[20:21], v[6:7], v[20:21]
	ds_bpermute_b32 v10, v64, v2
	ds_bpermute_b32 v11, v64, v3
	s_waitcnt lgkmcnt(4)
	v_pk_add_f32 v[4:5], v[4:5], v[14:15]
	ds_bpermute_b32 v24, v63, v20
	ds_bpermute_b32 v25, v63, v21
	;; [unrolled: 1-line block ×6, first 2 shown]
	s_waitcnt lgkmcnt(8)
	v_pk_add_f32 v[16:17], v[8:9], v[16:17]
	ds_bpermute_b32 v22, v64, v16
	ds_bpermute_b32 v23, v64, v17
	s_waitcnt lgkmcnt(8)
	v_pk_add_f32 v[8:9], v[2:3], v[10:11]
	s_waitcnt lgkmcnt(6)
	v_pk_add_f32 v[10:11], v[20:21], v[24:25]
	;; [unrolled: 2-line block ×4, first 2 shown]
	ds_bpermute_b32 v12, v64, v10
	ds_bpermute_b32 v13, v64, v11
	v_and_b32_e32 v1, 0x3c7, v0
	s_waitcnt lgkmcnt(2)
	v_pk_add_f32 v[2:3], v[16:17], v[22:23]
	v_cmp_ne_u32_e32 vcc, 64, v1
	s_waitcnt lgkmcnt(0)
	s_barrier
	s_and_saveexec_b64 s[0:1], vcc
	s_xor_b64 s[0:1], exec, s[0:1]
; %bb.73:
                                        ; implicit-def: $vgpr61
; %bb.74:
	s_or_saveexec_b64 s[0:1], s[0:1]
	v_pk_add_f32 v[10:11], v[10:11], v[12:13]
	s_xor_b64 exec, exec, s[0:1]
	s_cbranch_execz .LBB200_76
; %bb.75:
	v_lshrrev_b32_e32 v12, 1, v61
	v_add_u32_e32 v12, 0x150, v12
	ds_write2_b32 v12, v8, v9 offset1:8
	ds_write2_b32 v12, v6, v7 offset0:16 offset1:24
	ds_write2_b32 v12, v4, v5 offset0:32 offset1:40
	;; [unrolled: 1-line block ×4, first 2 shown]
.LBB200_76:
	s_or_b64 exec, exec, s[0:1]
	v_cmp_gt_u32_e32 vcc, 64, v0
	v_lshrrev_b32_e32 v0, 3, v0
	s_waitcnt lgkmcnt(0)
	s_barrier
	s_and_saveexec_b64 s[0:1], vcc
	s_cbranch_execz .LBB200_89
; %bb.77:
	v_mov_b32_e32 v12, 0x150
	v_cmp_eq_u32_e32 vcc, 0, v65
	v_lshl_add_u32 v12, v0, 2, v12
	s_and_saveexec_b64 s[2:3], vcc
	s_cbranch_execnz .LBB200_92
; %bb.78:
	s_or_b64 exec, exec, s[2:3]
	s_and_saveexec_b64 s[2:3], vcc
	s_cbranch_execnz .LBB200_93
.LBB200_79:
	s_or_b64 exec, exec, s[2:3]
	s_and_saveexec_b64 s[2:3], vcc
	s_cbranch_execnz .LBB200_94
.LBB200_80:
	s_or_b64 exec, exec, s[2:3]
	s_and_saveexec_b64 s[2:3], vcc
	s_cbranch_execnz .LBB200_95
.LBB200_81:
	s_or_b64 exec, exec, s[2:3]
	s_and_saveexec_b64 s[2:3], vcc
	s_cbranch_execnz .LBB200_96
.LBB200_82:
	s_or_b64 exec, exec, s[2:3]
	s_and_saveexec_b64 s[2:3], vcc
	s_cbranch_execnz .LBB200_97
.LBB200_83:
	s_or_b64 exec, exec, s[2:3]
	s_and_saveexec_b64 s[2:3], vcc
	s_cbranch_execnz .LBB200_98
.LBB200_84:
	s_or_b64 exec, exec, s[2:3]
	s_and_saveexec_b64 s[2:3], vcc
	s_cbranch_execnz .LBB200_99
.LBB200_85:
	s_or_b64 exec, exec, s[2:3]
	s_and_saveexec_b64 s[2:3], vcc
	s_cbranch_execnz .LBB200_100
.LBB200_86:
	s_or_b64 exec, exec, s[2:3]
	s_and_saveexec_b64 s[2:3], vcc
	s_cbranch_execz .LBB200_88
.LBB200_87:
	ds_read_b32 v12, v12 offset:288
	s_waitcnt lgkmcnt(0)
	v_add_f32_e32 v11, v11, v12
.LBB200_88:
	s_or_b64 exec, exec, s[2:3]
.LBB200_89:
	s_or_b64 exec, exec, s[0:1]
	v_cmp_eq_u32_e32 vcc, 0, v1
	s_barrier
	s_and_saveexec_b64 s[0:1], vcc
	s_cbranch_execz .LBB200_91
; %bb.90:
	s_mul_i32 s0, s10, s11
	s_mul_i32 s0, s0, s5
	s_mulk_i32 s0, 0x50
	s_ashr_i32 s1, s0, 31
	s_lshl_b64 s[0:1], s[0:1], 2
	s_add_u32 s2, s26, s0
	s_mul_i32 s0, s11, s24
	s_addc_u32 s3, s27, s1
	s_ashr_i32 s1, s0, 31
	s_lshl_b64 s[0:1], s[0:1], 2
	s_add_u32 s2, s2, s0
	s_mul_i32 s0, s4, 0x50
	s_addc_u32 s3, s3, s1
	s_ashr_i32 s1, s0, 31
	s_lshl_b64 s[0:1], s[0:1], 2
	s_add_u32 s0, s2, s0
	s_addc_u32 s1, s3, s1
	v_lshlrev_b32_e32 v0, 2, v0
	global_store_dword v0, v8, s[0:1]
	global_store_dword v0, v9, s[0:1] offset:32
	global_store_dword v0, v6, s[0:1] offset:64
	;; [unrolled: 1-line block ×9, first 2 shown]
.LBB200_91:
	s_endpgm
.LBB200_92:
	ds_read_b32 v13, v12
	s_waitcnt lgkmcnt(0)
	v_add_f32_e32 v8, v8, v13
	s_or_b64 exec, exec, s[2:3]
	s_and_saveexec_b64 s[2:3], vcc
	s_cbranch_execz .LBB200_79
.LBB200_93:
	ds_read_b32 v13, v12 offset:32
	s_waitcnt lgkmcnt(0)
	v_add_f32_e32 v9, v9, v13
	s_or_b64 exec, exec, s[2:3]
	s_and_saveexec_b64 s[2:3], vcc
	s_cbranch_execz .LBB200_80
.LBB200_94:
	ds_read_b32 v13, v12 offset:64
	s_waitcnt lgkmcnt(0)
	v_add_f32_e32 v6, v6, v13
	s_or_b64 exec, exec, s[2:3]
	s_and_saveexec_b64 s[2:3], vcc
	s_cbranch_execz .LBB200_81
.LBB200_95:
	ds_read_b32 v13, v12 offset:96
	s_waitcnt lgkmcnt(0)
	v_add_f32_e32 v7, v7, v13
	s_or_b64 exec, exec, s[2:3]
	s_and_saveexec_b64 s[2:3], vcc
	s_cbranch_execz .LBB200_82
.LBB200_96:
	ds_read_b32 v13, v12 offset:128
	s_waitcnt lgkmcnt(0)
	v_add_f32_e32 v4, v4, v13
	s_or_b64 exec, exec, s[2:3]
	s_and_saveexec_b64 s[2:3], vcc
	s_cbranch_execz .LBB200_83
.LBB200_97:
	ds_read_b32 v13, v12 offset:160
	s_waitcnt lgkmcnt(0)
	v_add_f32_e32 v5, v5, v13
	s_or_b64 exec, exec, s[2:3]
	s_and_saveexec_b64 s[2:3], vcc
	s_cbranch_execz .LBB200_84
.LBB200_98:
	ds_read_b32 v13, v12 offset:192
	s_waitcnt lgkmcnt(0)
	v_add_f32_e32 v2, v2, v13
	s_or_b64 exec, exec, s[2:3]
	s_and_saveexec_b64 s[2:3], vcc
	s_cbranch_execz .LBB200_85
.LBB200_99:
	ds_read_b32 v13, v12 offset:224
	s_waitcnt lgkmcnt(0)
	v_add_f32_e32 v3, v3, v13
	s_or_b64 exec, exec, s[2:3]
	s_and_saveexec_b64 s[2:3], vcc
	s_cbranch_execz .LBB200_86
.LBB200_100:
	ds_read_b32 v13, v12 offset:256
	s_waitcnt lgkmcnt(0)
	v_add_f32_e32 v10, v10, v13
	s_or_b64 exec, exec, s[2:3]
	s_and_saveexec_b64 s[2:3], vcc
	s_cbranch_execnz .LBB200_87
	s_branch .LBB200_88
	.section	.rodata,"a",@progbits
	.p2align	6, 0x0
	.amdhsa_kernel _ZN4vllm25paged_attention_v1_kernelIfhLi80ELi32ELi128ELNS_18Fp8KVCacheDataTypeE1ELb1EEEvPT_PKS2_PKT0_S8_ifPKiSA_iPKfiiiSC_SC_iiiii
		.amdhsa_group_segment_fixed_size 336
		.amdhsa_private_segment_fixed_size 0
		.amdhsa_kernarg_size 384
		.amdhsa_user_sgpr_count 2
		.amdhsa_user_sgpr_dispatch_ptr 0
		.amdhsa_user_sgpr_queue_ptr 0
		.amdhsa_user_sgpr_kernarg_segment_ptr 1
		.amdhsa_user_sgpr_dispatch_id 0
		.amdhsa_user_sgpr_kernarg_preload_length 0
		.amdhsa_user_sgpr_kernarg_preload_offset 0
		.amdhsa_user_sgpr_private_segment_size 0
		.amdhsa_uses_dynamic_stack 0
		.amdhsa_enable_private_segment 0
		.amdhsa_system_sgpr_workgroup_id_x 1
		.amdhsa_system_sgpr_workgroup_id_y 1
		.amdhsa_system_sgpr_workgroup_id_z 1
		.amdhsa_system_sgpr_workgroup_info 0
		.amdhsa_system_vgpr_workitem_id 0
		.amdhsa_next_free_vgpr 91
		.amdhsa_next_free_sgpr 49
		.amdhsa_accum_offset 92
		.amdhsa_reserve_vcc 1
		.amdhsa_float_round_mode_32 0
		.amdhsa_float_round_mode_16_64 0
		.amdhsa_float_denorm_mode_32 3
		.amdhsa_float_denorm_mode_16_64 3
		.amdhsa_dx10_clamp 1
		.amdhsa_ieee_mode 1
		.amdhsa_fp16_overflow 0
		.amdhsa_tg_split 0
		.amdhsa_exception_fp_ieee_invalid_op 0
		.amdhsa_exception_fp_denorm_src 0
		.amdhsa_exception_fp_ieee_div_zero 0
		.amdhsa_exception_fp_ieee_overflow 0
		.amdhsa_exception_fp_ieee_underflow 0
		.amdhsa_exception_fp_ieee_inexact 0
		.amdhsa_exception_int_div_zero 0
	.end_amdhsa_kernel
	.section	.text._ZN4vllm25paged_attention_v1_kernelIfhLi80ELi32ELi128ELNS_18Fp8KVCacheDataTypeE1ELb1EEEvPT_PKS2_PKT0_S8_ifPKiSA_iPKfiiiSC_SC_iiiii,"axG",@progbits,_ZN4vllm25paged_attention_v1_kernelIfhLi80ELi32ELi128ELNS_18Fp8KVCacheDataTypeE1ELb1EEEvPT_PKS2_PKT0_S8_ifPKiSA_iPKfiiiSC_SC_iiiii,comdat
.Lfunc_end200:
	.size	_ZN4vllm25paged_attention_v1_kernelIfhLi80ELi32ELi128ELNS_18Fp8KVCacheDataTypeE1ELb1EEEvPT_PKS2_PKT0_S8_ifPKiSA_iPKfiiiSC_SC_iiiii, .Lfunc_end200-_ZN4vllm25paged_attention_v1_kernelIfhLi80ELi32ELi128ELNS_18Fp8KVCacheDataTypeE1ELb1EEEvPT_PKS2_PKT0_S8_ifPKiSA_iPKfiiiSC_SC_iiiii
                                        ; -- End function
	.set _ZN4vllm25paged_attention_v1_kernelIfhLi80ELi32ELi128ELNS_18Fp8KVCacheDataTypeE1ELb1EEEvPT_PKS2_PKT0_S8_ifPKiSA_iPKfiiiSC_SC_iiiii.num_vgpr, 91
	.set _ZN4vllm25paged_attention_v1_kernelIfhLi80ELi32ELi128ELNS_18Fp8KVCacheDataTypeE1ELb1EEEvPT_PKS2_PKT0_S8_ifPKiSA_iPKfiiiSC_SC_iiiii.num_agpr, 0
	.set _ZN4vllm25paged_attention_v1_kernelIfhLi80ELi32ELi128ELNS_18Fp8KVCacheDataTypeE1ELb1EEEvPT_PKS2_PKT0_S8_ifPKiSA_iPKfiiiSC_SC_iiiii.numbered_sgpr, 49
	.set _ZN4vllm25paged_attention_v1_kernelIfhLi80ELi32ELi128ELNS_18Fp8KVCacheDataTypeE1ELb1EEEvPT_PKS2_PKT0_S8_ifPKiSA_iPKfiiiSC_SC_iiiii.num_named_barrier, 0
	.set _ZN4vllm25paged_attention_v1_kernelIfhLi80ELi32ELi128ELNS_18Fp8KVCacheDataTypeE1ELb1EEEvPT_PKS2_PKT0_S8_ifPKiSA_iPKfiiiSC_SC_iiiii.private_seg_size, 0
	.set _ZN4vllm25paged_attention_v1_kernelIfhLi80ELi32ELi128ELNS_18Fp8KVCacheDataTypeE1ELb1EEEvPT_PKS2_PKT0_S8_ifPKiSA_iPKfiiiSC_SC_iiiii.uses_vcc, 1
	.set _ZN4vllm25paged_attention_v1_kernelIfhLi80ELi32ELi128ELNS_18Fp8KVCacheDataTypeE1ELb1EEEvPT_PKS2_PKT0_S8_ifPKiSA_iPKfiiiSC_SC_iiiii.uses_flat_scratch, 0
	.set _ZN4vllm25paged_attention_v1_kernelIfhLi80ELi32ELi128ELNS_18Fp8KVCacheDataTypeE1ELb1EEEvPT_PKS2_PKT0_S8_ifPKiSA_iPKfiiiSC_SC_iiiii.has_dyn_sized_stack, 0
	.set _ZN4vllm25paged_attention_v1_kernelIfhLi80ELi32ELi128ELNS_18Fp8KVCacheDataTypeE1ELb1EEEvPT_PKS2_PKT0_S8_ifPKiSA_iPKfiiiSC_SC_iiiii.has_recursion, 0
	.set _ZN4vllm25paged_attention_v1_kernelIfhLi80ELi32ELi128ELNS_18Fp8KVCacheDataTypeE1ELb1EEEvPT_PKS2_PKT0_S8_ifPKiSA_iPKfiiiSC_SC_iiiii.has_indirect_call, 0
	.section	.AMDGPU.csdata,"",@progbits
; Kernel info:
; codeLenInByte = 6764
; TotalNumSgprs: 55
; NumVgprs: 91
; NumAgprs: 0
; TotalNumVgprs: 91
; ScratchSize: 0
; MemoryBound: 0
; FloatMode: 240
; IeeeMode: 1
; LDSByteSize: 336 bytes/workgroup (compile time only)
; SGPRBlocks: 6
; VGPRBlocks: 11
; NumSGPRsForWavesPerEU: 55
; NumVGPRsForWavesPerEU: 91
; AccumOffset: 92
; Occupancy: 5
; WaveLimiterHint : 1
; COMPUTE_PGM_RSRC2:SCRATCH_EN: 0
; COMPUTE_PGM_RSRC2:USER_SGPR: 2
; COMPUTE_PGM_RSRC2:TRAP_HANDLER: 0
; COMPUTE_PGM_RSRC2:TGID_X_EN: 1
; COMPUTE_PGM_RSRC2:TGID_Y_EN: 1
; COMPUTE_PGM_RSRC2:TGID_Z_EN: 1
; COMPUTE_PGM_RSRC2:TIDIG_COMP_CNT: 0
; COMPUTE_PGM_RSRC3_GFX90A:ACCUM_OFFSET: 22
; COMPUTE_PGM_RSRC3_GFX90A:TG_SPLIT: 0
	.section	.text._ZN4vllm25paged_attention_v1_kernelIfhLi96ELi32ELi128ELNS_18Fp8KVCacheDataTypeE1ELb1EEEvPT_PKS2_PKT0_S8_ifPKiSA_iPKfiiiSC_SC_iiiii,"axG",@progbits,_ZN4vllm25paged_attention_v1_kernelIfhLi96ELi32ELi128ELNS_18Fp8KVCacheDataTypeE1ELb1EEEvPT_PKS2_PKT0_S8_ifPKiSA_iPKfiiiSC_SC_iiiii,comdat
	.protected	_ZN4vllm25paged_attention_v1_kernelIfhLi96ELi32ELi128ELNS_18Fp8KVCacheDataTypeE1ELb1EEEvPT_PKS2_PKT0_S8_ifPKiSA_iPKfiiiSC_SC_iiiii ; -- Begin function _ZN4vllm25paged_attention_v1_kernelIfhLi96ELi32ELi128ELNS_18Fp8KVCacheDataTypeE1ELb1EEEvPT_PKS2_PKT0_S8_ifPKiSA_iPKfiiiSC_SC_iiiii
	.globl	_ZN4vllm25paged_attention_v1_kernelIfhLi96ELi32ELi128ELNS_18Fp8KVCacheDataTypeE1ELb1EEEvPT_PKS2_PKT0_S8_ifPKiSA_iPKfiiiSC_SC_iiiii
	.p2align	8
	.type	_ZN4vllm25paged_attention_v1_kernelIfhLi96ELi32ELi128ELNS_18Fp8KVCacheDataTypeE1ELb1EEEvPT_PKS2_PKT0_S8_ifPKiSA_iPKfiiiSC_SC_iiiii,@function
_ZN4vllm25paged_attention_v1_kernelIfhLi96ELi32ELi128ELNS_18Fp8KVCacheDataTypeE1ELb1EEEvPT_PKS2_PKT0_S8_ifPKiSA_iPKfiiiSC_SC_iiiii: ; @_ZN4vllm25paged_attention_v1_kernelIfhLi96ELi32ELi128ELNS_18Fp8KVCacheDataTypeE1ELb1EEEvPT_PKS2_PKT0_S8_ifPKiSA_iPKfiiiSC_SC_iiiii
; %bb.0:
	s_load_dword s5, s[0:1], 0x80
	s_load_dwordx2 s[6:7], s[0:1], 0x30
	s_load_dwordx2 s[36:37], s[0:1], 0x20
	s_mov_b32 s10, s3
	s_ashr_i32 s11, s3, 31
	s_lshl_b64 s[8:9], s[10:11], 2
	s_waitcnt lgkmcnt(0)
	s_add_u32 s6, s6, s8
	s_addc_u32 s7, s7, s9
	s_abs_i32 s3, s36
	v_cvt_f32_u32_e32 v1, s3
	s_sub_i32 s11, 0, s3
	s_abs_i32 s9, s5
	s_xor_b32 s8, s5, s36
	v_rcp_iflag_f32_e32 v1, v1
	s_ashr_i32 s8, s8, 31
	s_mov_b32 s45, 0
	v_mul_f32_e32 v1, 0x4f7ffffe, v1
	v_cvt_u32_f32_e32 v1, v1
	s_nop 0
	v_readfirstlane_b32 s12, v1
	s_mul_i32 s11, s11, s12
	s_mul_hi_u32 s11, s12, s11
	s_add_i32 s12, s12, s11
	s_mul_hi_u32 s11, s9, s12
	s_mul_i32 s12, s11, s3
	s_sub_i32 s9, s9, s12
	s_add_i32 s12, s11, 1
	s_sub_i32 s13, s9, s3
	s_cmp_ge_u32 s9, s3
	s_cselect_b32 s11, s12, s11
	s_cselect_b32 s9, s13, s9
	s_add_i32 s12, s11, 1
	s_cmp_ge_u32 s9, s3
	s_cselect_b32 s3, s12, s11
	s_xor_b32 s3, s3, s8
	s_sub_i32 s14, s3, s8
	s_abs_i32 s11, s14
	v_cvt_f32_u32_e32 v1, s11
	s_load_dwordx2 s[8:9], s[0:1], 0x40
	s_sub_i32 s3, 0, s11
	s_abs_i32 s12, s2
	v_rcp_iflag_f32_e32 v1, v1
	s_nop 0
	v_mul_f32_e32 v1, 0x4f7ffffe, v1
	v_cvt_u32_f32_e32 v1, v1
	s_nop 0
	v_readfirstlane_b32 s13, v1
	s_mul_i32 s3, s3, s13
	s_mul_hi_u32 s3, s13, s3
	s_add_i32 s13, s13, s3
	s_waitcnt lgkmcnt(0)
	s_cmp_eq_u64 s[8:9], 0
	s_mul_hi_u32 s13, s12, s13
	s_cbranch_scc1 .LBB201_2
; %bb.1:
	s_ashr_i32 s3, s2, 31
	s_lshl_b64 s[16:17], s[2:3], 2
	s_add_u32 s8, s8, s16
	s_addc_u32 s9, s9, s17
	s_load_dword s45, s[8:9], 0x0
.LBB201_2:
	s_load_dword s33, s[6:7], 0x0
	s_load_dwordx4 s[16:19], s[0:1], 0x48
	s_ashr_i32 s8, s2, 31
	s_ashr_i32 s9, s14, 31
	v_and_b32_e32 v2, 1, v0
	s_mul_i32 s24, s2, 0x60
	v_cmp_gt_u32_e32 vcc, 48, v0
	v_lshlrev_b32_e32 v46, 2, v0
	s_and_saveexec_b64 s[6:7], vcc
	s_cbranch_execz .LBB201_4
; %bb.3:
	s_load_dwordx2 s[14:15], s[0:1], 0x8
	s_waitcnt lgkmcnt(0)
	s_mul_i32 s20, s16, s10
	s_ashr_i32 s21, s20, 31
	s_lshl_b64 s[20:21], s[20:21], 2
	v_lshlrev_b32_e32 v1, 3, v0
	s_add_u32 s3, s14, s20
	s_addc_u32 s16, s15, s21
	s_ashr_i32 s25, s24, 31
	s_lshl_b64 s[14:15], s[24:25], 2
	s_add_u32 s14, s3, s14
	s_addc_u32 s15, s16, s15
	global_load_dwordx2 v[4:5], v1, s[14:15]
	v_and_b32_e32 v1, 0xff8, v46
	s_movk_i32 s3, 0xc0
	v_mad_u32_u24 v1, v2, s3, v1
	s_waitcnt vmcnt(0)
	ds_write_b64 v1, v[4:5]
.LBB201_4:
	s_or_b64 exec, exec, s[6:7]
	s_mul_i32 s7, s13, s11
	s_sub_i32 s7, s12, s7
	s_xor_b32 s6, s8, s9
	s_add_i32 s8, s13, 1
	s_sub_i32 s9, s7, s11
	s_load_dwordx4 s[20:23], s[0:1], 0x68
	s_load_dword s3, s[0:1], 0x78
	s_cmp_ge_u32 s7, s11
	s_cselect_b32 s8, s8, s13
	s_cselect_b32 s7, s9, s7
	s_add_i32 s9, s8, 1
	s_cmp_ge_u32 s7, s11
	s_cselect_b32 s7, s9, s8
	s_waitcnt lgkmcnt(0)
	s_abs_i32 s25, s23
	v_cvt_f32_u32_e32 v1, s25
	s_xor_b32 s7, s7, s6
	s_sub_i32 s44, s7, s6
	s_sub_i32 s6, 0, s25
	v_rcp_iflag_f32_e32 v1, v1
	s_add_i32 s11, s33, -1
	s_abs_i32 s8, s11
	v_mul_f32_e32 v1, 0x4f7ffffe, v1
	v_cvt_u32_f32_e32 v1, v1
	s_barrier
	v_readfirstlane_b32 s42, v1
	s_mul_i32 s6, s6, s42
	s_mul_hi_u32 s6, s42, s6
	s_add_i32 s42, s42, s6
	s_cmp_lt_i32 s3, 0
	s_mul_hi_u32 s9, s8, s42
	s_cbranch_scc0 .LBB201_6
; %bb.5:
	s_mul_i32 s6, s20, s36
	s_add_i32 s6, s44, s6
	s_mul_i32 s6, s6, s3
	s_sub_i32 s36, 1, s6
	s_mov_b64 s[6:7], 0
	s_branch .LBB201_7
.LBB201_6:
	s_mov_b64 s[6:7], -1
                                        ; implicit-def: $sgpr36
.LBB201_7:
	s_load_dwordx2 s[28:29], s[0:1], 0x28
	s_ashr_i32 s16, s11, 31
	s_andn2_b64 vcc, exec, s[6:7]
	s_ashr_i32 s23, s23, 31
	s_cbranch_vccnz .LBB201_9
; %bb.8:
	s_mul_i32 s6, s5, s20
	s_add_i32 s2, s6, s2
	s_mul_i32 s2, s2, s3
	s_add_i32 s36, s2, 1
.LBB201_9:
	s_load_dword s2, s[0:1], 0x38
	s_load_dwordx2 s[26:27], s[0:1], 0x0
	s_load_dwordx2 s[34:35], s[0:1], 0x18
	s_load_dword s11, s[0:1], 0x88
	s_load_dwordx4 s[12:15], s[0:1], 0x58
	s_mul_i32 s3, s9, s25
	s_waitcnt lgkmcnt(0)
	s_mul_i32 s30, s2, s10
	s_sub_i32 s3, s8, s3
	s_ashr_i32 s31, s30, 31
	s_xor_b32 s2, s16, s23
	s_add_i32 s6, s9, 1
	s_sub_i32 s7, s3, s25
	s_cmp_ge_u32 s3, s25
	s_cselect_b32 s6, s6, s9
	s_cselect_b32 s3, s7, s3
	s_add_i32 s7, s6, 1
	s_cmp_ge_u32 s3, s25
	s_cselect_b32 s3, s7, s6
	s_xor_b32 s3, s3, s2
	s_sub_i32 s43, s3, s2
	s_add_i32 s2, s33, 31
	s_ashr_i32 s3, s2, 31
	s_lshr_b32 s3, s3, 27
	s_add_i32 s2, s2, s3
	s_ashr_i32 s20, s2, 5
	v_lshrrev_b32_e32 v1, 6, v0
	v_cmp_gt_i32_e64 s[6:7], s20, v1
	v_mov_b32_e32 v51, 0xff7fffff
	s_mul_i32 s44, s44, s18
	v_lshrrev_b32_e32 v47, 4, v0
	v_lshlrev_b32_e32 v70, 5, v1
	v_mbcnt_lo_u32_b32 v48, -1, 0
	s_and_saveexec_b64 s[18:19], s[6:7]
	s_cbranch_execz .LBB201_21
; %bb.10:
	s_load_dwordx2 s[0:1], s[0:1], 0x10
	s_sub_i32 s46, s43, s21
	s_ashr_i32 s2, s44, 31
	v_bfe_u32 v49, v0, 1, 5
	v_mov_b32_e32 v5, 0
	s_waitcnt lgkmcnt(0)
	s_add_u32 s0, s0, s44
	s_addc_u32 s1, s1, s2
	s_abs_i32 s47, s22
	v_cvt_f32_u32_e32 v3, s47
	v_lshlrev_b32_e32 v4, 4, v49
	v_lshl_add_u64 v[6:7], s[0:1], 0, v[4:5]
	s_sub_i32 s0, 0, s47
	v_rcp_iflag_f32_e32 v3, v3
	v_cmp_eq_u32_e32 vcc, 0, v2
	v_mul_u32_u24_e32 v50, 0xc0, v2
	v_lshlrev_b32_e32 v4, 1, v2
	v_mul_f32_e32 v3, 0x4f7ffffe, v3
	v_cvt_u32_f32_e32 v3, v3
	v_mbcnt_hi_u32_b32 v57, -1, v48
	v_lshl_add_u64 v[42:43], v[6:7], 0, v[4:5]
	v_and_b32_e32 v4, 60, v47
	v_mul_lo_u32 v2, s0, v3
	v_mul_hi_u32 v2, v3, v2
	v_add_u32_e32 v52, v3, v2
	v_subrev_u32_e32 v2, s33, v49
	s_lshl_b64 s[0:1], s[30:31], 2
	v_add_u32_e32 v54, 1, v2
	v_lshlrev_b32_e32 v2, 2, v49
	s_add_u32 s0, s28, s0
	v_lshl_or_b32 v2, v1, 7, v2
	s_addc_u32 s1, s29, s1
	v_add_u32_e32 v55, 0x190, v2
	v_and_b32_e32 v2, 64, v57
	s_mov_b32 s48, s17
	v_cmp_neq_f32_e64 s[2:3], s45, 0
	v_lshl_add_u64 v[44:45], s[0:1], 0, v[4:5]
	v_lshlrev_b32_e32 v53, 5, v1
	v_mov_b32_e32 v56, 0xff7fffff
	s_mov_b64 s[38:39], 0
	v_xor_b32_e32 v58, 1, v57
	v_add_u32_e32 v59, 64, v2
	v_mov_b32_e32 v51, 0xff7fffff
	v_mov_b32_e32 v60, v1
	s_branch .LBB201_13
.LBB201_11:                             ;   in Loop: Header=BB201_13 Depth=1
	s_or_b64 exec, exec, s[40:41]
.LBB201_12:                             ;   in Loop: Header=BB201_13 Depth=1
	s_or_b64 exec, exec, s[8:9]
	v_add_u32_e32 v60, 2, v60
	v_cmp_le_i32_e64 s[0:1], s20, v60
	v_lshl_add_u64 v[44:45], v[44:45], 0, 8
	v_add_u32_e32 v53, 64, v53
	s_or_b64 s[38:39], s[0:1], s[38:39]
	v_add_u32_e32 v55, 0x100, v55
	s_andn2_b64 exec, exec, s[38:39]
	s_cbranch_execz .LBB201_20
.LBB201_13:                             ; =>This Inner Loop Header: Depth=1
	v_mul_hi_u32 v2, v53, s42
	s_waitcnt lgkmcnt(0)
	v_mul_lo_u32 v3, v2, s25
	v_sub_u32_e32 v3, v53, v3
	v_add_u32_e32 v4, 1, v2
	v_cmp_le_u32_e64 s[0:1], s25, v3
	s_nop 1
	v_cndmask_b32_e64 v2, v2, v4, s[0:1]
	v_subrev_u32_e32 v4, s25, v3
	v_cndmask_b32_e64 v3, v3, v4, s[0:1]
	v_add_u32_e32 v4, 1, v2
	v_cmp_le_u32_e64 s[0:1], s25, v3
	s_nop 1
	v_cndmask_b32_e64 v2, v2, v4, s[0:1]
	v_xor_b32_e32 v2, s23, v2
	v_subrev_u32_e32 v2, s23, v2
	v_add_u32_e32 v3, s36, v2
	v_sub_u32_e32 v5, 0, v3
	v_ashrrev_i32_e32 v4, 31, v3
	v_max_i32_e32 v3, v3, v5
	v_mul_hi_u32 v5, v3, v52
	v_mul_lo_u32 v5, v5, s47
	v_sub_u32_e32 v3, v3, v5
	v_subrev_u32_e32 v5, s47, v3
	v_cmp_le_u32_e64 s[0:1], s47, v3
	v_cmp_ge_i32_e64 s[8:9], s46, v2
	s_nop 0
	v_cndmask_b32_e64 v3, v3, v5, s[0:1]
	v_subrev_u32_e32 v5, s47, v3
	v_cmp_le_u32_e64 s[0:1], s47, v3
	s_nop 1
	v_cndmask_b32_e64 v3, v3, v5, s[0:1]
	v_xor_b32_e32 v3, v3, v4
	v_sub_u32_e32 v3, v3, v4
	v_cmp_ne_u32_e64 s[0:1], 0, v3
	s_and_b64 s[0:1], s[0:1], s[8:9]
	s_and_saveexec_b64 s[8:9], s[0:1]
	s_xor_b64 s[0:1], exec, s[8:9]
	s_cbranch_execz .LBB201_17
; %bb.14:                               ;   in Loop: Header=BB201_13 Depth=1
	s_and_saveexec_b64 s[8:9], vcc
; %bb.15:                               ;   in Loop: Header=BB201_13 Depth=1
	ds_write_b32 v55, v56
; %bb.16:                               ;   in Loop: Header=BB201_13 Depth=1
	s_or_b64 exec, exec, s[8:9]
.LBB201_17:                             ;   in Loop: Header=BB201_13 Depth=1
	s_andn2_saveexec_b64 s[8:9], s[0:1]
	s_cbranch_execz .LBB201_12
; %bb.18:                               ;   in Loop: Header=BB201_13 Depth=1
	global_load_dword v2, v[44:45], off
	s_waitcnt vmcnt(0)
	v_mad_i64_i32 v[2:3], s[0:1], v2, s48, v[42:43]
	global_load_ushort v61, v[2:3], off offset:4
	global_load_ushort v71, v[2:3], off offset:8
	;; [unrolled: 1-line block ×7, first 2 shown]
	global_load_ushort v74, v[2:3], off
	global_load_ushort v88, v[2:3], off offset:1024
	global_load_ushort v90, v[2:3], off offset:1028
	;; [unrolled: 1-line block ×16, first 2 shown]
	v_cmp_lt_i32_e64 s[0:1], v58, v59
	ds_read_b128 v[62:65], v50
	ds_read_b128 v[66:69], v50 offset:16
	ds_read_b128 v[18:21], v50 offset:32
	;; [unrolled: 1-line block ×3, first 2 shown]
	s_load_dword s16, s[12:13], 0x0
	v_cndmask_b32_e64 v72, v57, v58, s[0:1]
	v_lshlrev_b32_e32 v106, 2, v72
	ds_read_b128 v[6:9], v50 offset:64
	ds_read_b128 v[2:5], v50 offset:80
	;; [unrolled: 1-line block ×8, first 2 shown]
	s_waitcnt vmcnt(23)
	v_cvt_pk_f32_fp8_e32 v[72:73], v61
	s_waitcnt vmcnt(22)
	v_cvt_pk_f32_fp8_e32 v[76:77], v71
	;; [unrolled: 2-line block ×4, first 2 shown]
	s_waitcnt lgkmcnt(0)
	v_pk_mul_f32 v[72:73], s[16:17], v[72:73] op_sel_hi:[0,1]
	s_waitcnt vmcnt(19)
	v_cvt_pk_f32_fp8_e32 v[82:83], v82
	v_mul_f32_e32 v61, v64, v72
	s_waitcnt vmcnt(16)
	v_cvt_pk_f32_fp8_e32 v[74:75], v74
	v_mul_f32_e32 v71, v65, v73
	v_cvt_pk_f32_fp8_e32 v[84:85], v84
	v_pk_mul_f32 v[76:77], s[16:17], v[76:77] op_sel_hi:[0,1]
	v_pk_mul_f32 v[72:73], v[74:75], s[16:17] op_sel_hi:[1,0]
	v_cvt_pk_f32_fp8_e32 v[86:87], v86
	v_fmac_f32_e32 v61, v62, v72
	v_fmac_f32_e32 v71, v63, v73
	;; [unrolled: 1-line block ×4, first 2 shown]
	v_pk_mul_f32 v[78:79], s[16:17], v[78:79] op_sel_hi:[0,1]
	s_waitcnt vmcnt(15)
	v_cvt_pk_f32_fp8_e32 v[88:89], v88
	v_fmac_f32_e32 v61, v68, v78
	v_fmac_f32_e32 v71, v69, v79
	v_pk_mul_f32 v[80:81], s[16:17], v[80:81] op_sel_hi:[0,1]
	s_waitcnt vmcnt(14)
	v_cvt_pk_f32_fp8_e32 v[90:91], v90
	v_pk_mul_f32 v[82:83], s[16:17], v[82:83] op_sel_hi:[0,1]
	v_fmac_f32_e32 v61, v18, v80
	v_fmac_f32_e32 v71, v19, v81
	s_waitcnt vmcnt(13)
	v_cvt_pk_f32_fp8_e32 v[64:65], v92
	v_pk_mul_f32 v[84:85], s[16:17], v[84:85] op_sel_hi:[0,1]
	v_fmac_f32_e32 v61, v20, v82
	v_fmac_f32_e32 v71, v21, v83
	;; [unrolled: 5-line block ×15, first 2 shown]
	v_pk_mul_f32 v[78:79], s[16:17], v[78:79] op_sel_hi:[0,1]
	v_fmac_f32_e32 v61, v28, v68
	v_fmac_f32_e32 v71, v29, v69
	v_pk_mul_f32 v[98:99], s[16:17], v[98:99] op_sel_hi:[0,1]
	v_fmac_f32_e32 v61, v34, v78
	v_fmac_f32_e32 v71, v35, v79
	;; [unrolled: 3-line block ×4, first 2 shown]
	v_fmac_f32_e32 v61, v24, v102
	v_fmac_f32_e32 v71, v25, v103
	v_add_f32_e32 v2, v61, v71
	ds_bpermute_b32 v3, v106, v2
	s_and_saveexec_b64 s[40:41], vcc
	s_cbranch_execz .LBB201_11
; %bb.19:                               ;   in Loop: Header=BB201_13 Depth=1
	v_add_u32_e32 v4, v54, v53
	v_cvt_f32_i32_e32 v4, v4
	s_waitcnt lgkmcnt(0)
	v_add_f32_e32 v2, v2, v3
	v_add_u32_e32 v5, v49, v53
	v_cmp_gt_i32_e64 s[0:1], s33, v5
	v_mul_f32_e32 v3, s45, v4
	v_cndmask_b32_e64 v3, 0, v3, s[2:3]
	v_fmac_f32_e32 v3, s37, v2
	v_cndmask_b32_e64 v2, 0, v3, s[0:1]
	ds_write_b32 v55, v2
	v_max_f32_e32 v2, v51, v51
	v_max_f32_e32 v2, v2, v3
	v_cndmask_b32_e64 v51, v51, v2, s[0:1]
	s_branch .LBB201_11
.LBB201_20:
	s_or_b64 exec, exec, s[38:39]
.LBB201_21:
	s_or_b64 exec, exec, s[18:19]
	v_mbcnt_hi_u32_b32 v2, -1, v48
	v_and_b32_e32 v8, 64, v2
	v_add_u32_e32 v9, 64, v8
	s_waitcnt lgkmcnt(0)
	v_xor_b32_e32 v3, 32, v2
	v_cmp_lt_i32_e32 vcc, v3, v9
	v_xor_b32_e32 v6, 16, v2
	v_max_f32_e32 v5, v51, v51
	v_cndmask_b32_e32 v3, v2, v3, vcc
	v_lshlrev_b32_e32 v3, 2, v3
	ds_bpermute_b32 v4, v3, v51
	v_cmp_lt_i32_e32 vcc, v6, v9
	v_xor_b32_e32 v7, 8, v2
	v_xor_b32_e32 v10, 4, v2
	v_and_b32_e32 v71, 63, v0
	s_waitcnt lgkmcnt(0)
	v_max_f32_e32 v4, v4, v4
	v_max_f32_e32 v5, v5, v4
	v_cndmask_b32_e32 v4, v2, v6, vcc
	v_lshlrev_b32_e32 v4, 2, v4
	ds_bpermute_b32 v6, v4, v5
	v_cmp_lt_i32_e32 vcc, v7, v9
	s_waitcnt lgkmcnt(0)
	v_max_f32_e32 v6, v6, v6
	v_max_f32_e32 v6, v5, v6
	v_cndmask_b32_e32 v5, v2, v7, vcc
	v_lshlrev_b32_e32 v5, 2, v5
	ds_bpermute_b32 v7, v5, v6
	v_cmp_lt_i32_e32 vcc, v10, v9
	s_waitcnt lgkmcnt(0)
	v_max_f32_e32 v7, v7, v7
	v_max_f32_e32 v6, v6, v7
	v_cndmask_b32_e32 v7, v2, v10, vcc
	v_lshlrev_b32_e32 v72, 2, v7
	ds_bpermute_b32 v7, v72, v6
	v_xor_b32_e32 v10, 2, v2
	v_cmp_lt_i32_e32 vcc, v10, v9
	s_waitcnt lgkmcnt(0)
	v_max_f32_e32 v7, v7, v7
	v_max_f32_e32 v7, v6, v7
	v_cndmask_b32_e32 v6, v2, v10, vcc
	v_lshlrev_b32_e32 v73, 2, v6
	ds_bpermute_b32 v10, v73, v7
	v_cmp_eq_u32_e32 vcc, 0, v71
	v_lshlrev_b32_e32 v6, 2, v1
	s_and_saveexec_b64 s[0:1], vcc
	s_cbranch_execz .LBB201_23
; %bb.22:
	s_waitcnt lgkmcnt(0)
	v_max_f32_e32 v10, v10, v10
	v_max_f32_e32 v7, v7, v7
	;; [unrolled: 1-line block ×3, first 2 shown]
	ds_write_b32 v6, v7 offset:384
.LBB201_23:
	s_or_b64 exec, exec, s[0:1]
	v_cmp_gt_u32_e64 s[0:1], 2, v71
	s_waitcnt lgkmcnt(0)
	v_mov_b32_e32 v10, 0xff7fffff
	v_lshlrev_b32_e32 v7, 2, v71
	s_barrier
	s_and_saveexec_b64 s[2:3], s[0:1]
; %bb.24:
	ds_read_b32 v10, v7 offset:384
; %bb.25:
	s_or_b64 exec, exec, s[2:3]
	v_xor_b32_e32 v11, 1, v2
	v_cmp_lt_i32_e64 s[2:3], v11, v9
	v_lshlrev_b32_e32 v8, 2, v8
	s_nop 0
	v_cndmask_b32_e64 v9, v2, v11, s[2:3]
	v_lshlrev_b32_e32 v74, 2, v9
	s_waitcnt lgkmcnt(0)
	ds_bpermute_b32 v9, v74, v10
	v_max_f32_e32 v10, v10, v10
	s_lshl_b32 s2, s20, 5
	s_min_i32 s16, s2, s33
	v_cmp_gt_i32_e64 s[2:3], s16, v0
	s_waitcnt lgkmcnt(0)
	v_max_f32_e32 v9, v9, v9
	v_max_f32_e32 v9, v10, v9
	ds_bpermute_b32 v9, v8, v9
	v_mov_b32_e32 v8, 0
	s_and_saveexec_b64 s[12:13], s[2:3]
	s_cbranch_execz .LBB201_29
; %bb.26:
	v_mov_b32_e32 v8, 0x190
	v_lshl_add_u32 v10, v0, 2, v8
	v_mov_b32_e32 v8, 0
	s_mov_b64 s[18:19], 0
	v_mov_b32_e32 v11, v0
.LBB201_27:                             ; =>This Inner Loop Header: Depth=1
	ds_read_b32 v12, v10
	v_add_u32_e32 v11, 0x80, v11
	v_cmp_le_i32_e64 s[8:9], s16, v11
	s_or_b64 s[18:19], s[8:9], s[18:19]
	s_waitcnt lgkmcnt(0)
	v_sub_f32_e32 v12, v12, v9
	v_mul_f32_e32 v12, 0x3fb8aa3b, v12
	v_exp_f32_e32 v12, v12
	ds_write_b32 v10, v12
	v_add_f32_e32 v8, v8, v12
	v_add_u32_e32 v10, 0x200, v10
	s_andn2_b64 exec, exec, s[18:19]
	s_cbranch_execnz .LBB201_27
; %bb.28:
	s_or_b64 exec, exec, s[18:19]
.LBB201_29:
	s_or_b64 exec, exec, s[12:13]
	ds_bpermute_b32 v3, v3, v8
	s_waitcnt lgkmcnt(0)
	v_add_f32_e32 v3, v8, v3
	ds_bpermute_b32 v4, v4, v3
	s_waitcnt lgkmcnt(0)
	v_add_f32_e32 v3, v3, v4
	ds_bpermute_b32 v4, v5, v3
	s_waitcnt lgkmcnt(0)
	v_add_f32_e32 v3, v3, v4
	ds_bpermute_b32 v4, v72, v3
	s_waitcnt lgkmcnt(0)
	v_add_f32_e32 v3, v3, v4
	ds_bpermute_b32 v4, v73, v3
	s_waitcnt lgkmcnt(0)
	v_add_f32_e32 v3, v3, v4
	ds_bpermute_b32 v4, v74, v3
	s_waitcnt lgkmcnt(0)
	v_add_f32_e32 v3, v3, v4
	s_and_saveexec_b64 s[8:9], vcc
; %bb.30:
	ds_write_b32 v6, v3 offset:392
; %bb.31:
	s_or_b64 exec, exec, s[8:9]
	s_waitcnt lgkmcnt(0)
	s_barrier
	s_and_saveexec_b64 s[8:9], s[0:1]
; %bb.32:
	ds_read_b32 v3, v7 offset:392
; %bb.33:
	s_or_b64 exec, exec, s[8:9]
	s_waitcnt lgkmcnt(0)
	ds_bpermute_b32 v4, v74, v3
	v_lshlrev_b32_e32 v2, 2, v2
	v_and_b32_e32 v2, 0x100, v2
	s_waitcnt lgkmcnt(0)
	v_add_f32_e32 v3, v3, v4
	ds_bpermute_b32 v2, v2, v3
	s_and_saveexec_b64 s[0:1], s[2:3]
	s_cbranch_execz .LBB201_46
; %bb.34:
	s_waitcnt lgkmcnt(0)
	v_add_f32_e32 v2, 0x358637bd, v2
	v_div_scale_f32 v3, s[2:3], v2, v2, 1.0
	v_rcp_f32_e32 v4, v3
	v_div_scale_f32 v5, vcc, 1.0, v2, 1.0
	s_movk_i32 s2, 0x7f
	v_fma_f32 v6, -v3, v4, 1.0
	v_fmac_f32_e32 v4, v6, v4
	v_mul_f32_e32 v6, v5, v4
	v_fma_f32 v7, -v3, v6, v5
	v_fmac_f32_e32 v6, v7, v4
	v_fma_f32 v3, -v3, v6, v5
	v_div_fmas_f32 v3, v3, v4, v6
	v_xad_u32 v4, v0, -1, s16
	v_div_fixup_f32 v2, v3, v2, 1.0
	v_cmp_lt_u32_e32 vcc, s2, v4
	s_mov_b64 s[8:9], -1
	v_mov_b32_e32 v3, v0
	s_and_saveexec_b64 s[2:3], vcc
	s_cbranch_execz .LBB201_43
; %bb.35:
	v_lshrrev_b32_e32 v4, 7, v4
	v_add_u32_e32 v6, -1, v4
	v_lshrrev_b32_e32 v5, 1, v6
	v_mov_b32_e32 v3, v2
	v_add_u32_e32 v5, 1, v5
	v_cmp_lt_u32_e32 vcc, 13, v6
	v_mov_b32_e32 v8, 0
	s_and_saveexec_b64 s[8:9], vcc
	s_cbranch_execz .LBB201_39
; %bb.36:
	v_mov_b32_e32 v7, 0x190
	v_and_b32_e32 v6, -8, v5
	v_lshl_add_u32 v7, v0, 2, v7
	s_mov_b32 s18, 0
	s_mov_b64 s[12:13], 0
.LBB201_37:                             ; =>This Inner Loop Header: Depth=1
	ds_read2st64_b32 v[8:9], v7 offset1:2
	ds_read2st64_b32 v[10:11], v7 offset0:4 offset1:6
	ds_read2st64_b32 v[12:13], v7 offset0:8 offset1:10
	;; [unrolled: 1-line block ×3, first 2 shown]
	v_add_u32_e32 v6, -8, v6
	s_waitcnt lgkmcnt(3)
	v_pk_mul_f32 v[8:9], v[2:3], v[8:9]
	s_waitcnt lgkmcnt(2)
	v_pk_mul_f32 v[10:11], v[2:3], v[10:11]
	ds_write2st64_b32 v7, v8, v9 offset1:2
	ds_write2st64_b32 v7, v10, v11 offset0:4 offset1:6
	ds_read2st64_b32 v[10:11], v7 offset0:16 offset1:18
	s_waitcnt lgkmcnt(4)
	v_pk_mul_f32 v[8:9], v[2:3], v[12:13]
	ds_write2st64_b32 v7, v8, v9 offset0:8 offset1:10
	s_waitcnt lgkmcnt(4)
	v_pk_mul_f32 v[8:9], v[2:3], v[14:15]
	ds_write2st64_b32 v7, v8, v9 offset0:12 offset1:14
	ds_read2st64_b32 v[8:9], v7 offset0:20 offset1:22
	s_waitcnt lgkmcnt(3)
	v_pk_mul_f32 v[10:11], v[2:3], v[10:11]
	ds_read2st64_b32 v[12:13], v7 offset0:24 offset1:26
	ds_write2st64_b32 v7, v10, v11 offset0:16 offset1:18
	ds_read2st64_b32 v[10:11], v7 offset0:28 offset1:30
	s_waitcnt lgkmcnt(3)
	v_pk_mul_f32 v[8:9], v[2:3], v[8:9]
	ds_write2st64_b32 v7, v8, v9 offset0:20 offset1:22
	s_waitcnt lgkmcnt(3)
	v_pk_mul_f32 v[8:9], v[2:3], v[12:13]
	ds_write2st64_b32 v7, v8, v9 offset0:24 offset1:26
	s_waitcnt lgkmcnt(2)
	v_pk_mul_f32 v[8:9], v[2:3], v[10:11]
	s_add_i32 s18, s18, 16
	v_cmp_eq_u32_e32 vcc, 0, v6
	ds_write2st64_b32 v7, v8, v9 offset0:28 offset1:30
	v_add_u32_e32 v7, 0x2000, v7
	s_or_b64 s[12:13], vcc, s[12:13]
	v_mov_b32_e32 v8, s18
	s_andn2_b64 exec, exec, s[12:13]
	s_cbranch_execnz .LBB201_37
; %bb.38:
	s_or_b64 exec, exec, s[12:13]
.LBB201_39:
	s_or_b64 exec, exec, s[8:9]
	v_and_b32_e32 v5, 7, v5
	v_cmp_ne_u32_e32 vcc, 0, v5
	s_and_saveexec_b64 s[8:9], vcc
	s_cbranch_execz .LBB201_42
; %bb.40:
	v_lshlrev_b32_e32 v6, 9, v8
	s_movk_i32 s12, 0x190
	v_add3_u32 v6, v6, v46, s12
	s_mov_b64 s[12:13], 0
.LBB201_41:                             ; =>This Inner Loop Header: Depth=1
	ds_read2st64_b32 v[8:9], v6 offset1:2
	v_add_u32_e32 v5, -1, v5
	v_cmp_eq_u32_e32 vcc, 0, v5
	s_or_b64 s[12:13], vcc, s[12:13]
	s_waitcnt lgkmcnt(0)
	v_pk_mul_f32 v[8:9], v[2:3], v[8:9]
	ds_write2st64_b32 v6, v8, v9 offset1:2
	v_add_u32_e32 v6, 0x400, v6
	s_andn2_b64 exec, exec, s[12:13]
	s_cbranch_execnz .LBB201_41
.LBB201_42:
	s_or_b64 exec, exec, s[8:9]
	v_add_u32_e32 v4, 1, v4
	v_and_b32_e32 v5, 0x3fffffe, v4
	v_cmp_ne_u32_e32 vcc, v4, v5
	v_lshl_add_u32 v3, v5, 7, v0
	s_orn2_b64 s[8:9], vcc, exec
.LBB201_43:
	s_or_b64 exec, exec, s[2:3]
	s_and_b64 exec, exec, s[8:9]
	s_cbranch_execz .LBB201_46
; %bb.44:
	v_mov_b32_e32 v4, 0x190
	v_lshl_add_u32 v4, v3, 2, v4
	s_mov_b64 s[2:3], 0
.LBB201_45:                             ; =>This Inner Loop Header: Depth=1
	ds_read_b32 v5, v4
	v_add_u32_e32 v3, 0x80, v3
	v_cmp_le_i32_e32 vcc, s16, v3
	s_or_b64 s[2:3], vcc, s[2:3]
	s_waitcnt lgkmcnt(0)
	v_mul_f32_e32 v5, v2, v5
	ds_write_b32 v4, v5
	v_add_u32_e32 v4, 0x200, v4
	s_andn2_b64 exec, exec, s[2:3]
	s_cbranch_execnz .LBB201_45
.LBB201_46:
	s_or_b64 exec, exec, s[0:1]
	v_mov_b32_e32 v7, 0
	v_and_b32_e32 v75, 7, v0
	v_mov_b32_e32 v6, 0
	v_mov_b32_e32 v9, 0
	;; [unrolled: 1-line block ×11, first 2 shown]
	s_waitcnt lgkmcnt(0)
	s_barrier
	s_and_saveexec_b64 s[2:3], s[6:7]
	s_cbranch_execz .LBB201_76
; %bb.47:
	s_sub_i32 s18, s43, s21
	s_ashr_i32 s1, s44, 31
	s_add_u32 s0, s34, s44
	s_addc_u32 s1, s35, s1
	s_abs_i32 s19, s22
	v_cvt_f32_u32_e32 v2, s19
	v_and_b32_e32 v14, 0xfc, v46
	v_mov_b32_e32 v15, 0
	v_lshl_add_u64 v[18:19], s[0:1], 0, v[14:15]
	v_rcp_iflag_f32_e32 v2, v2
	s_sub_i32 s0, 0, s19
	s_add_i32 s22, s20, -1
	v_and_b32_e32 v14, 60, v47
	v_mul_f32_e32 v2, 0x4f7ffffe, v2
	v_cvt_u32_f32_e32 v2, v2
	v_and_b32_e32 v76, 28, v46
	s_mov_b32 s21, s17
	s_mov_b32 s34, s33
	v_mul_lo_u32 v3, s0, v2
	v_mul_hi_u32 v3, v2, v3
	s_lshl_b64 s[0:1], s[30:31], 2
	v_add_u32_e32 v77, v2, v3
	s_add_u32 s0, s28, s0
	v_lshlrev_b32_e32 v2, 4, v75
	s_addc_u32 s1, s29, s1
	v_lshl_or_b32 v2, v1, 7, v2
	v_lshl_add_u64 v[20:21], s[0:1], 0, v[14:15]
	v_add_u32_e32 v78, 0x190, v2
	s_mov_b64 s[6:7], 0
	v_mov_b32_e32 v14, v15
	v_mov_b32_e32 v16, v15
	;; [unrolled: 1-line block ×11, first 2 shown]
	s_branch .LBB201_50
.LBB201_48:                             ;   in Loop: Header=BB201_50 Depth=1
	s_or_b64 exec, exec, s[0:1]
	v_mul_f32_e32 v68, v2, v68
	v_mul_f32_e32 v62, v2, v62
	;; [unrolled: 1-line block ×11, first 2 shown]
	v_fmac_f32_e32 v68, v3, v69
	v_fmac_f32_e32 v62, v3, v63
	;; [unrolled: 1-line block ×22, first 2 shown]
	v_pk_mul_f32 v[2:3], v[2:3], v[64:65]
	v_fmac_f32_e32 v68, v5, v67
	v_fmac_f32_e32 v62, v5, v61
	;; [unrolled: 1-line block ×11, first 2 shown]
	v_pk_mul_f32 v[4:5], v[4:5], v[34:35]
	v_add_f32_e32 v2, v3, v2
	v_add_f32_e32 v2, v4, v2
	;; [unrolled: 1-line block ×15, first 2 shown]
.LBB201_49:                             ;   in Loop: Header=BB201_50 Depth=1
	s_or_b64 exec, exec, s[8:9]
	v_add_u32_e32 v1, 2, v1
	v_cmp_le_i32_e32 vcc, s20, v1
	v_lshl_add_u64 v[20:21], v[20:21], 0, 8
	v_add_u32_e32 v70, 64, v70
	s_or_b64 s[6:7], vcc, s[6:7]
	v_add_u32_e32 v78, 0x100, v78
	s_andn2_b64 exec, exec, s[6:7]
	s_cbranch_execz .LBB201_75
.LBB201_50:                             ; =>This Inner Loop Header: Depth=1
	v_mul_hi_u32 v2, v70, s42
	v_mul_lo_u32 v3, v2, s25
	v_sub_u32_e32 v3, v70, v3
	v_add_u32_e32 v4, 1, v2
	v_cmp_le_u32_e32 vcc, s25, v3
	s_nop 1
	v_cndmask_b32_e32 v2, v2, v4, vcc
	v_subrev_u32_e32 v4, s25, v3
	v_cndmask_b32_e32 v3, v3, v4, vcc
	v_add_u32_e32 v4, 1, v2
	v_cmp_le_u32_e32 vcc, s25, v3
	s_nop 1
	v_cndmask_b32_e32 v2, v2, v4, vcc
	v_xor_b32_e32 v2, s23, v2
	v_subrev_u32_e32 v2, s23, v2
	v_add_u32_e32 v3, s36, v2
	v_sub_u32_e32 v5, 0, v3
	v_ashrrev_i32_e32 v4, 31, v3
	v_max_i32_e32 v3, v3, v5
	v_mul_hi_u32 v5, v3, v77
	v_mul_lo_u32 v5, v5, s19
	v_sub_u32_e32 v3, v3, v5
	v_subrev_u32_e32 v5, s19, v3
	v_cmp_le_u32_e32 vcc, s19, v3
	v_cmp_lt_i32_e64 s[0:1], s18, v2
	s_nop 0
	v_cndmask_b32_e32 v3, v3, v5, vcc
	v_subrev_u32_e32 v5, s19, v3
	v_cmp_le_u32_e32 vcc, s19, v3
	s_nop 1
	v_cndmask_b32_e32 v3, v3, v5, vcc
	v_xor_b32_e32 v3, v3, v4
	v_sub_u32_e32 v3, v3, v4
	v_cmp_eq_u32_e32 vcc, 0, v3
	s_or_b64 s[0:1], vcc, s[0:1]
	s_and_saveexec_b64 s[8:9], s[0:1]
	s_cbranch_execz .LBB201_49
; %bb.51:                               ;   in Loop: Header=BB201_50 Depth=1
	global_load_dword v2, v[20:21], off
	s_load_dword s12, s[14:15], 0x0
	v_add_u32_e32 v79, v76, v70
	v_cmp_eq_u32_e32 vcc, s22, v1
	v_add_u32_e32 v80, 1, v79
	v_add_u32_e32 v64, 2, v79
	;; [unrolled: 1-line block ×3, first 2 shown]
	s_waitcnt vmcnt(0)
	v_mad_i64_i32 v[34:35], s[0:1], v2, s21, v[18:19]
	global_load_dword v22, v[34:35], off
	ds_read_b128 v[2:5], v78
	s_waitcnt vmcnt(0)
	v_and_b32_e32 v23, 0xffff, v22
	v_lshrrev_b32_e32 v24, 16, v22
	v_cvt_pk_f32_fp8_e32 v[22:23], v23
	v_cvt_pk_f32_fp8_e32 v[26:27], v24
	s_waitcnt lgkmcnt(0)
	v_pk_mul_f32 v[24:25], v[22:23], s[12:13] op_sel_hi:[1,0]
	v_pk_mul_f32 v[22:23], s[12:13], v[26:27] op_sel_hi:[0,1]
	s_and_saveexec_b64 s[16:17], vcc
; %bb.52:                               ;   in Loop: Header=BB201_50 Depth=1
	v_cmp_gt_i32_e64 s[0:1], s33, v79
	s_nop 1
	v_cndmask_b32_e64 v24, 0, v24, s[0:1]
	v_cmp_gt_i32_e64 s[0:1], s33, v80
	s_nop 1
	v_cndmask_b32_e64 v25, 0, v25, s[0:1]
	;; [unrolled: 3-line block ×4, first 2 shown]
; %bb.53:                               ;   in Loop: Header=BB201_50 Depth=1
	s_or_b64 exec, exec, s[16:17]
	global_load_dword v26, v[34:35], off offset:256
	s_mov_b32 s13, s12
	s_waitcnt vmcnt(0)
	v_and_b32_e32 v27, 0xffff, v26
	v_lshrrev_b32_e32 v28, 16, v26
	v_cvt_pk_f32_fp8_e32 v[26:27], v27
	v_cvt_pk_f32_fp8_e32 v[30:31], v28
	v_pk_mul_f32 v[28:29], s[12:13], v[26:27]
	v_pk_mul_f32 v[26:27], s[12:13], v[30:31]
	s_and_saveexec_b64 s[16:17], vcc
; %bb.54:                               ;   in Loop: Header=BB201_50 Depth=1
	v_cmp_gt_i32_e64 s[0:1], s33, v79
	s_nop 1
	v_cndmask_b32_e64 v28, 0, v28, s[0:1]
	v_cmp_gt_i32_e64 s[0:1], s33, v80
	s_nop 1
	v_cndmask_b32_e64 v29, 0, v29, s[0:1]
	v_cmp_gt_i32_e64 s[0:1], s33, v64
	s_nop 1
	v_cndmask_b32_e64 v26, 0, v26, s[0:1]
	v_cmp_gt_i32_e64 s[0:1], s33, v65
	s_nop 1
	v_cndmask_b32_e64 v27, 0, v27, s[0:1]
; %bb.55:                               ;   in Loop: Header=BB201_50 Depth=1
	s_or_b64 exec, exec, s[16:17]
	global_load_dword v30, v[34:35], off offset:512
	s_waitcnt vmcnt(0)
	v_and_b32_e32 v31, 0xffff, v30
	v_lshrrev_b32_e32 v32, 16, v30
	v_cvt_pk_f32_fp8_e32 v[30:31], v31
	v_cvt_pk_f32_fp8_e32 v[36:37], v32
	v_pk_mul_f32 v[32:33], s[12:13], v[30:31]
	v_pk_mul_f32 v[30:31], s[12:13], v[36:37]
	s_and_saveexec_b64 s[16:17], vcc
; %bb.56:                               ;   in Loop: Header=BB201_50 Depth=1
	v_cmp_gt_i32_e64 s[0:1], s33, v79
	s_nop 1
	v_cndmask_b32_e64 v32, 0, v32, s[0:1]
	v_cmp_gt_i32_e64 s[0:1], s33, v80
	s_nop 1
	v_cndmask_b32_e64 v33, 0, v33, s[0:1]
	v_cmp_gt_i32_e64 s[0:1], s33, v64
	s_nop 1
	v_cndmask_b32_e64 v30, 0, v30, s[0:1]
	v_cmp_gt_i32_e64 s[0:1], s33, v65
	s_nop 1
	v_cndmask_b32_e64 v31, 0, v31, s[0:1]
; %bb.57:                               ;   in Loop: Header=BB201_50 Depth=1
	s_or_b64 exec, exec, s[16:17]
	global_load_dword v36, v[34:35], off offset:768
	;; [unrolled: 24-line block ×10, first 2 shown]
	s_waitcnt vmcnt(0)
	v_and_b32_e32 v35, 0xffff, v34
	v_lshrrev_b32_e32 v64, 16, v34
	v_cvt_pk_f32_fp8_e32 v[34:35], v35
	v_cvt_pk_f32_fp8_e32 v[82:83], v64
	v_pk_mul_f32 v[64:65], s[12:13], v[34:35]
	v_pk_mul_f32 v[34:35], s[12:13], v[82:83]
	s_and_saveexec_b64 s[0:1], vcc
	s_cbranch_execz .LBB201_48
; %bb.74:                               ;   in Loop: Header=BB201_50 Depth=1
	v_cmp_gt_i32_e32 vcc, s34, v80
	v_or_b32_e32 v80, 3, v79
	s_nop 0
	v_cndmask_b32_e32 v65, 0, v65, vcc
	v_cmp_gt_i32_e32 vcc, s33, v79
	v_or_b32_e32 v79, 2, v79
	s_nop 0
	v_cndmask_b32_e32 v64, 0, v64, vcc
	v_cmp_gt_i32_e32 vcc, s34, v80
	s_nop 1
	v_cndmask_b32_e32 v35, 0, v35, vcc
	v_cmp_gt_i32_e32 vcc, s33, v79
	s_nop 1
	v_cndmask_b32_e32 v34, 0, v34, vcc
	s_branch .LBB201_48
.LBB201_75:
	s_or_b64 exec, exec, s[6:7]
.LBB201_76:
	s_or_b64 exec, exec, s[2:3]
	ds_bpermute_b32 v2, v72, v14
	ds_bpermute_b32 v3, v72, v15
	;; [unrolled: 1-line block ×6, first 2 shown]
	s_waitcnt lgkmcnt(4)
	v_pk_add_f32 v[2:3], v[14:15], v[2:3]
	ds_bpermute_b32 v14, v73, v2
	ds_bpermute_b32 v15, v73, v3
	s_waitcnt lgkmcnt(4)
	v_pk_add_f32 v[12:13], v[12:13], v[18:19]
	ds_bpermute_b32 v20, v72, v8
	ds_bpermute_b32 v21, v72, v9
	;; [unrolled: 1-line block ×3, first 2 shown]
	s_waitcnt lgkmcnt(3)
	v_pk_add_f32 v[2:3], v[2:3], v[14:15]
	ds_bpermute_b32 v14, v74, v2
	ds_bpermute_b32 v15, v74, v3
	;; [unrolled: 1-line block ×5, first 2 shown]
	v_pk_add_f32 v[4:5], v[16:17], v[4:5]
	s_waitcnt lgkmcnt(3)
	v_pk_add_f32 v[2:3], v[2:3], v[14:15]
	ds_bpermute_b32 v14, v72, v10
	ds_bpermute_b32 v15, v72, v11
	v_pk_add_f32 v[8:9], v[8:9], v[20:21]
	ds_bpermute_b32 v16, v73, v4
	ds_bpermute_b32 v17, v73, v5
	s_waitcnt lgkmcnt(6)
	v_pk_add_f32 v[12:13], v[12:13], v[18:19]
	s_waitcnt lgkmcnt(2)
	v_pk_add_f32 v[10:11], v[10:11], v[14:15]
	ds_bpermute_b32 v14, v73, v10
	ds_bpermute_b32 v15, v73, v11
	v_pk_add_f32 v[22:23], v[6:7], v[22:23]
	ds_bpermute_b32 v18, v74, v12
	ds_bpermute_b32 v19, v74, v13
	;; [unrolled: 1-line block ×3, first 2 shown]
	s_waitcnt lgkmcnt(3)
	v_pk_add_f32 v[14:15], v[10:11], v[14:15]
	ds_bpermute_b32 v10, v73, v8
	ds_bpermute_b32 v11, v73, v9
	;; [unrolled: 1-line block ×5, first 2 shown]
	v_pk_add_f32 v[4:5], v[4:5], v[16:17]
	s_waitcnt lgkmcnt(3)
	v_pk_add_f32 v[24:25], v[8:9], v[10:11]
	ds_bpermute_b32 v16, v74, v4
	ds_bpermute_b32 v17, v74, v5
	;; [unrolled: 1-line block ×4, first 2 shown]
	v_pk_add_f32 v[8:9], v[12:13], v[18:19]
	s_waitcnt lgkmcnt(6)
	v_pk_add_f32 v[12:13], v[22:23], v[28:29]
	s_waitcnt lgkmcnt(4)
	v_pk_add_f32 v[6:7], v[14:15], v[20:21]
	ds_bpermute_b32 v14, v74, v12
	ds_bpermute_b32 v15, v74, v13
	v_and_b32_e32 v1, 0x3c7, v0
	s_waitcnt lgkmcnt(4)
	v_pk_add_f32 v[10:11], v[4:5], v[16:17]
	s_waitcnt lgkmcnt(2)
	v_pk_add_f32 v[4:5], v[24:25], v[26:27]
	v_cmp_ne_u32_e32 vcc, 64, v1
	s_waitcnt lgkmcnt(0)
	s_barrier
	s_and_saveexec_b64 s[0:1], vcc
	s_xor_b64 s[0:1], exec, s[0:1]
; %bb.77:
                                        ; implicit-def: $vgpr71
; %bb.78:
	s_or_saveexec_b64 s[0:1], s[0:1]
	v_pk_add_f32 v[12:13], v[12:13], v[14:15]
	s_xor_b64 exec, exec, s[0:1]
	s_cbranch_execz .LBB201_80
; %bb.79:
	v_lshrrev_b32_e32 v14, 1, v71
	v_add_u32_e32 v14, 0x190, v14
	ds_write2_b32 v14, v2, v3 offset1:8
	ds_write2_b32 v14, v10, v11 offset0:16 offset1:24
	ds_write2_b32 v14, v8, v9 offset0:32 offset1:40
	;; [unrolled: 1-line block ×5, first 2 shown]
.LBB201_80:
	s_or_b64 exec, exec, s[0:1]
	v_cmp_gt_u32_e32 vcc, 64, v0
	v_lshrrev_b32_e32 v0, 3, v0
	s_waitcnt lgkmcnt(0)
	s_barrier
	s_and_saveexec_b64 s[0:1], vcc
	s_cbranch_execz .LBB201_95
; %bb.81:
	v_mov_b32_e32 v14, 0x190
	v_cmp_eq_u32_e32 vcc, 0, v75
	v_lshl_add_u32 v14, v0, 2, v14
	s_and_saveexec_b64 s[2:3], vcc
	s_cbranch_execnz .LBB201_98
; %bb.82:
	s_or_b64 exec, exec, s[2:3]
	s_and_saveexec_b64 s[2:3], vcc
	s_cbranch_execnz .LBB201_99
.LBB201_83:
	s_or_b64 exec, exec, s[2:3]
	s_and_saveexec_b64 s[2:3], vcc
	s_cbranch_execnz .LBB201_100
.LBB201_84:
	s_or_b64 exec, exec, s[2:3]
	s_and_saveexec_b64 s[2:3], vcc
	s_cbranch_execnz .LBB201_101
.LBB201_85:
	s_or_b64 exec, exec, s[2:3]
	s_and_saveexec_b64 s[2:3], vcc
	s_cbranch_execnz .LBB201_102
.LBB201_86:
	s_or_b64 exec, exec, s[2:3]
	s_and_saveexec_b64 s[2:3], vcc
	s_cbranch_execnz .LBB201_103
.LBB201_87:
	s_or_b64 exec, exec, s[2:3]
	s_and_saveexec_b64 s[2:3], vcc
	s_cbranch_execnz .LBB201_104
.LBB201_88:
	s_or_b64 exec, exec, s[2:3]
	s_and_saveexec_b64 s[2:3], vcc
	s_cbranch_execnz .LBB201_105
.LBB201_89:
	s_or_b64 exec, exec, s[2:3]
	s_and_saveexec_b64 s[2:3], vcc
	s_cbranch_execnz .LBB201_106
.LBB201_90:
	s_or_b64 exec, exec, s[2:3]
	s_and_saveexec_b64 s[2:3], vcc
	s_cbranch_execnz .LBB201_107
.LBB201_91:
	s_or_b64 exec, exec, s[2:3]
	s_and_saveexec_b64 s[2:3], vcc
	s_cbranch_execnz .LBB201_108
.LBB201_92:
	s_or_b64 exec, exec, s[2:3]
	s_and_saveexec_b64 s[2:3], vcc
	s_cbranch_execz .LBB201_94
.LBB201_93:
	ds_read_b32 v14, v14 offset:352
	s_waitcnt lgkmcnt(0)
	v_add_f32_e32 v13, v13, v14
.LBB201_94:
	s_or_b64 exec, exec, s[2:3]
.LBB201_95:
	s_or_b64 exec, exec, s[0:1]
	v_cmp_eq_u32_e32 vcc, 0, v1
	s_barrier
	s_and_saveexec_b64 s[0:1], vcc
	s_cbranch_execz .LBB201_97
; %bb.96:
	s_mul_i32 s0, s10, s11
	s_mul_i32 s0, s0, s5
	s_mulk_i32 s0, 0x60
	s_ashr_i32 s1, s0, 31
	s_lshl_b64 s[0:1], s[0:1], 2
	s_add_u32 s2, s26, s0
	s_mul_i32 s0, s11, s24
	s_addc_u32 s3, s27, s1
	s_ashr_i32 s1, s0, 31
	s_lshl_b64 s[0:1], s[0:1], 2
	s_add_u32 s2, s2, s0
	s_mul_i32 s0, s4, 0x60
	s_addc_u32 s3, s3, s1
	s_ashr_i32 s1, s0, 31
	s_lshl_b64 s[0:1], s[0:1], 2
	s_add_u32 s0, s2, s0
	s_addc_u32 s1, s3, s1
	v_lshlrev_b32_e32 v0, 2, v0
	global_store_dword v0, v2, s[0:1]
	global_store_dword v0, v3, s[0:1] offset:32
	global_store_dword v0, v10, s[0:1] offset:64
	;; [unrolled: 1-line block ×11, first 2 shown]
.LBB201_97:
	s_endpgm
.LBB201_98:
	ds_read_b32 v15, v14
	s_waitcnt lgkmcnt(0)
	v_add_f32_e32 v2, v2, v15
	s_or_b64 exec, exec, s[2:3]
	s_and_saveexec_b64 s[2:3], vcc
	s_cbranch_execz .LBB201_83
.LBB201_99:
	ds_read_b32 v15, v14 offset:32
	s_waitcnt lgkmcnt(0)
	v_add_f32_e32 v3, v3, v15
	s_or_b64 exec, exec, s[2:3]
	s_and_saveexec_b64 s[2:3], vcc
	s_cbranch_execz .LBB201_84
.LBB201_100:
	ds_read_b32 v15, v14 offset:64
	s_waitcnt lgkmcnt(0)
	v_add_f32_e32 v10, v10, v15
	s_or_b64 exec, exec, s[2:3]
	s_and_saveexec_b64 s[2:3], vcc
	s_cbranch_execz .LBB201_85
.LBB201_101:
	ds_read_b32 v15, v14 offset:96
	s_waitcnt lgkmcnt(0)
	v_add_f32_e32 v11, v11, v15
	s_or_b64 exec, exec, s[2:3]
	s_and_saveexec_b64 s[2:3], vcc
	s_cbranch_execz .LBB201_86
.LBB201_102:
	ds_read_b32 v15, v14 offset:128
	s_waitcnt lgkmcnt(0)
	v_add_f32_e32 v8, v8, v15
	s_or_b64 exec, exec, s[2:3]
	s_and_saveexec_b64 s[2:3], vcc
	s_cbranch_execz .LBB201_87
.LBB201_103:
	ds_read_b32 v15, v14 offset:160
	s_waitcnt lgkmcnt(0)
	v_add_f32_e32 v9, v9, v15
	s_or_b64 exec, exec, s[2:3]
	s_and_saveexec_b64 s[2:3], vcc
	s_cbranch_execz .LBB201_88
.LBB201_104:
	ds_read_b32 v15, v14 offset:192
	s_waitcnt lgkmcnt(0)
	v_add_f32_e32 v6, v6, v15
	s_or_b64 exec, exec, s[2:3]
	s_and_saveexec_b64 s[2:3], vcc
	s_cbranch_execz .LBB201_89
.LBB201_105:
	ds_read_b32 v15, v14 offset:224
	s_waitcnt lgkmcnt(0)
	v_add_f32_e32 v7, v7, v15
	s_or_b64 exec, exec, s[2:3]
	s_and_saveexec_b64 s[2:3], vcc
	s_cbranch_execz .LBB201_90
.LBB201_106:
	ds_read_b32 v15, v14 offset:256
	s_waitcnt lgkmcnt(0)
	v_add_f32_e32 v4, v4, v15
	s_or_b64 exec, exec, s[2:3]
	s_and_saveexec_b64 s[2:3], vcc
	s_cbranch_execz .LBB201_91
.LBB201_107:
	ds_read_b32 v15, v14 offset:288
	s_waitcnt lgkmcnt(0)
	v_add_f32_e32 v5, v5, v15
	s_or_b64 exec, exec, s[2:3]
	s_and_saveexec_b64 s[2:3], vcc
	s_cbranch_execz .LBB201_92
.LBB201_108:
	ds_read_b32 v15, v14 offset:320
	s_waitcnt lgkmcnt(0)
	v_add_f32_e32 v12, v12, v15
	s_or_b64 exec, exec, s[2:3]
	s_and_saveexec_b64 s[2:3], vcc
	s_cbranch_execnz .LBB201_93
	s_branch .LBB201_94
	.section	.rodata,"a",@progbits
	.p2align	6, 0x0
	.amdhsa_kernel _ZN4vllm25paged_attention_v1_kernelIfhLi96ELi32ELi128ELNS_18Fp8KVCacheDataTypeE1ELb1EEEvPT_PKS2_PKT0_S8_ifPKiSA_iPKfiiiSC_SC_iiiii
		.amdhsa_group_segment_fixed_size 400
		.amdhsa_private_segment_fixed_size 0
		.amdhsa_kernarg_size 384
		.amdhsa_user_sgpr_count 2
		.amdhsa_user_sgpr_dispatch_ptr 0
		.amdhsa_user_sgpr_queue_ptr 0
		.amdhsa_user_sgpr_kernarg_segment_ptr 1
		.amdhsa_user_sgpr_dispatch_id 0
		.amdhsa_user_sgpr_kernarg_preload_length 0
		.amdhsa_user_sgpr_kernarg_preload_offset 0
		.amdhsa_user_sgpr_private_segment_size 0
		.amdhsa_uses_dynamic_stack 0
		.amdhsa_enable_private_segment 0
		.amdhsa_system_sgpr_workgroup_id_x 1
		.amdhsa_system_sgpr_workgroup_id_y 1
		.amdhsa_system_sgpr_workgroup_id_z 1
		.amdhsa_system_sgpr_workgroup_info 0
		.amdhsa_system_vgpr_workitem_id 0
		.amdhsa_next_free_vgpr 107
		.amdhsa_next_free_sgpr 49
		.amdhsa_accum_offset 108
		.amdhsa_reserve_vcc 1
		.amdhsa_float_round_mode_32 0
		.amdhsa_float_round_mode_16_64 0
		.amdhsa_float_denorm_mode_32 3
		.amdhsa_float_denorm_mode_16_64 3
		.amdhsa_dx10_clamp 1
		.amdhsa_ieee_mode 1
		.amdhsa_fp16_overflow 0
		.amdhsa_tg_split 0
		.amdhsa_exception_fp_ieee_invalid_op 0
		.amdhsa_exception_fp_denorm_src 0
		.amdhsa_exception_fp_ieee_div_zero 0
		.amdhsa_exception_fp_ieee_overflow 0
		.amdhsa_exception_fp_ieee_underflow 0
		.amdhsa_exception_fp_ieee_inexact 0
		.amdhsa_exception_int_div_zero 0
	.end_amdhsa_kernel
	.section	.text._ZN4vllm25paged_attention_v1_kernelIfhLi96ELi32ELi128ELNS_18Fp8KVCacheDataTypeE1ELb1EEEvPT_PKS2_PKT0_S8_ifPKiSA_iPKfiiiSC_SC_iiiii,"axG",@progbits,_ZN4vllm25paged_attention_v1_kernelIfhLi96ELi32ELi128ELNS_18Fp8KVCacheDataTypeE1ELb1EEEvPT_PKS2_PKT0_S8_ifPKiSA_iPKfiiiSC_SC_iiiii,comdat
.Lfunc_end201:
	.size	_ZN4vllm25paged_attention_v1_kernelIfhLi96ELi32ELi128ELNS_18Fp8KVCacheDataTypeE1ELb1EEEvPT_PKS2_PKT0_S8_ifPKiSA_iPKfiiiSC_SC_iiiii, .Lfunc_end201-_ZN4vllm25paged_attention_v1_kernelIfhLi96ELi32ELi128ELNS_18Fp8KVCacheDataTypeE1ELb1EEEvPT_PKS2_PKT0_S8_ifPKiSA_iPKfiiiSC_SC_iiiii
                                        ; -- End function
	.set _ZN4vllm25paged_attention_v1_kernelIfhLi96ELi32ELi128ELNS_18Fp8KVCacheDataTypeE1ELb1EEEvPT_PKS2_PKT0_S8_ifPKiSA_iPKfiiiSC_SC_iiiii.num_vgpr, 107
	.set _ZN4vllm25paged_attention_v1_kernelIfhLi96ELi32ELi128ELNS_18Fp8KVCacheDataTypeE1ELb1EEEvPT_PKS2_PKT0_S8_ifPKiSA_iPKfiiiSC_SC_iiiii.num_agpr, 0
	.set _ZN4vllm25paged_attention_v1_kernelIfhLi96ELi32ELi128ELNS_18Fp8KVCacheDataTypeE1ELb1EEEvPT_PKS2_PKT0_S8_ifPKiSA_iPKfiiiSC_SC_iiiii.numbered_sgpr, 49
	.set _ZN4vllm25paged_attention_v1_kernelIfhLi96ELi32ELi128ELNS_18Fp8KVCacheDataTypeE1ELb1EEEvPT_PKS2_PKT0_S8_ifPKiSA_iPKfiiiSC_SC_iiiii.num_named_barrier, 0
	.set _ZN4vllm25paged_attention_v1_kernelIfhLi96ELi32ELi128ELNS_18Fp8KVCacheDataTypeE1ELb1EEEvPT_PKS2_PKT0_S8_ifPKiSA_iPKfiiiSC_SC_iiiii.private_seg_size, 0
	.set _ZN4vllm25paged_attention_v1_kernelIfhLi96ELi32ELi128ELNS_18Fp8KVCacheDataTypeE1ELb1EEEvPT_PKS2_PKT0_S8_ifPKiSA_iPKfiiiSC_SC_iiiii.uses_vcc, 1
	.set _ZN4vllm25paged_attention_v1_kernelIfhLi96ELi32ELi128ELNS_18Fp8KVCacheDataTypeE1ELb1EEEvPT_PKS2_PKT0_S8_ifPKiSA_iPKfiiiSC_SC_iiiii.uses_flat_scratch, 0
	.set _ZN4vllm25paged_attention_v1_kernelIfhLi96ELi32ELi128ELNS_18Fp8KVCacheDataTypeE1ELb1EEEvPT_PKS2_PKT0_S8_ifPKiSA_iPKfiiiSC_SC_iiiii.has_dyn_sized_stack, 0
	.set _ZN4vllm25paged_attention_v1_kernelIfhLi96ELi32ELi128ELNS_18Fp8KVCacheDataTypeE1ELb1EEEvPT_PKS2_PKT0_S8_ifPKiSA_iPKfiiiSC_SC_iiiii.has_recursion, 0
	.set _ZN4vllm25paged_attention_v1_kernelIfhLi96ELi32ELi128ELNS_18Fp8KVCacheDataTypeE1ELb1EEEvPT_PKS2_PKT0_S8_ifPKiSA_iPKfiiiSC_SC_iiiii.has_indirect_call, 0
	.section	.AMDGPU.csdata,"",@progbits
; Kernel info:
; codeLenInByte = 7396
; TotalNumSgprs: 55
; NumVgprs: 107
; NumAgprs: 0
; TotalNumVgprs: 107
; ScratchSize: 0
; MemoryBound: 0
; FloatMode: 240
; IeeeMode: 1
; LDSByteSize: 400 bytes/workgroup (compile time only)
; SGPRBlocks: 6
; VGPRBlocks: 13
; NumSGPRsForWavesPerEU: 55
; NumVGPRsForWavesPerEU: 107
; AccumOffset: 108
; Occupancy: 4
; WaveLimiterHint : 1
; COMPUTE_PGM_RSRC2:SCRATCH_EN: 0
; COMPUTE_PGM_RSRC2:USER_SGPR: 2
; COMPUTE_PGM_RSRC2:TRAP_HANDLER: 0
; COMPUTE_PGM_RSRC2:TGID_X_EN: 1
; COMPUTE_PGM_RSRC2:TGID_Y_EN: 1
; COMPUTE_PGM_RSRC2:TGID_Z_EN: 1
; COMPUTE_PGM_RSRC2:TIDIG_COMP_CNT: 0
; COMPUTE_PGM_RSRC3_GFX90A:ACCUM_OFFSET: 26
; COMPUTE_PGM_RSRC3_GFX90A:TG_SPLIT: 0
	.section	.text._ZN4vllm25paged_attention_v1_kernelIfhLi112ELi32ELi128ELNS_18Fp8KVCacheDataTypeE1ELb1EEEvPT_PKS2_PKT0_S8_ifPKiSA_iPKfiiiSC_SC_iiiii,"axG",@progbits,_ZN4vllm25paged_attention_v1_kernelIfhLi112ELi32ELi128ELNS_18Fp8KVCacheDataTypeE1ELb1EEEvPT_PKS2_PKT0_S8_ifPKiSA_iPKfiiiSC_SC_iiiii,comdat
	.protected	_ZN4vllm25paged_attention_v1_kernelIfhLi112ELi32ELi128ELNS_18Fp8KVCacheDataTypeE1ELb1EEEvPT_PKS2_PKT0_S8_ifPKiSA_iPKfiiiSC_SC_iiiii ; -- Begin function _ZN4vllm25paged_attention_v1_kernelIfhLi112ELi32ELi128ELNS_18Fp8KVCacheDataTypeE1ELb1EEEvPT_PKS2_PKT0_S8_ifPKiSA_iPKfiiiSC_SC_iiiii
	.globl	_ZN4vllm25paged_attention_v1_kernelIfhLi112ELi32ELi128ELNS_18Fp8KVCacheDataTypeE1ELb1EEEvPT_PKS2_PKT0_S8_ifPKiSA_iPKfiiiSC_SC_iiiii
	.p2align	8
	.type	_ZN4vllm25paged_attention_v1_kernelIfhLi112ELi32ELi128ELNS_18Fp8KVCacheDataTypeE1ELb1EEEvPT_PKS2_PKT0_S8_ifPKiSA_iPKfiiiSC_SC_iiiii,@function
_ZN4vllm25paged_attention_v1_kernelIfhLi112ELi32ELi128ELNS_18Fp8KVCacheDataTypeE1ELb1EEEvPT_PKS2_PKT0_S8_ifPKiSA_iPKfiiiSC_SC_iiiii: ; @_ZN4vllm25paged_attention_v1_kernelIfhLi112ELi32ELi128ELNS_18Fp8KVCacheDataTypeE1ELb1EEEvPT_PKS2_PKT0_S8_ifPKiSA_iPKfiiiSC_SC_iiiii
; %bb.0:
	s_load_dword s5, s[0:1], 0x80
	s_load_dwordx2 s[6:7], s[0:1], 0x30
	s_load_dwordx2 s[36:37], s[0:1], 0x20
	s_mov_b32 s10, s3
	s_ashr_i32 s11, s3, 31
	s_lshl_b64 s[8:9], s[10:11], 2
	s_waitcnt lgkmcnt(0)
	s_add_u32 s6, s6, s8
	s_addc_u32 s7, s7, s9
	s_abs_i32 s3, s36
	v_cvt_f32_u32_e32 v1, s3
	s_sub_i32 s11, 0, s3
	s_abs_i32 s9, s5
	s_xor_b32 s8, s5, s36
	v_rcp_iflag_f32_e32 v1, v1
	s_ashr_i32 s8, s8, 31
	s_mov_b32 s45, 0
	v_mul_f32_e32 v1, 0x4f7ffffe, v1
	v_cvt_u32_f32_e32 v1, v1
	s_nop 0
	v_readfirstlane_b32 s12, v1
	s_mul_i32 s11, s11, s12
	s_mul_hi_u32 s11, s12, s11
	s_add_i32 s12, s12, s11
	s_mul_hi_u32 s11, s9, s12
	s_mul_i32 s12, s11, s3
	s_sub_i32 s9, s9, s12
	s_add_i32 s12, s11, 1
	s_sub_i32 s13, s9, s3
	s_cmp_ge_u32 s9, s3
	s_cselect_b32 s11, s12, s11
	s_cselect_b32 s9, s13, s9
	s_add_i32 s12, s11, 1
	s_cmp_ge_u32 s9, s3
	s_cselect_b32 s3, s12, s11
	s_xor_b32 s3, s3, s8
	s_sub_i32 s14, s3, s8
	s_abs_i32 s11, s14
	v_cvt_f32_u32_e32 v1, s11
	s_load_dwordx2 s[8:9], s[0:1], 0x40
	s_sub_i32 s3, 0, s11
	s_abs_i32 s12, s2
	v_rcp_iflag_f32_e32 v1, v1
	s_nop 0
	v_mul_f32_e32 v1, 0x4f7ffffe, v1
	v_cvt_u32_f32_e32 v1, v1
	s_nop 0
	v_readfirstlane_b32 s13, v1
	s_mul_i32 s3, s3, s13
	s_mul_hi_u32 s3, s13, s3
	s_add_i32 s13, s13, s3
	s_waitcnt lgkmcnt(0)
	s_cmp_eq_u64 s[8:9], 0
	s_mul_hi_u32 s13, s12, s13
	s_cbranch_scc1 .LBB202_2
; %bb.1:
	s_ashr_i32 s3, s2, 31
	s_lshl_b64 s[16:17], s[2:3], 2
	s_add_u32 s8, s8, s16
	s_addc_u32 s9, s9, s17
	s_load_dword s45, s[8:9], 0x0
.LBB202_2:
	s_load_dword s33, s[6:7], 0x0
	s_load_dwordx4 s[16:19], s[0:1], 0x48
	s_ashr_i32 s8, s2, 31
	s_ashr_i32 s9, s14, 31
	v_and_b32_e32 v2, 1, v0
	s_mul_i32 s24, s2, 0x70
	v_cmp_gt_u32_e32 vcc, 56, v0
	v_lshlrev_b32_e32 v54, 2, v0
	s_and_saveexec_b64 s[6:7], vcc
	s_cbranch_execz .LBB202_4
; %bb.3:
	s_load_dwordx2 s[14:15], s[0:1], 0x8
	s_waitcnt lgkmcnt(0)
	s_mul_i32 s20, s16, s10
	s_ashr_i32 s21, s20, 31
	s_lshl_b64 s[20:21], s[20:21], 2
	v_lshlrev_b32_e32 v1, 3, v0
	s_add_u32 s3, s14, s20
	s_addc_u32 s16, s15, s21
	s_ashr_i32 s25, s24, 31
	s_lshl_b64 s[14:15], s[24:25], 2
	s_add_u32 s14, s3, s14
	s_addc_u32 s15, s16, s15
	global_load_dwordx2 v[4:5], v1, s[14:15]
	v_and_b32_e32 v1, 0xff8, v54
	s_movk_i32 s3, 0xe0
	v_mad_u32_u24 v1, v2, s3, v1
	s_waitcnt vmcnt(0)
	ds_write_b64 v1, v[4:5]
.LBB202_4:
	s_or_b64 exec, exec, s[6:7]
	s_mul_i32 s7, s13, s11
	s_sub_i32 s7, s12, s7
	s_xor_b32 s6, s8, s9
	s_add_i32 s8, s13, 1
	s_sub_i32 s9, s7, s11
	s_load_dwordx4 s[20:23], s[0:1], 0x68
	s_load_dword s3, s[0:1], 0x78
	s_cmp_ge_u32 s7, s11
	s_cselect_b32 s8, s8, s13
	s_cselect_b32 s7, s9, s7
	s_add_i32 s9, s8, 1
	s_cmp_ge_u32 s7, s11
	s_cselect_b32 s7, s9, s8
	s_waitcnt lgkmcnt(0)
	s_abs_i32 s25, s23
	v_cvt_f32_u32_e32 v1, s25
	s_xor_b32 s7, s7, s6
	s_sub_i32 s44, s7, s6
	s_sub_i32 s6, 0, s25
	v_rcp_iflag_f32_e32 v1, v1
	s_add_i32 s11, s33, -1
	s_abs_i32 s8, s11
	v_mul_f32_e32 v1, 0x4f7ffffe, v1
	v_cvt_u32_f32_e32 v1, v1
	s_barrier
	v_readfirstlane_b32 s42, v1
	s_mul_i32 s6, s6, s42
	s_mul_hi_u32 s6, s42, s6
	s_add_i32 s42, s42, s6
	s_cmp_lt_i32 s3, 0
	s_mul_hi_u32 s9, s8, s42
	s_cbranch_scc0 .LBB202_6
; %bb.5:
	s_mul_i32 s6, s20, s36
	s_add_i32 s6, s44, s6
	s_mul_i32 s6, s6, s3
	s_sub_i32 s36, 1, s6
	s_mov_b64 s[6:7], 0
	s_branch .LBB202_7
.LBB202_6:
	s_mov_b64 s[6:7], -1
                                        ; implicit-def: $sgpr36
.LBB202_7:
	s_load_dwordx2 s[28:29], s[0:1], 0x28
	s_ashr_i32 s16, s11, 31
	s_andn2_b64 vcc, exec, s[6:7]
	s_ashr_i32 s23, s23, 31
	s_cbranch_vccnz .LBB202_9
; %bb.8:
	s_mul_i32 s6, s5, s20
	s_add_i32 s2, s6, s2
	s_mul_i32 s2, s2, s3
	s_add_i32 s36, s2, 1
.LBB202_9:
	s_load_dword s2, s[0:1], 0x38
	s_load_dwordx2 s[26:27], s[0:1], 0x0
	s_load_dwordx2 s[34:35], s[0:1], 0x18
	s_load_dword s11, s[0:1], 0x88
	s_load_dwordx4 s[12:15], s[0:1], 0x58
	s_mul_i32 s3, s9, s25
	s_waitcnt lgkmcnt(0)
	s_mul_i32 s30, s2, s10
	s_sub_i32 s3, s8, s3
	s_ashr_i32 s31, s30, 31
	s_xor_b32 s2, s16, s23
	s_add_i32 s6, s9, 1
	s_sub_i32 s7, s3, s25
	s_cmp_ge_u32 s3, s25
	s_cselect_b32 s6, s6, s9
	s_cselect_b32 s3, s7, s3
	s_add_i32 s7, s6, 1
	s_cmp_ge_u32 s3, s25
	s_cselect_b32 s3, s7, s6
	s_xor_b32 s3, s3, s2
	s_sub_i32 s43, s3, s2
	s_add_i32 s2, s33, 31
	s_ashr_i32 s3, s2, 31
	s_lshr_b32 s3, s3, 27
	s_add_i32 s2, s2, s3
	s_ashr_i32 s20, s2, 5
	v_lshrrev_b32_e32 v1, 6, v0
	v_cmp_gt_i32_e64 s[6:7], s20, v1
	v_mov_b32_e32 v59, 0xff7fffff
	s_mul_i32 s44, s44, s18
	v_lshrrev_b32_e32 v55, 4, v0
	v_lshlrev_b32_e32 v80, 5, v1
	v_mbcnt_lo_u32_b32 v56, -1, 0
	s_and_saveexec_b64 s[18:19], s[6:7]
	s_cbranch_execz .LBB202_21
; %bb.10:
	s_load_dwordx2 s[0:1], s[0:1], 0x10
	s_sub_i32 s46, s43, s21
	s_ashr_i32 s2, s44, 31
	v_bfe_u32 v57, v0, 1, 5
	v_mov_b32_e32 v5, 0
	s_waitcnt lgkmcnt(0)
	s_add_u32 s0, s0, s44
	s_addc_u32 s1, s1, s2
	s_abs_i32 s47, s22
	v_cvt_f32_u32_e32 v3, s47
	v_lshlrev_b32_e32 v4, 4, v57
	v_lshl_add_u64 v[6:7], s[0:1], 0, v[4:5]
	s_sub_i32 s0, 0, s47
	v_rcp_iflag_f32_e32 v3, v3
	v_cmp_eq_u32_e32 vcc, 0, v2
	v_mul_u32_u24_e32 v58, 0xe0, v2
	v_lshlrev_b32_e32 v4, 1, v2
	v_mul_f32_e32 v3, 0x4f7ffffe, v3
	v_cvt_u32_f32_e32 v3, v3
	v_mbcnt_hi_u32_b32 v65, -1, v56
	v_lshl_add_u64 v[50:51], v[6:7], 0, v[4:5]
	v_and_b32_e32 v4, 60, v55
	v_mul_lo_u32 v2, s0, v3
	v_mul_hi_u32 v2, v3, v2
	v_add_u32_e32 v60, v3, v2
	v_subrev_u32_e32 v2, s33, v57
	s_lshl_b64 s[0:1], s[30:31], 2
	v_add_u32_e32 v62, 1, v2
	v_lshlrev_b32_e32 v2, 2, v57
	s_add_u32 s0, s28, s0
	v_lshl_or_b32 v2, v1, 7, v2
	s_addc_u32 s1, s29, s1
	v_add_u32_e32 v63, 0x1d0, v2
	v_and_b32_e32 v2, 64, v65
	s_mov_b32 s48, s17
	v_cmp_neq_f32_e64 s[2:3], s45, 0
	v_lshl_add_u64 v[52:53], s[0:1], 0, v[4:5]
	v_lshlrev_b32_e32 v61, 5, v1
	v_mov_b32_e32 v64, 0xff7fffff
	s_mov_b64 s[38:39], 0
	v_xor_b32_e32 v66, 1, v65
	v_add_u32_e32 v67, 64, v2
	v_mov_b32_e32 v59, 0xff7fffff
	v_mov_b32_e32 v68, v1
	s_branch .LBB202_13
.LBB202_11:                             ;   in Loop: Header=BB202_13 Depth=1
	s_or_b64 exec, exec, s[40:41]
.LBB202_12:                             ;   in Loop: Header=BB202_13 Depth=1
	s_or_b64 exec, exec, s[8:9]
	v_add_u32_e32 v68, 2, v68
	v_cmp_le_i32_e64 s[0:1], s20, v68
	v_lshl_add_u64 v[52:53], v[52:53], 0, 8
	v_add_u32_e32 v61, 64, v61
	s_or_b64 s[38:39], s[0:1], s[38:39]
	v_add_u32_e32 v63, 0x100, v63
	s_andn2_b64 exec, exec, s[38:39]
	s_cbranch_execz .LBB202_20
.LBB202_13:                             ; =>This Inner Loop Header: Depth=1
	v_mul_hi_u32 v2, v61, s42
	s_waitcnt lgkmcnt(0)
	v_mul_lo_u32 v3, v2, s25
	v_sub_u32_e32 v3, v61, v3
	v_add_u32_e32 v4, 1, v2
	v_cmp_le_u32_e64 s[0:1], s25, v3
	s_nop 1
	v_cndmask_b32_e64 v2, v2, v4, s[0:1]
	v_subrev_u32_e32 v4, s25, v3
	v_cndmask_b32_e64 v3, v3, v4, s[0:1]
	v_add_u32_e32 v4, 1, v2
	v_cmp_le_u32_e64 s[0:1], s25, v3
	s_nop 1
	v_cndmask_b32_e64 v2, v2, v4, s[0:1]
	v_xor_b32_e32 v2, s23, v2
	v_subrev_u32_e32 v2, s23, v2
	v_add_u32_e32 v3, s36, v2
	v_sub_u32_e32 v5, 0, v3
	v_ashrrev_i32_e32 v4, 31, v3
	v_max_i32_e32 v3, v3, v5
	v_mul_hi_u32 v5, v3, v60
	v_mul_lo_u32 v5, v5, s47
	v_sub_u32_e32 v3, v3, v5
	v_subrev_u32_e32 v5, s47, v3
	v_cmp_le_u32_e64 s[0:1], s47, v3
	v_cmp_ge_i32_e64 s[8:9], s46, v2
	s_nop 0
	v_cndmask_b32_e64 v3, v3, v5, s[0:1]
	v_subrev_u32_e32 v5, s47, v3
	v_cmp_le_u32_e64 s[0:1], s47, v3
	s_nop 1
	v_cndmask_b32_e64 v3, v3, v5, s[0:1]
	v_xor_b32_e32 v3, v3, v4
	v_sub_u32_e32 v3, v3, v4
	v_cmp_ne_u32_e64 s[0:1], 0, v3
	s_and_b64 s[0:1], s[0:1], s[8:9]
	s_and_saveexec_b64 s[8:9], s[0:1]
	s_xor_b64 s[0:1], exec, s[8:9]
	s_cbranch_execz .LBB202_17
; %bb.14:                               ;   in Loop: Header=BB202_13 Depth=1
	s_and_saveexec_b64 s[8:9], vcc
; %bb.15:                               ;   in Loop: Header=BB202_13 Depth=1
	ds_write_b32 v63, v64
; %bb.16:                               ;   in Loop: Header=BB202_13 Depth=1
	s_or_b64 exec, exec, s[8:9]
.LBB202_17:                             ;   in Loop: Header=BB202_13 Depth=1
	s_andn2_saveexec_b64 s[8:9], s[0:1]
	s_cbranch_execz .LBB202_12
; %bb.18:                               ;   in Loop: Header=BB202_13 Depth=1
	global_load_dword v2, v[52:53], off
	s_waitcnt vmcnt(0)
	v_mad_i64_i32 v[2:3], s[0:1], v2, s48, v[50:51]
	global_load_ushort v69, v[2:3], off
	global_load_ushort v72, v[2:3], off offset:4
	global_load_ushort v74, v[2:3], off offset:8
	;; [unrolled: 1-line block ×27, first 2 shown]
	ds_read_b128 v[46:49], v58
	ds_read_b128 v[42:45], v58 offset:16
	ds_read_b128 v[38:41], v58 offset:32
	;; [unrolled: 1-line block ×3, first 2 shown]
	s_load_dword s16, s[12:13], 0x0
	ds_read_b128 v[6:9], v58 offset:64
	ds_read_b128 v[2:5], v58 offset:80
	ds_read_b128 v[14:17], v58 offset:96
	ds_read_b128 v[10:13], v58 offset:112
	ds_read_b128 v[26:29], v58 offset:128
	ds_read_b128 v[22:25], v58 offset:144
	ds_read_b128 v[34:37], v58 offset:160
	ds_read_b128 v[30:33], v58 offset:176
	v_cmp_lt_i32_e64 s[0:1], v66, v67
	s_waitcnt vmcnt(27)
	v_cvt_pk_f32_fp8_e32 v[70:71], v69
	s_waitcnt vmcnt(26)
	v_cvt_pk_f32_fp8_e32 v[72:73], v72
	s_waitcnt vmcnt(25)
	v_cvt_pk_f32_fp8_e32 v[74:75], v74
	s_waitcnt vmcnt(24)
	v_cvt_pk_f32_fp8_e32 v[76:77], v76
	s_waitcnt lgkmcnt(0)
	v_pk_mul_f32 v[70:71], v[70:71], s[16:17] op_sel_hi:[1,0]
	v_pk_mul_f32 v[72:73], s[16:17], v[72:73] op_sel_hi:[0,1]
	v_mul_f32_e32 v105, v48, v72
	v_mul_f32_e32 v106, v49, v73
	v_fmac_f32_e32 v105, v46, v70
	v_fmac_f32_e32 v106, v47, v71
	s_waitcnt vmcnt(23)
	v_cvt_pk_f32_fp8_e32 v[78:79], v78
	v_pk_mul_f32 v[74:75], s[16:17], v[74:75] op_sel_hi:[0,1]
	v_fmac_f32_e32 v105, v42, v74
	v_fmac_f32_e32 v106, v43, v75
	s_waitcnt vmcnt(22)
	v_cvt_pk_f32_fp8_e32 v[42:43], v81
	s_waitcnt vmcnt(21)
	v_cvt_pk_f32_fp8_e32 v[74:75], v82
	v_pk_mul_f32 v[76:77], s[16:17], v[76:77] op_sel_hi:[0,1]
	v_fmac_f32_e32 v105, v44, v76
	v_fmac_f32_e32 v106, v45, v77
	s_waitcnt vmcnt(20)
	v_cvt_pk_f32_fp8_e32 v[44:45], v83
	s_waitcnt vmcnt(19)
	v_cvt_pk_f32_fp8_e32 v[76:77], v84
	v_pk_mul_f32 v[78:79], s[16:17], v[78:79] op_sel_hi:[0,1]
	s_waitcnt vmcnt(18)
	v_cvt_pk_f32_fp8_e32 v[82:83], v85
	v_fmac_f32_e32 v105, v38, v78
	v_fmac_f32_e32 v106, v39, v79
	v_pk_mul_f32 v[42:43], s[16:17], v[42:43] op_sel_hi:[0,1]
	s_waitcnt vmcnt(17)
	v_cvt_pk_f32_fp8_e32 v[84:85], v86
	v_fmac_f32_e32 v105, v40, v42
	v_fmac_f32_e32 v106, v41, v43
	;; [unrolled: 5-line block ×4, first 2 shown]
	v_pk_mul_f32 v[76:77], s[16:17], v[76:77] op_sel_hi:[0,1]
	s_waitcnt vmcnt(14)
	v_cvt_pk_f32_fp8_e32 v[38:39], v90
	v_pk_mul_f32 v[82:83], s[16:17], v[82:83] op_sel_hi:[0,1]
	v_fmac_f32_e32 v105, v6, v76
	v_fmac_f32_e32 v106, v7, v77
	s_waitcnt vmcnt(13)
	v_cvt_pk_f32_fp8_e32 v[78:79], v91
	v_pk_mul_f32 v[84:85], s[16:17], v[84:85] op_sel_hi:[0,1]
	v_fmac_f32_e32 v105, v8, v82
	v_fmac_f32_e32 v106, v9, v83
	;; [unrolled: 5-line block ×12, first 2 shown]
	ds_read_b128 v[46:49], v58 offset:192
	ds_read_b128 v[70:73], v58 offset:208
	s_waitcnt vmcnt(2)
	v_cvt_pk_f32_fp8_e32 v[98:99], v102
	v_pk_mul_f32 v[18:19], s[16:17], v[18:19] op_sel_hi:[0,1]
	v_fmac_f32_e32 v105, v34, v96
	v_fmac_f32_e32 v106, v35, v97
	s_waitcnt vmcnt(1)
	v_cvt_pk_f32_fp8_e32 v[100:101], v103
	v_pk_mul_f32 v[74:75], s[16:17], v[74:75] op_sel_hi:[0,1]
	v_fmac_f32_e32 v105, v36, v18
	v_fmac_f32_e32 v106, v37, v19
	;; [unrolled: 5-line block ×3, first 2 shown]
	v_pk_mul_f32 v[44:45], s[16:17], v[44:45] op_sel_hi:[0,1]
	v_fmac_f32_e32 v105, v32, v20
	v_fmac_f32_e32 v106, v33, v21
	v_pk_mul_f32 v[98:99], s[16:17], v[98:99] op_sel_hi:[0,1]
	s_waitcnt lgkmcnt(1)
	v_fmac_f32_e32 v105, v46, v44
	v_fmac_f32_e32 v106, v47, v45
	v_pk_mul_f32 v[100:101], s[16:17], v[100:101] op_sel_hi:[0,1]
	v_fmac_f32_e32 v105, v98, v48
	v_fmac_f32_e32 v106, v99, v49
	v_pk_mul_f32 v[102:103], s[16:17], v[102:103] op_sel_hi:[0,1]
	s_waitcnt lgkmcnt(0)
	v_fmac_f32_e32 v105, v100, v70
	v_fmac_f32_e32 v106, v101, v71
	v_cndmask_b32_e64 v69, v65, v66, s[0:1]
	v_fmac_f32_e32 v105, v102, v72
	v_fmac_f32_e32 v106, v103, v73
	v_lshlrev_b32_e32 v69, 2, v69
	v_add_f32_e32 v2, v105, v106
	ds_bpermute_b32 v3, v69, v2
	s_and_saveexec_b64 s[40:41], vcc
	s_cbranch_execz .LBB202_11
; %bb.19:                               ;   in Loop: Header=BB202_13 Depth=1
	v_add_u32_e32 v4, v62, v61
	v_cvt_f32_i32_e32 v4, v4
	s_waitcnt lgkmcnt(0)
	v_add_f32_e32 v2, v2, v3
	v_add_u32_e32 v5, v57, v61
	v_cmp_gt_i32_e64 s[0:1], s33, v5
	v_mul_f32_e32 v3, s45, v4
	v_cndmask_b32_e64 v3, 0, v3, s[2:3]
	v_fmac_f32_e32 v3, s37, v2
	v_cndmask_b32_e64 v2, 0, v3, s[0:1]
	ds_write_b32 v63, v2
	v_max_f32_e32 v2, v59, v59
	v_max_f32_e32 v2, v2, v3
	v_cndmask_b32_e64 v59, v59, v2, s[0:1]
	s_branch .LBB202_11
.LBB202_20:
	s_or_b64 exec, exec, s[38:39]
.LBB202_21:
	s_or_b64 exec, exec, s[18:19]
	v_mbcnt_hi_u32_b32 v2, -1, v56
	v_and_b32_e32 v8, 64, v2
	v_add_u32_e32 v9, 64, v8
	s_waitcnt lgkmcnt(0)
	v_xor_b32_e32 v3, 32, v2
	v_cmp_lt_i32_e32 vcc, v3, v9
	v_xor_b32_e32 v6, 16, v2
	v_max_f32_e32 v5, v59, v59
	v_cndmask_b32_e32 v3, v2, v3, vcc
	v_lshlrev_b32_e32 v3, 2, v3
	ds_bpermute_b32 v4, v3, v59
	v_cmp_lt_i32_e32 vcc, v6, v9
	v_xor_b32_e32 v7, 8, v2
	v_xor_b32_e32 v10, 4, v2
	v_and_b32_e32 v81, 63, v0
	s_waitcnt lgkmcnt(0)
	v_max_f32_e32 v4, v4, v4
	v_max_f32_e32 v5, v5, v4
	v_cndmask_b32_e32 v4, v2, v6, vcc
	v_lshlrev_b32_e32 v4, 2, v4
	ds_bpermute_b32 v6, v4, v5
	v_cmp_lt_i32_e32 vcc, v7, v9
	s_waitcnt lgkmcnt(0)
	v_max_f32_e32 v6, v6, v6
	v_max_f32_e32 v6, v5, v6
	v_cndmask_b32_e32 v5, v2, v7, vcc
	v_lshlrev_b32_e32 v5, 2, v5
	ds_bpermute_b32 v7, v5, v6
	v_cmp_lt_i32_e32 vcc, v10, v9
	s_waitcnt lgkmcnt(0)
	v_max_f32_e32 v7, v7, v7
	v_max_f32_e32 v6, v6, v7
	v_cndmask_b32_e32 v7, v2, v10, vcc
	v_lshlrev_b32_e32 v82, 2, v7
	ds_bpermute_b32 v7, v82, v6
	v_xor_b32_e32 v10, 2, v2
	v_cmp_lt_i32_e32 vcc, v10, v9
	s_waitcnt lgkmcnt(0)
	v_max_f32_e32 v7, v7, v7
	v_max_f32_e32 v7, v6, v7
	v_cndmask_b32_e32 v6, v2, v10, vcc
	v_lshlrev_b32_e32 v83, 2, v6
	ds_bpermute_b32 v10, v83, v7
	v_cmp_eq_u32_e32 vcc, 0, v81
	v_lshlrev_b32_e32 v6, 2, v1
	s_and_saveexec_b64 s[0:1], vcc
	s_cbranch_execz .LBB202_23
; %bb.22:
	s_waitcnt lgkmcnt(0)
	v_max_f32_e32 v10, v10, v10
	v_max_f32_e32 v7, v7, v7
	;; [unrolled: 1-line block ×3, first 2 shown]
	ds_write_b32 v6, v7 offset:448
.LBB202_23:
	s_or_b64 exec, exec, s[0:1]
	v_cmp_gt_u32_e64 s[0:1], 2, v81
	s_waitcnt lgkmcnt(0)
	v_mov_b32_e32 v10, 0xff7fffff
	v_lshlrev_b32_e32 v7, 2, v81
	s_barrier
	s_and_saveexec_b64 s[2:3], s[0:1]
; %bb.24:
	ds_read_b32 v10, v7 offset:448
; %bb.25:
	s_or_b64 exec, exec, s[2:3]
	v_xor_b32_e32 v11, 1, v2
	v_cmp_lt_i32_e64 s[2:3], v11, v9
	v_lshlrev_b32_e32 v8, 2, v8
	s_nop 0
	v_cndmask_b32_e64 v9, v2, v11, s[2:3]
	v_lshlrev_b32_e32 v84, 2, v9
	s_waitcnt lgkmcnt(0)
	ds_bpermute_b32 v9, v84, v10
	v_max_f32_e32 v10, v10, v10
	s_lshl_b32 s2, s20, 5
	s_min_i32 s16, s2, s33
	v_cmp_gt_i32_e64 s[2:3], s16, v0
	s_waitcnt lgkmcnt(0)
	v_max_f32_e32 v9, v9, v9
	v_max_f32_e32 v9, v10, v9
	ds_bpermute_b32 v9, v8, v9
	v_mov_b32_e32 v8, 0
	s_and_saveexec_b64 s[12:13], s[2:3]
	s_cbranch_execz .LBB202_29
; %bb.26:
	v_mov_b32_e32 v8, 0x1d0
	v_lshl_add_u32 v10, v0, 2, v8
	v_mov_b32_e32 v8, 0
	s_mov_b64 s[18:19], 0
	v_mov_b32_e32 v11, v0
.LBB202_27:                             ; =>This Inner Loop Header: Depth=1
	ds_read_b32 v12, v10
	v_add_u32_e32 v11, 0x80, v11
	v_cmp_le_i32_e64 s[8:9], s16, v11
	s_or_b64 s[18:19], s[8:9], s[18:19]
	s_waitcnt lgkmcnt(0)
	v_sub_f32_e32 v12, v12, v9
	v_mul_f32_e32 v12, 0x3fb8aa3b, v12
	v_exp_f32_e32 v12, v12
	ds_write_b32 v10, v12
	v_add_f32_e32 v8, v8, v12
	v_add_u32_e32 v10, 0x200, v10
	s_andn2_b64 exec, exec, s[18:19]
	s_cbranch_execnz .LBB202_27
; %bb.28:
	s_or_b64 exec, exec, s[18:19]
.LBB202_29:
	s_or_b64 exec, exec, s[12:13]
	ds_bpermute_b32 v3, v3, v8
	s_waitcnt lgkmcnt(0)
	v_add_f32_e32 v3, v8, v3
	ds_bpermute_b32 v4, v4, v3
	s_waitcnt lgkmcnt(0)
	v_add_f32_e32 v3, v3, v4
	;; [unrolled: 3-line block ×6, first 2 shown]
	s_and_saveexec_b64 s[8:9], vcc
; %bb.30:
	ds_write_b32 v6, v3 offset:456
; %bb.31:
	s_or_b64 exec, exec, s[8:9]
	s_waitcnt lgkmcnt(0)
	s_barrier
	s_and_saveexec_b64 s[8:9], s[0:1]
; %bb.32:
	ds_read_b32 v3, v7 offset:456
; %bb.33:
	s_or_b64 exec, exec, s[8:9]
	s_waitcnt lgkmcnt(0)
	ds_bpermute_b32 v4, v84, v3
	v_lshlrev_b32_e32 v2, 2, v2
	v_and_b32_e32 v2, 0x100, v2
	s_waitcnt lgkmcnt(0)
	v_add_f32_e32 v3, v3, v4
	ds_bpermute_b32 v2, v2, v3
	s_and_saveexec_b64 s[0:1], s[2:3]
	s_cbranch_execz .LBB202_46
; %bb.34:
	s_waitcnt lgkmcnt(0)
	v_add_f32_e32 v2, 0x358637bd, v2
	v_div_scale_f32 v3, s[2:3], v2, v2, 1.0
	v_rcp_f32_e32 v4, v3
	v_div_scale_f32 v5, vcc, 1.0, v2, 1.0
	s_movk_i32 s2, 0x7f
	v_fma_f32 v6, -v3, v4, 1.0
	v_fmac_f32_e32 v4, v6, v4
	v_mul_f32_e32 v6, v5, v4
	v_fma_f32 v7, -v3, v6, v5
	v_fmac_f32_e32 v6, v7, v4
	v_fma_f32 v3, -v3, v6, v5
	v_div_fmas_f32 v3, v3, v4, v6
	v_xad_u32 v4, v0, -1, s16
	v_div_fixup_f32 v2, v3, v2, 1.0
	v_cmp_lt_u32_e32 vcc, s2, v4
	s_mov_b64 s[8:9], -1
	v_mov_b32_e32 v3, v0
	s_and_saveexec_b64 s[2:3], vcc
	s_cbranch_execz .LBB202_43
; %bb.35:
	v_lshrrev_b32_e32 v4, 7, v4
	v_add_u32_e32 v6, -1, v4
	v_lshrrev_b32_e32 v5, 1, v6
	v_mov_b32_e32 v3, v2
	v_add_u32_e32 v5, 1, v5
	v_cmp_lt_u32_e32 vcc, 13, v6
	v_mov_b32_e32 v8, 0
	s_and_saveexec_b64 s[8:9], vcc
	s_cbranch_execz .LBB202_39
; %bb.36:
	v_mov_b32_e32 v7, 0x1d0
	v_and_b32_e32 v6, -8, v5
	v_lshl_add_u32 v7, v0, 2, v7
	s_mov_b32 s18, 0
	s_mov_b64 s[12:13], 0
.LBB202_37:                             ; =>This Inner Loop Header: Depth=1
	ds_read2st64_b32 v[8:9], v7 offset1:2
	ds_read2st64_b32 v[10:11], v7 offset0:4 offset1:6
	ds_read2st64_b32 v[12:13], v7 offset0:8 offset1:10
	;; [unrolled: 1-line block ×3, first 2 shown]
	v_add_u32_e32 v6, -8, v6
	s_waitcnt lgkmcnt(3)
	v_pk_mul_f32 v[8:9], v[2:3], v[8:9]
	s_waitcnt lgkmcnt(2)
	v_pk_mul_f32 v[10:11], v[2:3], v[10:11]
	ds_write2st64_b32 v7, v8, v9 offset1:2
	ds_write2st64_b32 v7, v10, v11 offset0:4 offset1:6
	ds_read2st64_b32 v[10:11], v7 offset0:16 offset1:18
	s_waitcnt lgkmcnt(4)
	v_pk_mul_f32 v[8:9], v[2:3], v[12:13]
	ds_write2st64_b32 v7, v8, v9 offset0:8 offset1:10
	s_waitcnt lgkmcnt(4)
	v_pk_mul_f32 v[8:9], v[2:3], v[14:15]
	ds_write2st64_b32 v7, v8, v9 offset0:12 offset1:14
	ds_read2st64_b32 v[8:9], v7 offset0:20 offset1:22
	s_waitcnt lgkmcnt(3)
	v_pk_mul_f32 v[10:11], v[2:3], v[10:11]
	ds_read2st64_b32 v[12:13], v7 offset0:24 offset1:26
	ds_write2st64_b32 v7, v10, v11 offset0:16 offset1:18
	ds_read2st64_b32 v[10:11], v7 offset0:28 offset1:30
	s_waitcnt lgkmcnt(3)
	v_pk_mul_f32 v[8:9], v[2:3], v[8:9]
	ds_write2st64_b32 v7, v8, v9 offset0:20 offset1:22
	s_waitcnt lgkmcnt(3)
	v_pk_mul_f32 v[8:9], v[2:3], v[12:13]
	ds_write2st64_b32 v7, v8, v9 offset0:24 offset1:26
	s_waitcnt lgkmcnt(2)
	v_pk_mul_f32 v[8:9], v[2:3], v[10:11]
	s_add_i32 s18, s18, 16
	v_cmp_eq_u32_e32 vcc, 0, v6
	ds_write2st64_b32 v7, v8, v9 offset0:28 offset1:30
	v_add_u32_e32 v7, 0x2000, v7
	s_or_b64 s[12:13], vcc, s[12:13]
	v_mov_b32_e32 v8, s18
	s_andn2_b64 exec, exec, s[12:13]
	s_cbranch_execnz .LBB202_37
; %bb.38:
	s_or_b64 exec, exec, s[12:13]
.LBB202_39:
	s_or_b64 exec, exec, s[8:9]
	v_and_b32_e32 v5, 7, v5
	v_cmp_ne_u32_e32 vcc, 0, v5
	s_and_saveexec_b64 s[8:9], vcc
	s_cbranch_execz .LBB202_42
; %bb.40:
	v_lshlrev_b32_e32 v6, 9, v8
	s_movk_i32 s12, 0x1d0
	v_add3_u32 v6, v6, v54, s12
	s_mov_b64 s[12:13], 0
.LBB202_41:                             ; =>This Inner Loop Header: Depth=1
	ds_read2st64_b32 v[8:9], v6 offset1:2
	v_add_u32_e32 v5, -1, v5
	v_cmp_eq_u32_e32 vcc, 0, v5
	s_or_b64 s[12:13], vcc, s[12:13]
	s_waitcnt lgkmcnt(0)
	v_pk_mul_f32 v[8:9], v[2:3], v[8:9]
	ds_write2st64_b32 v6, v8, v9 offset1:2
	v_add_u32_e32 v6, 0x400, v6
	s_andn2_b64 exec, exec, s[12:13]
	s_cbranch_execnz .LBB202_41
.LBB202_42:
	s_or_b64 exec, exec, s[8:9]
	v_add_u32_e32 v4, 1, v4
	v_and_b32_e32 v5, 0x3fffffe, v4
	v_cmp_ne_u32_e32 vcc, v4, v5
	v_lshl_add_u32 v3, v5, 7, v0
	s_orn2_b64 s[8:9], vcc, exec
.LBB202_43:
	s_or_b64 exec, exec, s[2:3]
	s_and_b64 exec, exec, s[8:9]
	s_cbranch_execz .LBB202_46
; %bb.44:
	v_mov_b32_e32 v4, 0x1d0
	v_lshl_add_u32 v4, v3, 2, v4
	s_mov_b64 s[2:3], 0
.LBB202_45:                             ; =>This Inner Loop Header: Depth=1
	ds_read_b32 v5, v4
	v_add_u32_e32 v3, 0x80, v3
	v_cmp_le_i32_e32 vcc, s16, v3
	s_or_b64 s[2:3], vcc, s[2:3]
	s_waitcnt lgkmcnt(0)
	v_mul_f32_e32 v5, v2, v5
	ds_write_b32 v4, v5
	v_add_u32_e32 v4, 0x200, v4
	s_andn2_b64 exec, exec, s[2:3]
	s_cbranch_execnz .LBB202_45
.LBB202_46:
	s_or_b64 exec, exec, s[0:1]
	v_mov_b32_e32 v7, 0
	v_and_b32_e32 v85, 7, v0
	v_mov_b32_e32 v6, 0
	v_mov_b32_e32 v9, 0
	;; [unrolled: 1-line block ×13, first 2 shown]
	s_waitcnt lgkmcnt(0)
	s_barrier
	s_and_saveexec_b64 s[2:3], s[6:7]
	s_cbranch_execz .LBB202_80
; %bb.47:
	s_sub_i32 s18, s43, s21
	s_ashr_i32 s1, s44, 31
	s_add_u32 s0, s34, s44
	s_addc_u32 s1, s35, s1
	s_abs_i32 s19, s22
	v_cvt_f32_u32_e32 v2, s19
	v_and_b32_e32 v14, 0xfc, v54
	v_mov_b32_e32 v15, 0
	v_lshl_add_u64 v[20:21], s[0:1], 0, v[14:15]
	v_rcp_iflag_f32_e32 v2, v2
	s_sub_i32 s0, 0, s19
	s_add_i32 s22, s20, -1
	v_and_b32_e32 v14, 60, v55
	v_mul_f32_e32 v2, 0x4f7ffffe, v2
	v_cvt_u32_f32_e32 v2, v2
	v_and_b32_e32 v86, 28, v54
	s_mov_b32 s21, s17
	s_mov_b32 s34, s33
	v_mul_lo_u32 v3, s0, v2
	v_mul_hi_u32 v3, v2, v3
	s_lshl_b64 s[0:1], s[30:31], 2
	v_add_u32_e32 v87, v2, v3
	s_add_u32 s0, s28, s0
	v_lshlrev_b32_e32 v2, 4, v85
	s_addc_u32 s1, s29, s1
	v_lshl_or_b32 v2, v1, 7, v2
	v_lshl_add_u64 v[22:23], s[0:1], 0, v[14:15]
	v_add_u32_e32 v88, 0x1d0, v2
	s_mov_b64 s[6:7], 0
	v_mov_b32_e32 v14, v15
	v_mov_b32_e32 v18, v15
	v_mov_b32_e32 v19, v15
	v_mov_b32_e32 v16, v15
	v_mov_b32_e32 v17, v15
	v_mov_b32_e32 v12, v15
	v_mov_b32_e32 v13, v15
	v_mov_b32_e32 v10, v15
	v_mov_b32_e32 v11, v15
	v_mov_b32_e32 v8, v15
	v_mov_b32_e32 v9, v15
	v_mov_b32_e32 v6, v15
	v_mov_b32_e32 v7, v15
	s_branch .LBB202_50
.LBB202_48:                             ;   in Loop: Header=BB202_50 Depth=1
	s_or_b64 exec, exec, s[0:1]
	v_mul_f32_e32 v78, v2, v78
	v_mul_f32_e32 v74, v2, v74
	;; [unrolled: 1-line block ×13, first 2 shown]
	v_fmac_f32_e32 v78, v3, v79
	v_fmac_f32_e32 v74, v3, v75
	;; [unrolled: 1-line block ×26, first 2 shown]
	v_pk_mul_f32 v[2:3], v[2:3], v[70:71]
	v_fmac_f32_e32 v78, v5, v77
	v_fmac_f32_e32 v74, v5, v73
	v_fmac_f32_e32 v68, v5, v67
	v_fmac_f32_e32 v64, v5, v63
	v_fmac_f32_e32 v60, v5, v59
	v_fmac_f32_e32 v56, v5, v55
	v_fmac_f32_e32 v52, v5, v51
	v_fmac_f32_e32 v48, v5, v47
	v_fmac_f32_e32 v44, v5, v43
	v_fmac_f32_e32 v40, v5, v39
	v_fmac_f32_e32 v34, v5, v33
	v_fmac_f32_e32 v30, v5, v29
	v_fmac_f32_e32 v26, v5, v25
	v_pk_mul_f32 v[4:5], v[4:5], v[36:37]
	v_add_f32_e32 v2, v3, v2
	v_add_f32_e32 v2, v4, v2
	;; [unrolled: 1-line block ×17, first 2 shown]
.LBB202_49:                             ;   in Loop: Header=BB202_50 Depth=1
	s_or_b64 exec, exec, s[8:9]
	v_add_u32_e32 v1, 2, v1
	v_cmp_le_i32_e32 vcc, s20, v1
	v_lshl_add_u64 v[22:23], v[22:23], 0, 8
	v_add_u32_e32 v80, 64, v80
	s_or_b64 s[6:7], vcc, s[6:7]
	v_add_u32_e32 v88, 0x100, v88
	s_andn2_b64 exec, exec, s[6:7]
	s_cbranch_execz .LBB202_79
.LBB202_50:                             ; =>This Inner Loop Header: Depth=1
	v_mul_hi_u32 v2, v80, s42
	v_mul_lo_u32 v3, v2, s25
	v_sub_u32_e32 v3, v80, v3
	v_add_u32_e32 v4, 1, v2
	v_cmp_le_u32_e32 vcc, s25, v3
	s_nop 1
	v_cndmask_b32_e32 v2, v2, v4, vcc
	v_subrev_u32_e32 v4, s25, v3
	v_cndmask_b32_e32 v3, v3, v4, vcc
	v_add_u32_e32 v4, 1, v2
	v_cmp_le_u32_e32 vcc, s25, v3
	s_nop 1
	v_cndmask_b32_e32 v2, v2, v4, vcc
	v_xor_b32_e32 v2, s23, v2
	v_subrev_u32_e32 v2, s23, v2
	v_add_u32_e32 v3, s36, v2
	v_sub_u32_e32 v5, 0, v3
	v_ashrrev_i32_e32 v4, 31, v3
	v_max_i32_e32 v3, v3, v5
	v_mul_hi_u32 v5, v3, v87
	v_mul_lo_u32 v5, v5, s19
	v_sub_u32_e32 v3, v3, v5
	v_subrev_u32_e32 v5, s19, v3
	v_cmp_le_u32_e32 vcc, s19, v3
	v_cmp_lt_i32_e64 s[0:1], s18, v2
	s_nop 0
	v_cndmask_b32_e32 v3, v3, v5, vcc
	v_subrev_u32_e32 v5, s19, v3
	v_cmp_le_u32_e32 vcc, s19, v3
	s_nop 1
	v_cndmask_b32_e32 v3, v3, v5, vcc
	v_xor_b32_e32 v3, v3, v4
	v_sub_u32_e32 v3, v3, v4
	v_cmp_eq_u32_e32 vcc, 0, v3
	s_or_b64 s[0:1], vcc, s[0:1]
	s_and_saveexec_b64 s[8:9], s[0:1]
	s_cbranch_execz .LBB202_49
; %bb.51:                               ;   in Loop: Header=BB202_50 Depth=1
	global_load_dword v2, v[22:23], off
	s_load_dword s12, s[14:15], 0x0
	v_add_u32_e32 v89, v86, v80
	v_cmp_eq_u32_e32 vcc, s22, v1
	v_add_u32_e32 v90, 1, v89
	v_add_u32_e32 v70, 2, v89
	;; [unrolled: 1-line block ×3, first 2 shown]
	s_waitcnt vmcnt(0)
	v_mad_i64_i32 v[36:37], s[0:1], v2, s21, v[20:21]
	global_load_dword v24, v[36:37], off
	ds_read_b128 v[2:5], v88
	s_waitcnt vmcnt(0)
	v_and_b32_e32 v25, 0xffff, v24
	v_lshrrev_b32_e32 v26, 16, v24
	v_cvt_pk_f32_fp8_e32 v[24:25], v25
	v_cvt_pk_f32_fp8_e32 v[28:29], v26
	s_waitcnt lgkmcnt(0)
	v_pk_mul_f32 v[26:27], v[24:25], s[12:13] op_sel_hi:[1,0]
	v_pk_mul_f32 v[24:25], s[12:13], v[28:29] op_sel_hi:[0,1]
	s_and_saveexec_b64 s[16:17], vcc
; %bb.52:                               ;   in Loop: Header=BB202_50 Depth=1
	v_cmp_gt_i32_e64 s[0:1], s33, v89
	s_nop 1
	v_cndmask_b32_e64 v26, 0, v26, s[0:1]
	v_cmp_gt_i32_e64 s[0:1], s33, v90
	s_nop 1
	v_cndmask_b32_e64 v27, 0, v27, s[0:1]
	;; [unrolled: 3-line block ×4, first 2 shown]
; %bb.53:                               ;   in Loop: Header=BB202_50 Depth=1
	s_or_b64 exec, exec, s[16:17]
	global_load_dword v28, v[36:37], off offset:256
	s_mov_b32 s13, s12
	s_waitcnt vmcnt(0)
	v_and_b32_e32 v29, 0xffff, v28
	v_lshrrev_b32_e32 v30, 16, v28
	v_cvt_pk_f32_fp8_e32 v[28:29], v29
	v_cvt_pk_f32_fp8_e32 v[32:33], v30
	v_pk_mul_f32 v[30:31], s[12:13], v[28:29]
	v_pk_mul_f32 v[28:29], s[12:13], v[32:33]
	s_and_saveexec_b64 s[16:17], vcc
; %bb.54:                               ;   in Loop: Header=BB202_50 Depth=1
	v_cmp_gt_i32_e64 s[0:1], s33, v89
	s_nop 1
	v_cndmask_b32_e64 v30, 0, v30, s[0:1]
	v_cmp_gt_i32_e64 s[0:1], s33, v90
	s_nop 1
	v_cndmask_b32_e64 v31, 0, v31, s[0:1]
	v_cmp_gt_i32_e64 s[0:1], s33, v70
	s_nop 1
	v_cndmask_b32_e64 v28, 0, v28, s[0:1]
	v_cmp_gt_i32_e64 s[0:1], s33, v71
	s_nop 1
	v_cndmask_b32_e64 v29, 0, v29, s[0:1]
; %bb.55:                               ;   in Loop: Header=BB202_50 Depth=1
	s_or_b64 exec, exec, s[16:17]
	global_load_dword v32, v[36:37], off offset:512
	s_waitcnt vmcnt(0)
	v_and_b32_e32 v33, 0xffff, v32
	v_lshrrev_b32_e32 v34, 16, v32
	v_cvt_pk_f32_fp8_e32 v[32:33], v33
	v_cvt_pk_f32_fp8_e32 v[38:39], v34
	v_pk_mul_f32 v[34:35], s[12:13], v[32:33]
	v_pk_mul_f32 v[32:33], s[12:13], v[38:39]
	s_and_saveexec_b64 s[16:17], vcc
; %bb.56:                               ;   in Loop: Header=BB202_50 Depth=1
	v_cmp_gt_i32_e64 s[0:1], s33, v89
	s_nop 1
	v_cndmask_b32_e64 v34, 0, v34, s[0:1]
	v_cmp_gt_i32_e64 s[0:1], s33, v90
	s_nop 1
	v_cndmask_b32_e64 v35, 0, v35, s[0:1]
	v_cmp_gt_i32_e64 s[0:1], s33, v70
	s_nop 1
	v_cndmask_b32_e64 v32, 0, v32, s[0:1]
	v_cmp_gt_i32_e64 s[0:1], s33, v71
	s_nop 1
	v_cndmask_b32_e64 v33, 0, v33, s[0:1]
; %bb.57:                               ;   in Loop: Header=BB202_50 Depth=1
	s_or_b64 exec, exec, s[16:17]
	global_load_dword v38, v[36:37], off offset:768
	;; [unrolled: 24-line block ×12, first 2 shown]
	s_waitcnt vmcnt(0)
	v_and_b32_e32 v37, 0xffff, v36
	v_lshrrev_b32_e32 v70, 16, v36
	v_cvt_pk_f32_fp8_e32 v[36:37], v37
	v_cvt_pk_f32_fp8_e32 v[92:93], v70
	v_pk_mul_f32 v[70:71], s[12:13], v[36:37]
	v_pk_mul_f32 v[36:37], s[12:13], v[92:93]
	s_and_saveexec_b64 s[0:1], vcc
	s_cbranch_execz .LBB202_48
; %bb.78:                               ;   in Loop: Header=BB202_50 Depth=1
	v_cmp_gt_i32_e32 vcc, s34, v90
	v_or_b32_e32 v90, 3, v89
	s_nop 0
	v_cndmask_b32_e32 v71, 0, v71, vcc
	v_cmp_gt_i32_e32 vcc, s33, v89
	v_or_b32_e32 v89, 2, v89
	s_nop 0
	v_cndmask_b32_e32 v70, 0, v70, vcc
	v_cmp_gt_i32_e32 vcc, s34, v90
	s_nop 1
	v_cndmask_b32_e32 v37, 0, v37, vcc
	v_cmp_gt_i32_e32 vcc, s33, v89
	s_nop 1
	v_cndmask_b32_e32 v36, 0, v36, vcc
	s_branch .LBB202_48
.LBB202_79:
	s_or_b64 exec, exec, s[6:7]
.LBB202_80:
	s_or_b64 exec, exec, s[2:3]
	ds_bpermute_b32 v2, v82, v14
	ds_bpermute_b32 v3, v82, v15
	;; [unrolled: 1-line block ×6, first 2 shown]
	s_waitcnt lgkmcnt(4)
	v_pk_add_f32 v[2:3], v[14:15], v[2:3]
	ds_bpermute_b32 v14, v83, v2
	ds_bpermute_b32 v15, v83, v3
	s_waitcnt lgkmcnt(4)
	v_pk_add_f32 v[4:5], v[18:19], v[4:5]
	s_waitcnt lgkmcnt(2)
	v_pk_add_f32 v[16:17], v[16:17], v[20:21]
	ds_bpermute_b32 v18, v83, v4
	ds_bpermute_b32 v19, v83, v5
	s_waitcnt lgkmcnt(2)
	v_pk_add_f32 v[2:3], v[2:3], v[14:15]
	ds_bpermute_b32 v14, v84, v2
	ds_bpermute_b32 v15, v84, v3
	;; [unrolled: 1-line block ×4, first 2 shown]
	s_waitcnt lgkmcnt(4)
	v_pk_add_f32 v[18:19], v[4:5], v[18:19]
	ds_bpermute_b32 v22, v84, v18
	s_waitcnt lgkmcnt(3)
	v_pk_add_f32 v[4:5], v[2:3], v[14:15]
	ds_bpermute_b32 v23, v84, v19
	;; [unrolled: 3-line block ×3, first 2 shown]
	ds_bpermute_b32 v17, v82, v13
	ds_bpermute_b32 v20, v82, v10
	;; [unrolled: 1-line block ×3, first 2 shown]
	s_waitcnt lgkmcnt(4)
	v_pk_add_f32 v[2:3], v[18:19], v[22:23]
	ds_bpermute_b32 v22, v82, v8
	s_waitcnt lgkmcnt(3)
	v_pk_add_f32 v[12:13], v[12:13], v[16:17]
	ds_bpermute_b32 v16, v83, v12
	ds_bpermute_b32 v17, v83, v13
	s_waitcnt lgkmcnt(3)
	v_pk_add_f32 v[10:11], v[10:11], v[20:21]
	ds_bpermute_b32 v23, v82, v9
	ds_bpermute_b32 v20, v83, v10
	;; [unrolled: 1-line block ×3, first 2 shown]
	s_waitcnt lgkmcnt(3)
	v_pk_add_f32 v[16:17], v[12:13], v[16:17]
	ds_bpermute_b32 v12, v82, v6
	ds_bpermute_b32 v13, v82, v7
	s_waitcnt lgkmcnt(4)
	v_pk_add_f32 v[8:9], v[8:9], v[22:23]
	s_waitcnt lgkmcnt(2)
	v_pk_add_f32 v[20:21], v[10:11], v[20:21]
	ds_bpermute_b32 v10, v83, v8
	ds_bpermute_b32 v11, v83, v9
	s_waitcnt lgkmcnt(2)
	v_pk_add_f32 v[30:31], v[6:7], v[12:13]
	ds_bpermute_b32 v18, v84, v14
	ds_bpermute_b32 v19, v84, v15
	;; [unrolled: 1-line block ×6, first 2 shown]
	s_waitcnt lgkmcnt(6)
	v_pk_add_f32 v[26:27], v[8:9], v[10:11]
	ds_bpermute_b32 v22, v84, v20
	ds_bpermute_b32 v23, v84, v21
	;; [unrolled: 1-line block ×4, first 2 shown]
	s_waitcnt lgkmcnt(8)
	v_pk_add_f32 v[12:13], v[14:15], v[18:19]
	s_waitcnt lgkmcnt(6)
	v_pk_add_f32 v[14:15], v[30:31], v[32:33]
	;; [unrolled: 2-line block ×3, first 2 shown]
	ds_bpermute_b32 v16, v84, v14
	ds_bpermute_b32 v17, v84, v15
	v_and_b32_e32 v1, 0x3c7, v0
	s_waitcnt lgkmcnt(4)
	v_pk_add_f32 v[8:9], v[20:21], v[22:23]
	s_waitcnt lgkmcnt(2)
	v_pk_add_f32 v[6:7], v[26:27], v[28:29]
	v_cmp_ne_u32_e32 vcc, 64, v1
	s_waitcnt lgkmcnt(0)
	s_barrier
	s_and_saveexec_b64 s[0:1], vcc
	s_xor_b64 s[0:1], exec, s[0:1]
; %bb.81:
                                        ; implicit-def: $vgpr81
; %bb.82:
	s_or_saveexec_b64 s[0:1], s[0:1]
	v_pk_add_f32 v[14:15], v[14:15], v[16:17]
	s_xor_b64 exec, exec, s[0:1]
	s_cbranch_execz .LBB202_84
; %bb.83:
	v_lshrrev_b32_e32 v16, 1, v81
	v_add_u32_e32 v16, 0x1d0, v16
	ds_write2_b32 v16, v4, v5 offset1:8
	ds_write2_b32 v16, v2, v3 offset0:16 offset1:24
	ds_write2_b32 v16, v12, v13 offset0:32 offset1:40
	;; [unrolled: 1-line block ×6, first 2 shown]
.LBB202_84:
	s_or_b64 exec, exec, s[0:1]
	v_cmp_gt_u32_e32 vcc, 64, v0
	v_lshrrev_b32_e32 v0, 3, v0
	s_waitcnt lgkmcnt(0)
	s_barrier
	s_and_saveexec_b64 s[0:1], vcc
	s_cbranch_execz .LBB202_101
; %bb.85:
	v_mov_b32_e32 v16, 0x1d0
	v_cmp_eq_u32_e32 vcc, 0, v85
	v_lshl_add_u32 v16, v0, 2, v16
	s_and_saveexec_b64 s[2:3], vcc
	s_cbranch_execnz .LBB202_104
; %bb.86:
	s_or_b64 exec, exec, s[2:3]
	s_and_saveexec_b64 s[2:3], vcc
	s_cbranch_execnz .LBB202_105
.LBB202_87:
	s_or_b64 exec, exec, s[2:3]
	s_and_saveexec_b64 s[2:3], vcc
	s_cbranch_execnz .LBB202_106
.LBB202_88:
	s_or_b64 exec, exec, s[2:3]
	s_and_saveexec_b64 s[2:3], vcc
	s_cbranch_execnz .LBB202_107
.LBB202_89:
	s_or_b64 exec, exec, s[2:3]
	s_and_saveexec_b64 s[2:3], vcc
	s_cbranch_execnz .LBB202_108
.LBB202_90:
	s_or_b64 exec, exec, s[2:3]
	s_and_saveexec_b64 s[2:3], vcc
	s_cbranch_execnz .LBB202_109
.LBB202_91:
	s_or_b64 exec, exec, s[2:3]
	s_and_saveexec_b64 s[2:3], vcc
	s_cbranch_execnz .LBB202_110
.LBB202_92:
	s_or_b64 exec, exec, s[2:3]
	s_and_saveexec_b64 s[2:3], vcc
	s_cbranch_execnz .LBB202_111
.LBB202_93:
	s_or_b64 exec, exec, s[2:3]
	s_and_saveexec_b64 s[2:3], vcc
	s_cbranch_execnz .LBB202_112
.LBB202_94:
	s_or_b64 exec, exec, s[2:3]
	s_and_saveexec_b64 s[2:3], vcc
	s_cbranch_execnz .LBB202_113
.LBB202_95:
	s_or_b64 exec, exec, s[2:3]
	s_and_saveexec_b64 s[2:3], vcc
	s_cbranch_execnz .LBB202_114
.LBB202_96:
	s_or_b64 exec, exec, s[2:3]
	s_and_saveexec_b64 s[2:3], vcc
	s_cbranch_execnz .LBB202_115
.LBB202_97:
	s_or_b64 exec, exec, s[2:3]
	s_and_saveexec_b64 s[2:3], vcc
	s_cbranch_execnz .LBB202_116
.LBB202_98:
	s_or_b64 exec, exec, s[2:3]
	s_and_saveexec_b64 s[2:3], vcc
	s_cbranch_execz .LBB202_100
.LBB202_99:
	ds_read_b32 v16, v16 offset:416
	s_waitcnt lgkmcnt(0)
	v_add_f32_e32 v15, v15, v16
.LBB202_100:
	s_or_b64 exec, exec, s[2:3]
.LBB202_101:
	s_or_b64 exec, exec, s[0:1]
	v_cmp_eq_u32_e32 vcc, 0, v1
	s_barrier
	s_and_saveexec_b64 s[0:1], vcc
	s_cbranch_execz .LBB202_103
; %bb.102:
	s_mul_i32 s0, s10, s11
	s_mul_i32 s0, s0, s5
	s_mulk_i32 s0, 0x70
	s_ashr_i32 s1, s0, 31
	s_lshl_b64 s[0:1], s[0:1], 2
	s_add_u32 s2, s26, s0
	s_mul_i32 s0, s11, s24
	s_addc_u32 s3, s27, s1
	s_ashr_i32 s1, s0, 31
	s_lshl_b64 s[0:1], s[0:1], 2
	s_add_u32 s2, s2, s0
	s_mul_i32 s0, s4, 0x70
	s_addc_u32 s3, s3, s1
	s_ashr_i32 s1, s0, 31
	s_lshl_b64 s[0:1], s[0:1], 2
	s_add_u32 s0, s2, s0
	s_addc_u32 s1, s3, s1
	v_lshlrev_b32_e32 v0, 2, v0
	global_store_dword v0, v4, s[0:1]
	global_store_dword v0, v5, s[0:1] offset:32
	global_store_dword v0, v2, s[0:1] offset:64
	;; [unrolled: 1-line block ×13, first 2 shown]
.LBB202_103:
	s_endpgm
.LBB202_104:
	ds_read_b32 v17, v16
	s_waitcnt lgkmcnt(0)
	v_add_f32_e32 v4, v4, v17
	s_or_b64 exec, exec, s[2:3]
	s_and_saveexec_b64 s[2:3], vcc
	s_cbranch_execz .LBB202_87
.LBB202_105:
	ds_read_b32 v17, v16 offset:32
	s_waitcnt lgkmcnt(0)
	v_add_f32_e32 v5, v5, v17
	s_or_b64 exec, exec, s[2:3]
	s_and_saveexec_b64 s[2:3], vcc
	s_cbranch_execz .LBB202_88
.LBB202_106:
	ds_read_b32 v17, v16 offset:64
	s_waitcnt lgkmcnt(0)
	v_add_f32_e32 v2, v2, v17
	s_or_b64 exec, exec, s[2:3]
	s_and_saveexec_b64 s[2:3], vcc
	s_cbranch_execz .LBB202_89
.LBB202_107:
	ds_read_b32 v17, v16 offset:96
	s_waitcnt lgkmcnt(0)
	v_add_f32_e32 v3, v3, v17
	s_or_b64 exec, exec, s[2:3]
	s_and_saveexec_b64 s[2:3], vcc
	s_cbranch_execz .LBB202_90
.LBB202_108:
	ds_read_b32 v17, v16 offset:128
	s_waitcnt lgkmcnt(0)
	v_add_f32_e32 v12, v12, v17
	s_or_b64 exec, exec, s[2:3]
	s_and_saveexec_b64 s[2:3], vcc
	s_cbranch_execz .LBB202_91
.LBB202_109:
	ds_read_b32 v17, v16 offset:160
	s_waitcnt lgkmcnt(0)
	v_add_f32_e32 v13, v13, v17
	s_or_b64 exec, exec, s[2:3]
	s_and_saveexec_b64 s[2:3], vcc
	s_cbranch_execz .LBB202_92
.LBB202_110:
	ds_read_b32 v17, v16 offset:192
	s_waitcnt lgkmcnt(0)
	v_add_f32_e32 v10, v10, v17
	s_or_b64 exec, exec, s[2:3]
	s_and_saveexec_b64 s[2:3], vcc
	s_cbranch_execz .LBB202_93
.LBB202_111:
	ds_read_b32 v17, v16 offset:224
	s_waitcnt lgkmcnt(0)
	v_add_f32_e32 v11, v11, v17
	s_or_b64 exec, exec, s[2:3]
	s_and_saveexec_b64 s[2:3], vcc
	s_cbranch_execz .LBB202_94
.LBB202_112:
	ds_read_b32 v17, v16 offset:256
	s_waitcnt lgkmcnt(0)
	v_add_f32_e32 v8, v8, v17
	s_or_b64 exec, exec, s[2:3]
	s_and_saveexec_b64 s[2:3], vcc
	s_cbranch_execz .LBB202_95
.LBB202_113:
	ds_read_b32 v17, v16 offset:288
	s_waitcnt lgkmcnt(0)
	v_add_f32_e32 v9, v9, v17
	s_or_b64 exec, exec, s[2:3]
	s_and_saveexec_b64 s[2:3], vcc
	s_cbranch_execz .LBB202_96
.LBB202_114:
	ds_read_b32 v17, v16 offset:320
	s_waitcnt lgkmcnt(0)
	v_add_f32_e32 v6, v6, v17
	s_or_b64 exec, exec, s[2:3]
	s_and_saveexec_b64 s[2:3], vcc
	s_cbranch_execz .LBB202_97
.LBB202_115:
	ds_read_b32 v17, v16 offset:352
	s_waitcnt lgkmcnt(0)
	v_add_f32_e32 v7, v7, v17
	s_or_b64 exec, exec, s[2:3]
	s_and_saveexec_b64 s[2:3], vcc
	s_cbranch_execz .LBB202_98
.LBB202_116:
	ds_read_b32 v17, v16 offset:384
	s_waitcnt lgkmcnt(0)
	v_add_f32_e32 v14, v14, v17
	s_or_b64 exec, exec, s[2:3]
	s_and_saveexec_b64 s[2:3], vcc
	s_cbranch_execnz .LBB202_99
	s_branch .LBB202_100
	.section	.rodata,"a",@progbits
	.p2align	6, 0x0
	.amdhsa_kernel _ZN4vllm25paged_attention_v1_kernelIfhLi112ELi32ELi128ELNS_18Fp8KVCacheDataTypeE1ELb1EEEvPT_PKS2_PKT0_S8_ifPKiSA_iPKfiiiSC_SC_iiiii
		.amdhsa_group_segment_fixed_size 464
		.amdhsa_private_segment_fixed_size 0
		.amdhsa_kernarg_size 384
		.amdhsa_user_sgpr_count 2
		.amdhsa_user_sgpr_dispatch_ptr 0
		.amdhsa_user_sgpr_queue_ptr 0
		.amdhsa_user_sgpr_kernarg_segment_ptr 1
		.amdhsa_user_sgpr_dispatch_id 0
		.amdhsa_user_sgpr_kernarg_preload_length 0
		.amdhsa_user_sgpr_kernarg_preload_offset 0
		.amdhsa_user_sgpr_private_segment_size 0
		.amdhsa_uses_dynamic_stack 0
		.amdhsa_enable_private_segment 0
		.amdhsa_system_sgpr_workgroup_id_x 1
		.amdhsa_system_sgpr_workgroup_id_y 1
		.amdhsa_system_sgpr_workgroup_id_z 1
		.amdhsa_system_sgpr_workgroup_info 0
		.amdhsa_system_vgpr_workitem_id 0
		.amdhsa_next_free_vgpr 107
		.amdhsa_next_free_sgpr 49
		.amdhsa_accum_offset 108
		.amdhsa_reserve_vcc 1
		.amdhsa_float_round_mode_32 0
		.amdhsa_float_round_mode_16_64 0
		.amdhsa_float_denorm_mode_32 3
		.amdhsa_float_denorm_mode_16_64 3
		.amdhsa_dx10_clamp 1
		.amdhsa_ieee_mode 1
		.amdhsa_fp16_overflow 0
		.amdhsa_tg_split 0
		.amdhsa_exception_fp_ieee_invalid_op 0
		.amdhsa_exception_fp_denorm_src 0
		.amdhsa_exception_fp_ieee_div_zero 0
		.amdhsa_exception_fp_ieee_overflow 0
		.amdhsa_exception_fp_ieee_underflow 0
		.amdhsa_exception_fp_ieee_inexact 0
		.amdhsa_exception_int_div_zero 0
	.end_amdhsa_kernel
	.section	.text._ZN4vllm25paged_attention_v1_kernelIfhLi112ELi32ELi128ELNS_18Fp8KVCacheDataTypeE1ELb1EEEvPT_PKS2_PKT0_S8_ifPKiSA_iPKfiiiSC_SC_iiiii,"axG",@progbits,_ZN4vllm25paged_attention_v1_kernelIfhLi112ELi32ELi128ELNS_18Fp8KVCacheDataTypeE1ELb1EEEvPT_PKS2_PKT0_S8_ifPKiSA_iPKfiiiSC_SC_iiiii,comdat
.Lfunc_end202:
	.size	_ZN4vllm25paged_attention_v1_kernelIfhLi112ELi32ELi128ELNS_18Fp8KVCacheDataTypeE1ELb1EEEvPT_PKS2_PKT0_S8_ifPKiSA_iPKfiiiSC_SC_iiiii, .Lfunc_end202-_ZN4vllm25paged_attention_v1_kernelIfhLi112ELi32ELi128ELNS_18Fp8KVCacheDataTypeE1ELb1EEEvPT_PKS2_PKT0_S8_ifPKiSA_iPKfiiiSC_SC_iiiii
                                        ; -- End function
	.set _ZN4vllm25paged_attention_v1_kernelIfhLi112ELi32ELi128ELNS_18Fp8KVCacheDataTypeE1ELb1EEEvPT_PKS2_PKT0_S8_ifPKiSA_iPKfiiiSC_SC_iiiii.num_vgpr, 107
	.set _ZN4vllm25paged_attention_v1_kernelIfhLi112ELi32ELi128ELNS_18Fp8KVCacheDataTypeE1ELb1EEEvPT_PKS2_PKT0_S8_ifPKiSA_iPKfiiiSC_SC_iiiii.num_agpr, 0
	.set _ZN4vllm25paged_attention_v1_kernelIfhLi112ELi32ELi128ELNS_18Fp8KVCacheDataTypeE1ELb1EEEvPT_PKS2_PKT0_S8_ifPKiSA_iPKfiiiSC_SC_iiiii.numbered_sgpr, 49
	.set _ZN4vllm25paged_attention_v1_kernelIfhLi112ELi32ELi128ELNS_18Fp8KVCacheDataTypeE1ELb1EEEvPT_PKS2_PKT0_S8_ifPKiSA_iPKfiiiSC_SC_iiiii.num_named_barrier, 0
	.set _ZN4vllm25paged_attention_v1_kernelIfhLi112ELi32ELi128ELNS_18Fp8KVCacheDataTypeE1ELb1EEEvPT_PKS2_PKT0_S8_ifPKiSA_iPKfiiiSC_SC_iiiii.private_seg_size, 0
	.set _ZN4vllm25paged_attention_v1_kernelIfhLi112ELi32ELi128ELNS_18Fp8KVCacheDataTypeE1ELb1EEEvPT_PKS2_PKT0_S8_ifPKiSA_iPKfiiiSC_SC_iiiii.uses_vcc, 1
	.set _ZN4vllm25paged_attention_v1_kernelIfhLi112ELi32ELi128ELNS_18Fp8KVCacheDataTypeE1ELb1EEEvPT_PKS2_PKT0_S8_ifPKiSA_iPKfiiiSC_SC_iiiii.uses_flat_scratch, 0
	.set _ZN4vllm25paged_attention_v1_kernelIfhLi112ELi32ELi128ELNS_18Fp8KVCacheDataTypeE1ELb1EEEvPT_PKS2_PKT0_S8_ifPKiSA_iPKfiiiSC_SC_iiiii.has_dyn_sized_stack, 0
	.set _ZN4vllm25paged_attention_v1_kernelIfhLi112ELi32ELi128ELNS_18Fp8KVCacheDataTypeE1ELb1EEEvPT_PKS2_PKT0_S8_ifPKiSA_iPKfiiiSC_SC_iiiii.has_recursion, 0
	.set _ZN4vllm25paged_attention_v1_kernelIfhLi112ELi32ELi128ELNS_18Fp8KVCacheDataTypeE1ELb1EEEvPT_PKS2_PKT0_S8_ifPKiSA_iPKfiiiSC_SC_iiiii.has_indirect_call, 0
	.section	.AMDGPU.csdata,"",@progbits
; Kernel info:
; codeLenInByte = 8092
; TotalNumSgprs: 55
; NumVgprs: 107
; NumAgprs: 0
; TotalNumVgprs: 107
; ScratchSize: 0
; MemoryBound: 0
; FloatMode: 240
; IeeeMode: 1
; LDSByteSize: 464 bytes/workgroup (compile time only)
; SGPRBlocks: 6
; VGPRBlocks: 13
; NumSGPRsForWavesPerEU: 55
; NumVGPRsForWavesPerEU: 107
; AccumOffset: 108
; Occupancy: 4
; WaveLimiterHint : 1
; COMPUTE_PGM_RSRC2:SCRATCH_EN: 0
; COMPUTE_PGM_RSRC2:USER_SGPR: 2
; COMPUTE_PGM_RSRC2:TRAP_HANDLER: 0
; COMPUTE_PGM_RSRC2:TGID_X_EN: 1
; COMPUTE_PGM_RSRC2:TGID_Y_EN: 1
; COMPUTE_PGM_RSRC2:TGID_Z_EN: 1
; COMPUTE_PGM_RSRC2:TIDIG_COMP_CNT: 0
; COMPUTE_PGM_RSRC3_GFX90A:ACCUM_OFFSET: 26
; COMPUTE_PGM_RSRC3_GFX90A:TG_SPLIT: 0
	.section	.text._ZN4vllm25paged_attention_v1_kernelIfhLi120ELi32ELi128ELNS_18Fp8KVCacheDataTypeE1ELb1EEEvPT_PKS2_PKT0_S8_ifPKiSA_iPKfiiiSC_SC_iiiii,"axG",@progbits,_ZN4vllm25paged_attention_v1_kernelIfhLi120ELi32ELi128ELNS_18Fp8KVCacheDataTypeE1ELb1EEEvPT_PKS2_PKT0_S8_ifPKiSA_iPKfiiiSC_SC_iiiii,comdat
	.protected	_ZN4vllm25paged_attention_v1_kernelIfhLi120ELi32ELi128ELNS_18Fp8KVCacheDataTypeE1ELb1EEEvPT_PKS2_PKT0_S8_ifPKiSA_iPKfiiiSC_SC_iiiii ; -- Begin function _ZN4vllm25paged_attention_v1_kernelIfhLi120ELi32ELi128ELNS_18Fp8KVCacheDataTypeE1ELb1EEEvPT_PKS2_PKT0_S8_ifPKiSA_iPKfiiiSC_SC_iiiii
	.globl	_ZN4vllm25paged_attention_v1_kernelIfhLi120ELi32ELi128ELNS_18Fp8KVCacheDataTypeE1ELb1EEEvPT_PKS2_PKT0_S8_ifPKiSA_iPKfiiiSC_SC_iiiii
	.p2align	8
	.type	_ZN4vllm25paged_attention_v1_kernelIfhLi120ELi32ELi128ELNS_18Fp8KVCacheDataTypeE1ELb1EEEvPT_PKS2_PKT0_S8_ifPKiSA_iPKfiiiSC_SC_iiiii,@function
_ZN4vllm25paged_attention_v1_kernelIfhLi120ELi32ELi128ELNS_18Fp8KVCacheDataTypeE1ELb1EEEvPT_PKS2_PKT0_S8_ifPKiSA_iPKfiiiSC_SC_iiiii: ; @_ZN4vllm25paged_attention_v1_kernelIfhLi120ELi32ELi128ELNS_18Fp8KVCacheDataTypeE1ELb1EEEvPT_PKS2_PKT0_S8_ifPKiSA_iPKfiiiSC_SC_iiiii
; %bb.0:
	s_load_dword s5, s[0:1], 0x80
	s_load_dwordx2 s[6:7], s[0:1], 0x30
	s_load_dwordx2 s[36:37], s[0:1], 0x20
	s_mov_b32 s10, s3
	s_ashr_i32 s11, s3, 31
	s_lshl_b64 s[8:9], s[10:11], 2
	s_waitcnt lgkmcnt(0)
	s_add_u32 s6, s6, s8
	s_addc_u32 s7, s7, s9
	s_abs_i32 s3, s36
	v_cvt_f32_u32_e32 v1, s3
	s_sub_i32 s11, 0, s3
	s_abs_i32 s9, s5
	s_xor_b32 s8, s5, s36
	v_rcp_iflag_f32_e32 v1, v1
	s_ashr_i32 s8, s8, 31
	s_mov_b32 s45, 0
	v_mul_f32_e32 v1, 0x4f7ffffe, v1
	v_cvt_u32_f32_e32 v1, v1
	s_nop 0
	v_readfirstlane_b32 s12, v1
	s_mul_i32 s11, s11, s12
	s_mul_hi_u32 s11, s12, s11
	s_add_i32 s12, s12, s11
	s_mul_hi_u32 s11, s9, s12
	s_mul_i32 s12, s11, s3
	s_sub_i32 s9, s9, s12
	s_add_i32 s12, s11, 1
	s_sub_i32 s13, s9, s3
	s_cmp_ge_u32 s9, s3
	s_cselect_b32 s11, s12, s11
	s_cselect_b32 s9, s13, s9
	s_add_i32 s12, s11, 1
	s_cmp_ge_u32 s9, s3
	s_cselect_b32 s3, s12, s11
	s_xor_b32 s3, s3, s8
	s_sub_i32 s14, s3, s8
	s_abs_i32 s11, s14
	v_cvt_f32_u32_e32 v1, s11
	s_load_dwordx2 s[8:9], s[0:1], 0x40
	s_sub_i32 s3, 0, s11
	s_abs_i32 s12, s2
	v_rcp_iflag_f32_e32 v1, v1
	s_nop 0
	v_mul_f32_e32 v1, 0x4f7ffffe, v1
	v_cvt_u32_f32_e32 v1, v1
	s_nop 0
	v_readfirstlane_b32 s13, v1
	s_mul_i32 s3, s3, s13
	s_mul_hi_u32 s3, s13, s3
	s_add_i32 s13, s13, s3
	s_waitcnt lgkmcnt(0)
	s_cmp_eq_u64 s[8:9], 0
	s_mul_hi_u32 s13, s12, s13
	s_cbranch_scc1 .LBB203_2
; %bb.1:
	s_ashr_i32 s3, s2, 31
	s_lshl_b64 s[16:17], s[2:3], 2
	s_add_u32 s8, s8, s16
	s_addc_u32 s9, s9, s17
	s_load_dword s45, s[8:9], 0x0
.LBB203_2:
	s_load_dword s33, s[6:7], 0x0
	s_load_dwordx4 s[16:19], s[0:1], 0x48
	s_ashr_i32 s8, s2, 31
	s_ashr_i32 s9, s14, 31
	v_and_b32_e32 v2, 1, v0
	s_mul_i32 s24, s2, 0x78
	v_cmp_gt_u32_e32 vcc, 60, v0
	v_lshlrev_b32_e32 v38, 2, v0
	s_and_saveexec_b64 s[6:7], vcc
	s_cbranch_execz .LBB203_4
; %bb.3:
	s_load_dwordx2 s[14:15], s[0:1], 0x8
	s_waitcnt lgkmcnt(0)
	s_mul_i32 s20, s16, s10
	s_ashr_i32 s21, s20, 31
	s_lshl_b64 s[20:21], s[20:21], 2
	v_lshlrev_b32_e32 v1, 3, v0
	s_add_u32 s3, s14, s20
	s_addc_u32 s16, s15, s21
	s_ashr_i32 s25, s24, 31
	s_lshl_b64 s[14:15], s[24:25], 2
	s_add_u32 s14, s3, s14
	s_addc_u32 s15, s16, s15
	global_load_dwordx2 v[4:5], v1, s[14:15]
	v_and_b32_e32 v1, 0xff8, v38
	s_movk_i32 s3, 0xf0
	v_mad_u32_u24 v1, v2, s3, v1
	s_waitcnt vmcnt(0)
	ds_write_b64 v1, v[4:5]
.LBB203_4:
	s_or_b64 exec, exec, s[6:7]
	s_mul_i32 s7, s13, s11
	s_sub_i32 s7, s12, s7
	s_xor_b32 s6, s8, s9
	s_add_i32 s8, s13, 1
	s_sub_i32 s9, s7, s11
	s_load_dwordx4 s[20:23], s[0:1], 0x68
	s_load_dword s3, s[0:1], 0x78
	s_cmp_ge_u32 s7, s11
	s_cselect_b32 s8, s8, s13
	s_cselect_b32 s7, s9, s7
	s_add_i32 s9, s8, 1
	s_cmp_ge_u32 s7, s11
	s_cselect_b32 s7, s9, s8
	s_waitcnt lgkmcnt(0)
	s_abs_i32 s25, s23
	v_cvt_f32_u32_e32 v1, s25
	s_xor_b32 s7, s7, s6
	s_sub_i32 s44, s7, s6
	s_sub_i32 s6, 0, s25
	v_rcp_iflag_f32_e32 v1, v1
	s_add_i32 s11, s33, -1
	s_abs_i32 s8, s11
	v_mul_f32_e32 v1, 0x4f7ffffe, v1
	v_cvt_u32_f32_e32 v1, v1
	s_barrier
	v_readfirstlane_b32 s42, v1
	s_mul_i32 s6, s6, s42
	s_mul_hi_u32 s6, s42, s6
	s_add_i32 s42, s42, s6
	s_cmp_lt_i32 s3, 0
	s_mul_hi_u32 s9, s8, s42
	s_cbranch_scc0 .LBB203_6
; %bb.5:
	s_mul_i32 s6, s20, s36
	s_add_i32 s6, s44, s6
	s_mul_i32 s6, s6, s3
	s_sub_i32 s36, 1, s6
	s_mov_b64 s[6:7], 0
	s_branch .LBB203_7
.LBB203_6:
	s_mov_b64 s[6:7], -1
                                        ; implicit-def: $sgpr36
.LBB203_7:
	s_load_dwordx2 s[28:29], s[0:1], 0x28
	s_ashr_i32 s16, s11, 31
	s_andn2_b64 vcc, exec, s[6:7]
	s_ashr_i32 s23, s23, 31
	s_cbranch_vccnz .LBB203_9
; %bb.8:
	s_mul_i32 s6, s5, s20
	s_add_i32 s2, s6, s2
	s_mul_i32 s2, s2, s3
	s_add_i32 s36, s2, 1
.LBB203_9:
	s_load_dword s2, s[0:1], 0x38
	s_load_dwordx2 s[26:27], s[0:1], 0x0
	s_load_dwordx2 s[34:35], s[0:1], 0x18
	s_load_dword s11, s[0:1], 0x88
	s_load_dwordx4 s[12:15], s[0:1], 0x58
	s_mul_i32 s3, s9, s25
	s_waitcnt lgkmcnt(0)
	s_mul_i32 s30, s2, s10
	s_sub_i32 s3, s8, s3
	s_ashr_i32 s31, s30, 31
	s_xor_b32 s2, s16, s23
	s_add_i32 s6, s9, 1
	s_sub_i32 s7, s3, s25
	s_cmp_ge_u32 s3, s25
	s_cselect_b32 s6, s6, s9
	s_cselect_b32 s3, s7, s3
	s_add_i32 s7, s6, 1
	s_cmp_ge_u32 s3, s25
	s_cselect_b32 s3, s7, s6
	s_xor_b32 s3, s3, s2
	s_sub_i32 s43, s3, s2
	s_add_i32 s2, s33, 31
	s_ashr_i32 s3, s2, 31
	s_lshr_b32 s3, s3, 27
	s_add_i32 s2, s2, s3
	s_ashr_i32 s20, s2, 5
	v_lshrrev_b32_e32 v1, 6, v0
	v_cmp_gt_i32_e64 s[6:7], s20, v1
	v_mov_b32_e32 v43, 0xff7fffff
	s_mul_i32 s44, s44, s18
	v_lshrrev_b32_e32 v39, 4, v0
	v_lshlrev_b32_e32 v86, 5, v1
	v_mbcnt_lo_u32_b32 v40, -1, 0
	s_and_saveexec_b64 s[18:19], s[6:7]
	s_cbranch_execz .LBB203_21
; %bb.10:
	s_load_dwordx2 s[0:1], s[0:1], 0x10
	s_sub_i32 s46, s43, s21
	s_ashr_i32 s2, s44, 31
	v_bfe_u32 v41, v0, 1, 5
	v_mov_b32_e32 v5, 0
	s_waitcnt lgkmcnt(0)
	s_add_u32 s0, s0, s44
	s_addc_u32 s1, s1, s2
	s_abs_i32 s47, s22
	v_cvt_f32_u32_e32 v3, s47
	v_lshlrev_b32_e32 v4, 4, v41
	v_lshl_add_u64 v[6:7], s[0:1], 0, v[4:5]
	s_sub_i32 s0, 0, s47
	v_rcp_iflag_f32_e32 v3, v3
	v_cmp_eq_u32_e32 vcc, 0, v2
	v_mul_u32_u24_e32 v42, 0xf0, v2
	v_lshlrev_b32_e32 v4, 1, v2
	v_mul_f32_e32 v3, 0x4f7ffffe, v3
	v_cvt_u32_f32_e32 v3, v3
	v_mbcnt_hi_u32_b32 v49, -1, v40
	v_lshl_add_u64 v[34:35], v[6:7], 0, v[4:5]
	v_and_b32_e32 v4, 60, v39
	v_mul_lo_u32 v2, s0, v3
	v_mul_hi_u32 v2, v3, v2
	v_add_u32_e32 v44, v3, v2
	v_subrev_u32_e32 v2, s33, v41
	s_lshl_b64 s[0:1], s[30:31], 2
	v_add_u32_e32 v46, 1, v2
	v_lshlrev_b32_e32 v2, 2, v41
	s_add_u32 s0, s28, s0
	v_lshl_or_b32 v2, v1, 7, v2
	s_addc_u32 s1, s29, s1
	v_add_u32_e32 v47, 0x1f0, v2
	v_and_b32_e32 v2, 64, v49
	s_mov_b32 s48, s17
	v_cmp_neq_f32_e64 s[2:3], s45, 0
	v_lshl_add_u64 v[36:37], s[0:1], 0, v[4:5]
	v_lshlrev_b32_e32 v45, 5, v1
	v_mov_b32_e32 v48, 0xff7fffff
	s_mov_b64 s[38:39], 0
	v_xor_b32_e32 v50, 1, v49
	v_add_u32_e32 v51, 64, v2
	v_mov_b32_e32 v43, 0xff7fffff
	v_mov_b32_e32 v52, v1
	s_branch .LBB203_13
.LBB203_11:                             ;   in Loop: Header=BB203_13 Depth=1
	s_or_b64 exec, exec, s[40:41]
.LBB203_12:                             ;   in Loop: Header=BB203_13 Depth=1
	s_or_b64 exec, exec, s[8:9]
	v_add_u32_e32 v52, 2, v52
	v_cmp_le_i32_e64 s[0:1], s20, v52
	v_lshl_add_u64 v[36:37], v[36:37], 0, 8
	v_add_u32_e32 v45, 64, v45
	s_or_b64 s[38:39], s[0:1], s[38:39]
	v_add_u32_e32 v47, 0x100, v47
	s_andn2_b64 exec, exec, s[38:39]
	s_cbranch_execz .LBB203_20
.LBB203_13:                             ; =>This Inner Loop Header: Depth=1
	v_mul_hi_u32 v2, v45, s42
	s_waitcnt lgkmcnt(0)
	v_mul_lo_u32 v3, v2, s25
	v_sub_u32_e32 v3, v45, v3
	v_add_u32_e32 v4, 1, v2
	v_cmp_le_u32_e64 s[0:1], s25, v3
	s_nop 1
	v_cndmask_b32_e64 v2, v2, v4, s[0:1]
	v_subrev_u32_e32 v4, s25, v3
	v_cndmask_b32_e64 v3, v3, v4, s[0:1]
	v_add_u32_e32 v4, 1, v2
	v_cmp_le_u32_e64 s[0:1], s25, v3
	s_nop 1
	v_cndmask_b32_e64 v2, v2, v4, s[0:1]
	v_xor_b32_e32 v2, s23, v2
	v_subrev_u32_e32 v2, s23, v2
	v_add_u32_e32 v3, s36, v2
	v_sub_u32_e32 v5, 0, v3
	v_ashrrev_i32_e32 v4, 31, v3
	v_max_i32_e32 v3, v3, v5
	v_mul_hi_u32 v5, v3, v44
	v_mul_lo_u32 v5, v5, s47
	v_sub_u32_e32 v3, v3, v5
	v_subrev_u32_e32 v5, s47, v3
	v_cmp_le_u32_e64 s[0:1], s47, v3
	v_cmp_ge_i32_e64 s[8:9], s46, v2
	s_nop 0
	v_cndmask_b32_e64 v3, v3, v5, s[0:1]
	v_subrev_u32_e32 v5, s47, v3
	v_cmp_le_u32_e64 s[0:1], s47, v3
	s_nop 1
	v_cndmask_b32_e64 v3, v3, v5, s[0:1]
	v_xor_b32_e32 v3, v3, v4
	v_sub_u32_e32 v3, v3, v4
	v_cmp_ne_u32_e64 s[0:1], 0, v3
	s_and_b64 s[0:1], s[0:1], s[8:9]
	s_and_saveexec_b64 s[8:9], s[0:1]
	s_xor_b64 s[0:1], exec, s[8:9]
	s_cbranch_execz .LBB203_17
; %bb.14:                               ;   in Loop: Header=BB203_13 Depth=1
	s_and_saveexec_b64 s[8:9], vcc
; %bb.15:                               ;   in Loop: Header=BB203_13 Depth=1
	ds_write_b32 v47, v48
; %bb.16:                               ;   in Loop: Header=BB203_13 Depth=1
	s_or_b64 exec, exec, s[8:9]
.LBB203_17:                             ;   in Loop: Header=BB203_13 Depth=1
	s_andn2_saveexec_b64 s[8:9], s[0:1]
	s_cbranch_execz .LBB203_12
; %bb.18:                               ;   in Loop: Header=BB203_13 Depth=1
	global_load_dword v2, v[36:37], off
	s_waitcnt vmcnt(0)
	v_mad_i64_i32 v[18:19], s[0:1], v2, s48, v[34:35]
	global_load_ushort v6, v[18:19], off offset:4
	global_load_ushort v31, v[18:19], off
	global_load_ushort v55, v[18:19], off offset:8
	global_load_ushort v56, v[18:19], off offset:12
	;; [unrolled: 1-line block ×13, first 2 shown]
	ds_read_b128 v[20:23], v42
	ds_read_b128 v[24:27], v42 offset:16
	ds_read_b128 v[10:13], v42 offset:32
	;; [unrolled: 1-line block ×3, first 2 shown]
	s_load_dword s16, s[12:13], 0x0
	v_cmp_lt_i32_e64 s[0:1], v50, v51
	s_waitcnt vmcnt(14)
	v_cvt_pk_f32_fp8_e32 v[28:29], v6
	ds_read_b128 v[6:9], v42 offset:64
	ds_read_b128 v[14:17], v42 offset:80
	global_load_ushort v30, v[18:19], off offset:1548
	s_waitcnt vmcnt(14)
	v_cvt_pk_f32_fp8_e32 v[32:33], v31
	s_waitcnt lgkmcnt(0)
	v_pk_mul_f32 v[28:29], s[16:17], v[28:29] op_sel_hi:[0,1]
	v_mul_f32_e32 v53, v22, v28
	v_mul_f32_e32 v54, v23, v29
	global_load_ushort v68, v[18:19], off offset:2048
	global_load_ushort v69, v[18:19], off offset:2052
	global_load_ushort v70, v[18:19], off offset:2056
	global_load_ushort v71, v[18:19], off offset:2060
	global_load_ushort v72, v[18:19], off offset:2560
	global_load_ushort v73, v[18:19], off offset:2564
	global_load_ushort v74, v[18:19], off offset:2568
	global_load_ushort v75, v[18:19], off offset:2572
	v_pk_mul_f32 v[22:23], v[32:33], s[16:17] op_sel_hi:[1,0]
	s_waitcnt vmcnt(19)
	v_cvt_pk_f32_fp8_e32 v[28:29], v57
	v_fmac_f32_e32 v53, v20, v22
	v_fmac_f32_e32 v54, v21, v23
	v_cvt_pk_f32_fp8_e32 v[20:21], v55
	global_load_ushort v55, v[18:19], off offset:3072
	global_load_ushort v76, v[18:19], off offset:3076
	;; [unrolled: 1-line block ×6, first 2 shown]
	v_cvt_pk_f32_fp8_e32 v[22:23], v56
	v_pk_mul_f32 v[20:21], s[16:17], v[20:21] op_sel_hi:[0,1]
	v_fmac_f32_e32 v53, v24, v20
	v_fmac_f32_e32 v54, v25, v21
	s_waitcnt vmcnt(24)
	v_cvt_pk_f32_fp8_e32 v[24:25], v58
	v_pk_mul_f32 v[18:19], s[16:17], v[22:23] op_sel_hi:[0,1]
	v_pk_mul_f32 v[20:21], s[16:17], v[28:29] op_sel_hi:[0,1]
	v_fmac_f32_e32 v53, v26, v18
	v_fmac_f32_e32 v54, v27, v19
	;; [unrolled: 1-line block ×4, first 2 shown]
	v_pk_mul_f32 v[10:11], s[16:17], v[24:25] op_sel_hi:[0,1]
	v_fmac_f32_e32 v53, v12, v10
	v_fmac_f32_e32 v54, v13, v11
	s_waitcnt vmcnt(23)
	v_cvt_pk_f32_fp8_e32 v[10:11], v59
	s_waitcnt vmcnt(22)
	v_cvt_pk_f32_fp8_e32 v[12:13], v60
	;; [unrolled: 2-line block ×4, first 2 shown]
	v_pk_mul_f32 v[10:11], s[16:17], v[10:11] op_sel_hi:[0,1]
	s_waitcnt vmcnt(19)
	v_cvt_pk_f32_fp8_e32 v[58:59], v63
	v_pk_mul_f32 v[12:13], s[16:17], v[12:13] op_sel_hi:[0,1]
	v_fmac_f32_e32 v53, v2, v10
	v_fmac_f32_e32 v54, v3, v11
	;; [unrolled: 1-line block ×4, first 2 shown]
	v_pk_mul_f32 v[10:11], s[16:17], v[32:33] op_sel_hi:[0,1]
	v_pk_mul_f32 v[12:13], s[16:17], v[56:57] op_sel_hi:[0,1]
	v_fmac_f32_e32 v53, v6, v10
	v_fmac_f32_e32 v54, v7, v11
	s_waitcnt vmcnt(18)
	v_cvt_pk_f32_fp8_e32 v[32:33], v64
	v_fmac_f32_e32 v53, v8, v12
	v_fmac_f32_e32 v54, v9, v13
	v_pk_mul_f32 v[56:57], s[16:17], v[58:59] op_sel_hi:[0,1]
	v_fmac_f32_e32 v53, v14, v56
	v_fmac_f32_e32 v54, v15, v57
	s_waitcnt vmcnt(16)
	v_cvt_pk_f32_fp8_e32 v[56:57], v66
	v_cvt_pk_f32_fp8_e32 v[14:15], v65
	ds_read_b128 v[26:29], v42 offset:96
	ds_read_b128 v[18:21], v42 offset:112
	v_pk_mul_f32 v[32:33], s[16:17], v[32:33] op_sel_hi:[0,1]
	v_fmac_f32_e32 v53, v16, v32
	v_fmac_f32_e32 v54, v17, v33
	s_waitcnt vmcnt(15)
	v_cvt_pk_f32_fp8_e32 v[32:33], v67
	v_pk_mul_f32 v[16:17], s[16:17], v[56:57] op_sel_hi:[0,1]
	v_pk_mul_f32 v[14:15], s[16:17], v[14:15] op_sel_hi:[0,1]
	s_waitcnt lgkmcnt(1)
	v_fmac_f32_e32 v53, v26, v14
	v_fmac_f32_e32 v54, v27, v15
	;; [unrolled: 1-line block ×4, first 2 shown]
	ds_read_b128 v[22:25], v42 offset:128
	ds_read_b128 v[2:5], v42 offset:144
	v_cndmask_b32_e64 v58, v49, v50, s[0:1]
	v_lshlrev_b32_e32 v81, 2, v58
	ds_read_b128 v[10:13], v42 offset:160
	ds_read_b128 v[6:9], v42 offset:176
	;; [unrolled: 1-line block ×4, first 2 shown]
	s_waitcnt vmcnt(14)
	v_cvt_pk_f32_fp8_e32 v[56:57], v30
	v_pk_mul_f32 v[30:31], s[16:17], v[32:33] op_sel_hi:[0,1]
	s_waitcnt lgkmcnt(6)
	v_fmac_f32_e32 v53, v18, v30
	v_fmac_f32_e32 v54, v19, v31
	s_waitcnt vmcnt(13)
	v_cvt_pk_f32_fp8_e32 v[18:19], v68
	v_pk_mul_f32 v[56:57], s[16:17], v[56:57] op_sel_hi:[0,1]
	v_fmac_f32_e32 v53, v20, v56
	v_fmac_f32_e32 v54, v21, v57
	s_waitcnt vmcnt(12)
	v_cvt_pk_f32_fp8_e32 v[20:21], v69
	s_waitcnt vmcnt(11)
	v_cvt_pk_f32_fp8_e32 v[56:57], v70
	;; [unrolled: 2-line block ×4, first 2 shown]
	v_pk_mul_f32 v[18:19], s[16:17], v[18:19] op_sel_hi:[0,1]
	s_waitcnt vmcnt(8)
	v_cvt_pk_f32_fp8_e32 v[62:63], v73
	s_waitcnt lgkmcnt(5)
	v_fmac_f32_e32 v53, v22, v18
	v_fmac_f32_e32 v54, v23, v19
	v_pk_mul_f32 v[20:21], s[16:17], v[20:21] op_sel_hi:[0,1]
	s_waitcnt vmcnt(7)
	v_cvt_pk_f32_fp8_e32 v[64:65], v74
	v_fmac_f32_e32 v53, v24, v20
	v_fmac_f32_e32 v54, v25, v21
	v_pk_mul_f32 v[56:57], s[16:17], v[56:57] op_sel_hi:[0,1]
	s_waitcnt vmcnt(6)
	v_cvt_pk_f32_fp8_e32 v[18:19], v75
	v_pk_mul_f32 v[58:59], s[16:17], v[58:59] op_sel_hi:[0,1]
	s_waitcnt lgkmcnt(4)
	v_fmac_f32_e32 v53, v2, v56
	v_fmac_f32_e32 v54, v3, v57
	s_waitcnt vmcnt(5)
	v_cvt_pk_f32_fp8_e32 v[22:23], v55
	v_pk_mul_f32 v[60:61], s[16:17], v[60:61] op_sel_hi:[0,1]
	v_fmac_f32_e32 v53, v4, v58
	v_fmac_f32_e32 v54, v5, v59
	s_waitcnt vmcnt(4)
	v_cvt_pk_f32_fp8_e32 v[20:21], v76
	v_pk_mul_f32 v[62:63], s[16:17], v[62:63] op_sel_hi:[0,1]
	s_waitcnt lgkmcnt(3)
	v_fmac_f32_e32 v53, v10, v60
	v_fmac_f32_e32 v54, v11, v61
	s_waitcnt vmcnt(3)
	v_cvt_pk_f32_fp8_e32 v[24:25], v77
	v_pk_mul_f32 v[64:65], s[16:17], v[64:65] op_sel_hi:[0,1]
	v_fmac_f32_e32 v53, v12, v62
	v_fmac_f32_e32 v54, v13, v63
	s_waitcnt vmcnt(2)
	v_cvt_pk_f32_fp8_e32 v[66:67], v78
	v_pk_mul_f32 v[18:19], s[16:17], v[18:19] op_sel_hi:[0,1]
	s_waitcnt lgkmcnt(2)
	v_fmac_f32_e32 v53, v6, v64
	v_fmac_f32_e32 v54, v7, v65
	ds_read_b128 v[30:33], v42 offset:224
	s_waitcnt vmcnt(1)
	v_cvt_pk_f32_fp8_e32 v[68:69], v79
	v_pk_mul_f32 v[22:23], s[16:17], v[22:23] op_sel_hi:[0,1]
	v_fmac_f32_e32 v53, v8, v18
	v_fmac_f32_e32 v54, v9, v19
	s_waitcnt vmcnt(0)
	v_cvt_pk_f32_fp8_e32 v[70:71], v80
	v_pk_mul_f32 v[20:21], s[16:17], v[20:21] op_sel_hi:[0,1]
	s_waitcnt lgkmcnt(2)
	v_fmac_f32_e32 v53, v14, v22
	v_fmac_f32_e32 v54, v15, v23
	v_pk_mul_f32 v[24:25], s[16:17], v[24:25] op_sel_hi:[0,1]
	v_fmac_f32_e32 v53, v20, v16
	v_fmac_f32_e32 v54, v21, v17
	v_pk_mul_f32 v[66:67], s[16:17], v[66:67] op_sel_hi:[0,1]
	s_waitcnt lgkmcnt(1)
	v_fmac_f32_e32 v53, v24, v26
	v_fmac_f32_e32 v54, v25, v27
	v_pk_mul_f32 v[68:69], s[16:17], v[68:69] op_sel_hi:[0,1]
	v_fmac_f32_e32 v53, v66, v28
	v_fmac_f32_e32 v54, v67, v29
	v_pk_mul_f32 v[70:71], s[16:17], v[70:71] op_sel_hi:[0,1]
	s_waitcnt lgkmcnt(0)
	v_fmac_f32_e32 v53, v68, v30
	v_fmac_f32_e32 v54, v69, v31
	;; [unrolled: 1-line block ×4, first 2 shown]
	v_add_f32_e32 v2, v53, v54
	ds_bpermute_b32 v3, v81, v2
	s_and_saveexec_b64 s[40:41], vcc
	s_cbranch_execz .LBB203_11
; %bb.19:                               ;   in Loop: Header=BB203_13 Depth=1
	v_add_u32_e32 v4, v46, v45
	v_cvt_f32_i32_e32 v4, v4
	s_waitcnt lgkmcnt(0)
	v_add_f32_e32 v2, v2, v3
	v_add_u32_e32 v5, v41, v45
	v_cmp_gt_i32_e64 s[0:1], s33, v5
	v_mul_f32_e32 v3, s45, v4
	v_cndmask_b32_e64 v3, 0, v3, s[2:3]
	v_fmac_f32_e32 v3, s37, v2
	v_cndmask_b32_e64 v2, 0, v3, s[0:1]
	ds_write_b32 v47, v2
	v_max_f32_e32 v2, v43, v43
	v_max_f32_e32 v2, v2, v3
	v_cndmask_b32_e64 v43, v43, v2, s[0:1]
	s_branch .LBB203_11
.LBB203_20:
	s_or_b64 exec, exec, s[38:39]
.LBB203_21:
	s_or_b64 exec, exec, s[18:19]
	v_mbcnt_hi_u32_b32 v2, -1, v40
	v_and_b32_e32 v8, 64, v2
	v_add_u32_e32 v9, 64, v8
	s_waitcnt lgkmcnt(0)
	v_xor_b32_e32 v3, 32, v2
	v_cmp_lt_i32_e32 vcc, v3, v9
	v_xor_b32_e32 v6, 16, v2
	v_max_f32_e32 v5, v43, v43
	v_cndmask_b32_e32 v3, v2, v3, vcc
	v_lshlrev_b32_e32 v3, 2, v3
	ds_bpermute_b32 v4, v3, v43
	v_cmp_lt_i32_e32 vcc, v6, v9
	v_xor_b32_e32 v7, 8, v2
	v_xor_b32_e32 v10, 4, v2
	v_and_b32_e32 v87, 63, v0
	s_waitcnt lgkmcnt(0)
	v_max_f32_e32 v4, v4, v4
	v_max_f32_e32 v5, v5, v4
	v_cndmask_b32_e32 v4, v2, v6, vcc
	v_lshlrev_b32_e32 v4, 2, v4
	ds_bpermute_b32 v6, v4, v5
	v_cmp_lt_i32_e32 vcc, v7, v9
	s_waitcnt lgkmcnt(0)
	v_max_f32_e32 v6, v6, v6
	v_max_f32_e32 v6, v5, v6
	v_cndmask_b32_e32 v5, v2, v7, vcc
	v_lshlrev_b32_e32 v5, 2, v5
	ds_bpermute_b32 v7, v5, v6
	v_cmp_lt_i32_e32 vcc, v10, v9
	s_waitcnt lgkmcnt(0)
	v_max_f32_e32 v7, v7, v7
	v_max_f32_e32 v6, v6, v7
	v_cndmask_b32_e32 v7, v2, v10, vcc
	v_lshlrev_b32_e32 v88, 2, v7
	ds_bpermute_b32 v7, v88, v6
	v_xor_b32_e32 v10, 2, v2
	v_cmp_lt_i32_e32 vcc, v10, v9
	s_waitcnt lgkmcnt(0)
	v_max_f32_e32 v7, v7, v7
	v_max_f32_e32 v7, v6, v7
	v_cndmask_b32_e32 v6, v2, v10, vcc
	v_lshlrev_b32_e32 v89, 2, v6
	ds_bpermute_b32 v10, v89, v7
	v_cmp_eq_u32_e32 vcc, 0, v87
	v_lshlrev_b32_e32 v6, 2, v1
	s_and_saveexec_b64 s[0:1], vcc
	s_cbranch_execz .LBB203_23
; %bb.22:
	s_waitcnt lgkmcnt(0)
	v_max_f32_e32 v10, v10, v10
	v_max_f32_e32 v7, v7, v7
	;; [unrolled: 1-line block ×3, first 2 shown]
	ds_write_b32 v6, v7 offset:480
.LBB203_23:
	s_or_b64 exec, exec, s[0:1]
	v_cmp_gt_u32_e64 s[0:1], 2, v87
	s_waitcnt lgkmcnt(0)
	v_mov_b32_e32 v10, 0xff7fffff
	v_lshlrev_b32_e32 v7, 2, v87
	s_barrier
	s_and_saveexec_b64 s[2:3], s[0:1]
; %bb.24:
	ds_read_b32 v10, v7 offset:480
; %bb.25:
	s_or_b64 exec, exec, s[2:3]
	v_xor_b32_e32 v11, 1, v2
	v_cmp_lt_i32_e64 s[2:3], v11, v9
	v_lshlrev_b32_e32 v8, 2, v8
	s_nop 0
	v_cndmask_b32_e64 v9, v2, v11, s[2:3]
	v_lshlrev_b32_e32 v90, 2, v9
	s_waitcnt lgkmcnt(0)
	ds_bpermute_b32 v9, v90, v10
	v_max_f32_e32 v10, v10, v10
	s_lshl_b32 s2, s20, 5
	s_min_i32 s16, s2, s33
	v_cmp_gt_i32_e64 s[2:3], s16, v0
	s_waitcnt lgkmcnt(0)
	v_max_f32_e32 v9, v9, v9
	v_max_f32_e32 v9, v10, v9
	ds_bpermute_b32 v9, v8, v9
	v_mov_b32_e32 v8, 0
	s_and_saveexec_b64 s[12:13], s[2:3]
	s_cbranch_execz .LBB203_29
; %bb.26:
	v_mov_b32_e32 v8, 0x1f0
	v_lshl_add_u32 v10, v0, 2, v8
	v_mov_b32_e32 v8, 0
	s_mov_b64 s[18:19], 0
	v_mov_b32_e32 v11, v0
.LBB203_27:                             ; =>This Inner Loop Header: Depth=1
	ds_read_b32 v12, v10
	v_add_u32_e32 v11, 0x80, v11
	v_cmp_le_i32_e64 s[8:9], s16, v11
	s_or_b64 s[18:19], s[8:9], s[18:19]
	s_waitcnt lgkmcnt(0)
	v_sub_f32_e32 v12, v12, v9
	v_mul_f32_e32 v12, 0x3fb8aa3b, v12
	v_exp_f32_e32 v12, v12
	ds_write_b32 v10, v12
	v_add_f32_e32 v8, v8, v12
	v_add_u32_e32 v10, 0x200, v10
	s_andn2_b64 exec, exec, s[18:19]
	s_cbranch_execnz .LBB203_27
; %bb.28:
	s_or_b64 exec, exec, s[18:19]
.LBB203_29:
	s_or_b64 exec, exec, s[12:13]
	ds_bpermute_b32 v3, v3, v8
	s_waitcnt lgkmcnt(0)
	v_add_f32_e32 v3, v8, v3
	ds_bpermute_b32 v4, v4, v3
	s_waitcnt lgkmcnt(0)
	v_add_f32_e32 v3, v3, v4
	;; [unrolled: 3-line block ×6, first 2 shown]
	s_and_saveexec_b64 s[8:9], vcc
; %bb.30:
	ds_write_b32 v6, v3 offset:488
; %bb.31:
	s_or_b64 exec, exec, s[8:9]
	s_waitcnt lgkmcnt(0)
	s_barrier
	s_and_saveexec_b64 s[8:9], s[0:1]
; %bb.32:
	ds_read_b32 v3, v7 offset:488
; %bb.33:
	s_or_b64 exec, exec, s[8:9]
	s_waitcnt lgkmcnt(0)
	ds_bpermute_b32 v4, v90, v3
	v_lshlrev_b32_e32 v2, 2, v2
	v_and_b32_e32 v2, 0x100, v2
	s_waitcnt lgkmcnt(0)
	v_add_f32_e32 v3, v3, v4
	ds_bpermute_b32 v2, v2, v3
	s_and_saveexec_b64 s[0:1], s[2:3]
	s_cbranch_execz .LBB203_46
; %bb.34:
	s_waitcnt lgkmcnt(0)
	v_add_f32_e32 v2, 0x358637bd, v2
	v_div_scale_f32 v3, s[2:3], v2, v2, 1.0
	v_rcp_f32_e32 v4, v3
	v_div_scale_f32 v5, vcc, 1.0, v2, 1.0
	s_movk_i32 s2, 0x7f
	v_fma_f32 v6, -v3, v4, 1.0
	v_fmac_f32_e32 v4, v6, v4
	v_mul_f32_e32 v6, v5, v4
	v_fma_f32 v7, -v3, v6, v5
	v_fmac_f32_e32 v6, v7, v4
	v_fma_f32 v3, -v3, v6, v5
	v_div_fmas_f32 v3, v3, v4, v6
	v_xad_u32 v4, v0, -1, s16
	v_div_fixup_f32 v2, v3, v2, 1.0
	v_cmp_lt_u32_e32 vcc, s2, v4
	s_mov_b64 s[8:9], -1
	v_mov_b32_e32 v3, v0
	s_and_saveexec_b64 s[2:3], vcc
	s_cbranch_execz .LBB203_43
; %bb.35:
	v_lshrrev_b32_e32 v4, 7, v4
	v_add_u32_e32 v6, -1, v4
	v_lshrrev_b32_e32 v5, 1, v6
	v_mov_b32_e32 v3, v2
	v_add_u32_e32 v5, 1, v5
	v_cmp_lt_u32_e32 vcc, 13, v6
	v_mov_b32_e32 v8, 0
	s_and_saveexec_b64 s[8:9], vcc
	s_cbranch_execz .LBB203_39
; %bb.36:
	v_mov_b32_e32 v7, 0x1f0
	v_and_b32_e32 v6, -8, v5
	v_lshl_add_u32 v7, v0, 2, v7
	s_mov_b32 s18, 0
	s_mov_b64 s[12:13], 0
.LBB203_37:                             ; =>This Inner Loop Header: Depth=1
	ds_read2st64_b32 v[8:9], v7 offset1:2
	ds_read2st64_b32 v[10:11], v7 offset0:4 offset1:6
	ds_read2st64_b32 v[12:13], v7 offset0:8 offset1:10
	;; [unrolled: 1-line block ×3, first 2 shown]
	v_add_u32_e32 v6, -8, v6
	s_waitcnt lgkmcnt(3)
	v_pk_mul_f32 v[8:9], v[2:3], v[8:9]
	s_waitcnt lgkmcnt(2)
	v_pk_mul_f32 v[10:11], v[2:3], v[10:11]
	ds_write2st64_b32 v7, v8, v9 offset1:2
	ds_write2st64_b32 v7, v10, v11 offset0:4 offset1:6
	ds_read2st64_b32 v[10:11], v7 offset0:16 offset1:18
	s_waitcnt lgkmcnt(4)
	v_pk_mul_f32 v[8:9], v[2:3], v[12:13]
	ds_write2st64_b32 v7, v8, v9 offset0:8 offset1:10
	s_waitcnt lgkmcnt(4)
	v_pk_mul_f32 v[8:9], v[2:3], v[14:15]
	ds_write2st64_b32 v7, v8, v9 offset0:12 offset1:14
	ds_read2st64_b32 v[8:9], v7 offset0:20 offset1:22
	s_waitcnt lgkmcnt(3)
	v_pk_mul_f32 v[10:11], v[2:3], v[10:11]
	ds_read2st64_b32 v[12:13], v7 offset0:24 offset1:26
	ds_write2st64_b32 v7, v10, v11 offset0:16 offset1:18
	ds_read2st64_b32 v[10:11], v7 offset0:28 offset1:30
	s_waitcnt lgkmcnt(3)
	v_pk_mul_f32 v[8:9], v[2:3], v[8:9]
	ds_write2st64_b32 v7, v8, v9 offset0:20 offset1:22
	s_waitcnt lgkmcnt(3)
	v_pk_mul_f32 v[8:9], v[2:3], v[12:13]
	ds_write2st64_b32 v7, v8, v9 offset0:24 offset1:26
	s_waitcnt lgkmcnt(2)
	v_pk_mul_f32 v[8:9], v[2:3], v[10:11]
	s_add_i32 s18, s18, 16
	v_cmp_eq_u32_e32 vcc, 0, v6
	ds_write2st64_b32 v7, v8, v9 offset0:28 offset1:30
	v_add_u32_e32 v7, 0x2000, v7
	s_or_b64 s[12:13], vcc, s[12:13]
	v_mov_b32_e32 v8, s18
	s_andn2_b64 exec, exec, s[12:13]
	s_cbranch_execnz .LBB203_37
; %bb.38:
	s_or_b64 exec, exec, s[12:13]
.LBB203_39:
	s_or_b64 exec, exec, s[8:9]
	v_and_b32_e32 v5, 7, v5
	v_cmp_ne_u32_e32 vcc, 0, v5
	s_and_saveexec_b64 s[8:9], vcc
	s_cbranch_execz .LBB203_42
; %bb.40:
	v_lshlrev_b32_e32 v6, 9, v8
	s_movk_i32 s12, 0x1f0
	v_add3_u32 v6, v6, v38, s12
	s_mov_b64 s[12:13], 0
.LBB203_41:                             ; =>This Inner Loop Header: Depth=1
	ds_read2st64_b32 v[8:9], v6 offset1:2
	v_add_u32_e32 v5, -1, v5
	v_cmp_eq_u32_e32 vcc, 0, v5
	s_or_b64 s[12:13], vcc, s[12:13]
	s_waitcnt lgkmcnt(0)
	v_pk_mul_f32 v[8:9], v[2:3], v[8:9]
	ds_write2st64_b32 v6, v8, v9 offset1:2
	v_add_u32_e32 v6, 0x400, v6
	s_andn2_b64 exec, exec, s[12:13]
	s_cbranch_execnz .LBB203_41
.LBB203_42:
	s_or_b64 exec, exec, s[8:9]
	v_add_u32_e32 v4, 1, v4
	v_and_b32_e32 v5, 0x3fffffe, v4
	v_cmp_ne_u32_e32 vcc, v4, v5
	v_lshl_add_u32 v3, v5, 7, v0
	s_orn2_b64 s[8:9], vcc, exec
.LBB203_43:
	s_or_b64 exec, exec, s[2:3]
	s_and_b64 exec, exec, s[8:9]
	s_cbranch_execz .LBB203_46
; %bb.44:
	v_mov_b32_e32 v4, 0x1f0
	v_lshl_add_u32 v4, v3, 2, v4
	s_mov_b64 s[2:3], 0
.LBB203_45:                             ; =>This Inner Loop Header: Depth=1
	ds_read_b32 v5, v4
	v_add_u32_e32 v3, 0x80, v3
	v_cmp_le_i32_e32 vcc, s16, v3
	s_or_b64 s[2:3], vcc, s[2:3]
	s_waitcnt lgkmcnt(0)
	v_mul_f32_e32 v5, v2, v5
	ds_write_b32 v4, v5
	v_add_u32_e32 v4, 0x200, v4
	s_andn2_b64 exec, exec, s[2:3]
	s_cbranch_execnz .LBB203_45
.LBB203_46:
	s_or_b64 exec, exec, s[0:1]
	v_mov_b32_e32 v9, 0
	v_and_b32_e32 v91, 7, v0
	v_mov_b32_e32 v8, 0
	v_mov_b32_e32 v11, 0
	v_mov_b32_e32 v10, 0
	v_mov_b32_e32 v13, 0
	v_mov_b32_e32 v12, 0
	v_mov_b32_e32 v15, 0
	v_mov_b32_e32 v14, 0
	v_mov_b32_e32 v17, 0
	v_mov_b32_e32 v16, 0
	v_mov_b32_e32 v19, 0
	v_mov_b32_e32 v18, 0
	v_mov_b32_e32 v21, 0
	v_mov_b32_e32 v20, 0
	v_mov_b32_e32 v7, 0
	s_waitcnt lgkmcnt(0)
	s_barrier
	s_and_saveexec_b64 s[2:3], s[6:7]
	s_cbranch_execz .LBB203_82
; %bb.47:
	s_sub_i32 s18, s43, s21
	s_ashr_i32 s1, s44, 31
	s_add_u32 s0, s34, s44
	s_addc_u32 s1, s35, s1
	s_abs_i32 s19, s22
	v_cvt_f32_u32_e32 v2, s19
	v_and_b32_e32 v6, 0xfc, v38
	v_mov_b32_e32 v7, 0
	v_lshl_add_u64 v[22:23], s[0:1], 0, v[6:7]
	v_rcp_iflag_f32_e32 v2, v2
	s_sub_i32 s0, 0, s19
	s_add_i32 s22, s20, -1
	v_and_b32_e32 v6, 60, v39
	v_mul_f32_e32 v2, 0x4f7ffffe, v2
	v_cvt_u32_f32_e32 v2, v2
	v_and_b32_e32 v92, 28, v38
	s_mov_b32 s21, s17
	s_mov_b32 s34, s33
	v_mul_lo_u32 v3, s0, v2
	v_mul_hi_u32 v3, v2, v3
	s_lshl_b64 s[0:1], s[30:31], 2
	v_add_u32_e32 v93, v2, v3
	s_add_u32 s0, s28, s0
	v_lshlrev_b32_e32 v2, 4, v91
	s_addc_u32 s1, s29, s1
	v_lshl_or_b32 v2, v1, 7, v2
	v_lshl_add_u64 v[24:25], s[0:1], 0, v[6:7]
	v_add_u32_e32 v6, 0x1f0, v2
	s_mov_b64 s[6:7], 0
	v_mov_b32_e32 v20, v7
	v_mov_b32_e32 v21, v7
	v_mov_b32_e32 v18, v7
	v_mov_b32_e32 v19, v7
	v_mov_b32_e32 v16, v7
	v_mov_b32_e32 v17, v7
	v_mov_b32_e32 v14, v7
	v_mov_b32_e32 v15, v7
	v_mov_b32_e32 v12, v7
	v_mov_b32_e32 v13, v7
	v_mov_b32_e32 v10, v7
	v_mov_b32_e32 v11, v7
	v_mov_b32_e32 v8, v7
	v_mov_b32_e32 v9, v7
	s_branch .LBB203_50
.LBB203_48:                             ;   in Loop: Header=BB203_50 Depth=1
	s_or_b64 exec, exec, s[0:1]
	v_mul_f32_e32 v84, v2, v84
	v_mul_f32_e32 v80, v2, v80
	;; [unrolled: 1-line block ×14, first 2 shown]
	v_fmac_f32_e32 v84, v3, v85
	v_fmac_f32_e32 v80, v3, v81
	;; [unrolled: 1-line block ×28, first 2 shown]
	v_pk_mul_f32 v[2:3], v[2:3], v[76:77]
	v_fmac_f32_e32 v84, v5, v83
	v_fmac_f32_e32 v80, v5, v79
	;; [unrolled: 1-line block ×14, first 2 shown]
	v_pk_mul_f32 v[4:5], v[4:5], v[38:39]
	v_add_f32_e32 v2, v3, v2
	v_add_f32_e32 v2, v4, v2
	;; [unrolled: 1-line block ×18, first 2 shown]
.LBB203_49:                             ;   in Loop: Header=BB203_50 Depth=1
	s_or_b64 exec, exec, s[8:9]
	v_add_u32_e32 v1, 2, v1
	v_cmp_le_i32_e32 vcc, s20, v1
	v_lshl_add_u64 v[24:25], v[24:25], 0, 8
	v_add_u32_e32 v86, 64, v86
	s_or_b64 s[6:7], vcc, s[6:7]
	v_add_u32_e32 v6, 0x100, v6
	s_andn2_b64 exec, exec, s[6:7]
	s_cbranch_execz .LBB203_81
.LBB203_50:                             ; =>This Inner Loop Header: Depth=1
	v_mul_hi_u32 v2, v86, s42
	v_mul_lo_u32 v3, v2, s25
	v_sub_u32_e32 v3, v86, v3
	v_add_u32_e32 v4, 1, v2
	v_cmp_le_u32_e32 vcc, s25, v3
	s_nop 1
	v_cndmask_b32_e32 v2, v2, v4, vcc
	v_subrev_u32_e32 v4, s25, v3
	v_cndmask_b32_e32 v3, v3, v4, vcc
	v_add_u32_e32 v4, 1, v2
	v_cmp_le_u32_e32 vcc, s25, v3
	s_nop 1
	v_cndmask_b32_e32 v2, v2, v4, vcc
	v_xor_b32_e32 v2, s23, v2
	v_subrev_u32_e32 v2, s23, v2
	v_add_u32_e32 v3, s36, v2
	v_sub_u32_e32 v5, 0, v3
	v_ashrrev_i32_e32 v4, 31, v3
	v_max_i32_e32 v3, v3, v5
	v_mul_hi_u32 v5, v3, v93
	v_mul_lo_u32 v5, v5, s19
	v_sub_u32_e32 v3, v3, v5
	v_subrev_u32_e32 v5, s19, v3
	v_cmp_le_u32_e32 vcc, s19, v3
	v_cmp_lt_i32_e64 s[0:1], s18, v2
	s_nop 0
	v_cndmask_b32_e32 v3, v3, v5, vcc
	v_subrev_u32_e32 v5, s19, v3
	v_cmp_le_u32_e32 vcc, s19, v3
	s_nop 1
	v_cndmask_b32_e32 v3, v3, v5, vcc
	v_xor_b32_e32 v3, v3, v4
	v_sub_u32_e32 v3, v3, v4
	v_cmp_eq_u32_e32 vcc, 0, v3
	s_or_b64 s[0:1], vcc, s[0:1]
	s_and_saveexec_b64 s[8:9], s[0:1]
	s_cbranch_execz .LBB203_49
; %bb.51:                               ;   in Loop: Header=BB203_50 Depth=1
	global_load_dword v2, v[24:25], off
	s_load_dword s12, s[14:15], 0x0
	v_add_u32_e32 v94, v92, v86
	v_cmp_eq_u32_e32 vcc, s22, v1
	v_add_u32_e32 v95, 1, v94
	v_add_u32_e32 v76, 2, v94
	;; [unrolled: 1-line block ×3, first 2 shown]
	s_waitcnt vmcnt(0)
	v_mad_i64_i32 v[38:39], s[0:1], v2, s21, v[22:23]
	global_load_dword v26, v[38:39], off
	ds_read_b128 v[2:5], v6
	s_waitcnt vmcnt(0)
	v_and_b32_e32 v27, 0xffff, v26
	v_lshrrev_b32_e32 v28, 16, v26
	v_cvt_pk_f32_fp8_e32 v[26:27], v27
	v_cvt_pk_f32_fp8_e32 v[30:31], v28
	s_waitcnt lgkmcnt(0)
	v_pk_mul_f32 v[28:29], v[26:27], s[12:13] op_sel_hi:[1,0]
	v_pk_mul_f32 v[26:27], s[12:13], v[30:31] op_sel_hi:[0,1]
	s_and_saveexec_b64 s[16:17], vcc
; %bb.52:                               ;   in Loop: Header=BB203_50 Depth=1
	v_cmp_gt_i32_e64 s[0:1], s33, v94
	s_nop 1
	v_cndmask_b32_e64 v28, 0, v28, s[0:1]
	v_cmp_gt_i32_e64 s[0:1], s33, v95
	s_nop 1
	v_cndmask_b32_e64 v29, 0, v29, s[0:1]
	;; [unrolled: 3-line block ×4, first 2 shown]
; %bb.53:                               ;   in Loop: Header=BB203_50 Depth=1
	s_or_b64 exec, exec, s[16:17]
	global_load_dword v30, v[38:39], off offset:256
	s_mov_b32 s13, s12
	s_waitcnt vmcnt(0)
	v_and_b32_e32 v31, 0xffff, v30
	v_lshrrev_b32_e32 v32, 16, v30
	v_cvt_pk_f32_fp8_e32 v[30:31], v31
	v_cvt_pk_f32_fp8_e32 v[34:35], v32
	v_pk_mul_f32 v[32:33], s[12:13], v[30:31]
	v_pk_mul_f32 v[30:31], s[12:13], v[34:35]
	s_and_saveexec_b64 s[16:17], vcc
; %bb.54:                               ;   in Loop: Header=BB203_50 Depth=1
	v_cmp_gt_i32_e64 s[0:1], s33, v94
	s_nop 1
	v_cndmask_b32_e64 v32, 0, v32, s[0:1]
	v_cmp_gt_i32_e64 s[0:1], s33, v95
	s_nop 1
	v_cndmask_b32_e64 v33, 0, v33, s[0:1]
	v_cmp_gt_i32_e64 s[0:1], s33, v76
	s_nop 1
	v_cndmask_b32_e64 v30, 0, v30, s[0:1]
	v_cmp_gt_i32_e64 s[0:1], s33, v77
	s_nop 1
	v_cndmask_b32_e64 v31, 0, v31, s[0:1]
; %bb.55:                               ;   in Loop: Header=BB203_50 Depth=1
	s_or_b64 exec, exec, s[16:17]
	global_load_dword v34, v[38:39], off offset:512
	s_waitcnt vmcnt(0)
	v_and_b32_e32 v35, 0xffff, v34
	v_lshrrev_b32_e32 v36, 16, v34
	v_cvt_pk_f32_fp8_e32 v[34:35], v35
	v_cvt_pk_f32_fp8_e32 v[40:41], v36
	v_pk_mul_f32 v[36:37], s[12:13], v[34:35]
	v_pk_mul_f32 v[34:35], s[12:13], v[40:41]
	s_and_saveexec_b64 s[16:17], vcc
; %bb.56:                               ;   in Loop: Header=BB203_50 Depth=1
	v_cmp_gt_i32_e64 s[0:1], s33, v94
	s_nop 1
	v_cndmask_b32_e64 v36, 0, v36, s[0:1]
	v_cmp_gt_i32_e64 s[0:1], s33, v95
	s_nop 1
	v_cndmask_b32_e64 v37, 0, v37, s[0:1]
	v_cmp_gt_i32_e64 s[0:1], s33, v76
	s_nop 1
	v_cndmask_b32_e64 v34, 0, v34, s[0:1]
	v_cmp_gt_i32_e64 s[0:1], s33, v77
	s_nop 1
	v_cndmask_b32_e64 v35, 0, v35, s[0:1]
; %bb.57:                               ;   in Loop: Header=BB203_50 Depth=1
	s_or_b64 exec, exec, s[16:17]
	global_load_dword v40, v[38:39], off offset:768
	;; [unrolled: 24-line block ×13, first 2 shown]
	s_waitcnt vmcnt(0)
	v_and_b32_e32 v39, 0xffff, v38
	v_lshrrev_b32_e32 v76, 16, v38
	v_cvt_pk_f32_fp8_e32 v[38:39], v39
	v_cvt_pk_f32_fp8_e32 v[96:97], v76
	v_pk_mul_f32 v[76:77], s[12:13], v[38:39]
	v_pk_mul_f32 v[38:39], s[12:13], v[96:97]
	s_and_saveexec_b64 s[0:1], vcc
	s_cbranch_execz .LBB203_48
; %bb.80:                               ;   in Loop: Header=BB203_50 Depth=1
	v_cmp_gt_i32_e32 vcc, s34, v95
	v_or_b32_e32 v95, 3, v94
	s_nop 0
	v_cndmask_b32_e32 v77, 0, v77, vcc
	v_cmp_gt_i32_e32 vcc, s33, v94
	v_or_b32_e32 v94, 2, v94
	s_nop 0
	v_cndmask_b32_e32 v76, 0, v76, vcc
	v_cmp_gt_i32_e32 vcc, s34, v95
	s_nop 1
	v_cndmask_b32_e32 v39, 0, v39, vcc
	v_cmp_gt_i32_e32 vcc, s33, v94
	s_nop 1
	v_cndmask_b32_e32 v38, 0, v38, vcc
	s_branch .LBB203_48
.LBB203_81:
	s_or_b64 exec, exec, s[6:7]
.LBB203_82:
	s_or_b64 exec, exec, s[2:3]
	ds_bpermute_b32 v4, v88, v18
	ds_bpermute_b32 v5, v88, v19
	;; [unrolled: 1-line block ×6, first 2 shown]
	s_waitcnt lgkmcnt(4)
	v_pk_add_f32 v[4:5], v[18:19], v[4:5]
	ds_bpermute_b32 v18, v89, v4
	ds_bpermute_b32 v19, v89, v5
	s_waitcnt lgkmcnt(4)
	v_pk_add_f32 v[2:3], v[20:21], v[2:3]
	s_waitcnt lgkmcnt(2)
	v_pk_add_f32 v[16:17], v[16:17], v[22:23]
	ds_bpermute_b32 v20, v89, v2
	ds_bpermute_b32 v21, v89, v3
	s_waitcnt lgkmcnt(2)
	v_pk_add_f32 v[4:5], v[4:5], v[18:19]
	ds_bpermute_b32 v18, v89, v16
	ds_bpermute_b32 v19, v89, v17
	;; [unrolled: 1-line block ×3, first 2 shown]
	s_waitcnt lgkmcnt(3)
	v_pk_add_f32 v[2:3], v[2:3], v[20:21]
	ds_bpermute_b32 v29, v88, v13
	ds_bpermute_b32 v20, v90, v2
	s_waitcnt lgkmcnt(3)
	v_pk_add_f32 v[16:17], v[16:17], v[18:19]
	ds_bpermute_b32 v21, v90, v3
	ds_bpermute_b32 v24, v88, v14
	ds_bpermute_b32 v25, v88, v15
	ds_bpermute_b32 v18, v90, v16
	ds_bpermute_b32 v19, v90, v17
	s_waitcnt lgkmcnt(6)
	v_pk_add_f32 v[12:13], v[12:13], v[28:29]
	ds_bpermute_b32 v22, v90, v4
	ds_bpermute_b32 v23, v90, v5
	s_waitcnt lgkmcnt(4)
	v_pk_add_f32 v[24:25], v[14:15], v[24:25]
	v_pk_add_f32 v[14:15], v[2:3], v[20:21]
	s_waitcnt lgkmcnt(2)
	v_pk_add_f32 v[2:3], v[16:17], v[18:19]
	ds_bpermute_b32 v18, v89, v12
	ds_bpermute_b32 v19, v89, v13
	s_waitcnt lgkmcnt(2)
	v_pk_add_f32 v[4:5], v[4:5], v[22:23]
	ds_bpermute_b32 v22, v88, v10
	ds_bpermute_b32 v23, v88, v11
	;; [unrolled: 1-line block ×3, first 2 shown]
	s_waitcnt lgkmcnt(3)
	v_pk_add_f32 v[18:19], v[12:13], v[18:19]
	ds_bpermute_b32 v12, v88, v8
	ds_bpermute_b32 v13, v88, v9
	;; [unrolled: 1-line block ×4, first 2 shown]
	s_waitcnt lgkmcnt(5)
	v_pk_add_f32 v[10:11], v[10:11], v[22:23]
	ds_bpermute_b32 v22, v89, v10
	s_waitcnt lgkmcnt(3)
	v_pk_add_f32 v[8:9], v[8:9], v[12:13]
	s_waitcnt lgkmcnt(2)
	v_pk_add_f32 v[16:17], v[24:25], v[26:27]
	ds_bpermute_b32 v23, v89, v11
	ds_bpermute_b32 v12, v89, v8
	;; [unrolled: 1-line block ×3, first 2 shown]
	s_waitcnt lgkmcnt(4)
	v_add_f32_e32 v1, v7, v1
	ds_bpermute_b32 v20, v90, v16
	ds_bpermute_b32 v21, v90, v17
	;; [unrolled: 1-line block ×3, first 2 shown]
	s_waitcnt lgkmcnt(5)
	v_pk_add_f32 v[22:23], v[10:11], v[22:23]
	s_waitcnt lgkmcnt(3)
	v_pk_add_f32 v[28:29], v[8:9], v[12:13]
	ds_bpermute_b32 v24, v90, v18
	ds_bpermute_b32 v25, v90, v19
	;; [unrolled: 1-line block ×6, first 2 shown]
	s_waitcnt lgkmcnt(7)
	v_pk_add_f32 v[12:13], v[16:17], v[20:21]
	s_waitcnt lgkmcnt(6)
	v_add_f32_e32 v16, v1, v32
	ds_bpermute_b32 v17, v90, v16
	v_and_b32_e32 v1, 0x3c7, v0
	s_waitcnt lgkmcnt(5)
	v_pk_add_f32 v[10:11], v[18:19], v[24:25]
	s_waitcnt lgkmcnt(3)
	v_pk_add_f32 v[8:9], v[22:23], v[26:27]
	;; [unrolled: 2-line block ×3, first 2 shown]
	v_cmp_ne_u32_e32 vcc, 64, v1
	s_waitcnt lgkmcnt(0)
	s_barrier
	s_and_saveexec_b64 s[0:1], vcc
	s_xor_b64 s[0:1], exec, s[0:1]
; %bb.83:
                                        ; implicit-def: $vgpr87
; %bb.84:
	s_or_saveexec_b64 s[0:1], s[0:1]
	v_add_f32_e32 v16, v16, v17
	s_xor_b64 exec, exec, s[0:1]
	s_cbranch_execz .LBB203_86
; %bb.85:
	v_lshrrev_b32_e32 v17, 1, v87
	v_add_u32_e32 v17, 0x1f0, v17
	ds_write2_b32 v17, v14, v15 offset1:8
	ds_write2_b32 v17, v4, v5 offset0:16 offset1:24
	ds_write2_b32 v17, v2, v3 offset0:32 offset1:40
	;; [unrolled: 1-line block ×6, first 2 shown]
	ds_write_b32 v17, v16 offset:448
.LBB203_86:
	s_or_b64 exec, exec, s[0:1]
	v_cmp_gt_u32_e32 vcc, 64, v0
	v_lshrrev_b32_e32 v0, 3, v0
	s_waitcnt lgkmcnt(0)
	s_barrier
	s_and_saveexec_b64 s[0:1], vcc
	s_cbranch_execz .LBB203_104
; %bb.87:
	v_mov_b32_e32 v17, 0x1f0
	v_cmp_eq_u32_e32 vcc, 0, v91
	v_lshl_add_u32 v17, v0, 2, v17
	s_and_saveexec_b64 s[2:3], vcc
	s_cbranch_execnz .LBB203_107
; %bb.88:
	s_or_b64 exec, exec, s[2:3]
	s_and_saveexec_b64 s[2:3], vcc
	s_cbranch_execnz .LBB203_108
.LBB203_89:
	s_or_b64 exec, exec, s[2:3]
	s_and_saveexec_b64 s[2:3], vcc
	s_cbranch_execnz .LBB203_109
.LBB203_90:
	s_or_b64 exec, exec, s[2:3]
	s_and_saveexec_b64 s[2:3], vcc
	s_cbranch_execnz .LBB203_110
.LBB203_91:
	s_or_b64 exec, exec, s[2:3]
	s_and_saveexec_b64 s[2:3], vcc
	s_cbranch_execnz .LBB203_111
.LBB203_92:
	s_or_b64 exec, exec, s[2:3]
	s_and_saveexec_b64 s[2:3], vcc
	s_cbranch_execnz .LBB203_112
.LBB203_93:
	s_or_b64 exec, exec, s[2:3]
	s_and_saveexec_b64 s[2:3], vcc
	s_cbranch_execnz .LBB203_113
.LBB203_94:
	s_or_b64 exec, exec, s[2:3]
	s_and_saveexec_b64 s[2:3], vcc
	s_cbranch_execnz .LBB203_114
.LBB203_95:
	s_or_b64 exec, exec, s[2:3]
	s_and_saveexec_b64 s[2:3], vcc
	s_cbranch_execnz .LBB203_115
.LBB203_96:
	s_or_b64 exec, exec, s[2:3]
	s_and_saveexec_b64 s[2:3], vcc
	s_cbranch_execnz .LBB203_116
.LBB203_97:
	s_or_b64 exec, exec, s[2:3]
	s_and_saveexec_b64 s[2:3], vcc
	s_cbranch_execnz .LBB203_117
.LBB203_98:
	s_or_b64 exec, exec, s[2:3]
	s_and_saveexec_b64 s[2:3], vcc
	s_cbranch_execnz .LBB203_118
.LBB203_99:
	s_or_b64 exec, exec, s[2:3]
	s_and_saveexec_b64 s[2:3], vcc
	s_cbranch_execnz .LBB203_119
.LBB203_100:
	s_or_b64 exec, exec, s[2:3]
	s_and_saveexec_b64 s[2:3], vcc
	s_cbranch_execnz .LBB203_120
.LBB203_101:
	s_or_b64 exec, exec, s[2:3]
	s_and_saveexec_b64 s[2:3], vcc
	s_cbranch_execz .LBB203_103
.LBB203_102:
	ds_read_b32 v17, v17 offset:448
	s_waitcnt lgkmcnt(0)
	v_add_f32_e32 v16, v16, v17
.LBB203_103:
	s_or_b64 exec, exec, s[2:3]
.LBB203_104:
	s_or_b64 exec, exec, s[0:1]
	v_cmp_eq_u32_e32 vcc, 0, v1
	s_barrier
	s_and_saveexec_b64 s[0:1], vcc
	s_cbranch_execz .LBB203_106
; %bb.105:
	s_mul_i32 s0, s10, s11
	s_mul_i32 s0, s0, s5
	s_mulk_i32 s0, 0x78
	s_ashr_i32 s1, s0, 31
	s_lshl_b64 s[0:1], s[0:1], 2
	s_add_u32 s2, s26, s0
	s_mul_i32 s0, s11, s24
	s_addc_u32 s3, s27, s1
	s_ashr_i32 s1, s0, 31
	s_lshl_b64 s[0:1], s[0:1], 2
	s_add_u32 s2, s2, s0
	s_mul_i32 s0, s4, 0x78
	s_addc_u32 s3, s3, s1
	s_ashr_i32 s1, s0, 31
	s_lshl_b64 s[0:1], s[0:1], 2
	s_add_u32 s0, s2, s0
	s_addc_u32 s1, s3, s1
	v_lshlrev_b32_e32 v0, 2, v0
	global_store_dword v0, v14, s[0:1]
	global_store_dword v0, v15, s[0:1] offset:32
	global_store_dword v0, v4, s[0:1] offset:64
	global_store_dword v0, v5, s[0:1] offset:96
	global_store_dword v0, v2, s[0:1] offset:128
	global_store_dword v0, v3, s[0:1] offset:160
	global_store_dword v0, v12, s[0:1] offset:192
	global_store_dword v0, v13, s[0:1] offset:224
	global_store_dword v0, v10, s[0:1] offset:256
	global_store_dword v0, v11, s[0:1] offset:288
	global_store_dword v0, v8, s[0:1] offset:320
	global_store_dword v0, v9, s[0:1] offset:352
	global_store_dword v0, v6, s[0:1] offset:384
	global_store_dword v0, v7, s[0:1] offset:416
	global_store_dword v0, v16, s[0:1] offset:448
.LBB203_106:
	s_endpgm
.LBB203_107:
	ds_read_b32 v18, v17
	s_waitcnt lgkmcnt(0)
	v_add_f32_e32 v14, v14, v18
	s_or_b64 exec, exec, s[2:3]
	s_and_saveexec_b64 s[2:3], vcc
	s_cbranch_execz .LBB203_89
.LBB203_108:
	ds_read_b32 v18, v17 offset:32
	s_waitcnt lgkmcnt(0)
	v_add_f32_e32 v15, v15, v18
	s_or_b64 exec, exec, s[2:3]
	s_and_saveexec_b64 s[2:3], vcc
	s_cbranch_execz .LBB203_90
.LBB203_109:
	ds_read_b32 v18, v17 offset:64
	s_waitcnt lgkmcnt(0)
	v_add_f32_e32 v4, v4, v18
	s_or_b64 exec, exec, s[2:3]
	s_and_saveexec_b64 s[2:3], vcc
	s_cbranch_execz .LBB203_91
.LBB203_110:
	ds_read_b32 v18, v17 offset:96
	s_waitcnt lgkmcnt(0)
	v_add_f32_e32 v5, v5, v18
	s_or_b64 exec, exec, s[2:3]
	s_and_saveexec_b64 s[2:3], vcc
	s_cbranch_execz .LBB203_92
.LBB203_111:
	ds_read_b32 v18, v17 offset:128
	s_waitcnt lgkmcnt(0)
	v_add_f32_e32 v2, v2, v18
	s_or_b64 exec, exec, s[2:3]
	s_and_saveexec_b64 s[2:3], vcc
	s_cbranch_execz .LBB203_93
.LBB203_112:
	ds_read_b32 v18, v17 offset:160
	s_waitcnt lgkmcnt(0)
	v_add_f32_e32 v3, v3, v18
	s_or_b64 exec, exec, s[2:3]
	s_and_saveexec_b64 s[2:3], vcc
	s_cbranch_execz .LBB203_94
.LBB203_113:
	ds_read_b32 v18, v17 offset:192
	s_waitcnt lgkmcnt(0)
	v_add_f32_e32 v12, v12, v18
	s_or_b64 exec, exec, s[2:3]
	s_and_saveexec_b64 s[2:3], vcc
	s_cbranch_execz .LBB203_95
.LBB203_114:
	ds_read_b32 v18, v17 offset:224
	s_waitcnt lgkmcnt(0)
	v_add_f32_e32 v13, v13, v18
	s_or_b64 exec, exec, s[2:3]
	s_and_saveexec_b64 s[2:3], vcc
	s_cbranch_execz .LBB203_96
.LBB203_115:
	ds_read_b32 v18, v17 offset:256
	s_waitcnt lgkmcnt(0)
	v_add_f32_e32 v10, v10, v18
	s_or_b64 exec, exec, s[2:3]
	s_and_saveexec_b64 s[2:3], vcc
	s_cbranch_execz .LBB203_97
.LBB203_116:
	ds_read_b32 v18, v17 offset:288
	s_waitcnt lgkmcnt(0)
	v_add_f32_e32 v11, v11, v18
	s_or_b64 exec, exec, s[2:3]
	s_and_saveexec_b64 s[2:3], vcc
	s_cbranch_execz .LBB203_98
.LBB203_117:
	ds_read_b32 v18, v17 offset:320
	s_waitcnt lgkmcnt(0)
	v_add_f32_e32 v8, v8, v18
	s_or_b64 exec, exec, s[2:3]
	s_and_saveexec_b64 s[2:3], vcc
	s_cbranch_execz .LBB203_99
.LBB203_118:
	ds_read_b32 v18, v17 offset:352
	s_waitcnt lgkmcnt(0)
	v_add_f32_e32 v9, v9, v18
	s_or_b64 exec, exec, s[2:3]
	s_and_saveexec_b64 s[2:3], vcc
	s_cbranch_execz .LBB203_100
.LBB203_119:
	ds_read_b32 v18, v17 offset:384
	s_waitcnt lgkmcnt(0)
	v_add_f32_e32 v6, v6, v18
	s_or_b64 exec, exec, s[2:3]
	s_and_saveexec_b64 s[2:3], vcc
	s_cbranch_execz .LBB203_101
.LBB203_120:
	ds_read_b32 v18, v17 offset:416
	s_waitcnt lgkmcnt(0)
	v_add_f32_e32 v7, v7, v18
	s_or_b64 exec, exec, s[2:3]
	s_and_saveexec_b64 s[2:3], vcc
	s_cbranch_execnz .LBB203_102
	s_branch .LBB203_103
	.section	.rodata,"a",@progbits
	.p2align	6, 0x0
	.amdhsa_kernel _ZN4vllm25paged_attention_v1_kernelIfhLi120ELi32ELi128ELNS_18Fp8KVCacheDataTypeE1ELb1EEEvPT_PKS2_PKT0_S8_ifPKiSA_iPKfiiiSC_SC_iiiii
		.amdhsa_group_segment_fixed_size 496
		.amdhsa_private_segment_fixed_size 0
		.amdhsa_kernarg_size 384
		.amdhsa_user_sgpr_count 2
		.amdhsa_user_sgpr_dispatch_ptr 0
		.amdhsa_user_sgpr_queue_ptr 0
		.amdhsa_user_sgpr_kernarg_segment_ptr 1
		.amdhsa_user_sgpr_dispatch_id 0
		.amdhsa_user_sgpr_kernarg_preload_length 0
		.amdhsa_user_sgpr_kernarg_preload_offset 0
		.amdhsa_user_sgpr_private_segment_size 0
		.amdhsa_uses_dynamic_stack 0
		.amdhsa_enable_private_segment 0
		.amdhsa_system_sgpr_workgroup_id_x 1
		.amdhsa_system_sgpr_workgroup_id_y 1
		.amdhsa_system_sgpr_workgroup_id_z 1
		.amdhsa_system_sgpr_workgroup_info 0
		.amdhsa_system_vgpr_workitem_id 0
		.amdhsa_next_free_vgpr 98
		.amdhsa_next_free_sgpr 49
		.amdhsa_accum_offset 100
		.amdhsa_reserve_vcc 1
		.amdhsa_float_round_mode_32 0
		.amdhsa_float_round_mode_16_64 0
		.amdhsa_float_denorm_mode_32 3
		.amdhsa_float_denorm_mode_16_64 3
		.amdhsa_dx10_clamp 1
		.amdhsa_ieee_mode 1
		.amdhsa_fp16_overflow 0
		.amdhsa_tg_split 0
		.amdhsa_exception_fp_ieee_invalid_op 0
		.amdhsa_exception_fp_denorm_src 0
		.amdhsa_exception_fp_ieee_div_zero 0
		.amdhsa_exception_fp_ieee_overflow 0
		.amdhsa_exception_fp_ieee_underflow 0
		.amdhsa_exception_fp_ieee_inexact 0
		.amdhsa_exception_int_div_zero 0
	.end_amdhsa_kernel
	.section	.text._ZN4vllm25paged_attention_v1_kernelIfhLi120ELi32ELi128ELNS_18Fp8KVCacheDataTypeE1ELb1EEEvPT_PKS2_PKT0_S8_ifPKiSA_iPKfiiiSC_SC_iiiii,"axG",@progbits,_ZN4vllm25paged_attention_v1_kernelIfhLi120ELi32ELi128ELNS_18Fp8KVCacheDataTypeE1ELb1EEEvPT_PKS2_PKT0_S8_ifPKiSA_iPKfiiiSC_SC_iiiii,comdat
.Lfunc_end203:
	.size	_ZN4vllm25paged_attention_v1_kernelIfhLi120ELi32ELi128ELNS_18Fp8KVCacheDataTypeE1ELb1EEEvPT_PKS2_PKT0_S8_ifPKiSA_iPKfiiiSC_SC_iiiii, .Lfunc_end203-_ZN4vllm25paged_attention_v1_kernelIfhLi120ELi32ELi128ELNS_18Fp8KVCacheDataTypeE1ELb1EEEvPT_PKS2_PKT0_S8_ifPKiSA_iPKfiiiSC_SC_iiiii
                                        ; -- End function
	.set _ZN4vllm25paged_attention_v1_kernelIfhLi120ELi32ELi128ELNS_18Fp8KVCacheDataTypeE1ELb1EEEvPT_PKS2_PKT0_S8_ifPKiSA_iPKfiiiSC_SC_iiiii.num_vgpr, 98
	.set _ZN4vllm25paged_attention_v1_kernelIfhLi120ELi32ELi128ELNS_18Fp8KVCacheDataTypeE1ELb1EEEvPT_PKS2_PKT0_S8_ifPKiSA_iPKfiiiSC_SC_iiiii.num_agpr, 0
	.set _ZN4vllm25paged_attention_v1_kernelIfhLi120ELi32ELi128ELNS_18Fp8KVCacheDataTypeE1ELb1EEEvPT_PKS2_PKT0_S8_ifPKiSA_iPKfiiiSC_SC_iiiii.numbered_sgpr, 49
	.set _ZN4vllm25paged_attention_v1_kernelIfhLi120ELi32ELi128ELNS_18Fp8KVCacheDataTypeE1ELb1EEEvPT_PKS2_PKT0_S8_ifPKiSA_iPKfiiiSC_SC_iiiii.num_named_barrier, 0
	.set _ZN4vllm25paged_attention_v1_kernelIfhLi120ELi32ELi128ELNS_18Fp8KVCacheDataTypeE1ELb1EEEvPT_PKS2_PKT0_S8_ifPKiSA_iPKfiiiSC_SC_iiiii.private_seg_size, 0
	.set _ZN4vllm25paged_attention_v1_kernelIfhLi120ELi32ELi128ELNS_18Fp8KVCacheDataTypeE1ELb1EEEvPT_PKS2_PKT0_S8_ifPKiSA_iPKfiiiSC_SC_iiiii.uses_vcc, 1
	.set _ZN4vllm25paged_attention_v1_kernelIfhLi120ELi32ELi128ELNS_18Fp8KVCacheDataTypeE1ELb1EEEvPT_PKS2_PKT0_S8_ifPKiSA_iPKfiiiSC_SC_iiiii.uses_flat_scratch, 0
	.set _ZN4vllm25paged_attention_v1_kernelIfhLi120ELi32ELi128ELNS_18Fp8KVCacheDataTypeE1ELb1EEEvPT_PKS2_PKT0_S8_ifPKiSA_iPKfiiiSC_SC_iiiii.has_dyn_sized_stack, 0
	.set _ZN4vllm25paged_attention_v1_kernelIfhLi120ELi32ELi128ELNS_18Fp8KVCacheDataTypeE1ELb1EEEvPT_PKS2_PKT0_S8_ifPKiSA_iPKfiiiSC_SC_iiiii.has_recursion, 0
	.set _ZN4vllm25paged_attention_v1_kernelIfhLi120ELi32ELi128ELNS_18Fp8KVCacheDataTypeE1ELb1EEEvPT_PKS2_PKT0_S8_ifPKiSA_iPKfiiiSC_SC_iiiii.has_indirect_call, 0
	.section	.AMDGPU.csdata,"",@progbits
; Kernel info:
; codeLenInByte = 8444
; TotalNumSgprs: 55
; NumVgprs: 98
; NumAgprs: 0
; TotalNumVgprs: 98
; ScratchSize: 0
; MemoryBound: 0
; FloatMode: 240
; IeeeMode: 1
; LDSByteSize: 496 bytes/workgroup (compile time only)
; SGPRBlocks: 6
; VGPRBlocks: 12
; NumSGPRsForWavesPerEU: 55
; NumVGPRsForWavesPerEU: 98
; AccumOffset: 100
; Occupancy: 4
; WaveLimiterHint : 1
; COMPUTE_PGM_RSRC2:SCRATCH_EN: 0
; COMPUTE_PGM_RSRC2:USER_SGPR: 2
; COMPUTE_PGM_RSRC2:TRAP_HANDLER: 0
; COMPUTE_PGM_RSRC2:TGID_X_EN: 1
; COMPUTE_PGM_RSRC2:TGID_Y_EN: 1
; COMPUTE_PGM_RSRC2:TGID_Z_EN: 1
; COMPUTE_PGM_RSRC2:TIDIG_COMP_CNT: 0
; COMPUTE_PGM_RSRC3_GFX90A:ACCUM_OFFSET: 24
; COMPUTE_PGM_RSRC3_GFX90A:TG_SPLIT: 0
	.section	.text._ZN4vllm25paged_attention_v1_kernelIfhLi128ELi32ELi128ELNS_18Fp8KVCacheDataTypeE1ELb1EEEvPT_PKS2_PKT0_S8_ifPKiSA_iPKfiiiSC_SC_iiiii,"axG",@progbits,_ZN4vllm25paged_attention_v1_kernelIfhLi128ELi32ELi128ELNS_18Fp8KVCacheDataTypeE1ELb1EEEvPT_PKS2_PKT0_S8_ifPKiSA_iPKfiiiSC_SC_iiiii,comdat
	.protected	_ZN4vllm25paged_attention_v1_kernelIfhLi128ELi32ELi128ELNS_18Fp8KVCacheDataTypeE1ELb1EEEvPT_PKS2_PKT0_S8_ifPKiSA_iPKfiiiSC_SC_iiiii ; -- Begin function _ZN4vllm25paged_attention_v1_kernelIfhLi128ELi32ELi128ELNS_18Fp8KVCacheDataTypeE1ELb1EEEvPT_PKS2_PKT0_S8_ifPKiSA_iPKfiiiSC_SC_iiiii
	.globl	_ZN4vllm25paged_attention_v1_kernelIfhLi128ELi32ELi128ELNS_18Fp8KVCacheDataTypeE1ELb1EEEvPT_PKS2_PKT0_S8_ifPKiSA_iPKfiiiSC_SC_iiiii
	.p2align	8
	.type	_ZN4vllm25paged_attention_v1_kernelIfhLi128ELi32ELi128ELNS_18Fp8KVCacheDataTypeE1ELb1EEEvPT_PKS2_PKT0_S8_ifPKiSA_iPKfiiiSC_SC_iiiii,@function
_ZN4vllm25paged_attention_v1_kernelIfhLi128ELi32ELi128ELNS_18Fp8KVCacheDataTypeE1ELb1EEEvPT_PKS2_PKT0_S8_ifPKiSA_iPKfiiiSC_SC_iiiii: ; @_ZN4vllm25paged_attention_v1_kernelIfhLi128ELi32ELi128ELNS_18Fp8KVCacheDataTypeE1ELb1EEEvPT_PKS2_PKT0_S8_ifPKiSA_iPKfiiiSC_SC_iiiii
; %bb.0:
	s_load_dword s5, s[0:1], 0x80
	s_load_dwordx2 s[6:7], s[0:1], 0x30
	s_load_dwordx2 s[38:39], s[0:1], 0x20
	s_mov_b32 s24, s3
	s_ashr_i32 s25, s3, 31
	s_lshl_b64 s[8:9], s[24:25], 2
	s_waitcnt lgkmcnt(0)
	s_add_u32 s6, s6, s8
	s_addc_u32 s7, s7, s9
	s_abs_i32 s3, s38
	v_cvt_f32_u32_e32 v1, s3
	s_sub_i32 s10, 0, s3
	s_abs_i32 s9, s5
	s_xor_b32 s8, s5, s38
	v_rcp_iflag_f32_e32 v1, v1
	s_ashr_i32 s8, s8, 31
	s_mov_b32 s47, 0
	v_mul_f32_e32 v1, 0x4f7ffffe, v1
	v_cvt_u32_f32_e32 v1, v1
	s_nop 0
	v_readfirstlane_b32 s11, v1
	s_mul_i32 s10, s10, s11
	s_mul_hi_u32 s10, s11, s10
	s_add_i32 s11, s11, s10
	s_mul_hi_u32 s10, s9, s11
	s_mul_i32 s11, s10, s3
	s_sub_i32 s9, s9, s11
	s_add_i32 s11, s10, 1
	s_sub_i32 s12, s9, s3
	s_cmp_ge_u32 s9, s3
	s_cselect_b32 s10, s11, s10
	s_cselect_b32 s9, s12, s9
	s_add_i32 s11, s10, 1
	s_cmp_ge_u32 s9, s3
	s_cselect_b32 s3, s11, s10
	s_xor_b32 s3, s3, s8
	s_sub_i32 s14, s3, s8
	s_abs_i32 s10, s14
	v_cvt_f32_u32_e32 v1, s10
	s_load_dwordx2 s[8:9], s[0:1], 0x40
	s_sub_i32 s3, 0, s10
	s_abs_i32 s11, s2
	v_rcp_iflag_f32_e32 v1, v1
	s_nop 0
	v_mul_f32_e32 v1, 0x4f7ffffe, v1
	v_cvt_u32_f32_e32 v1, v1
	s_nop 0
	v_readfirstlane_b32 s12, v1
	s_mul_i32 s3, s3, s12
	s_mul_hi_u32 s3, s12, s3
	s_add_i32 s12, s12, s3
	s_waitcnt lgkmcnt(0)
	s_cmp_eq_u64 s[8:9], 0
	s_mul_hi_u32 s12, s11, s12
	s_cbranch_scc1 .LBB204_2
; %bb.1:
	s_ashr_i32 s3, s2, 31
	s_lshl_b64 s[16:17], s[2:3], 2
	s_add_u32 s8, s8, s16
	s_addc_u32 s9, s9, s17
	s_load_dword s47, s[8:9], 0x0
.LBB204_2:
	s_load_dword s25, s[6:7], 0x0
	s_load_dwordx4 s[16:19], s[0:1], 0x48
	s_ashr_i32 s13, s2, 31
	s_ashr_i32 s14, s14, 31
	v_and_b32_e32 v2, 1, v0
	s_lshl_b32 s26, s2, 7
	v_cmp_gt_u32_e64 s[6:7], 64, v0
	v_lshlrev_b32_e32 v38, 2, v0
	s_and_saveexec_b64 s[8:9], s[6:7]
	s_cbranch_execz .LBB204_4
; %bb.3:
	s_load_dwordx2 s[20:21], s[0:1], 0x8
	s_waitcnt lgkmcnt(0)
	s_mul_i32 s22, s16, s24
	s_ashr_i32 s23, s22, 31
	s_lshl_b64 s[22:23], s[22:23], 2
	v_lshlrev_b32_e32 v1, 3, v0
	s_add_u32 s3, s20, s22
	s_addc_u32 s15, s21, s23
	s_ashr_i32 s27, s26, 31
	s_lshl_b64 s[20:21], s[26:27], 2
	s_add_u32 s20, s3, s20
	s_addc_u32 s21, s15, s21
	global_load_dwordx2 v[4:5], v1, s[20:21]
	v_and_b32_e32 v1, 0xff8, v38
	v_lshl_add_u32 v1, v2, 8, v1
	s_waitcnt vmcnt(0)
	ds_write_b64 v1, v[4:5]
.LBB204_4:
	s_or_b64 exec, exec, s[8:9]
	s_mul_i32 s9, s12, s10
	s_sub_i32 s9, s11, s9
	s_xor_b32 s8, s13, s14
	s_add_i32 s11, s12, 1
	s_sub_i32 s13, s9, s10
	s_load_dwordx4 s[20:23], s[0:1], 0x68
	s_load_dword s3, s[0:1], 0x78
	s_cmp_ge_u32 s9, s10
	s_cselect_b32 s11, s11, s12
	s_cselect_b32 s9, s13, s9
	s_add_i32 s12, s11, 1
	s_cmp_ge_u32 s9, s10
	s_cselect_b32 s9, s12, s11
	s_waitcnt lgkmcnt(0)
	s_abs_i32 s27, s23
	v_cvt_f32_u32_e32 v1, s27
	s_xor_b32 s9, s9, s8
	s_sub_i32 s46, s9, s8
	s_sub_i32 s8, 0, s27
	v_rcp_iflag_f32_e32 v1, v1
	s_add_i32 s12, s25, -1
	s_abs_i32 s10, s12
	v_mul_f32_e32 v1, 0x4f7ffffe, v1
	v_cvt_u32_f32_e32 v1, v1
	s_barrier
	v_readfirstlane_b32 s33, v1
	s_mul_i32 s8, s8, s33
	s_mul_hi_u32 s8, s33, s8
	s_add_i32 s33, s33, s8
	s_cmp_lt_i32 s3, 0
	s_mul_hi_u32 s11, s10, s33
	s_cbranch_scc0 .LBB204_6
; %bb.5:
	s_mul_i32 s8, s20, s38
	s_add_i32 s8, s46, s8
	s_mul_i32 s8, s8, s3
	s_sub_i32 s38, 1, s8
	s_mov_b64 s[8:9], 0
	s_branch .LBB204_7
.LBB204_6:
	s_mov_b64 s[8:9], -1
                                        ; implicit-def: $sgpr38
.LBB204_7:
	s_load_dwordx2 s[30:31], s[0:1], 0x28
	s_ashr_i32 s16, s12, 31
	s_andn2_b64 vcc, exec, s[8:9]
	s_ashr_i32 s23, s23, 31
	s_cbranch_vccnz .LBB204_9
; %bb.8:
	s_mul_i32 s8, s5, s20
	s_add_i32 s2, s8, s2
	s_mul_i32 s2, s2, s3
	s_add_i32 s38, s2, 1
.LBB204_9:
	s_load_dword s2, s[0:1], 0x38
	s_load_dwordx2 s[28:29], s[0:1], 0x0
	s_load_dwordx2 s[36:37], s[0:1], 0x18
	s_load_dword s20, s[0:1], 0x88
	s_load_dwordx4 s[12:15], s[0:1], 0x58
	s_mul_i32 s3, s11, s27
	s_waitcnt lgkmcnt(0)
	s_mul_i32 s34, s2, s24
	s_sub_i32 s3, s10, s3
	s_ashr_i32 s35, s34, 31
	s_xor_b32 s2, s16, s23
	s_add_i32 s8, s11, 1
	s_sub_i32 s9, s3, s27
	s_cmp_ge_u32 s3, s27
	s_cselect_b32 s8, s8, s11
	s_cselect_b32 s3, s9, s3
	s_add_i32 s9, s8, 1
	s_cmp_ge_u32 s3, s27
	s_cselect_b32 s3, s9, s8
	s_xor_b32 s3, s3, s2
	s_sub_i32 s45, s3, s2
	s_add_i32 s2, s25, 31
	s_ashr_i32 s3, s2, 31
	s_lshr_b32 s3, s3, 27
	s_add_i32 s2, s2, s3
	s_ashr_i32 s44, s2, 5
	v_lshrrev_b32_e32 v1, 6, v0
	v_cmp_gt_i32_e64 s[2:3], s44, v1
	v_mov_b32_e32 v43, 0xff7fffff
	s_mul_i32 s46, s46, s18
	v_lshrrev_b32_e32 v39, 4, v0
	v_lshlrev_b32_e32 v92, 5, v1
	v_mbcnt_lo_u32_b32 v40, -1, 0
	s_and_saveexec_b64 s[18:19], s[2:3]
	s_cbranch_execz .LBB204_21
; %bb.10:
	s_load_dwordx2 s[0:1], s[0:1], 0x10
	s_sub_i32 s48, s45, s21
	s_ashr_i32 s9, s46, 31
	v_bfe_u32 v41, v0, 1, 5
	v_mov_b32_e32 v5, 0
	s_waitcnt lgkmcnt(0)
	s_add_u32 s8, s0, s46
	s_addc_u32 s9, s1, s9
	s_abs_i32 s49, s22
	v_cvt_f32_u32_e32 v3, s49
	v_lshlrev_b32_e32 v4, 4, v41
	v_lshl_add_u64 v[6:7], s[8:9], 0, v[4:5]
	s_sub_i32 s8, 0, s49
	v_rcp_iflag_f32_e32 v3, v3
	v_cmp_eq_u32_e32 vcc, 0, v2
	v_lshlrev_b32_e32 v42, 8, v2
	v_lshlrev_b32_e32 v4, 1, v2
	v_mul_f32_e32 v3, 0x4f7ffffe, v3
	v_cvt_u32_f32_e32 v3, v3
	v_mbcnt_hi_u32_b32 v49, -1, v40
	v_lshl_add_u64 v[34:35], v[6:7], 0, v[4:5]
	v_and_b32_e32 v4, 60, v39
	v_mul_lo_u32 v2, s8, v3
	v_mul_hi_u32 v2, v3, v2
	v_add_u32_e32 v44, v3, v2
	v_subrev_u32_e32 v2, s25, v41
	s_lshl_b64 s[8:9], s[34:35], 2
	v_add_u32_e32 v46, 1, v2
	v_lshlrev_b32_e32 v2, 2, v41
	s_add_u32 s8, s30, s8
	v_lshl_or_b32 v2, v1, 7, v2
	s_addc_u32 s9, s31, s9
	v_add_u32_e32 v47, 0x210, v2
	v_and_b32_e32 v2, 64, v49
	s_mov_b32 s50, s17
	v_cmp_neq_f32_e64 s[0:1], s47, 0
	v_lshl_add_u64 v[36:37], s[8:9], 0, v[4:5]
	v_lshlrev_b32_e32 v45, 5, v1
	v_mov_b32_e32 v48, 0xff7fffff
	s_mov_b64 s[40:41], 0
	v_xor_b32_e32 v50, 1, v49
	v_add_u32_e32 v51, 64, v2
	v_mov_b32_e32 v43, 0xff7fffff
	v_mov_b32_e32 v52, v1
	s_branch .LBB204_13
.LBB204_11:                             ;   in Loop: Header=BB204_13 Depth=1
	s_or_b64 exec, exec, s[42:43]
.LBB204_12:                             ;   in Loop: Header=BB204_13 Depth=1
	s_or_b64 exec, exec, s[10:11]
	v_add_u32_e32 v52, 2, v52
	v_cmp_le_i32_e64 s[8:9], s44, v52
	v_lshl_add_u64 v[36:37], v[36:37], 0, 8
	v_add_u32_e32 v45, 64, v45
	s_or_b64 s[40:41], s[8:9], s[40:41]
	v_add_u32_e32 v47, 0x100, v47
	s_andn2_b64 exec, exec, s[40:41]
	s_cbranch_execz .LBB204_20
.LBB204_13:                             ; =>This Inner Loop Header: Depth=1
	v_mul_hi_u32 v2, v45, s33
	s_waitcnt lgkmcnt(0)
	v_mul_lo_u32 v3, v2, s27
	v_sub_u32_e32 v3, v45, v3
	v_add_u32_e32 v4, 1, v2
	v_cmp_le_u32_e64 s[8:9], s27, v3
	s_nop 1
	v_cndmask_b32_e64 v2, v2, v4, s[8:9]
	v_subrev_u32_e32 v4, s27, v3
	v_cndmask_b32_e64 v3, v3, v4, s[8:9]
	v_add_u32_e32 v4, 1, v2
	v_cmp_le_u32_e64 s[8:9], s27, v3
	s_nop 1
	v_cndmask_b32_e64 v2, v2, v4, s[8:9]
	v_xor_b32_e32 v2, s23, v2
	v_subrev_u32_e32 v2, s23, v2
	v_add_u32_e32 v3, s38, v2
	v_sub_u32_e32 v5, 0, v3
	v_ashrrev_i32_e32 v4, 31, v3
	v_max_i32_e32 v3, v3, v5
	v_mul_hi_u32 v5, v3, v44
	v_mul_lo_u32 v5, v5, s49
	v_sub_u32_e32 v3, v3, v5
	v_subrev_u32_e32 v5, s49, v3
	v_cmp_le_u32_e64 s[8:9], s49, v3
	v_cmp_ge_i32_e64 s[10:11], s48, v2
	s_nop 0
	v_cndmask_b32_e64 v3, v3, v5, s[8:9]
	v_subrev_u32_e32 v5, s49, v3
	v_cmp_le_u32_e64 s[8:9], s49, v3
	s_nop 1
	v_cndmask_b32_e64 v3, v3, v5, s[8:9]
	v_xor_b32_e32 v3, v3, v4
	v_sub_u32_e32 v3, v3, v4
	v_cmp_ne_u32_e64 s[8:9], 0, v3
	s_and_b64 s[8:9], s[8:9], s[10:11]
	s_and_saveexec_b64 s[10:11], s[8:9]
	s_xor_b64 s[8:9], exec, s[10:11]
	s_cbranch_execz .LBB204_17
; %bb.14:                               ;   in Loop: Header=BB204_13 Depth=1
	s_and_saveexec_b64 s[10:11], vcc
; %bb.15:                               ;   in Loop: Header=BB204_13 Depth=1
	ds_write_b32 v47, v48
; %bb.16:                               ;   in Loop: Header=BB204_13 Depth=1
	s_or_b64 exec, exec, s[10:11]
.LBB204_17:                             ;   in Loop: Header=BB204_13 Depth=1
	s_andn2_saveexec_b64 s[10:11], s[8:9]
	s_cbranch_execz .LBB204_12
; %bb.18:                               ;   in Loop: Header=BB204_13 Depth=1
	global_load_dword v2, v[36:37], off
	s_waitcnt vmcnt(0)
	v_mad_i64_i32 v[6:7], s[8:9], v2, s50, v[34:35]
	global_load_ushort v28, v[6:7], off offset:4
	global_load_ushort v32, v[6:7], off
	global_load_ushort v61, v[6:7], off offset:8
	global_load_ushort v62, v[6:7], off offset:12
	;; [unrolled: 1-line block ×12, first 2 shown]
	ds_read_b128 v[20:23], v42
	ds_read_b128 v[24:27], v42 offset:16
	global_load_ushort v76, v[6:7], off offset:1544
	ds_read_b128 v[16:19], v42 offset:32
	ds_read_b128 v[12:15], v42 offset:48
	;; [unrolled: 1-line block ×4, first 2 shown]
	s_load_dword s16, s[12:13], 0x0
	global_load_ushort v30, v[6:7], off offset:1548
	global_load_ushort v31, v[6:7], off offset:2048
	;; [unrolled: 1-line block ×9, first 2 shown]
	v_cmp_lt_i32_e64 s[8:9], v50, v51
	s_waitcnt vmcnt(23)
	v_cvt_pk_f32_fp8_e32 v[28:29], v28
	s_waitcnt vmcnt(22)
	v_cvt_pk_f32_fp8_e32 v[32:33], v32
	s_waitcnt lgkmcnt(0)
	v_pk_mul_f32 v[28:29], s[16:17], v[28:29] op_sel_hi:[0,1]
	v_mul_f32_e32 v53, v22, v28
	v_mul_f32_e32 v54, v23, v29
	v_pk_mul_f32 v[22:23], v[32:33], s[16:17] op_sel_hi:[1,0]
	s_waitcnt vmcnt(19)
	v_cvt_pk_f32_fp8_e32 v[28:29], v63
	v_fmac_f32_e32 v53, v20, v22
	v_fmac_f32_e32 v54, v21, v23
	v_cvt_pk_f32_fp8_e32 v[20:21], v61
	v_cvt_pk_f32_fp8_e32 v[22:23], v62
	s_waitcnt vmcnt(18)
	v_cvt_pk_f32_fp8_e32 v[32:33], v64
	global_load_ushort v78, v[6:7], off offset:3072
	global_load_ushort v66, v[6:7], off offset:3076
	;; [unrolled: 1-line block ×8, first 2 shown]
	v_pk_mul_f32 v[20:21], s[16:17], v[20:21] op_sel_hi:[0,1]
	v_pk_mul_f32 v[22:23], s[16:17], v[22:23] op_sel_hi:[0,1]
	v_fmac_f32_e32 v53, v24, v20
	v_fmac_f32_e32 v54, v25, v21
	v_fmac_f32_e32 v53, v26, v22
	v_fmac_f32_e32 v54, v27, v23
	v_pk_mul_f32 v[6:7], s[16:17], v[28:29] op_sel_hi:[0,1]
	v_fmac_f32_e32 v53, v16, v6
	v_fmac_f32_e32 v54, v17, v7
	s_waitcnt vmcnt(25)
	v_cvt_pk_f32_fp8_e32 v[6:7], v68
	s_waitcnt vmcnt(24)
	v_cvt_pk_f32_fp8_e32 v[16:17], v69
	v_pk_mul_f32 v[20:21], s[16:17], v[32:33] op_sel_hi:[0,1]
	s_waitcnt vmcnt(23)
	v_cvt_pk_f32_fp8_e32 v[22:23], v70
	v_fmac_f32_e32 v53, v18, v20
	v_fmac_f32_e32 v54, v19, v21
	s_waitcnt vmcnt(22)
	v_cvt_pk_f32_fp8_e32 v[32:33], v71
	v_pk_mul_f32 v[6:7], s[16:17], v[6:7] op_sel_hi:[0,1]
	v_fmac_f32_e32 v53, v12, v6
	v_fmac_f32_e32 v54, v13, v7
	s_waitcnt vmcnt(21)
	v_cvt_pk_f32_fp8_e32 v[6:7], v72
	v_pk_mul_f32 v[12:13], s[16:17], v[16:17] op_sel_hi:[0,1]
	;; [unrolled: 5-line block ×3, first 2 shown]
	v_fmac_f32_e32 v53, v2, v16
	v_fmac_f32_e32 v54, v3, v17
	v_pk_mul_f32 v[2:3], s[16:17], v[32:33] op_sel_hi:[0,1]
	v_pk_mul_f32 v[6:7], s[16:17], v[6:7] op_sel_hi:[0,1]
	v_fmac_f32_e32 v53, v4, v2
	v_fmac_f32_e32 v54, v5, v3
	;; [unrolled: 1-line block ×4, first 2 shown]
	v_pk_mul_f32 v[12:13], s[16:17], v[12:13] op_sel_hi:[0,1]
	v_fmac_f32_e32 v53, v10, v12
	v_fmac_f32_e32 v54, v11, v13
	s_waitcnt vmcnt(19)
	v_cvt_pk_f32_fp8_e32 v[10:11], v74
	ds_read_b128 v[18:21], v42 offset:96
	ds_read_b128 v[26:29], v42 offset:112
	s_waitcnt vmcnt(18)
	v_cvt_pk_f32_fp8_e32 v[12:13], v75
	s_waitcnt vmcnt(17)
	v_cvt_pk_f32_fp8_e32 v[32:33], v76
	;; [unrolled: 2-line block ×3, first 2 shown]
	v_pk_mul_f32 v[10:11], s[16:17], v[10:11] op_sel_hi:[0,1]
	s_waitcnt vmcnt(15)
	v_cvt_pk_f32_fp8_e32 v[30:31], v31
	ds_read_b128 v[22:25], v42 offset:128
	ds_read_b128 v[14:17], v42 offset:144
	v_pk_mul_f32 v[12:13], s[16:17], v[12:13] op_sel_hi:[0,1]
	s_waitcnt lgkmcnt(3)
	v_fmac_f32_e32 v53, v18, v10
	v_fmac_f32_e32 v54, v19, v11
	s_waitcnt vmcnt(14)
	v_cvt_pk_f32_fp8_e32 v[70:71], v77
	v_fmac_f32_e32 v53, v20, v12
	v_fmac_f32_e32 v54, v21, v13
	v_pk_mul_f32 v[32:33], s[16:17], v[32:33] op_sel_hi:[0,1]
	s_waitcnt lgkmcnt(2)
	v_fmac_f32_e32 v53, v26, v32
	v_fmac_f32_e32 v54, v27, v33
	v_pk_mul_f32 v[26:27], s[16:17], v[68:69] op_sel_hi:[0,1]
	v_pk_mul_f32 v[30:31], s[16:17], v[30:31] op_sel_hi:[0,1]
	v_fmac_f32_e32 v53, v28, v26
	v_fmac_f32_e32 v54, v29, v27
	s_waitcnt lgkmcnt(1)
	v_fmac_f32_e32 v53, v22, v30
	v_fmac_f32_e32 v54, v23, v31
	s_waitcnt vmcnt(13)
	v_cvt_pk_f32_fp8_e32 v[22:23], v60
	v_pk_mul_f32 v[68:69], s[16:17], v[70:71] op_sel_hi:[0,1]
	v_fmac_f32_e32 v53, v24, v68
	v_fmac_f32_e32 v54, v25, v69
	s_waitcnt vmcnt(12)
	v_cvt_pk_f32_fp8_e32 v[24:25], v55
	s_waitcnt vmcnt(11)
	v_cvt_pk_f32_fp8_e32 v[68:69], v56
	ds_read_b128 v[6:9], v42 offset:160
	ds_read_b128 v[2:5], v42 offset:176
	s_waitcnt vmcnt(10)
	v_cvt_pk_f32_fp8_e32 v[56:57], v57
	s_waitcnt vmcnt(9)
	v_cvt_pk_f32_fp8_e32 v[70:71], v58
	v_pk_mul_f32 v[22:23], s[16:17], v[22:23] op_sel_hi:[0,1]
	v_cndmask_b32_e64 v72, v49, v50, s[8:9]
	s_waitcnt vmcnt(8)
	v_cvt_pk_f32_fp8_e32 v[58:59], v59
	s_waitcnt lgkmcnt(2)
	v_fmac_f32_e32 v53, v14, v22
	v_fmac_f32_e32 v54, v15, v23
	v_pk_mul_f32 v[24:25], s[16:17], v[24:25] op_sel_hi:[0,1]
	v_lshlrev_b32_e32 v74, 2, v72
	s_waitcnt vmcnt(7)
	v_cvt_pk_f32_fp8_e32 v[72:73], v78
	s_waitcnt vmcnt(6)
	v_cvt_pk_f32_fp8_e32 v[14:15], v66
	;; [unrolled: 2-line block ×3, first 2 shown]
	v_fmac_f32_e32 v53, v16, v24
	v_fmac_f32_e32 v54, v17, v25
	v_pk_mul_f32 v[66:67], s[16:17], v[68:69] op_sel_hi:[0,1]
	ds_read_b128 v[10:13], v42 offset:192
	ds_read_b128 v[18:21], v42 offset:208
	v_pk_mul_f32 v[56:57], s[16:17], v[56:57] op_sel_hi:[0,1]
	s_waitcnt lgkmcnt(3)
	v_fmac_f32_e32 v53, v6, v66
	v_fmac_f32_e32 v54, v7, v67
	v_pk_mul_f32 v[68:69], s[16:17], v[70:71] op_sel_hi:[0,1]
	v_fmac_f32_e32 v53, v8, v56
	v_fmac_f32_e32 v54, v9, v57
	s_waitcnt vmcnt(4)
	v_cvt_pk_f32_fp8_e32 v[16:17], v61
	v_pk_mul_f32 v[58:59], s[16:17], v[58:59] op_sel_hi:[0,1]
	s_waitcnt lgkmcnt(2)
	v_fmac_f32_e32 v53, v2, v68
	v_fmac_f32_e32 v54, v3, v69
	s_waitcnt vmcnt(3)
	v_cvt_pk_f32_fp8_e32 v[24:25], v62
	v_pk_mul_f32 v[70:71], s[16:17], v[72:73] op_sel_hi:[0,1]
	v_fmac_f32_e32 v53, v4, v58
	v_fmac_f32_e32 v54, v5, v59
	ds_read_b128 v[26:29], v42 offset:224
	ds_read_b128 v[30:33], v42 offset:240
	s_waitcnt vmcnt(2)
	v_cvt_pk_f32_fp8_e32 v[60:61], v63
	v_pk_mul_f32 v[14:15], s[16:17], v[14:15] op_sel_hi:[0,1]
	s_waitcnt lgkmcnt(3)
	v_fmac_f32_e32 v53, v10, v70
	v_fmac_f32_e32 v54, v11, v71
	s_waitcnt vmcnt(1)
	v_cvt_pk_f32_fp8_e32 v[62:63], v64
	v_pk_mul_f32 v[22:23], s[16:17], v[22:23] op_sel_hi:[0,1]
	v_fmac_f32_e32 v53, v14, v12
	v_fmac_f32_e32 v54, v15, v13
	s_waitcnt vmcnt(0)
	v_cvt_pk_f32_fp8_e32 v[64:65], v65
	v_pk_mul_f32 v[16:17], s[16:17], v[16:17] op_sel_hi:[0,1]
	s_waitcnt lgkmcnt(2)
	v_fmac_f32_e32 v53, v22, v18
	v_fmac_f32_e32 v54, v23, v19
	v_pk_mul_f32 v[24:25], s[16:17], v[24:25] op_sel_hi:[0,1]
	v_fmac_f32_e32 v53, v16, v20
	v_fmac_f32_e32 v54, v17, v21
	v_pk_mul_f32 v[60:61], s[16:17], v[60:61] op_sel_hi:[0,1]
	s_waitcnt lgkmcnt(1)
	v_fmac_f32_e32 v53, v24, v26
	v_fmac_f32_e32 v54, v25, v27
	v_pk_mul_f32 v[62:63], s[16:17], v[62:63] op_sel_hi:[0,1]
	v_fmac_f32_e32 v53, v60, v28
	v_fmac_f32_e32 v54, v61, v29
	v_pk_mul_f32 v[64:65], s[16:17], v[64:65] op_sel_hi:[0,1]
	s_waitcnt lgkmcnt(0)
	v_fmac_f32_e32 v53, v62, v30
	v_fmac_f32_e32 v54, v63, v31
	v_fmac_f32_e32 v53, v64, v32
	v_fmac_f32_e32 v54, v65, v33
	v_add_f32_e32 v2, v53, v54
	ds_bpermute_b32 v3, v74, v2
	s_and_saveexec_b64 s[42:43], vcc
	s_cbranch_execz .LBB204_11
; %bb.19:                               ;   in Loop: Header=BB204_13 Depth=1
	v_add_u32_e32 v4, v46, v45
	v_cvt_f32_i32_e32 v4, v4
	s_waitcnt lgkmcnt(0)
	v_add_f32_e32 v2, v2, v3
	v_add_u32_e32 v5, v41, v45
	v_cmp_gt_i32_e64 s[8:9], s25, v5
	v_mul_f32_e32 v3, s47, v4
	v_cndmask_b32_e64 v3, 0, v3, s[0:1]
	v_fmac_f32_e32 v3, s39, v2
	v_cndmask_b32_e64 v2, 0, v3, s[8:9]
	ds_write_b32 v47, v2
	v_max_f32_e32 v2, v43, v43
	v_max_f32_e32 v2, v2, v3
	v_cndmask_b32_e64 v43, v43, v2, s[8:9]
	s_branch .LBB204_11
.LBB204_20:
	s_or_b64 exec, exec, s[40:41]
.LBB204_21:
	s_or_b64 exec, exec, s[18:19]
	v_mbcnt_hi_u32_b32 v2, -1, v40
	v_and_b32_e32 v8, 64, v2
	v_add_u32_e32 v9, 64, v8
	s_waitcnt lgkmcnt(0)
	v_xor_b32_e32 v3, 32, v2
	v_cmp_lt_i32_e32 vcc, v3, v9
	v_xor_b32_e32 v6, 16, v2
	v_max_f32_e32 v5, v43, v43
	v_cndmask_b32_e32 v3, v2, v3, vcc
	v_lshlrev_b32_e32 v3, 2, v3
	ds_bpermute_b32 v4, v3, v43
	v_cmp_lt_i32_e32 vcc, v6, v9
	v_xor_b32_e32 v7, 8, v2
	v_xor_b32_e32 v10, 4, v2
	v_and_b32_e32 v93, 63, v0
	s_waitcnt lgkmcnt(0)
	v_max_f32_e32 v4, v4, v4
	v_max_f32_e32 v5, v5, v4
	v_cndmask_b32_e32 v4, v2, v6, vcc
	v_lshlrev_b32_e32 v4, 2, v4
	ds_bpermute_b32 v6, v4, v5
	v_cmp_lt_i32_e32 vcc, v7, v9
	s_waitcnt lgkmcnt(0)
	v_max_f32_e32 v6, v6, v6
	v_max_f32_e32 v6, v5, v6
	v_cndmask_b32_e32 v5, v2, v7, vcc
	v_lshlrev_b32_e32 v5, 2, v5
	ds_bpermute_b32 v7, v5, v6
	v_cmp_lt_i32_e32 vcc, v10, v9
	s_waitcnt lgkmcnt(0)
	v_max_f32_e32 v7, v7, v7
	v_max_f32_e32 v6, v6, v7
	v_cndmask_b32_e32 v7, v2, v10, vcc
	v_lshlrev_b32_e32 v94, 2, v7
	ds_bpermute_b32 v7, v94, v6
	v_xor_b32_e32 v10, 2, v2
	v_cmp_lt_i32_e32 vcc, v10, v9
	s_waitcnt lgkmcnt(0)
	v_max_f32_e32 v7, v7, v7
	v_max_f32_e32 v7, v6, v7
	v_cndmask_b32_e32 v6, v2, v10, vcc
	v_lshlrev_b32_e32 v95, 2, v6
	ds_bpermute_b32 v10, v95, v7
	v_cmp_eq_u32_e32 vcc, 0, v93
	v_lshlrev_b32_e32 v6, 2, v1
	s_and_saveexec_b64 s[0:1], vcc
	s_cbranch_execz .LBB204_23
; %bb.22:
	s_waitcnt lgkmcnt(0)
	v_max_f32_e32 v10, v10, v10
	v_max_f32_e32 v7, v7, v7
	;; [unrolled: 1-line block ×3, first 2 shown]
	ds_write_b32 v6, v7 offset:512
.LBB204_23:
	s_or_b64 exec, exec, s[0:1]
	v_cmp_gt_u32_e64 s[0:1], 2, v93
	s_waitcnt lgkmcnt(0)
	v_mov_b32_e32 v10, 0xff7fffff
	v_lshlrev_b32_e32 v7, 2, v93
	s_barrier
	s_and_saveexec_b64 s[8:9], s[0:1]
; %bb.24:
	ds_read_b32 v10, v7 offset:512
; %bb.25:
	s_or_b64 exec, exec, s[8:9]
	v_xor_b32_e32 v11, 1, v2
	v_cmp_lt_i32_e64 s[8:9], v11, v9
	v_lshlrev_b32_e32 v8, 2, v8
	s_nop 0
	v_cndmask_b32_e64 v9, v2, v11, s[8:9]
	v_lshlrev_b32_e32 v96, 2, v9
	s_waitcnt lgkmcnt(0)
	ds_bpermute_b32 v9, v96, v10
	v_max_f32_e32 v10, v10, v10
	s_lshl_b32 s8, s44, 5
	s_min_i32 s16, s8, s25
	v_cmp_gt_i32_e64 s[8:9], s16, v0
	s_waitcnt lgkmcnt(0)
	v_max_f32_e32 v9, v9, v9
	v_max_f32_e32 v9, v10, v9
	ds_bpermute_b32 v9, v8, v9
	v_mov_b32_e32 v8, 0
	s_and_saveexec_b64 s[12:13], s[8:9]
	s_cbranch_execz .LBB204_29
; %bb.26:
	v_mov_b32_e32 v8, 0x210
	v_lshl_add_u32 v10, v0, 2, v8
	v_mov_b32_e32 v8, 0
	s_mov_b64 s[18:19], 0
	v_mov_b32_e32 v11, v0
.LBB204_27:                             ; =>This Inner Loop Header: Depth=1
	ds_read_b32 v12, v10
	v_add_u32_e32 v11, 0x80, v11
	v_cmp_le_i32_e64 s[10:11], s16, v11
	s_or_b64 s[18:19], s[10:11], s[18:19]
	s_waitcnt lgkmcnt(0)
	v_sub_f32_e32 v12, v12, v9
	v_mul_f32_e32 v12, 0x3fb8aa3b, v12
	v_exp_f32_e32 v12, v12
	ds_write_b32 v10, v12
	v_add_f32_e32 v8, v8, v12
	v_add_u32_e32 v10, 0x200, v10
	s_andn2_b64 exec, exec, s[18:19]
	s_cbranch_execnz .LBB204_27
; %bb.28:
	s_or_b64 exec, exec, s[18:19]
.LBB204_29:
	s_or_b64 exec, exec, s[12:13]
	ds_bpermute_b32 v3, v3, v8
	s_waitcnt lgkmcnt(0)
	v_add_f32_e32 v3, v8, v3
	ds_bpermute_b32 v4, v4, v3
	s_waitcnt lgkmcnt(0)
	v_add_f32_e32 v3, v3, v4
	;; [unrolled: 3-line block ×6, first 2 shown]
	s_and_saveexec_b64 s[10:11], vcc
; %bb.30:
	ds_write_b32 v6, v3 offset:520
; %bb.31:
	s_or_b64 exec, exec, s[10:11]
	s_waitcnt lgkmcnt(0)
	s_barrier
	s_and_saveexec_b64 s[10:11], s[0:1]
; %bb.32:
	ds_read_b32 v3, v7 offset:520
; %bb.33:
	s_or_b64 exec, exec, s[10:11]
	s_waitcnt lgkmcnt(0)
	ds_bpermute_b32 v4, v96, v3
	v_lshlrev_b32_e32 v2, 2, v2
	v_and_b32_e32 v2, 0x100, v2
	s_waitcnt lgkmcnt(0)
	v_add_f32_e32 v3, v3, v4
	ds_bpermute_b32 v2, v2, v3
	s_and_saveexec_b64 s[0:1], s[8:9]
	s_cbranch_execz .LBB204_46
; %bb.34:
	s_waitcnt lgkmcnt(0)
	v_add_f32_e32 v2, 0x358637bd, v2
	v_div_scale_f32 v3, s[8:9], v2, v2, 1.0
	v_rcp_f32_e32 v4, v3
	v_div_scale_f32 v5, vcc, 1.0, v2, 1.0
	s_movk_i32 s8, 0x7f
	v_fma_f32 v6, -v3, v4, 1.0
	v_fmac_f32_e32 v4, v6, v4
	v_mul_f32_e32 v6, v5, v4
	v_fma_f32 v7, -v3, v6, v5
	v_fmac_f32_e32 v6, v7, v4
	v_fma_f32 v3, -v3, v6, v5
	v_div_fmas_f32 v3, v3, v4, v6
	v_xad_u32 v4, v0, -1, s16
	v_div_fixup_f32 v2, v3, v2, 1.0
	v_cmp_lt_u32_e32 vcc, s8, v4
	s_mov_b64 s[10:11], -1
	v_mov_b32_e32 v3, v0
	s_and_saveexec_b64 s[8:9], vcc
	s_cbranch_execz .LBB204_43
; %bb.35:
	v_lshrrev_b32_e32 v4, 7, v4
	v_add_u32_e32 v6, -1, v4
	v_lshrrev_b32_e32 v5, 1, v6
	v_mov_b32_e32 v3, v2
	v_add_u32_e32 v5, 1, v5
	v_cmp_lt_u32_e32 vcc, 13, v6
	v_mov_b32_e32 v8, 0
	s_and_saveexec_b64 s[10:11], vcc
	s_cbranch_execz .LBB204_39
; %bb.36:
	v_mov_b32_e32 v7, 0x210
	v_and_b32_e32 v6, -8, v5
	v_lshl_add_u32 v7, v0, 2, v7
	s_mov_b32 s18, 0
	s_mov_b64 s[12:13], 0
.LBB204_37:                             ; =>This Inner Loop Header: Depth=1
	ds_read2st64_b32 v[8:9], v7 offset1:2
	ds_read2st64_b32 v[10:11], v7 offset0:4 offset1:6
	ds_read2st64_b32 v[12:13], v7 offset0:8 offset1:10
	;; [unrolled: 1-line block ×3, first 2 shown]
	v_add_u32_e32 v6, -8, v6
	s_waitcnt lgkmcnt(3)
	v_pk_mul_f32 v[8:9], v[2:3], v[8:9]
	s_waitcnt lgkmcnt(2)
	v_pk_mul_f32 v[10:11], v[2:3], v[10:11]
	ds_write2st64_b32 v7, v8, v9 offset1:2
	ds_write2st64_b32 v7, v10, v11 offset0:4 offset1:6
	ds_read2st64_b32 v[10:11], v7 offset0:16 offset1:18
	s_waitcnt lgkmcnt(4)
	v_pk_mul_f32 v[8:9], v[2:3], v[12:13]
	ds_write2st64_b32 v7, v8, v9 offset0:8 offset1:10
	s_waitcnt lgkmcnt(4)
	v_pk_mul_f32 v[8:9], v[2:3], v[14:15]
	ds_write2st64_b32 v7, v8, v9 offset0:12 offset1:14
	ds_read2st64_b32 v[8:9], v7 offset0:20 offset1:22
	s_waitcnt lgkmcnt(3)
	v_pk_mul_f32 v[10:11], v[2:3], v[10:11]
	ds_read2st64_b32 v[12:13], v7 offset0:24 offset1:26
	ds_write2st64_b32 v7, v10, v11 offset0:16 offset1:18
	ds_read2st64_b32 v[10:11], v7 offset0:28 offset1:30
	s_waitcnt lgkmcnt(3)
	v_pk_mul_f32 v[8:9], v[2:3], v[8:9]
	ds_write2st64_b32 v7, v8, v9 offset0:20 offset1:22
	s_waitcnt lgkmcnt(3)
	v_pk_mul_f32 v[8:9], v[2:3], v[12:13]
	ds_write2st64_b32 v7, v8, v9 offset0:24 offset1:26
	s_waitcnt lgkmcnt(2)
	v_pk_mul_f32 v[8:9], v[2:3], v[10:11]
	s_add_i32 s18, s18, 16
	v_cmp_eq_u32_e32 vcc, 0, v6
	ds_write2st64_b32 v7, v8, v9 offset0:28 offset1:30
	v_add_u32_e32 v7, 0x2000, v7
	s_or_b64 s[12:13], vcc, s[12:13]
	v_mov_b32_e32 v8, s18
	s_andn2_b64 exec, exec, s[12:13]
	s_cbranch_execnz .LBB204_37
; %bb.38:
	s_or_b64 exec, exec, s[12:13]
.LBB204_39:
	s_or_b64 exec, exec, s[10:11]
	v_and_b32_e32 v5, 7, v5
	v_cmp_ne_u32_e32 vcc, 0, v5
	s_and_saveexec_b64 s[10:11], vcc
	s_cbranch_execz .LBB204_42
; %bb.40:
	v_lshlrev_b32_e32 v6, 9, v8
	s_movk_i32 s12, 0x210
	v_add3_u32 v6, v6, v38, s12
	s_mov_b64 s[12:13], 0
.LBB204_41:                             ; =>This Inner Loop Header: Depth=1
	ds_read2st64_b32 v[8:9], v6 offset1:2
	v_add_u32_e32 v5, -1, v5
	v_cmp_eq_u32_e32 vcc, 0, v5
	s_or_b64 s[12:13], vcc, s[12:13]
	s_waitcnt lgkmcnt(0)
	v_pk_mul_f32 v[8:9], v[2:3], v[8:9]
	ds_write2st64_b32 v6, v8, v9 offset1:2
	v_add_u32_e32 v6, 0x400, v6
	s_andn2_b64 exec, exec, s[12:13]
	s_cbranch_execnz .LBB204_41
.LBB204_42:
	s_or_b64 exec, exec, s[10:11]
	v_add_u32_e32 v4, 1, v4
	v_and_b32_e32 v5, 0x3fffffe, v4
	v_cmp_ne_u32_e32 vcc, v4, v5
	v_lshl_add_u32 v3, v5, 7, v0
	s_orn2_b64 s[10:11], vcc, exec
.LBB204_43:
	s_or_b64 exec, exec, s[8:9]
	s_and_b64 exec, exec, s[10:11]
	s_cbranch_execz .LBB204_46
; %bb.44:
	v_mov_b32_e32 v4, 0x210
	v_lshl_add_u32 v4, v3, 2, v4
	s_mov_b64 s[8:9], 0
.LBB204_45:                             ; =>This Inner Loop Header: Depth=1
	ds_read_b32 v5, v4
	v_add_u32_e32 v3, 0x80, v3
	v_cmp_le_i32_e32 vcc, s16, v3
	s_or_b64 s[8:9], vcc, s[8:9]
	s_waitcnt lgkmcnt(0)
	v_mul_f32_e32 v5, v2, v5
	ds_write_b32 v4, v5
	v_add_u32_e32 v4, 0x200, v4
	s_andn2_b64 exec, exec, s[8:9]
	s_cbranch_execnz .LBB204_45
.LBB204_46:
	s_or_b64 exec, exec, s[0:1]
	v_mov_b32_e32 v7, 0
	v_and_b32_e32 v97, 7, v0
	v_mov_b32_e32 v6, 0
	v_mov_b32_e32 v9, 0
	;; [unrolled: 1-line block ×15, first 2 shown]
	s_waitcnt lgkmcnt(0)
	s_barrier
	s_and_saveexec_b64 s[8:9], s[2:3]
	s_cbranch_execz .LBB204_84
; %bb.47:
	s_sub_i32 s21, s45, s21
	s_ashr_i32 s0, s46, 31
	s_add_u32 s2, s36, s46
	s_addc_u32 s3, s37, s0
	s_abs_i32 s22, s22
	v_cvt_f32_u32_e32 v2, s22
	s_sub_i32 s0, 0, s22
	s_add_i32 s37, s44, -1
	v_mov_b32_e32 v23, 0
	v_rcp_iflag_f32_e32 v2, v2
	v_and_b32_e32 v98, 28, v38
	s_mov_b32 s36, s17
	v_and_b32_e32 v22, 0xfc, v38
	v_mul_f32_e32 v2, 0x4f7ffffe, v2
	v_cvt_u32_f32_e32 v2, v2
	v_or_b32_e32 v24, 0xf00, v38
	v_mov_b32_e32 v25, v23
	s_mov_b32 s39, s25
	v_mul_lo_u32 v3, s0, v2
	s_lshl_b64 s[0:1], s[34:35], 2
	v_mul_hi_u32 v3, v2, v3
	s_add_u32 s0, s30, s0
	v_add_u32_e32 v99, v2, v3
	v_and_b32_e32 v2, 60, v39
	v_mov_b32_e32 v3, v23
	s_addc_u32 s1, s31, s1
	v_lshl_add_u64 v[26:27], s[0:1], 0, v[2:3]
	v_lshlrev_b32_e32 v2, 4, v97
	v_lshl_or_b32 v2, v1, 7, v2
	v_add_u32_e32 v100, 0x210, v2
	s_mov_b64 s[10:11], 0
	v_mov_b32_e32 v20, v23
	v_mov_b32_e32 v21, v23
	;; [unrolled: 1-line block ×16, first 2 shown]
	s_branch .LBB204_50
.LBB204_48:                             ;   in Loop: Header=BB204_50 Depth=1
	s_or_b64 exec, exec, s[0:1]
	v_mul_f32_e32 v90, v2, v90
	v_mul_f32_e32 v86, v2, v86
	;; [unrolled: 1-line block ×15, first 2 shown]
	v_fmac_f32_e32 v90, v3, v91
	v_fmac_f32_e32 v86, v3, v87
	v_fmac_f32_e32 v82, v3, v83
	v_fmac_f32_e32 v78, v3, v79
	v_fmac_f32_e32 v74, v3, v75
	v_fmac_f32_e32 v70, v3, v71
	v_fmac_f32_e32 v66, v3, v67
	v_fmac_f32_e32 v62, v3, v63
	v_fmac_f32_e32 v58, v3, v59
	v_fmac_f32_e32 v54, v3, v55
	v_fmac_f32_e32 v50, v3, v51
	v_fmac_f32_e32 v44, v3, v45
	v_fmac_f32_e32 v38, v3, v39
	v_fmac_f32_e32 v34, v3, v35
	v_fmac_f32_e32 v30, v3, v31
	v_fmac_f32_e32 v90, v4, v88
	v_fmac_f32_e32 v86, v4, v84
	v_fmac_f32_e32 v82, v4, v80
	v_fmac_f32_e32 v78, v4, v76
	v_fmac_f32_e32 v74, v4, v72
	v_fmac_f32_e32 v70, v4, v68
	v_fmac_f32_e32 v66, v4, v64
	v_fmac_f32_e32 v62, v4, v60
	v_fmac_f32_e32 v58, v4, v56
	v_fmac_f32_e32 v54, v4, v52
	v_fmac_f32_e32 v50, v4, v48
	v_fmac_f32_e32 v44, v4, v42
	v_fmac_f32_e32 v38, v4, v36
	v_fmac_f32_e32 v34, v4, v32
	v_fmac_f32_e32 v30, v4, v28
	v_pk_mul_f32 v[2:3], v[2:3], v[46:47]
	v_fmac_f32_e32 v90, v5, v89
	v_fmac_f32_e32 v86, v5, v85
	;; [unrolled: 1-line block ×15, first 2 shown]
	v_pk_mul_f32 v[4:5], v[4:5], v[40:41]
	v_add_f32_e32 v2, v3, v2
	v_add_f32_e32 v2, v4, v2
	;; [unrolled: 1-line block ×19, first 2 shown]
.LBB204_49:                             ;   in Loop: Header=BB204_50 Depth=1
	s_or_b64 exec, exec, s[12:13]
	v_add_u32_e32 v1, 2, v1
	v_cmp_le_i32_e32 vcc, s44, v1
	v_lshl_add_u64 v[26:27], v[26:27], 0, 8
	v_add_u32_e32 v92, 64, v92
	s_or_b64 s[10:11], vcc, s[10:11]
	v_add_u32_e32 v100, 0x100, v100
	s_andn2_b64 exec, exec, s[10:11]
	s_cbranch_execz .LBB204_83
.LBB204_50:                             ; =>This Inner Loop Header: Depth=1
	v_mul_hi_u32 v2, v92, s33
	v_mul_lo_u32 v3, v2, s27
	v_sub_u32_e32 v3, v92, v3
	v_add_u32_e32 v4, 1, v2
	v_cmp_le_u32_e32 vcc, s27, v3
	s_nop 1
	v_cndmask_b32_e32 v2, v2, v4, vcc
	v_subrev_u32_e32 v4, s27, v3
	v_cndmask_b32_e32 v3, v3, v4, vcc
	v_add_u32_e32 v4, 1, v2
	v_cmp_le_u32_e32 vcc, s27, v3
	s_nop 1
	v_cndmask_b32_e32 v2, v2, v4, vcc
	v_xor_b32_e32 v2, s23, v2
	v_subrev_u32_e32 v2, s23, v2
	v_add_u32_e32 v3, s38, v2
	v_sub_u32_e32 v5, 0, v3
	v_ashrrev_i32_e32 v4, 31, v3
	v_max_i32_e32 v3, v3, v5
	v_mul_hi_u32 v5, v3, v99
	v_mul_lo_u32 v5, v5, s22
	v_sub_u32_e32 v3, v3, v5
	v_subrev_u32_e32 v5, s22, v3
	v_cmp_le_u32_e32 vcc, s22, v3
	v_cmp_lt_i32_e64 s[0:1], s21, v2
	s_nop 0
	v_cndmask_b32_e32 v3, v3, v5, vcc
	v_subrev_u32_e32 v5, s22, v3
	v_cmp_le_u32_e32 vcc, s22, v3
	s_nop 1
	v_cndmask_b32_e32 v3, v3, v5, vcc
	v_xor_b32_e32 v3, v3, v4
	v_sub_u32_e32 v3, v3, v4
	v_cmp_eq_u32_e32 vcc, 0, v3
	s_or_b64 s[0:1], vcc, s[0:1]
	s_and_saveexec_b64 s[12:13], s[0:1]
	s_cbranch_execz .LBB204_49
; %bb.51:                               ;   in Loop: Header=BB204_50 Depth=1
	global_load_dword v4, v[26:27], off
	v_mov_b64_e32 v[2:3], s[2:3]
	s_load_dword s16, s[14:15], 0x0
	v_add_u32_e32 v101, v98, v92
	v_cmp_eq_u32_e32 vcc, s37, v1
	v_add_u32_e32 v102, 1, v101
	v_add_u32_e32 v103, 2, v101
	;; [unrolled: 1-line block ×3, first 2 shown]
	s_waitcnt vmcnt(0)
	v_mad_i64_i32 v[40:41], s[0:1], v4, s36, v[2:3]
	v_lshl_add_u64 v[46:47], v[40:41], 0, v[22:23]
	global_load_dword v28, v[46:47], off
	ds_read_b128 v[2:5], v100
	s_waitcnt vmcnt(0)
	v_and_b32_e32 v29, 0xffff, v28
	v_lshrrev_b32_e32 v30, 16, v28
	v_cvt_pk_f32_fp8_e32 v[28:29], v29
	v_cvt_pk_f32_fp8_e32 v[32:33], v30
	s_waitcnt lgkmcnt(0)
	v_pk_mul_f32 v[30:31], v[28:29], s[16:17] op_sel_hi:[1,0]
	v_pk_mul_f32 v[28:29], s[16:17], v[32:33] op_sel_hi:[0,1]
	s_and_saveexec_b64 s[18:19], vcc
; %bb.52:                               ;   in Loop: Header=BB204_50 Depth=1
	v_cmp_gt_i32_e64 s[0:1], s25, v101
	s_nop 1
	v_cndmask_b32_e64 v30, 0, v30, s[0:1]
	v_cmp_gt_i32_e64 s[0:1], s25, v102
	s_nop 1
	v_cndmask_b32_e64 v31, 0, v31, s[0:1]
	;; [unrolled: 3-line block ×4, first 2 shown]
; %bb.53:                               ;   in Loop: Header=BB204_50 Depth=1
	s_or_b64 exec, exec, s[18:19]
	global_load_dword v32, v[46:47], off offset:256
	s_mov_b32 s17, s16
	s_waitcnt vmcnt(0)
	v_and_b32_e32 v33, 0xffff, v32
	v_lshrrev_b32_e32 v34, 16, v32
	v_cvt_pk_f32_fp8_e32 v[32:33], v33
	v_cvt_pk_f32_fp8_e32 v[36:37], v34
	v_pk_mul_f32 v[34:35], s[16:17], v[32:33]
	v_pk_mul_f32 v[32:33], s[16:17], v[36:37]
	s_and_saveexec_b64 s[18:19], vcc
; %bb.54:                               ;   in Loop: Header=BB204_50 Depth=1
	v_cmp_gt_i32_e64 s[0:1], s25, v101
	s_nop 1
	v_cndmask_b32_e64 v34, 0, v34, s[0:1]
	v_cmp_gt_i32_e64 s[0:1], s25, v102
	s_nop 1
	v_cndmask_b32_e64 v35, 0, v35, s[0:1]
	v_cmp_gt_i32_e64 s[0:1], s25, v103
	s_nop 1
	v_cndmask_b32_e64 v32, 0, v32, s[0:1]
	v_cmp_gt_i32_e64 s[0:1], s25, v104
	s_nop 1
	v_cndmask_b32_e64 v33, 0, v33, s[0:1]
; %bb.55:                               ;   in Loop: Header=BB204_50 Depth=1
	s_or_b64 exec, exec, s[18:19]
	global_load_dword v36, v[46:47], off offset:512
	s_waitcnt vmcnt(0)
	v_and_b32_e32 v37, 0xffff, v36
	v_lshrrev_b32_e32 v38, 16, v36
	v_cvt_pk_f32_fp8_e32 v[36:37], v37
	v_cvt_pk_f32_fp8_e32 v[42:43], v38
	v_pk_mul_f32 v[38:39], s[16:17], v[36:37]
	v_pk_mul_f32 v[36:37], s[16:17], v[42:43]
	s_and_saveexec_b64 s[18:19], vcc
; %bb.56:                               ;   in Loop: Header=BB204_50 Depth=1
	v_cmp_gt_i32_e64 s[0:1], s25, v101
	s_nop 1
	v_cndmask_b32_e64 v38, 0, v38, s[0:1]
	v_cmp_gt_i32_e64 s[0:1], s25, v102
	s_nop 1
	v_cndmask_b32_e64 v39, 0, v39, s[0:1]
	v_cmp_gt_i32_e64 s[0:1], s25, v103
	s_nop 1
	v_cndmask_b32_e64 v36, 0, v36, s[0:1]
	v_cmp_gt_i32_e64 s[0:1], s25, v104
	s_nop 1
	v_cndmask_b32_e64 v37, 0, v37, s[0:1]
; %bb.57:                               ;   in Loop: Header=BB204_50 Depth=1
	s_or_b64 exec, exec, s[18:19]
	global_load_dword v42, v[46:47], off offset:768
	;; [unrolled: 24-line block ×13, first 2 shown]
	s_waitcnt vmcnt(0)
	v_and_b32_e32 v47, 0xffff, v46
	v_lshrrev_b32_e32 v88, 16, v46
	v_cvt_pk_f32_fp8_e32 v[46:47], v47
	v_cvt_pk_f32_fp8_e32 v[88:89], v88
	v_pk_mul_f32 v[90:91], s[16:17], v[46:47]
	v_pk_mul_f32 v[88:89], s[16:17], v[88:89]
	s_and_saveexec_b64 s[18:19], vcc
; %bb.80:                               ;   in Loop: Header=BB204_50 Depth=1
	v_cmp_gt_i32_e64 s[0:1], s25, v101
	s_nop 1
	v_cndmask_b32_e64 v90, 0, v90, s[0:1]
	v_cmp_gt_i32_e64 s[0:1], s25, v102
	s_nop 1
	v_cndmask_b32_e64 v91, 0, v91, s[0:1]
	;; [unrolled: 3-line block ×4, first 2 shown]
; %bb.81:                               ;   in Loop: Header=BB204_50 Depth=1
	s_or_b64 exec, exec, s[18:19]
	v_lshl_add_u64 v[40:41], v[40:41], 0, v[24:25]
	global_load_dword v40, v[40:41], off
	s_waitcnt vmcnt(0)
	v_and_b32_e32 v41, 0xffff, v40
	v_lshrrev_b32_e32 v46, 16, v40
	v_cvt_pk_f32_fp8_e32 v[40:41], v41
	v_cvt_pk_f32_fp8_e32 v[104:105], v46
	v_pk_mul_f32 v[46:47], s[16:17], v[40:41]
	v_pk_mul_f32 v[40:41], s[16:17], v[104:105]
	s_and_saveexec_b64 s[0:1], vcc
	s_cbranch_execz .LBB204_48
; %bb.82:                               ;   in Loop: Header=BB204_50 Depth=1
	v_cmp_gt_i32_e32 vcc, s39, v102
	v_or_b32_e32 v102, 3, v101
	s_nop 0
	v_cndmask_b32_e32 v47, 0, v47, vcc
	v_cmp_gt_i32_e32 vcc, s25, v101
	v_or_b32_e32 v101, 2, v101
	s_nop 0
	v_cndmask_b32_e32 v46, 0, v46, vcc
	v_cmp_gt_i32_e32 vcc, s39, v102
	s_nop 1
	v_cndmask_b32_e32 v41, 0, v41, vcc
	v_cmp_gt_i32_e32 vcc, s25, v101
	s_nop 1
	v_cndmask_b32_e32 v40, 0, v40, vcc
	s_branch .LBB204_48
.LBB204_83:
	s_or_b64 exec, exec, s[10:11]
.LBB204_84:
	s_or_b64 exec, exec, s[8:9]
	ds_bpermute_b32 v4, v94, v18
	ds_bpermute_b32 v5, v94, v19
	;; [unrolled: 1-line block ×6, first 2 shown]
	s_waitcnt lgkmcnt(4)
	v_pk_add_f32 v[4:5], v[18:19], v[4:5]
	ds_bpermute_b32 v18, v95, v4
	ds_bpermute_b32 v19, v95, v5
	s_waitcnt lgkmcnt(4)
	v_pk_add_f32 v[2:3], v[20:21], v[2:3]
	s_waitcnt lgkmcnt(2)
	v_pk_add_f32 v[16:17], v[16:17], v[22:23]
	ds_bpermute_b32 v20, v95, v2
	ds_bpermute_b32 v21, v95, v3
	s_waitcnt lgkmcnt(2)
	v_pk_add_f32 v[4:5], v[4:5], v[18:19]
	ds_bpermute_b32 v18, v95, v16
	ds_bpermute_b32 v19, v95, v17
	;; [unrolled: 1-line block ×3, first 2 shown]
	s_waitcnt lgkmcnt(3)
	v_pk_add_f32 v[2:3], v[2:3], v[20:21]
	ds_bpermute_b32 v20, v96, v2
	ds_bpermute_b32 v21, v96, v3
	s_waitcnt lgkmcnt(3)
	v_pk_add_f32 v[16:17], v[16:17], v[18:19]
	ds_bpermute_b32 v25, v94, v15
	ds_bpermute_b32 v18, v96, v16
	;; [unrolled: 1-line block ×5, first 2 shown]
	s_waitcnt lgkmcnt(4)
	v_pk_add_f32 v[24:25], v[14:15], v[24:25]
	v_pk_add_f32 v[14:15], v[2:3], v[20:21]
	s_waitcnt lgkmcnt(2)
	v_pk_add_f32 v[2:3], v[16:17], v[18:19]
	ds_bpermute_b32 v18, v94, v12
	ds_bpermute_b32 v19, v94, v13
	;; [unrolled: 1-line block ×4, first 2 shown]
	s_waitcnt lgkmcnt(4)
	v_pk_add_f32 v[4:5], v[4:5], v[22:23]
	ds_bpermute_b32 v22, v94, v10
	ds_bpermute_b32 v23, v94, v11
	s_waitcnt lgkmcnt(4)
	v_pk_add_f32 v[12:13], v[12:13], v[18:19]
	ds_bpermute_b32 v18, v95, v12
	ds_bpermute_b32 v19, v95, v13
	s_waitcnt lgkmcnt(4)
	v_pk_add_f32 v[16:17], v[24:25], v[26:27]
	s_waitcnt lgkmcnt(2)
	v_pk_add_f32 v[10:11], v[10:11], v[22:23]
	ds_bpermute_b32 v24, v94, v8
	ds_bpermute_b32 v25, v94, v9
	;; [unrolled: 1-line block ×4, first 2 shown]
	s_waitcnt lgkmcnt(4)
	v_pk_add_f32 v[18:19], v[12:13], v[18:19]
	ds_bpermute_b32 v12, v94, v6
	ds_bpermute_b32 v13, v94, v7
	s_waitcnt lgkmcnt(4)
	v_pk_add_f32 v[8:9], v[8:9], v[24:25]
	s_waitcnt lgkmcnt(2)
	v_pk_add_f32 v[22:23], v[10:11], v[22:23]
	ds_bpermute_b32 v10, v95, v8
	ds_bpermute_b32 v11, v95, v9
	s_waitcnt lgkmcnt(2)
	v_pk_add_f32 v[32:33], v[6:7], v[12:13]
	ds_bpermute_b32 v20, v96, v16
	ds_bpermute_b32 v21, v96, v17
	;; [unrolled: 1-line block ×6, first 2 shown]
	s_waitcnt lgkmcnt(6)
	v_pk_add_f32 v[28:29], v[8:9], v[10:11]
	ds_bpermute_b32 v24, v96, v22
	ds_bpermute_b32 v25, v96, v23
	;; [unrolled: 1-line block ×4, first 2 shown]
	s_waitcnt lgkmcnt(8)
	v_pk_add_f32 v[12:13], v[16:17], v[20:21]
	s_waitcnt lgkmcnt(6)
	v_pk_add_f32 v[16:17], v[32:33], v[34:35]
	;; [unrolled: 2-line block ×3, first 2 shown]
	ds_bpermute_b32 v18, v96, v16
	ds_bpermute_b32 v19, v96, v17
	v_and_b32_e32 v1, 0x3c7, v0
	s_waitcnt lgkmcnt(4)
	v_pk_add_f32 v[8:9], v[22:23], v[24:25]
	s_waitcnt lgkmcnt(2)
	v_pk_add_f32 v[6:7], v[28:29], v[30:31]
	v_cmp_ne_u32_e32 vcc, 64, v1
	s_waitcnt lgkmcnt(0)
	s_barrier
	s_and_saveexec_b64 s[0:1], vcc
	s_xor_b64 s[0:1], exec, s[0:1]
; %bb.85:
                                        ; implicit-def: $vgpr93
; %bb.86:
	s_or_saveexec_b64 s[0:1], s[0:1]
	v_pk_add_f32 v[16:17], v[16:17], v[18:19]
	s_xor_b64 exec, exec, s[0:1]
	s_cbranch_execz .LBB204_88
; %bb.87:
	v_lshrrev_b32_e32 v18, 1, v93
	v_add_u32_e32 v18, 0x210, v18
	ds_write2_b32 v18, v14, v15 offset1:8
	ds_write2_b32 v18, v4, v5 offset0:16 offset1:24
	ds_write2_b32 v18, v2, v3 offset0:32 offset1:40
	;; [unrolled: 1-line block ×7, first 2 shown]
.LBB204_88:
	s_or_b64 exec, exec, s[0:1]
	v_lshrrev_b32_e32 v0, 3, v0
	s_waitcnt lgkmcnt(0)
	s_barrier
	s_and_saveexec_b64 s[0:1], s[6:7]
	s_cbranch_execz .LBB204_107
; %bb.89:
	v_mov_b32_e32 v18, 0x210
	v_cmp_eq_u32_e32 vcc, 0, v97
	v_lshl_add_u32 v18, v0, 2, v18
	s_and_saveexec_b64 s[2:3], vcc
	s_cbranch_execnz .LBB204_110
; %bb.90:
	s_or_b64 exec, exec, s[2:3]
	s_and_saveexec_b64 s[2:3], vcc
	s_cbranch_execnz .LBB204_111
.LBB204_91:
	s_or_b64 exec, exec, s[2:3]
	s_and_saveexec_b64 s[2:3], vcc
	s_cbranch_execnz .LBB204_112
.LBB204_92:
	s_or_b64 exec, exec, s[2:3]
	s_and_saveexec_b64 s[2:3], vcc
	s_cbranch_execnz .LBB204_113
.LBB204_93:
	s_or_b64 exec, exec, s[2:3]
	s_and_saveexec_b64 s[2:3], vcc
	s_cbranch_execnz .LBB204_114
.LBB204_94:
	s_or_b64 exec, exec, s[2:3]
	s_and_saveexec_b64 s[2:3], vcc
	s_cbranch_execnz .LBB204_115
.LBB204_95:
	s_or_b64 exec, exec, s[2:3]
	s_and_saveexec_b64 s[2:3], vcc
	s_cbranch_execnz .LBB204_116
.LBB204_96:
	s_or_b64 exec, exec, s[2:3]
	s_and_saveexec_b64 s[2:3], vcc
	s_cbranch_execnz .LBB204_117
.LBB204_97:
	s_or_b64 exec, exec, s[2:3]
	s_and_saveexec_b64 s[2:3], vcc
	s_cbranch_execnz .LBB204_118
.LBB204_98:
	s_or_b64 exec, exec, s[2:3]
	s_and_saveexec_b64 s[2:3], vcc
	s_cbranch_execnz .LBB204_119
.LBB204_99:
	s_or_b64 exec, exec, s[2:3]
	s_and_saveexec_b64 s[2:3], vcc
	s_cbranch_execnz .LBB204_120
.LBB204_100:
	s_or_b64 exec, exec, s[2:3]
	s_and_saveexec_b64 s[2:3], vcc
	s_cbranch_execnz .LBB204_121
.LBB204_101:
	s_or_b64 exec, exec, s[2:3]
	s_and_saveexec_b64 s[2:3], vcc
	s_cbranch_execnz .LBB204_122
.LBB204_102:
	s_or_b64 exec, exec, s[2:3]
	s_and_saveexec_b64 s[2:3], vcc
	s_cbranch_execnz .LBB204_123
.LBB204_103:
	s_or_b64 exec, exec, s[2:3]
	s_and_saveexec_b64 s[2:3], vcc
	s_cbranch_execnz .LBB204_124
.LBB204_104:
	s_or_b64 exec, exec, s[2:3]
	s_and_saveexec_b64 s[2:3], vcc
	s_cbranch_execz .LBB204_106
.LBB204_105:
	ds_read_b32 v18, v18 offset:480
	s_waitcnt lgkmcnt(0)
	v_add_f32_e32 v17, v17, v18
.LBB204_106:
	s_or_b64 exec, exec, s[2:3]
.LBB204_107:
	s_or_b64 exec, exec, s[0:1]
	v_cmp_eq_u32_e32 vcc, 0, v1
	s_barrier
	s_and_saveexec_b64 s[0:1], vcc
	s_cbranch_execz .LBB204_109
; %bb.108:
	s_mul_i32 s0, s24, s20
	s_mul_i32 s0, s0, s5
	s_lshl_b32 s0, s0, 7
	s_ashr_i32 s1, s0, 31
	s_lshl_b64 s[0:1], s[0:1], 2
	s_add_u32 s2, s28, s0
	s_mul_i32 s0, s20, s26
	s_addc_u32 s3, s29, s1
	s_ashr_i32 s1, s0, 31
	s_lshl_b64 s[0:1], s[0:1], 2
	s_add_u32 s2, s2, s0
	s_addc_u32 s3, s3, s1
	s_lshl_b32 s0, s4, 7
	s_ashr_i32 s1, s0, 31
	s_lshl_b64 s[0:1], s[0:1], 2
	s_add_u32 s0, s2, s0
	s_addc_u32 s1, s3, s1
	v_lshlrev_b32_e32 v0, 2, v0
	global_store_dword v0, v14, s[0:1]
	global_store_dword v0, v15, s[0:1] offset:32
	global_store_dword v0, v4, s[0:1] offset:64
	;; [unrolled: 1-line block ×15, first 2 shown]
.LBB204_109:
	s_endpgm
.LBB204_110:
	ds_read_b32 v19, v18
	s_waitcnt lgkmcnt(0)
	v_add_f32_e32 v14, v14, v19
	s_or_b64 exec, exec, s[2:3]
	s_and_saveexec_b64 s[2:3], vcc
	s_cbranch_execz .LBB204_91
.LBB204_111:
	ds_read_b32 v19, v18 offset:32
	s_waitcnt lgkmcnt(0)
	v_add_f32_e32 v15, v15, v19
	s_or_b64 exec, exec, s[2:3]
	s_and_saveexec_b64 s[2:3], vcc
	s_cbranch_execz .LBB204_92
.LBB204_112:
	ds_read_b32 v19, v18 offset:64
	s_waitcnt lgkmcnt(0)
	v_add_f32_e32 v4, v4, v19
	s_or_b64 exec, exec, s[2:3]
	s_and_saveexec_b64 s[2:3], vcc
	s_cbranch_execz .LBB204_93
.LBB204_113:
	ds_read_b32 v19, v18 offset:96
	s_waitcnt lgkmcnt(0)
	v_add_f32_e32 v5, v5, v19
	s_or_b64 exec, exec, s[2:3]
	s_and_saveexec_b64 s[2:3], vcc
	s_cbranch_execz .LBB204_94
.LBB204_114:
	ds_read_b32 v19, v18 offset:128
	s_waitcnt lgkmcnt(0)
	v_add_f32_e32 v2, v2, v19
	s_or_b64 exec, exec, s[2:3]
	s_and_saveexec_b64 s[2:3], vcc
	s_cbranch_execz .LBB204_95
.LBB204_115:
	ds_read_b32 v19, v18 offset:160
	s_waitcnt lgkmcnt(0)
	v_add_f32_e32 v3, v3, v19
	s_or_b64 exec, exec, s[2:3]
	s_and_saveexec_b64 s[2:3], vcc
	s_cbranch_execz .LBB204_96
.LBB204_116:
	ds_read_b32 v19, v18 offset:192
	s_waitcnt lgkmcnt(0)
	v_add_f32_e32 v12, v12, v19
	s_or_b64 exec, exec, s[2:3]
	s_and_saveexec_b64 s[2:3], vcc
	s_cbranch_execz .LBB204_97
.LBB204_117:
	ds_read_b32 v19, v18 offset:224
	s_waitcnt lgkmcnt(0)
	v_add_f32_e32 v13, v13, v19
	s_or_b64 exec, exec, s[2:3]
	s_and_saveexec_b64 s[2:3], vcc
	s_cbranch_execz .LBB204_98
.LBB204_118:
	ds_read_b32 v19, v18 offset:256
	s_waitcnt lgkmcnt(0)
	v_add_f32_e32 v10, v10, v19
	s_or_b64 exec, exec, s[2:3]
	s_and_saveexec_b64 s[2:3], vcc
	s_cbranch_execz .LBB204_99
.LBB204_119:
	ds_read_b32 v19, v18 offset:288
	s_waitcnt lgkmcnt(0)
	v_add_f32_e32 v11, v11, v19
	s_or_b64 exec, exec, s[2:3]
	s_and_saveexec_b64 s[2:3], vcc
	s_cbranch_execz .LBB204_100
.LBB204_120:
	ds_read_b32 v19, v18 offset:320
	s_waitcnt lgkmcnt(0)
	v_add_f32_e32 v8, v8, v19
	s_or_b64 exec, exec, s[2:3]
	s_and_saveexec_b64 s[2:3], vcc
	s_cbranch_execz .LBB204_101
.LBB204_121:
	ds_read_b32 v19, v18 offset:352
	s_waitcnt lgkmcnt(0)
	v_add_f32_e32 v9, v9, v19
	s_or_b64 exec, exec, s[2:3]
	s_and_saveexec_b64 s[2:3], vcc
	s_cbranch_execz .LBB204_102
.LBB204_122:
	ds_read_b32 v19, v18 offset:384
	s_waitcnt lgkmcnt(0)
	v_add_f32_e32 v6, v6, v19
	s_or_b64 exec, exec, s[2:3]
	s_and_saveexec_b64 s[2:3], vcc
	s_cbranch_execz .LBB204_103
.LBB204_123:
	ds_read_b32 v19, v18 offset:416
	s_waitcnt lgkmcnt(0)
	v_add_f32_e32 v7, v7, v19
	s_or_b64 exec, exec, s[2:3]
	s_and_saveexec_b64 s[2:3], vcc
	s_cbranch_execz .LBB204_104
.LBB204_124:
	ds_read_b32 v19, v18 offset:448
	s_waitcnt lgkmcnt(0)
	v_add_f32_e32 v16, v16, v19
	s_or_b64 exec, exec, s[2:3]
	s_and_saveexec_b64 s[2:3], vcc
	s_cbranch_execnz .LBB204_105
	s_branch .LBB204_106
	.section	.rodata,"a",@progbits
	.p2align	6, 0x0
	.amdhsa_kernel _ZN4vllm25paged_attention_v1_kernelIfhLi128ELi32ELi128ELNS_18Fp8KVCacheDataTypeE1ELb1EEEvPT_PKS2_PKT0_S8_ifPKiSA_iPKfiiiSC_SC_iiiii
		.amdhsa_group_segment_fixed_size 528
		.amdhsa_private_segment_fixed_size 0
		.amdhsa_kernarg_size 384
		.amdhsa_user_sgpr_count 2
		.amdhsa_user_sgpr_dispatch_ptr 0
		.amdhsa_user_sgpr_queue_ptr 0
		.amdhsa_user_sgpr_kernarg_segment_ptr 1
		.amdhsa_user_sgpr_dispatch_id 0
		.amdhsa_user_sgpr_kernarg_preload_length 0
		.amdhsa_user_sgpr_kernarg_preload_offset 0
		.amdhsa_user_sgpr_private_segment_size 0
		.amdhsa_uses_dynamic_stack 0
		.amdhsa_enable_private_segment 0
		.amdhsa_system_sgpr_workgroup_id_x 1
		.amdhsa_system_sgpr_workgroup_id_y 1
		.amdhsa_system_sgpr_workgroup_id_z 1
		.amdhsa_system_sgpr_workgroup_info 0
		.amdhsa_system_vgpr_workitem_id 0
		.amdhsa_next_free_vgpr 106
		.amdhsa_next_free_sgpr 51
		.amdhsa_accum_offset 108
		.amdhsa_reserve_vcc 1
		.amdhsa_float_round_mode_32 0
		.amdhsa_float_round_mode_16_64 0
		.amdhsa_float_denorm_mode_32 3
		.amdhsa_float_denorm_mode_16_64 3
		.amdhsa_dx10_clamp 1
		.amdhsa_ieee_mode 1
		.amdhsa_fp16_overflow 0
		.amdhsa_tg_split 0
		.amdhsa_exception_fp_ieee_invalid_op 0
		.amdhsa_exception_fp_denorm_src 0
		.amdhsa_exception_fp_ieee_div_zero 0
		.amdhsa_exception_fp_ieee_overflow 0
		.amdhsa_exception_fp_ieee_underflow 0
		.amdhsa_exception_fp_ieee_inexact 0
		.amdhsa_exception_int_div_zero 0
	.end_amdhsa_kernel
	.section	.text._ZN4vllm25paged_attention_v1_kernelIfhLi128ELi32ELi128ELNS_18Fp8KVCacheDataTypeE1ELb1EEEvPT_PKS2_PKT0_S8_ifPKiSA_iPKfiiiSC_SC_iiiii,"axG",@progbits,_ZN4vllm25paged_attention_v1_kernelIfhLi128ELi32ELi128ELNS_18Fp8KVCacheDataTypeE1ELb1EEEvPT_PKS2_PKT0_S8_ifPKiSA_iPKfiiiSC_SC_iiiii,comdat
.Lfunc_end204:
	.size	_ZN4vllm25paged_attention_v1_kernelIfhLi128ELi32ELi128ELNS_18Fp8KVCacheDataTypeE1ELb1EEEvPT_PKS2_PKT0_S8_ifPKiSA_iPKfiiiSC_SC_iiiii, .Lfunc_end204-_ZN4vllm25paged_attention_v1_kernelIfhLi128ELi32ELi128ELNS_18Fp8KVCacheDataTypeE1ELb1EEEvPT_PKS2_PKT0_S8_ifPKiSA_iPKfiiiSC_SC_iiiii
                                        ; -- End function
	.set _ZN4vllm25paged_attention_v1_kernelIfhLi128ELi32ELi128ELNS_18Fp8KVCacheDataTypeE1ELb1EEEvPT_PKS2_PKT0_S8_ifPKiSA_iPKfiiiSC_SC_iiiii.num_vgpr, 106
	.set _ZN4vllm25paged_attention_v1_kernelIfhLi128ELi32ELi128ELNS_18Fp8KVCacheDataTypeE1ELb1EEEvPT_PKS2_PKT0_S8_ifPKiSA_iPKfiiiSC_SC_iiiii.num_agpr, 0
	.set _ZN4vllm25paged_attention_v1_kernelIfhLi128ELi32ELi128ELNS_18Fp8KVCacheDataTypeE1ELb1EEEvPT_PKS2_PKT0_S8_ifPKiSA_iPKfiiiSC_SC_iiiii.numbered_sgpr, 51
	.set _ZN4vllm25paged_attention_v1_kernelIfhLi128ELi32ELi128ELNS_18Fp8KVCacheDataTypeE1ELb1EEEvPT_PKS2_PKT0_S8_ifPKiSA_iPKfiiiSC_SC_iiiii.num_named_barrier, 0
	.set _ZN4vllm25paged_attention_v1_kernelIfhLi128ELi32ELi128ELNS_18Fp8KVCacheDataTypeE1ELb1EEEvPT_PKS2_PKT0_S8_ifPKiSA_iPKfiiiSC_SC_iiiii.private_seg_size, 0
	.set _ZN4vllm25paged_attention_v1_kernelIfhLi128ELi32ELi128ELNS_18Fp8KVCacheDataTypeE1ELb1EEEvPT_PKS2_PKT0_S8_ifPKiSA_iPKfiiiSC_SC_iiiii.uses_vcc, 1
	.set _ZN4vllm25paged_attention_v1_kernelIfhLi128ELi32ELi128ELNS_18Fp8KVCacheDataTypeE1ELb1EEEvPT_PKS2_PKT0_S8_ifPKiSA_iPKfiiiSC_SC_iiiii.uses_flat_scratch, 0
	.set _ZN4vllm25paged_attention_v1_kernelIfhLi128ELi32ELi128ELNS_18Fp8KVCacheDataTypeE1ELb1EEEvPT_PKS2_PKT0_S8_ifPKiSA_iPKfiiiSC_SC_iiiii.has_dyn_sized_stack, 0
	.set _ZN4vllm25paged_attention_v1_kernelIfhLi128ELi32ELi128ELNS_18Fp8KVCacheDataTypeE1ELb1EEEvPT_PKS2_PKT0_S8_ifPKiSA_iPKfiiiSC_SC_iiiii.has_recursion, 0
	.set _ZN4vllm25paged_attention_v1_kernelIfhLi128ELi32ELi128ELNS_18Fp8KVCacheDataTypeE1ELb1EEEvPT_PKS2_PKT0_S8_ifPKiSA_iPKfiiiSC_SC_iiiii.has_indirect_call, 0
	.section	.AMDGPU.csdata,"",@progbits
; Kernel info:
; codeLenInByte = 8788
; TotalNumSgprs: 57
; NumVgprs: 106
; NumAgprs: 0
; TotalNumVgprs: 106
; ScratchSize: 0
; MemoryBound: 0
; FloatMode: 240
; IeeeMode: 1
; LDSByteSize: 528 bytes/workgroup (compile time only)
; SGPRBlocks: 7
; VGPRBlocks: 13
; NumSGPRsForWavesPerEU: 57
; NumVGPRsForWavesPerEU: 106
; AccumOffset: 108
; Occupancy: 4
; WaveLimiterHint : 1
; COMPUTE_PGM_RSRC2:SCRATCH_EN: 0
; COMPUTE_PGM_RSRC2:USER_SGPR: 2
; COMPUTE_PGM_RSRC2:TRAP_HANDLER: 0
; COMPUTE_PGM_RSRC2:TGID_X_EN: 1
; COMPUTE_PGM_RSRC2:TGID_Y_EN: 1
; COMPUTE_PGM_RSRC2:TGID_Z_EN: 1
; COMPUTE_PGM_RSRC2:TIDIG_COMP_CNT: 0
; COMPUTE_PGM_RSRC3_GFX90A:ACCUM_OFFSET: 26
; COMPUTE_PGM_RSRC3_GFX90A:TG_SPLIT: 0
	.section	.text._ZN4vllm25paged_attention_v1_kernelIfhLi192ELi32ELi128ELNS_18Fp8KVCacheDataTypeE1ELb1EEEvPT_PKS2_PKT0_S8_ifPKiSA_iPKfiiiSC_SC_iiiii,"axG",@progbits,_ZN4vllm25paged_attention_v1_kernelIfhLi192ELi32ELi128ELNS_18Fp8KVCacheDataTypeE1ELb1EEEvPT_PKS2_PKT0_S8_ifPKiSA_iPKfiiiSC_SC_iiiii,comdat
	.protected	_ZN4vllm25paged_attention_v1_kernelIfhLi192ELi32ELi128ELNS_18Fp8KVCacheDataTypeE1ELb1EEEvPT_PKS2_PKT0_S8_ifPKiSA_iPKfiiiSC_SC_iiiii ; -- Begin function _ZN4vllm25paged_attention_v1_kernelIfhLi192ELi32ELi128ELNS_18Fp8KVCacheDataTypeE1ELb1EEEvPT_PKS2_PKT0_S8_ifPKiSA_iPKfiiiSC_SC_iiiii
	.globl	_ZN4vllm25paged_attention_v1_kernelIfhLi192ELi32ELi128ELNS_18Fp8KVCacheDataTypeE1ELb1EEEvPT_PKS2_PKT0_S8_ifPKiSA_iPKfiiiSC_SC_iiiii
	.p2align	8
	.type	_ZN4vllm25paged_attention_v1_kernelIfhLi192ELi32ELi128ELNS_18Fp8KVCacheDataTypeE1ELb1EEEvPT_PKS2_PKT0_S8_ifPKiSA_iPKfiiiSC_SC_iiiii,@function
_ZN4vllm25paged_attention_v1_kernelIfhLi192ELi32ELi128ELNS_18Fp8KVCacheDataTypeE1ELb1EEEvPT_PKS2_PKT0_S8_ifPKiSA_iPKfiiiSC_SC_iiiii: ; @_ZN4vllm25paged_attention_v1_kernelIfhLi192ELi32ELi128ELNS_18Fp8KVCacheDataTypeE1ELb1EEEvPT_PKS2_PKT0_S8_ifPKiSA_iPKfiiiSC_SC_iiiii
; %bb.0:
	s_load_dword s5, s[0:1], 0x80
	s_load_dwordx2 s[6:7], s[0:1], 0x30
	s_load_dwordx2 s[36:37], s[0:1], 0x20
	s_mov_b32 s10, s3
	s_ashr_i32 s11, s3, 31
	s_lshl_b64 s[8:9], s[10:11], 2
	s_waitcnt lgkmcnt(0)
	s_add_u32 s6, s6, s8
	s_addc_u32 s7, s7, s9
	s_abs_i32 s3, s36
	v_cvt_f32_u32_e32 v1, s3
	s_sub_i32 s11, 0, s3
	s_abs_i32 s9, s5
	s_xor_b32 s8, s5, s36
	v_rcp_iflag_f32_e32 v1, v1
	s_ashr_i32 s8, s8, 31
	s_mov_b32 s53, 0
	v_mul_f32_e32 v1, 0x4f7ffffe, v1
	v_cvt_u32_f32_e32 v1, v1
	s_nop 0
	v_readfirstlane_b32 s12, v1
	s_mul_i32 s11, s11, s12
	s_mul_hi_u32 s11, s12, s11
	s_add_i32 s12, s12, s11
	s_mul_hi_u32 s11, s9, s12
	s_mul_i32 s12, s11, s3
	s_sub_i32 s9, s9, s12
	s_add_i32 s12, s11, 1
	s_sub_i32 s13, s9, s3
	s_cmp_ge_u32 s9, s3
	s_cselect_b32 s11, s12, s11
	s_cselect_b32 s9, s13, s9
	s_add_i32 s12, s11, 1
	s_cmp_ge_u32 s9, s3
	s_cselect_b32 s3, s12, s11
	s_xor_b32 s3, s3, s8
	s_sub_i32 s14, s3, s8
	s_abs_i32 s11, s14
	v_cvt_f32_u32_e32 v1, s11
	s_load_dwordx2 s[8:9], s[0:1], 0x40
	s_sub_i32 s3, 0, s11
	s_abs_i32 s12, s2
	v_rcp_iflag_f32_e32 v1, v1
	s_nop 0
	v_mul_f32_e32 v1, 0x4f7ffffe, v1
	v_cvt_u32_f32_e32 v1, v1
	s_nop 0
	v_readfirstlane_b32 s13, v1
	s_mul_i32 s3, s3, s13
	s_mul_hi_u32 s3, s13, s3
	s_add_i32 s13, s13, s3
	s_waitcnt lgkmcnt(0)
	s_cmp_eq_u64 s[8:9], 0
	s_mul_hi_u32 s13, s12, s13
	s_cbranch_scc1 .LBB205_2
; %bb.1:
	s_ashr_i32 s3, s2, 31
	s_lshl_b64 s[16:17], s[2:3], 2
	s_add_u32 s8, s8, s16
	s_addc_u32 s9, s9, s17
	s_load_dword s53, s[8:9], 0x0
.LBB205_2:
	s_load_dword s33, s[6:7], 0x0
	s_load_dwordx4 s[16:19], s[0:1], 0x48
	s_movk_i32 s3, 0x60
	s_ashr_i32 s8, s2, 31
	s_ashr_i32 s9, s14, 31
	v_and_b32_e32 v2, 1, v0
	s_mul_i32 s24, s2, 0xc0
	v_cmp_gt_u32_e32 vcc, s3, v0
	v_lshlrev_b32_e32 v82, 2, v0
	s_and_saveexec_b64 s[6:7], vcc
	s_cbranch_execz .LBB205_4
; %bb.3:
	s_load_dwordx2 s[14:15], s[0:1], 0x8
	s_waitcnt lgkmcnt(0)
	s_mul_i32 s20, s16, s10
	s_ashr_i32 s21, s20, 31
	s_lshl_b64 s[20:21], s[20:21], 2
	v_lshlrev_b32_e32 v1, 3, v0
	s_add_u32 s3, s14, s20
	s_addc_u32 s16, s15, s21
	s_ashr_i32 s25, s24, 31
	s_lshl_b64 s[14:15], s[24:25], 2
	s_add_u32 s14, s3, s14
	s_addc_u32 s15, s16, s15
	global_load_dwordx2 v[4:5], v1, s[14:15]
	v_and_b32_e32 v1, 0xff8, v82
	s_movk_i32 s3, 0x180
	v_mad_u32_u24 v1, v2, s3, v1
	s_waitcnt vmcnt(0)
	ds_write_b64 v1, v[4:5]
.LBB205_4:
	s_or_b64 exec, exec, s[6:7]
	s_mul_i32 s7, s13, s11
	s_sub_i32 s7, s12, s7
	s_xor_b32 s6, s8, s9
	s_add_i32 s8, s13, 1
	s_sub_i32 s9, s7, s11
	s_load_dwordx4 s[20:23], s[0:1], 0x68
	s_load_dword s3, s[0:1], 0x78
	s_cmp_ge_u32 s7, s11
	s_cselect_b32 s8, s8, s13
	s_cselect_b32 s7, s9, s7
	s_add_i32 s9, s8, 1
	s_cmp_ge_u32 s7, s11
	s_cselect_b32 s7, s9, s8
	s_waitcnt lgkmcnt(0)
	s_abs_i32 s25, s23
	v_cvt_f32_u32_e32 v1, s25
	s_xor_b32 s7, s7, s6
	s_sub_i32 s52, s7, s6
	s_sub_i32 s6, 0, s25
	v_rcp_iflag_f32_e32 v1, v1
	s_add_i32 s11, s33, -1
	s_abs_i32 s8, s11
	v_mul_f32_e32 v1, 0x4f7ffffe, v1
	v_cvt_u32_f32_e32 v1, v1
	s_barrier
	v_readfirstlane_b32 s50, v1
	s_mul_i32 s6, s6, s50
	s_mul_hi_u32 s6, s50, s6
	s_add_i32 s50, s50, s6
	s_cmp_lt_i32 s3, 0
	s_mul_hi_u32 s9, s8, s50
	s_cbranch_scc0 .LBB205_6
; %bb.5:
	s_mul_i32 s6, s20, s36
	s_add_i32 s6, s52, s6
	s_mul_i32 s6, s6, s3
	s_sub_i32 s36, 1, s6
	s_mov_b64 s[6:7], 0
	s_branch .LBB205_7
.LBB205_6:
	s_mov_b64 s[6:7], -1
                                        ; implicit-def: $sgpr36
.LBB205_7:
	s_load_dwordx2 s[28:29], s[0:1], 0x28
	s_ashr_i32 s16, s11, 31
	s_andn2_b64 vcc, exec, s[6:7]
	s_ashr_i32 s23, s23, 31
	s_cbranch_vccnz .LBB205_9
; %bb.8:
	s_mul_i32 s6, s5, s20
	s_add_i32 s2, s6, s2
	s_mul_i32 s2, s2, s3
	s_add_i32 s36, s2, 1
.LBB205_9:
	s_load_dword s2, s[0:1], 0x38
	s_load_dwordx2 s[26:27], s[0:1], 0x0
	s_load_dwordx2 s[34:35], s[0:1], 0x18
	s_load_dword s11, s[0:1], 0x88
	s_load_dwordx4 s[12:15], s[0:1], 0x58
	s_mul_i32 s3, s9, s25
	s_waitcnt lgkmcnt(0)
	s_mul_i32 s30, s2, s10
	s_sub_i32 s3, s8, s3
	s_ashr_i32 s31, s30, 31
	s_xor_b32 s2, s16, s23
	s_add_i32 s6, s9, 1
	s_sub_i32 s7, s3, s25
	s_cmp_ge_u32 s3, s25
	s_cselect_b32 s6, s6, s9
	s_cselect_b32 s3, s7, s3
	s_add_i32 s7, s6, 1
	s_cmp_ge_u32 s3, s25
	s_cselect_b32 s3, s7, s6
	s_xor_b32 s3, s3, s2
	s_sub_i32 s51, s3, s2
	s_add_i32 s2, s33, 31
	s_ashr_i32 s3, s2, 31
	s_lshr_b32 s3, s3, 27
	s_add_i32 s2, s2, s3
	s_ashr_i32 s20, s2, 5
	v_lshrrev_b32_e32 v30, 6, v0
	v_cmp_gt_i32_e64 s[6:7], s20, v30
	v_mov_b32_e32 v35, 0xff7fffff
	s_mul_i32 s52, s52, s18
	v_lshrrev_b32_e32 v1, 4, v0
	v_lshlrev_b32_e32 v31, 5, v30
	v_mbcnt_lo_u32_b32 v32, -1, 0
	s_mov_b64 s[18:19], exec
	s_and_b64 s[2:3], s[18:19], s[6:7]
	scratch_store_dword off, v0, off offset:52 ; 4-byte Folded Spill
	s_mov_b64 exec, s[2:3]
	s_cbranch_execz .LBB205_21
; %bb.10:
	s_load_dwordx2 s[0:1], s[0:1], 0x10
	s_sub_i32 s54, s51, s21
	s_ashr_i32 s2, s52, 31
	v_bfe_u32 v33, v0, 1, 5
	v_lshlrev_b32_e32 v14, 4, v33
	s_waitcnt lgkmcnt(0)
	s_add_u32 s0, s0, s52
	s_addc_u32 s1, s1, s2
	s_abs_i32 s56, s22
	v_cvt_f32_u32_e32 v3, s56
	v_mov_b32_e32 v15, 0
	v_cmp_eq_u32_e32 vcc, 0, v2
	v_lshl_add_u64 v[16:17], s[0:1], 0, v[14:15]
	v_lshlrev_b32_e32 v14, 1, v2
	v_mul_u32_u24_e32 v34, 0x180, v2
	v_rcp_iflag_f32_e32 v2, v3
	s_sub_i32 s0, 0, s56
	v_mbcnt_hi_u32_b32 v41, -1, v32
	s_mov_b32 s55, s17
	v_mul_f32_e32 v2, 0x4f7ffffe, v2
	v_cvt_u32_f32_e32 v2, v2
	v_cmp_neq_f32_e64 s[2:3], s53, 0
	v_or_b32_e32 v18, 4, v14
	v_mov_b32_e32 v19, v15
	v_mul_lo_u32 v3, s0, v2
	s_lshl_b64 s[0:1], s[30:31], 2
	v_mul_hi_u32 v3, v2, v3
	s_add_u32 s0, s28, s0
	v_add_u32_e32 v36, v2, v3
	v_and_b32_e32 v2, 60, v1
	v_mov_b32_e32 v3, v15
	s_addc_u32 s1, s29, s1
	v_lshl_add_u64 v[24:25], s[0:1], 0, v[2:3]
	v_subrev_u32_e32 v2, s33, v33
	v_add_u32_e32 v38, 1, v2
	v_lshlrev_b32_e32 v2, 2, v33
	v_lshl_or_b32 v2, v30, 7, v2
	v_add_u32_e32 v39, 0x310, v2
	v_and_b32_e32 v2, 64, v41
	v_or_b32_e32 v20, 8, v14
	v_mov_b32_e32 v21, v15
	v_or_b32_e32 v22, 12, v14
	v_mov_b32_e32 v23, v15
	v_lshlrev_b32_e32 v37, 5, v30
	v_mov_b32_e32 v40, 0xff7fffff
	s_mov_b64 s[38:39], 0
	s_mov_b64 s[40:41], 0x1000
	;; [unrolled: 1-line block ×5, first 2 shown]
	v_xor_b32_e32 v42, 1, v41
	v_add_u32_e32 v43, 64, v2
	v_mov_b32_e32 v35, 0xff7fffff
	v_mov_b32_e32 v44, v30
	s_branch .LBB205_13
.LBB205_11:                             ;   in Loop: Header=BB205_13 Depth=1
	s_or_b64 exec, exec, s[48:49]
.LBB205_12:                             ;   in Loop: Header=BB205_13 Depth=1
	s_or_b64 exec, exec, s[8:9]
	v_add_u32_e32 v44, 2, v44
	v_cmp_le_i32_e64 s[0:1], s20, v44
	v_lshl_add_u64 v[24:25], v[24:25], 0, 8
	v_add_u32_e32 v37, 64, v37
	s_or_b64 s[38:39], s[0:1], s[38:39]
	v_add_u32_e32 v39, 0x100, v39
	s_andn2_b64 exec, exec, s[38:39]
	s_cbranch_execz .LBB205_20
.LBB205_13:                             ; =>This Inner Loop Header: Depth=1
	v_mul_hi_u32 v2, v37, s50
	s_waitcnt lgkmcnt(0)
	v_mul_lo_u32 v3, v2, s25
	v_sub_u32_e32 v3, v37, v3
	v_add_u32_e32 v4, 1, v2
	v_cmp_le_u32_e64 s[0:1], s25, v3
	s_nop 1
	v_cndmask_b32_e64 v2, v2, v4, s[0:1]
	v_subrev_u32_e32 v4, s25, v3
	v_cndmask_b32_e64 v3, v3, v4, s[0:1]
	v_add_u32_e32 v4, 1, v2
	v_cmp_le_u32_e64 s[0:1], s25, v3
	s_nop 1
	v_cndmask_b32_e64 v2, v2, v4, s[0:1]
	v_xor_b32_e32 v2, s23, v2
	v_subrev_u32_e32 v2, s23, v2
	v_add_u32_e32 v3, s36, v2
	v_sub_u32_e32 v5, 0, v3
	v_ashrrev_i32_e32 v4, 31, v3
	v_max_i32_e32 v3, v3, v5
	v_mul_hi_u32 v5, v3, v36
	v_mul_lo_u32 v5, v5, s56
	v_sub_u32_e32 v3, v3, v5
	v_subrev_u32_e32 v5, s56, v3
	v_cmp_le_u32_e64 s[0:1], s56, v3
	v_cmp_ge_i32_e64 s[8:9], s54, v2
	s_nop 0
	v_cndmask_b32_e64 v3, v3, v5, s[0:1]
	v_subrev_u32_e32 v5, s56, v3
	v_cmp_le_u32_e64 s[0:1], s56, v3
	s_nop 1
	v_cndmask_b32_e64 v3, v3, v5, s[0:1]
	v_xor_b32_e32 v3, v3, v4
	v_sub_u32_e32 v3, v3, v4
	v_cmp_ne_u32_e64 s[0:1], 0, v3
	s_and_b64 s[0:1], s[0:1], s[8:9]
	s_and_saveexec_b64 s[8:9], s[0:1]
	s_xor_b64 s[0:1], exec, s[8:9]
	s_cbranch_execz .LBB205_17
; %bb.14:                               ;   in Loop: Header=BB205_13 Depth=1
	s_and_saveexec_b64 s[8:9], vcc
; %bb.15:                               ;   in Loop: Header=BB205_13 Depth=1
	ds_write_b32 v39, v40
; %bb.16:                               ;   in Loop: Header=BB205_13 Depth=1
	s_or_b64 exec, exec, s[8:9]
.LBB205_17:                             ;   in Loop: Header=BB205_13 Depth=1
	s_andn2_saveexec_b64 s[8:9], s[0:1]
	s_cbranch_execz .LBB205_12
; %bb.18:                               ;   in Loop: Header=BB205_13 Depth=1
	global_load_dword v2, v[24:25], off
	s_waitcnt vmcnt(0)
	v_mad_i64_i32 v[28:29], s[0:1], v2, s55, v[16:17]
	v_lshl_add_u64 v[26:27], v[28:29], 0, v[14:15]
	global_load_ushort v2, v[26:27], off
	global_load_ushort v3, v[26:27], off offset:4
	global_load_ushort v55, v[26:27], off offset:8
	;; [unrolled: 1-line block ×13, first 2 shown]
	ds_read_b128 v[56:59], v34
	ds_read_b128 v[10:13], v34 offset:16
	global_load_ushort v53, v[26:27], off offset:1544
	s_load_dword s16, s[12:13], 0x0
	v_cmp_lt_i32_e64 s[0:1], v42, v43
	s_waitcnt vmcnt(14)
	v_cvt_pk_f32_fp8_e32 v[60:61], v2
	s_waitcnt vmcnt(13)
	v_cvt_pk_f32_fp8_e32 v[62:63], v3
	ds_read_b128 v[6:9], v34 offset:32
	ds_read_b128 v[2:5], v34 offset:48
	global_load_ushort v76, v[26:27], off offset:1548
	s_waitcnt vmcnt(13)
	v_cvt_pk_f32_fp8_e32 v[64:65], v55
	s_waitcnt lgkmcnt(0)
	v_pk_mul_f32 v[62:63], s[16:17], v[62:63] op_sel_hi:[0,1]
	s_waitcnt vmcnt(12)
	v_cvt_pk_f32_fp8_e32 v[66:67], v66
	v_pk_mul_f32 v[60:61], v[60:61], s[16:17] op_sel_hi:[1,0]
	v_mul_f32_e32 v45, v58, v62
	v_mul_f32_e32 v46, v59, v63
	s_waitcnt vmcnt(11)
	v_cvt_pk_f32_fp8_e32 v[68:69], v68
	v_fmac_f32_e32 v45, v56, v60
	v_fmac_f32_e32 v46, v57, v61
	s_waitcnt vmcnt(10)
	v_cvt_pk_f32_fp8_e32 v[72:73], v70
	v_pk_mul_f32 v[64:65], s[16:17], v[64:65] op_sel_hi:[0,1]
	v_fmac_f32_e32 v45, v10, v64
	v_fmac_f32_e32 v46, v11, v65
	s_waitcnt vmcnt(9)
	v_cvt_pk_f32_fp8_e32 v[64:65], v71
	v_pk_mul_f32 v[10:11], s[16:17], v[66:67] op_sel_hi:[0,1]
	s_waitcnt vmcnt(8)
	v_cvt_pk_f32_fp8_e32 v[54:55], v54
	v_pk_mul_f32 v[66:67], s[16:17], v[68:69] op_sel_hi:[0,1]
	v_fmac_f32_e32 v45, v12, v10
	v_fmac_f32_e32 v46, v13, v11
	;; [unrolled: 1-line block ×4, first 2 shown]
	v_pk_mul_f32 v[6:7], s[16:17], v[72:73] op_sel_hi:[0,1]
	v_pk_mul_f32 v[64:65], s[16:17], v[64:65] op_sel_hi:[0,1]
	v_fmac_f32_e32 v45, v8, v6
	v_fmac_f32_e32 v46, v9, v7
	;; [unrolled: 1-line block ×4, first 2 shown]
	v_pk_mul_f32 v[2:3], s[16:17], v[54:55] op_sel_hi:[0,1]
	v_fmac_f32_e32 v45, v4, v2
	v_fmac_f32_e32 v46, v5, v3
	s_waitcnt vmcnt(7)
	v_cvt_pk_f32_fp8_e32 v[4:5], v52
	ds_read_b128 v[56:59], v34 offset:64
	ds_read_b128 v[60:63], v34 offset:80
	s_waitcnt vmcnt(6)
	v_cvt_pk_f32_fp8_e32 v[54:55], v51
	ds_read_b128 v[10:13], v34 offset:96
	ds_read_b128 v[68:71], v34 offset:112
	;; [unrolled: 1-line block ×4, first 2 shown]
	global_load_ushort v67, v[26:27], off offset:2048
	global_load_ushort v77, v[26:27], off offset:2052
	v_pk_mul_f32 v[4:5], s[16:17], v[4:5] op_sel_hi:[0,1]
	s_waitcnt lgkmcnt(5)
	v_fmac_f32_e32 v45, v56, v4
	v_fmac_f32_e32 v46, v57, v5
	v_pk_mul_f32 v[4:5], s[16:17], v[54:55] op_sel_hi:[0,1]
	v_fmac_f32_e32 v45, v58, v4
	v_fmac_f32_e32 v46, v59, v5
	s_waitcnt vmcnt(7)
	v_cvt_pk_f32_fp8_e32 v[4:5], v50
	s_waitcnt vmcnt(6)
	v_cvt_pk_f32_fp8_e32 v[54:55], v49
	global_load_ushort v78, v[26:27], off offset:2056
	global_load_ushort v79, v[26:27], off offset:2060
	global_load_ushort v80, v[26:27], off offset:2560
	global_load_ushort v81, v[26:27], off offset:2564
	v_pk_mul_f32 v[4:5], s[16:17], v[4:5] op_sel_hi:[0,1]
	s_waitcnt lgkmcnt(4)
	v_fmac_f32_e32 v45, v60, v4
	v_fmac_f32_e32 v46, v61, v5
	v_pk_mul_f32 v[54:55], s[16:17], v[54:55] op_sel_hi:[0,1]
	v_fmac_f32_e32 v45, v62, v54
	v_fmac_f32_e32 v46, v63, v55
	s_waitcnt vmcnt(9)
	v_cvt_pk_f32_fp8_e32 v[54:55], v47
	s_waitcnt vmcnt(8)
	v_cvt_pk_f32_fp8_e32 v[48:49], v48
	global_load_ushort v66, v[26:27], off offset:2568
	global_load_ushort v60, v[26:27], off offset:2572
	v_lshl_add_u64 v[2:3], v[28:29], 0, s[40:41]
	v_pk_mul_f32 v[54:55], s[16:17], v[54:55] op_sel_hi:[0,1]
	v_pk_mul_f32 v[48:49], s[16:17], v[48:49] op_sel_hi:[0,1]
	s_waitcnt lgkmcnt(3)
	v_fmac_f32_e32 v45, v10, v54
	v_fmac_f32_e32 v46, v11, v55
	;; [unrolled: 1-line block ×4, first 2 shown]
	s_waitcnt vmcnt(9)
	v_cvt_pk_f32_fp8_e32 v[12:13], v53
	v_lshl_add_u64 v[50:51], v[28:29], 0, s[42:43]
	v_lshl_add_u64 v[4:5], v[28:29], 0, s[44:45]
	;; [unrolled: 1-line block ×3, first 2 shown]
	v_pk_mul_f32 v[12:13], s[16:17], v[12:13] op_sel_hi:[0,1]
	global_load_ushort v61, v[26:27], off offset:3072
	global_load_ushort v62, v[26:27], off offset:3076
	global_load_ushort v63, v[26:27], off offset:3080
	global_load_ushort v64, v[26:27], off offset:3084
	global_load_ushort v65, v[26:27], off offset:3584
	global_load_ushort v59, v[26:27], off offset:3588
	global_load_ushort v57, v[26:27], off offset:3592
	global_load_ushort v54, v[26:27], off offset:3596
	v_lshl_add_u64 v[26:27], v[2:3], 0, v[14:15]
	s_waitcnt lgkmcnt(2)
	v_fmac_f32_e32 v45, v68, v12
	v_fmac_f32_e32 v46, v69, v13
	v_lshl_add_u64 v[12:13], v[2:3], 0, v[18:19]
	global_load_ushort v58, v[26:27], off
	global_load_ushort v56, v[12:13], off
	v_lshl_add_u64 v[26:27], v[50:51], 0, v[14:15]
	v_lshl_add_u64 v[48:49], v[50:51], 0, v[18:19]
	;; [unrolled: 1-line block ×3, first 2 shown]
	s_waitcnt vmcnt(18)
	v_cvt_pk_f32_fp8_e32 v[28:29], v76
	v_lshl_add_u64 v[68:69], v[50:51], 0, v[22:23]
	v_pk_mul_f32 v[28:29], s[16:17], v[28:29] op_sel_hi:[0,1]
	v_fmac_f32_e32 v45, v70, v28
	v_fmac_f32_e32 v46, v71, v29
	v_lshl_add_u64 v[28:29], v[2:3], 0, v[20:21]
	v_lshl_add_u64 v[2:3], v[2:3], 0, v[22:23]
	global_load_ushort v55, v[28:29], off
	global_load_ushort v51, v[2:3], off
	v_lshl_add_u64 v[2:3], v[4:5], 0, v[14:15]
	global_load_ushort v52, v[26:27], off
	global_load_ushort v53, v[48:49], off
	;; [unrolled: 3-line block ×3, first 2 shown]
	global_load_ushort v49, v[2:3], off
	global_load_ushort v47, v[26:27], off
	v_lshl_add_u64 v[12:13], v[4:5], 0, v[20:21]
	v_lshl_add_u64 v[4:5], v[4:5], 0, v[22:23]
	global_load_ushort v29, v[12:13], off
	s_nop 0
	global_load_ushort v13, v[4:5], off
	v_lshl_add_u64 v[2:3], v[10:11], 0, v[14:15]
	v_lshl_add_u64 v[4:5], v[10:11], 0, v[18:19]
	global_load_ushort v27, v[2:3], off
	global_load_ushort v28, v[4:5], off
	v_lshl_add_u64 v[2:3], v[10:11], 0, v[20:21]
	global_load_ushort v12, v[2:3], off
	v_lshl_add_u64 v[4:5], v[10:11], 0, v[22:23]
	global_load_ushort v26, v[4:5], off
	s_waitcnt vmcnt(31)
	v_cvt_pk_f32_fp8_e32 v[2:3], v67
	s_waitcnt vmcnt(30)
	v_cvt_pk_f32_fp8_e32 v[4:5], v77
	v_pk_mul_f32 v[2:3], s[16:17], v[2:3] op_sel_hi:[0,1]
	s_waitcnt lgkmcnt(1)
	v_fmac_f32_e32 v45, v6, v2
	v_fmac_f32_e32 v46, v7, v3
	v_pk_mul_f32 v[4:5], s[16:17], v[4:5] op_sel_hi:[0,1]
	v_fmac_f32_e32 v45, v8, v4
	s_waitcnt vmcnt(29)
	v_cvt_pk_f32_fp8_e32 v[2:3], v78
	s_waitcnt vmcnt(28)
	v_cvt_pk_f32_fp8_e32 v[6:7], v79
	v_fmac_f32_e32 v46, v9, v5
	s_waitcnt vmcnt(27)
	v_cvt_pk_f32_fp8_e32 v[10:11], v80
	v_pk_mul_f32 v[2:3], s[16:17], v[2:3] op_sel_hi:[0,1]
	v_pk_mul_f32 v[4:5], s[16:17], v[6:7] op_sel_hi:[0,1]
	s_waitcnt lgkmcnt(0)
	v_fmac_f32_e32 v45, v72, v2
	v_fmac_f32_e32 v46, v73, v3
	s_waitcnt vmcnt(26)
	v_cvt_pk_f32_fp8_e32 v[72:73], v81
	v_fmac_f32_e32 v45, v74, v4
	v_fmac_f32_e32 v46, v75, v5
	ds_read_b128 v[68:71], v34 offset:160
	ds_read_b128 v[6:9], v34 offset:176
	;; [unrolled: 1-line block ×3, first 2 shown]
	v_pk_mul_f32 v[10:11], s[16:17], v[10:11] op_sel_hi:[0,1]
	s_waitcnt vmcnt(25)
	v_cvt_pk_f32_fp8_e32 v[66:67], v66
	s_waitcnt lgkmcnt(2)
	v_fmac_f32_e32 v45, v68, v10
	v_fmac_f32_e32 v46, v69, v11
	v_pk_mul_f32 v[68:69], s[16:17], v[72:73] op_sel_hi:[0,1]
	v_fmac_f32_e32 v45, v70, v68
	v_fmac_f32_e32 v46, v71, v69
	s_waitcnt vmcnt(24)
	v_cvt_pk_f32_fp8_e32 v[68:69], v60
	v_pk_mul_f32 v[66:67], s[16:17], v[66:67] op_sel_hi:[0,1]
	s_waitcnt vmcnt(23)
	v_cvt_pk_f32_fp8_e32 v[60:61], v61
	s_waitcnt lgkmcnt(1)
	v_fmac_f32_e32 v45, v6, v66
	v_fmac_f32_e32 v46, v7, v67
	v_pk_mul_f32 v[66:67], s[16:17], v[68:69] op_sel_hi:[0,1]
	s_waitcnt vmcnt(22)
	v_cvt_pk_f32_fp8_e32 v[70:71], v62
	v_pk_mul_f32 v[60:61], s[16:17], v[60:61] op_sel_hi:[0,1]
	v_fmac_f32_e32 v45, v8, v66
	v_fmac_f32_e32 v46, v9, v67
	s_waitcnt vmcnt(16)
	v_cvt_pk_f32_fp8_e32 v[66:67], v54
	s_waitcnt lgkmcnt(0)
	v_fmac_f32_e32 v45, v2, v60
	v_fmac_f32_e32 v46, v3, v61
	s_waitcnt vmcnt(14)
	v_cvt_pk_f32_fp8_e32 v[2:3], v56
	v_cvt_pk_f32_fp8_e32 v[72:73], v64
	;; [unrolled: 1-line block ×3, first 2 shown]
	v_pk_mul_f32 v[68:69], s[16:17], v[70:71] op_sel_hi:[0,1]
	v_cvt_pk_f32_fp8_e32 v[74:75], v57
	v_pk_mul_f32 v[60:61], s[16:17], v[66:67] op_sel_hi:[0,1]
	v_pk_mul_f32 v[66:67], s[16:17], v[2:3] op_sel_hi:[0,1]
	v_fmac_f32_e32 v45, v68, v4
	v_fmac_f32_e32 v46, v69, v5
	v_cvt_pk_f32_fp8_e32 v[62:63], v63
	v_pk_mul_f32 v[70:71], s[16:17], v[72:73] op_sel_hi:[0,1]
	v_pk_mul_f32 v[72:73], s[16:17], v[6:7] op_sel_hi:[0,1]
	s_waitcnt vmcnt(13)
	v_cvt_pk_f32_fp8_e32 v[2:3], v55
	s_waitcnt vmcnt(12)
	v_cvt_pk_f32_fp8_e32 v[4:5], v51
	ds_read_b128 v[6:9], v34 offset:208
	v_cvt_pk_f32_fp8_e32 v[64:65], v65
	v_pk_mul_f32 v[56:57], s[16:17], v[74:75] op_sel_hi:[0,1]
	v_pk_mul_f32 v[68:69], s[16:17], v[2:3] op_sel_hi:[0,1]
	;; [unrolled: 1-line block ×3, first 2 shown]
	ds_read_b128 v[2:5], v34 offset:224
	v_pk_mul_f32 v[62:63], s[16:17], v[62:63] op_sel_hi:[0,1]
	s_waitcnt lgkmcnt(1)
	v_fmac_f32_e32 v45, v62, v6
	v_fmac_f32_e32 v46, v63, v7
	v_pk_mul_f32 v[64:65], s[16:17], v[64:65] op_sel_hi:[0,1]
	v_fmac_f32_e32 v45, v70, v8
	v_fmac_f32_e32 v46, v71, v9
	s_waitcnt lgkmcnt(0)
	v_fmac_f32_e32 v45, v64, v2
	v_fmac_f32_e32 v46, v65, v3
	s_waitcnt vmcnt(6)
	v_cvt_pk_f32_fp8_e32 v[2:3], v47
	ds_read_b128 v[6:9], v34 offset:240
	v_fmac_f32_e32 v45, v72, v4
	v_fmac_f32_e32 v46, v73, v5
	v_pk_mul_f32 v[64:65], s[16:17], v[2:3] op_sel_hi:[0,1]
	s_waitcnt vmcnt(5)
	v_cvt_pk_f32_fp8_e32 v[2:3], v29
	s_waitcnt vmcnt(4)
	v_cvt_pk_f32_fp8_e32 v[4:5], v13
	v_cvt_pk_f32_fp8_e32 v[58:59], v58
	;; [unrolled: 1-line block ×3, first 2 shown]
	v_pk_mul_f32 v[72:73], s[16:17], v[2:3] op_sel_hi:[0,1]
	v_pk_mul_f32 v[76:77], s[16:17], v[4:5] op_sel_hi:[0,1]
	ds_read_b128 v[2:5], v34 offset:256
	s_waitcnt lgkmcnt(1)
	v_fmac_f32_e32 v45, v56, v6
	v_fmac_f32_e32 v46, v57, v7
	;; [unrolled: 1-line block ×4, first 2 shown]
	ds_read_b128 v[6:9], v34 offset:272
	v_pk_mul_f32 v[58:59], s[16:17], v[58:59] op_sel_hi:[0,1]
	s_waitcnt lgkmcnt(1)
	v_fmac_f32_e32 v45, v58, v2
	v_fmac_f32_e32 v46, v59, v3
	;; [unrolled: 1-line block ×4, first 2 shown]
	ds_read_b128 v[2:5], v34 offset:288
	v_cvt_pk_f32_fp8_e32 v[52:53], v53
	s_waitcnt lgkmcnt(1)
	v_fmac_f32_e32 v45, v68, v6
	v_fmac_f32_e32 v46, v69, v7
	v_cvt_pk_f32_fp8_e32 v[50:51], v50
	v_fmac_f32_e32 v45, v74, v8
	v_fmac_f32_e32 v46, v75, v9
	ds_read_b128 v[6:9], v34 offset:304
	v_cvt_pk_f32_fp8_e32 v[62:63], v48
	v_pk_mul_f32 v[54:55], s[16:17], v[54:55] op_sel_hi:[0,1]
	v_pk_mul_f32 v[52:53], s[16:17], v[52:53] op_sel_hi:[0,1]
	s_waitcnt lgkmcnt(1)
	v_fmac_f32_e32 v45, v54, v2
	v_fmac_f32_e32 v46, v55, v3
	v_cvt_pk_f32_fp8_e32 v[48:49], v49
	v_pk_mul_f32 v[50:51], s[16:17], v[50:51] op_sel_hi:[0,1]
	v_fmac_f32_e32 v45, v52, v4
	v_fmac_f32_e32 v46, v53, v5
	ds_read_b128 v[2:5], v34 offset:320
	v_pk_mul_f32 v[62:63], s[16:17], v[62:63] op_sel_hi:[0,1]
	s_waitcnt lgkmcnt(1)
	v_fmac_f32_e32 v45, v50, v6
	v_fmac_f32_e32 v46, v51, v7
	;; [unrolled: 1-line block ×4, first 2 shown]
	ds_read_b128 v[6:9], v34 offset:336
	v_pk_mul_f32 v[48:49], s[16:17], v[48:49] op_sel_hi:[0,1]
	s_waitcnt lgkmcnt(1)
	v_fmac_f32_e32 v45, v48, v2
	v_fmac_f32_e32 v46, v49, v3
	s_waitcnt vmcnt(3)
	v_cvt_pk_f32_fp8_e32 v[70:71], v27
	v_fmac_f32_e32 v45, v64, v4
	v_fmac_f32_e32 v46, v65, v5
	ds_read_b128 v[2:5], v34 offset:352
	s_waitcnt vmcnt(2)
	v_cvt_pk_f32_fp8_e32 v[28:29], v28
	s_waitcnt lgkmcnt(1)
	v_fmac_f32_e32 v45, v72, v6
	v_fmac_f32_e32 v46, v73, v7
	s_waitcnt vmcnt(1)
	v_cvt_pk_f32_fp8_e32 v[12:13], v12
	v_fmac_f32_e32 v45, v76, v8
	v_fmac_f32_e32 v46, v77, v9
	ds_read_b128 v[6:9], v34 offset:368
	s_waitcnt vmcnt(0)
	v_cvt_pk_f32_fp8_e32 v[26:27], v26
	v_pk_mul_f32 v[70:71], s[16:17], v[70:71] op_sel_hi:[0,1]
	v_pk_mul_f32 v[28:29], s[16:17], v[28:29] op_sel_hi:[0,1]
	s_waitcnt lgkmcnt(1)
	v_fmac_f32_e32 v45, v70, v2
	v_fmac_f32_e32 v46, v71, v3
	v_pk_mul_f32 v[12:13], s[16:17], v[12:13] op_sel_hi:[0,1]
	v_fmac_f32_e32 v45, v28, v4
	v_fmac_f32_e32 v46, v29, v5
	v_pk_mul_f32 v[26:27], s[16:17], v[26:27] op_sel_hi:[0,1]
	s_waitcnt lgkmcnt(0)
	v_fmac_f32_e32 v45, v12, v6
	v_fmac_f32_e32 v46, v13, v7
	v_cndmask_b32_e64 v10, v41, v42, s[0:1]
	v_fmac_f32_e32 v45, v26, v8
	v_fmac_f32_e32 v46, v27, v9
	v_lshlrev_b32_e32 v10, 2, v10
	v_add_f32_e32 v2, v45, v46
	ds_bpermute_b32 v3, v10, v2
	s_and_saveexec_b64 s[48:49], vcc
	s_cbranch_execz .LBB205_11
; %bb.19:                               ;   in Loop: Header=BB205_13 Depth=1
	v_add_u32_e32 v4, v38, v37
	v_cvt_f32_i32_e32 v4, v4
	s_waitcnt lgkmcnt(0)
	v_add_f32_e32 v2, v2, v3
	v_add_u32_e32 v5, v33, v37
	v_cmp_gt_i32_e64 s[0:1], s33, v5
	v_mul_f32_e32 v3, s53, v4
	v_cndmask_b32_e64 v3, 0, v3, s[2:3]
	v_fmac_f32_e32 v3, s37, v2
	v_cndmask_b32_e64 v2, 0, v3, s[0:1]
	ds_write_b32 v39, v2
	v_max_f32_e32 v2, v35, v35
	v_max_f32_e32 v2, v2, v3
	v_cndmask_b32_e64 v35, v35, v2, s[0:1]
	s_branch .LBB205_11
.LBB205_20:
	s_or_b64 exec, exec, s[38:39]
	scratch_load_dword v0, off, off offset:52 ; 4-byte Folded Reload
.LBB205_21:
	s_or_b64 exec, exec, s[18:19]
	v_mbcnt_hi_u32_b32 v2, -1, v32
	v_and_b32_e32 v8, 64, v2
	v_add_u32_e32 v9, 64, v8
	s_waitcnt lgkmcnt(0)
	v_xor_b32_e32 v3, 32, v2
	v_cmp_lt_i32_e32 vcc, v3, v9
	v_xor_b32_e32 v6, 16, v2
	v_max_f32_e32 v5, v35, v35
	v_cndmask_b32_e32 v3, v2, v3, vcc
	v_lshlrev_b32_e32 v3, 2, v3
	ds_bpermute_b32 v4, v3, v35
	v_cmp_lt_i32_e32 vcc, v6, v9
	v_xor_b32_e32 v7, 8, v2
	v_xor_b32_e32 v10, 4, v2
	s_waitcnt vmcnt(0)
	v_and_b32_e32 v16, 63, v0
	s_waitcnt lgkmcnt(0)
	v_max_f32_e32 v4, v4, v4
	v_max_f32_e32 v5, v5, v4
	v_cndmask_b32_e32 v4, v2, v6, vcc
	v_lshlrev_b32_e32 v4, 2, v4
	ds_bpermute_b32 v6, v4, v5
	v_cmp_lt_i32_e32 vcc, v7, v9
	s_waitcnt lgkmcnt(0)
	v_max_f32_e32 v6, v6, v6
	v_max_f32_e32 v6, v5, v6
	v_cndmask_b32_e32 v5, v2, v7, vcc
	v_lshlrev_b32_e32 v5, 2, v5
	ds_bpermute_b32 v7, v5, v6
	v_cmp_lt_i32_e32 vcc, v10, v9
	s_waitcnt lgkmcnt(0)
	v_max_f32_e32 v7, v7, v7
	v_max_f32_e32 v6, v6, v7
	v_cndmask_b32_e32 v7, v2, v10, vcc
	v_lshlrev_b32_e32 v34, 2, v7
	ds_bpermute_b32 v7, v34, v6
	v_xor_b32_e32 v10, 2, v2
	v_cmp_lt_i32_e32 vcc, v10, v9
	s_waitcnt lgkmcnt(0)
	v_max_f32_e32 v7, v7, v7
	v_max_f32_e32 v7, v6, v7
	v_cndmask_b32_e32 v6, v2, v10, vcc
	v_lshlrev_b32_e32 v35, 2, v6
	ds_bpermute_b32 v10, v35, v7
	v_cmp_eq_u32_e32 vcc, 0, v16
	v_lshlrev_b32_e32 v6, 2, v30
	s_and_saveexec_b64 s[0:1], vcc
	s_cbranch_execz .LBB205_23
; %bb.22:
	s_waitcnt lgkmcnt(0)
	v_max_f32_e32 v10, v10, v10
	v_max_f32_e32 v7, v7, v7
	;; [unrolled: 1-line block ×3, first 2 shown]
	ds_write_b32 v6, v7 offset:768
.LBB205_23:
	s_or_b64 exec, exec, s[0:1]
	v_cmp_gt_u32_e64 s[0:1], 2, v16
	s_waitcnt lgkmcnt(0)
	v_mov_b32_e32 v10, 0xff7fffff
	v_lshlrev_b32_e32 v7, 2, v16
	s_barrier
	s_and_saveexec_b64 s[2:3], s[0:1]
; %bb.24:
	ds_read_b32 v10, v7 offset:768
; %bb.25:
	s_or_b64 exec, exec, s[2:3]
	v_xor_b32_e32 v11, 1, v2
	v_cmp_lt_i32_e64 s[2:3], v11, v9
	v_lshlrev_b32_e32 v8, 2, v8
	s_nop 0
	v_cndmask_b32_e64 v9, v2, v11, s[2:3]
	v_lshlrev_b32_e32 v9, 2, v9
	scratch_store_dword off, v9, off offset:48 ; 4-byte Folded Spill
	s_waitcnt lgkmcnt(0)
	ds_bpermute_b32 v9, v9, v10
	v_max_f32_e32 v10, v10, v10
	s_lshl_b32 s2, s20, 5
	s_min_i32 s16, s2, s33
	v_cmp_gt_i32_e64 s[2:3], s16, v0
	s_waitcnt lgkmcnt(0)
	v_max_f32_e32 v9, v9, v9
	v_max_f32_e32 v9, v10, v9
	ds_bpermute_b32 v9, v8, v9
	v_mov_b32_e32 v8, 0
	s_and_saveexec_b64 s[12:13], s[2:3]
	s_cbranch_execz .LBB205_29
; %bb.26:
	v_mov_b32_e32 v8, 0x310
	v_lshl_add_u32 v10, v0, 2, v8
	v_mov_b32_e32 v8, 0
	s_mov_b64 s[18:19], 0
	v_mov_b32_e32 v11, v0
.LBB205_27:                             ; =>This Inner Loop Header: Depth=1
	ds_read_b32 v12, v10
	v_add_u32_e32 v11, 0x80, v11
	v_cmp_le_i32_e64 s[8:9], s16, v11
	s_or_b64 s[18:19], s[8:9], s[18:19]
	s_waitcnt lgkmcnt(0)
	v_sub_f32_e32 v12, v12, v9
	v_mul_f32_e32 v12, 0x3fb8aa3b, v12
	v_exp_f32_e32 v12, v12
	ds_write_b32 v10, v12
	v_add_f32_e32 v8, v8, v12
	v_add_u32_e32 v10, 0x200, v10
	s_andn2_b64 exec, exec, s[18:19]
	s_cbranch_execnz .LBB205_27
; %bb.28:
	s_or_b64 exec, exec, s[18:19]
.LBB205_29:
	s_or_b64 exec, exec, s[12:13]
	ds_bpermute_b32 v3, v3, v8
	s_waitcnt lgkmcnt(0)
	v_add_f32_e32 v3, v8, v3
	ds_bpermute_b32 v4, v4, v3
	s_waitcnt lgkmcnt(0)
	v_add_f32_e32 v3, v3, v4
	;; [unrolled: 3-line block ×5, first 2 shown]
	scratch_load_dword v4, off, off offset:48 ; 4-byte Folded Reload
	s_waitcnt vmcnt(0)
	ds_bpermute_b32 v4, v4, v3
	s_waitcnt lgkmcnt(0)
	v_add_f32_e32 v3, v3, v4
	s_and_saveexec_b64 s[8:9], vcc
; %bb.30:
	ds_write_b32 v6, v3 offset:776
; %bb.31:
	s_or_b64 exec, exec, s[8:9]
	s_waitcnt lgkmcnt(0)
	s_barrier
	s_and_saveexec_b64 s[8:9], s[0:1]
; %bb.32:
	ds_read_b32 v3, v7 offset:776
; %bb.33:
	s_or_b64 exec, exec, s[8:9]
	scratch_load_dword v4, off, off offset:48 ; 4-byte Folded Reload
	v_lshlrev_b32_e32 v2, 2, v2
	v_and_b32_e32 v2, 0x100, v2
	s_waitcnt vmcnt(0) lgkmcnt(0)
	ds_bpermute_b32 v4, v4, v3
	s_waitcnt lgkmcnt(0)
	v_add_f32_e32 v3, v3, v4
	ds_bpermute_b32 v2, v2, v3
	s_and_saveexec_b64 s[0:1], s[2:3]
	s_cbranch_execz .LBB205_46
; %bb.34:
	s_waitcnt lgkmcnt(0)
	v_add_f32_e32 v2, 0x358637bd, v2
	v_div_scale_f32 v3, s[2:3], v2, v2, 1.0
	v_rcp_f32_e32 v4, v3
	v_div_scale_f32 v5, vcc, 1.0, v2, 1.0
	s_movk_i32 s2, 0x7f
	v_fma_f32 v6, -v3, v4, 1.0
	v_fmac_f32_e32 v4, v6, v4
	v_mul_f32_e32 v6, v5, v4
	v_fma_f32 v7, -v3, v6, v5
	v_fmac_f32_e32 v6, v7, v4
	v_fma_f32 v3, -v3, v6, v5
	v_div_fmas_f32 v3, v3, v4, v6
	v_xad_u32 v4, v0, -1, s16
	v_div_fixup_f32 v2, v3, v2, 1.0
	v_cmp_lt_u32_e32 vcc, s2, v4
	s_mov_b64 s[8:9], -1
	v_mov_b32_e32 v3, v0
	s_and_saveexec_b64 s[2:3], vcc
	s_cbranch_execz .LBB205_43
; %bb.35:
	v_lshrrev_b32_e32 v4, 7, v4
	v_add_u32_e32 v6, -1, v4
	v_lshrrev_b32_e32 v5, 1, v6
	v_mov_b32_e32 v3, v2
	v_add_u32_e32 v5, 1, v5
	v_cmp_lt_u32_e32 vcc, 13, v6
	v_mov_b32_e32 v8, 0
	s_and_saveexec_b64 s[8:9], vcc
	s_cbranch_execz .LBB205_39
; %bb.36:
	v_mov_b32_e32 v7, 0x310
	v_and_b32_e32 v6, -8, v5
	v_lshl_add_u32 v7, v0, 2, v7
	s_mov_b32 s18, 0
	s_mov_b64 s[12:13], 0
.LBB205_37:                             ; =>This Inner Loop Header: Depth=1
	ds_read2st64_b32 v[8:9], v7 offset1:2
	ds_read2st64_b32 v[10:11], v7 offset0:4 offset1:6
	ds_read2st64_b32 v[12:13], v7 offset0:8 offset1:10
	;; [unrolled: 1-line block ×3, first 2 shown]
	v_add_u32_e32 v6, -8, v6
	s_waitcnt lgkmcnt(3)
	v_pk_mul_f32 v[8:9], v[2:3], v[8:9]
	s_waitcnt lgkmcnt(2)
	v_pk_mul_f32 v[10:11], v[2:3], v[10:11]
	ds_write2st64_b32 v7, v8, v9 offset1:2
	ds_write2st64_b32 v7, v10, v11 offset0:4 offset1:6
	ds_read2st64_b32 v[10:11], v7 offset0:16 offset1:18
	s_waitcnt lgkmcnt(4)
	v_pk_mul_f32 v[8:9], v[2:3], v[12:13]
	ds_write2st64_b32 v7, v8, v9 offset0:8 offset1:10
	s_waitcnt lgkmcnt(4)
	v_pk_mul_f32 v[8:9], v[2:3], v[14:15]
	ds_write2st64_b32 v7, v8, v9 offset0:12 offset1:14
	ds_read2st64_b32 v[8:9], v7 offset0:20 offset1:22
	s_waitcnt lgkmcnt(3)
	v_pk_mul_f32 v[10:11], v[2:3], v[10:11]
	ds_read2st64_b32 v[12:13], v7 offset0:24 offset1:26
	ds_write2st64_b32 v7, v10, v11 offset0:16 offset1:18
	ds_read2st64_b32 v[10:11], v7 offset0:28 offset1:30
	s_waitcnt lgkmcnt(3)
	v_pk_mul_f32 v[8:9], v[2:3], v[8:9]
	ds_write2st64_b32 v7, v8, v9 offset0:20 offset1:22
	s_waitcnt lgkmcnt(3)
	v_pk_mul_f32 v[8:9], v[2:3], v[12:13]
	ds_write2st64_b32 v7, v8, v9 offset0:24 offset1:26
	s_waitcnt lgkmcnt(2)
	v_pk_mul_f32 v[8:9], v[2:3], v[10:11]
	s_add_i32 s18, s18, 16
	v_cmp_eq_u32_e32 vcc, 0, v6
	ds_write2st64_b32 v7, v8, v9 offset0:28 offset1:30
	v_add_u32_e32 v7, 0x2000, v7
	s_or_b64 s[12:13], vcc, s[12:13]
	v_mov_b32_e32 v8, s18
	s_andn2_b64 exec, exec, s[12:13]
	s_cbranch_execnz .LBB205_37
; %bb.38:
	s_or_b64 exec, exec, s[12:13]
.LBB205_39:
	s_or_b64 exec, exec, s[8:9]
	v_and_b32_e32 v5, 7, v5
	v_cmp_ne_u32_e32 vcc, 0, v5
	s_and_saveexec_b64 s[8:9], vcc
	s_cbranch_execz .LBB205_42
; %bb.40:
	v_lshlrev_b32_e32 v6, 9, v8
	s_movk_i32 s12, 0x310
	v_add3_u32 v6, v6, v82, s12
	s_mov_b64 s[12:13], 0
.LBB205_41:                             ; =>This Inner Loop Header: Depth=1
	ds_read2st64_b32 v[8:9], v6 offset1:2
	v_add_u32_e32 v5, -1, v5
	v_cmp_eq_u32_e32 vcc, 0, v5
	s_or_b64 s[12:13], vcc, s[12:13]
	s_waitcnt lgkmcnt(0)
	v_pk_mul_f32 v[8:9], v[2:3], v[8:9]
	ds_write2st64_b32 v6, v8, v9 offset1:2
	v_add_u32_e32 v6, 0x400, v6
	s_andn2_b64 exec, exec, s[12:13]
	s_cbranch_execnz .LBB205_41
.LBB205_42:
	s_or_b64 exec, exec, s[8:9]
	v_add_u32_e32 v4, 1, v4
	v_and_b32_e32 v5, 0x3fffffe, v4
	v_cmp_ne_u32_e32 vcc, v4, v5
	v_lshl_add_u32 v3, v5, 7, v0
	s_orn2_b64 s[8:9], vcc, exec
.LBB205_43:
	s_or_b64 exec, exec, s[2:3]
	s_and_b64 exec, exec, s[8:9]
	s_cbranch_execz .LBB205_46
; %bb.44:
	v_mov_b32_e32 v4, 0x310
	v_lshl_add_u32 v4, v3, 2, v4
	s_mov_b64 s[2:3], 0
.LBB205_45:                             ; =>This Inner Loop Header: Depth=1
	ds_read_b32 v5, v4
	v_add_u32_e32 v3, 0x80, v3
	v_cmp_le_i32_e32 vcc, s16, v3
	s_or_b64 s[2:3], vcc, s[2:3]
	s_waitcnt lgkmcnt(0)
	v_mul_f32_e32 v5, v2, v5
	ds_write_b32 v4, v5
	v_add_u32_e32 v4, 0x200, v4
	s_andn2_b64 exec, exec, s[2:3]
	s_cbranch_execnz .LBB205_45
.LBB205_46:
	s_or_b64 exec, exec, s[0:1]
	scratch_store_dword off, v16, off offset:56 ; 4-byte Folded Spill
	v_mov_b32_e32 v9, 0
	v_and_b32_e32 v0, 7, v0
	v_mov_b32_e32 v8, 0
	v_mov_b32_e32 v11, 0
	;; [unrolled: 1-line block ×23, first 2 shown]
	s_waitcnt lgkmcnt(0)
	s_barrier
	scratch_store_dword off, v0, off offset:60 ; 4-byte Folded Spill
	s_and_saveexec_b64 s[2:3], s[6:7]
	s_cbranch_execz .LBB205_100
; %bb.47:
	s_sub_i32 s21, s51, s21
	s_ashr_i32 s0, s52, 31
	s_add_u32 s6, s34, s52
	s_addc_u32 s7, s35, s0
	s_abs_i32 s22, s22
	v_cvt_f32_u32_e32 v2, s22
	v_and_b32_e32 v0, 28, v82
	scratch_store_dword off, v35, off offset:68 ; 4-byte Folded Spill
	scratch_store_dword off, v34, off offset:64 ; 4-byte Folded Spill
	;; [unrolled: 1-line block ×3, first 2 shown]
	v_rcp_iflag_f32_e32 v2, v2
	s_sub_i32 s0, 0, s22
	s_add_i32 s35, s20, -1
	v_mov_b32_e32 v5, 0
	v_mul_f32_e32 v0, 0x4f7ffffe, v2
	v_cvt_u32_f32_e32 v0, v0
	v_or_b32_e32 v6, 0xf00, v82
	v_mov_b32_e32 v7, v5
	s_mov_b32 s34, s17
	v_mul_lo_u32 v2, s0, v0
	v_mul_hi_u32 v2, v0, v2
	s_lshl_b64 s[0:1], s[30:31], 2
	v_add_u32_e32 v0, v0, v2
	s_add_u32 s0, s28, s0
	scratch_store_dword off, v0, off        ; 4-byte Folded Spill
	v_and_b32_e32 v0, 60, v1
	v_mov_b32_e32 v1, v5
	s_addc_u32 s1, s29, s1
	v_lshl_add_u64 v[34:35], s[0:1], 0, v[0:1]
	scratch_load_dword v0, off, off offset:60 ; 4-byte Folded Reload
	v_and_b32_e32 v4, 0xfc, v82
	scratch_store_dwordx2 off, v[6:7], off offset:40 ; 8-byte Folded Spill
	s_mov_b32 s37, s33
	s_mov_b64 s[8:9], 0
	v_mov_b32_e32 v28, v5
	v_mov_b32_e32 v29, v5
	v_mov_b32_e32 v26, v5
	v_mov_b32_e32 v27, v5
	v_mov_b32_e32 v24, v5
	v_mov_b32_e32 v25, v5
	v_mov_b32_e32 v22, v5
	v_mov_b32_e32 v23, v5
	v_mov_b32_e32 v20, v5
	v_mov_b32_e32 v21, v5
	v_mov_b32_e32 v18, v5
	v_mov_b32_e32 v19, v5
	v_mov_b32_e32 v16, v5
	v_mov_b32_e32 v17, v5
	v_mov_b32_e32 v14, v5
	v_mov_b32_e32 v15, v5
	v_mov_b32_e32 v12, v5
	v_mov_b32_e32 v13, v5
	v_mov_b32_e32 v32, v5
	v_mov_b32_e32 v33, v5
	v_mov_b32_e32 v10, v5
	v_mov_b32_e32 v11, v5
	v_mov_b32_e32 v8, v5
	v_mov_b32_e32 v9, v5
	scratch_store_dwordx2 off, v[4:5], off offset:32 ; 8-byte Folded Spill
	s_waitcnt vmcnt(2)
	v_lshlrev_b32_e32 v0, 4, v0
	v_lshl_or_b32 v0, v30, 7, v0
	v_add_u32_e32 v6, 0x310, v0
	s_branch .LBB205_50
.LBB205_48:                             ;   in Loop: Header=BB205_50 Depth=1
	s_or_b64 exec, exec, s[16:17]
	scratch_load_dwordx2 v[8:9], off, off offset:4 ; 8-byte Folded Reload
	scratch_load_dwordx2 v[10:11], off, off offset:12 ; 8-byte Folded Reload
	v_mul_f32_e32 v0, v2, v0
	v_fmac_f32_e32 v0, v3, v1
	v_fmac_f32_e32 v0, v4, v32
	;; [unrolled: 1-line block ×3, first 2 shown]
	scratch_load_dwordx2 v[32:33], off, off offset:20 ; 8-byte Folded Reload
	s_waitcnt vmcnt(2)
	v_add_f32_e32 v8, v8, v0
	v_mul_f32_e32 v0, v2, v126
	v_fmac_f32_e32 v0, v3, v127
	v_fmac_f32_e32 v0, v4, v124
	;; [unrolled: 1-line block ×3, first 2 shown]
	s_waitcnt vmcnt(1)
	v_add_f32_e32 v11, v11, v0
	v_mul_f32_e32 v0, v2, v122
	v_fmac_f32_e32 v0, v3, v123
	v_fmac_f32_e32 v0, v4, v120
	;; [unrolled: 1-line block ×3, first 2 shown]
	v_add_f32_e32 v10, v10, v0
	v_mul_f32_e32 v0, v2, v116
	v_fmac_f32_e32 v0, v3, v117
	v_fmac_f32_e32 v0, v4, v114
	;; [unrolled: 1-line block ×3, first 2 shown]
	s_waitcnt vmcnt(0)
	v_add_f32_e32 v33, v33, v0
	v_mul_f32_e32 v0, v2, v112
	v_fmac_f32_e32 v0, v3, v113
	v_fmac_f32_e32 v0, v4, v110
	v_fmac_f32_e32 v0, v5, v111
	v_add_f32_e32 v32, v32, v0
	v_mul_f32_e32 v0, v2, v108
	v_fmac_f32_e32 v0, v3, v109
	v_fmac_f32_e32 v0, v4, v106
	v_fmac_f32_e32 v0, v5, v107
	;; [unrolled: 5-line block ×19, first 2 shown]
	v_add_f32_e32 v28, v28, v0
	v_pk_mul_f32 v[0:1], v[2:3], v[118:119]
	v_pk_mul_f32 v[2:3], v[4:5], v[56:57]
	v_add_f32_e32 v0, v1, v0
	v_add_f32_e32 v0, v2, v0
	;; [unrolled: 1-line block ×4, first 2 shown]
.LBB205_49:                             ;   in Loop: Header=BB205_50 Depth=1
	s_or_b64 exec, exec, s[12:13]
	v_add_u32_e32 v30, 2, v30
	v_cmp_le_i32_e32 vcc, s20, v30
	v_lshl_add_u64 v[34:35], v[34:35], 0, 8
	v_add_u32_e32 v31, 64, v31
	s_or_b64 s[8:9], vcc, s[8:9]
	v_add_u32_e32 v6, 0x100, v6
	s_andn2_b64 exec, exec, s[8:9]
	s_cbranch_execz .LBB205_99
.LBB205_50:                             ; =>This Inner Loop Header: Depth=1
	v_mul_hi_u32 v0, v31, s50
	v_mul_lo_u32 v1, v0, s25
	v_sub_u32_e32 v1, v31, v1
	v_add_u32_e32 v2, 1, v0
	v_cmp_le_u32_e32 vcc, s25, v1
	s_nop 1
	v_cndmask_b32_e32 v0, v0, v2, vcc
	v_subrev_u32_e32 v2, s25, v1
	v_cndmask_b32_e32 v1, v1, v2, vcc
	v_add_u32_e32 v2, 1, v0
	v_cmp_le_u32_e32 vcc, s25, v1
	s_nop 1
	v_cndmask_b32_e32 v0, v0, v2, vcc
	v_xor_b32_e32 v0, s23, v0
	v_subrev_u32_e32 v0, s23, v0
	v_add_u32_e32 v1, s36, v0
	v_sub_u32_e32 v3, 0, v1
	v_ashrrev_i32_e32 v2, 31, v1
	v_max_i32_e32 v1, v1, v3
	scratch_load_dword v3, off, off         ; 4-byte Folded Reload
	v_cmp_lt_i32_e64 s[0:1], s21, v0
	s_waitcnt vmcnt(0)
	v_mul_hi_u32 v3, v1, v3
	v_mul_lo_u32 v3, v3, s22
	v_sub_u32_e32 v1, v1, v3
	v_subrev_u32_e32 v3, s22, v1
	v_cmp_le_u32_e32 vcc, s22, v1
	s_nop 1
	v_cndmask_b32_e32 v1, v1, v3, vcc
	v_subrev_u32_e32 v3, s22, v1
	v_cmp_le_u32_e32 vcc, s22, v1
	s_nop 1
	v_cndmask_b32_e32 v1, v1, v3, vcc
	v_xor_b32_e32 v1, v1, v2
	v_sub_u32_e32 v1, v1, v2
	v_cmp_eq_u32_e32 vcc, 0, v1
	s_or_b64 s[0:1], vcc, s[0:1]
	s_and_saveexec_b64 s[12:13], s[0:1]
	s_cbranch_execz .LBB205_49
; %bb.51:                               ;   in Loop: Header=BB205_50 Depth=1
	scratch_store_dwordx2 off, v[32:33], off offset:20 ; 8-byte Folded Spill
	scratch_store_dwordx2 off, v[10:11], off offset:12 ; 8-byte Folded Spill
	;; [unrolled: 1-line block ×3, first 2 shown]
	global_load_dword v2, v[34:35], off
	v_mov_b64_e32 v[0:1], s[6:7]
	s_waitcnt vmcnt(0)
	v_mad_i64_i32 v[86:87], s[0:1], v2, s34, v[0:1]
	scratch_load_dwordx2 v[0:1], off, off offset:32 ; 8-byte Folded Reload
	v_cmp_eq_u32_e64 s[0:1], s35, v30
	s_waitcnt vmcnt(0)
	v_lshl_add_u64 v[56:57], v[86:87], 0, v[0:1]
	global_load_dword v0, v[56:57], off
	scratch_load_dword v1, off, off offset:28 ; 4-byte Folded Reload
	s_load_dword s16, s[14:15], 0x0
	ds_read_b128 v[2:5], v6
	s_waitcnt vmcnt(1)
	v_lshrrev_b32_e32 v8, 16, v0
	s_waitcnt vmcnt(0)
	v_add_u32_e32 v7, v1, v31
	v_and_b32_e32 v1, 0xffff, v0
	v_cvt_pk_f32_fp8_e32 v[0:1], v1
	v_cvt_pk_f32_fp8_e32 v[32:33], v8
	v_add_u32_e32 v8, 1, v7
	v_add_u32_e32 v9, 2, v7
	s_waitcnt lgkmcnt(0)
	v_pk_mul_f32 v[38:39], v[0:1], s[16:17] op_sel_hi:[1,0]
	v_pk_mul_f32 v[36:37], s[16:17], v[32:33] op_sel_hi:[0,1]
	v_add_u32_e32 v118, 3, v7
	s_and_saveexec_b64 s[18:19], s[0:1]
; %bb.52:                               ;   in Loop: Header=BB205_50 Depth=1
	v_cmp_gt_i32_e32 vcc, s33, v7
	s_nop 1
	v_cndmask_b32_e32 v38, 0, v38, vcc
	v_cmp_gt_i32_e32 vcc, s33, v8
	s_nop 1
	v_cndmask_b32_e32 v39, 0, v39, vcc
	;; [unrolled: 3-line block ×4, first 2 shown]
; %bb.53:                               ;   in Loop: Header=BB205_50 Depth=1
	s_or_b64 exec, exec, s[18:19]
	global_load_dword v0, v[56:57], off offset:256
	s_mov_b32 s17, s16
	s_waitcnt vmcnt(0)
	v_and_b32_e32 v1, 0xffff, v0
	v_lshrrev_b32_e32 v10, 16, v0
	v_cvt_pk_f32_fp8_e32 v[0:1], v1
	v_cvt_pk_f32_fp8_e32 v[32:33], v10
	v_pk_mul_f32 v[42:43], s[16:17], v[0:1]
	v_pk_mul_f32 v[40:41], s[16:17], v[32:33]
	s_and_saveexec_b64 s[18:19], s[0:1]
; %bb.54:                               ;   in Loop: Header=BB205_50 Depth=1
	v_cmp_gt_i32_e32 vcc, s33, v7
	s_nop 1
	v_cndmask_b32_e32 v42, 0, v42, vcc
	v_cmp_gt_i32_e32 vcc, s33, v8
	s_nop 1
	v_cndmask_b32_e32 v43, 0, v43, vcc
	v_cmp_gt_i32_e32 vcc, s33, v9
	s_nop 1
	v_cndmask_b32_e32 v40, 0, v40, vcc
	v_cmp_gt_i32_e32 vcc, s33, v118
	s_nop 1
	v_cndmask_b32_e32 v41, 0, v41, vcc
; %bb.55:                               ;   in Loop: Header=BB205_50 Depth=1
	s_or_b64 exec, exec, s[18:19]
	global_load_dword v0, v[56:57], off offset:512
	s_waitcnt vmcnt(0)
	v_and_b32_e32 v1, 0xffff, v0
	v_lshrrev_b32_e32 v10, 16, v0
	v_cvt_pk_f32_fp8_e32 v[0:1], v1
	v_cvt_pk_f32_fp8_e32 v[32:33], v10
	v_pk_mul_f32 v[46:47], s[16:17], v[0:1]
	v_pk_mul_f32 v[44:45], s[16:17], v[32:33]
	s_and_saveexec_b64 s[18:19], s[0:1]
; %bb.56:                               ;   in Loop: Header=BB205_50 Depth=1
	v_cmp_gt_i32_e32 vcc, s33, v7
	s_nop 1
	v_cndmask_b32_e32 v46, 0, v46, vcc
	v_cmp_gt_i32_e32 vcc, s33, v8
	s_nop 1
	v_cndmask_b32_e32 v47, 0, v47, vcc
	v_cmp_gt_i32_e32 vcc, s33, v9
	s_nop 1
	v_cndmask_b32_e32 v44, 0, v44, vcc
	v_cmp_gt_i32_e32 vcc, s33, v118
	s_nop 1
	v_cndmask_b32_e32 v45, 0, v45, vcc
; %bb.57:                               ;   in Loop: Header=BB205_50 Depth=1
	s_or_b64 exec, exec, s[18:19]
	global_load_dword v0, v[56:57], off offset:768
	;; [unrolled: 24-line block ×13, first 2 shown]
	s_waitcnt vmcnt(0)
	v_and_b32_e32 v1, 0xffff, v0
	v_lshrrev_b32_e32 v10, 16, v0
	v_cvt_pk_f32_fp8_e32 v[0:1], v1
	v_cvt_pk_f32_fp8_e32 v[32:33], v10
	v_pk_mul_f32 v[98:99], s[16:17], v[0:1]
	v_pk_mul_f32 v[96:97], s[16:17], v[32:33]
	s_and_saveexec_b64 s[18:19], s[0:1]
; %bb.80:                               ;   in Loop: Header=BB205_50 Depth=1
	v_cmp_gt_i32_e32 vcc, s33, v7
	s_nop 1
	v_cndmask_b32_e32 v98, 0, v98, vcc
	v_cmp_gt_i32_e32 vcc, s33, v8
	s_nop 1
	v_cndmask_b32_e32 v99, 0, v99, vcc
	;; [unrolled: 3-line block ×4, first 2 shown]
; %bb.81:                               ;   in Loop: Header=BB205_50 Depth=1
	s_or_b64 exec, exec, s[18:19]
	scratch_load_dwordx2 v[0:1], off, off offset:40 ; 8-byte Folded Reload
	s_waitcnt vmcnt(0)
	v_lshl_add_u64 v[0:1], v[86:87], 0, v[0:1]
	global_load_dword v0, v[0:1], off
	s_waitcnt vmcnt(0)
	v_and_b32_e32 v1, 0xffff, v0
	v_lshrrev_b32_e32 v10, 16, v0
	v_cvt_pk_f32_fp8_e32 v[0:1], v1
	v_cvt_pk_f32_fp8_e32 v[32:33], v10
	v_pk_mul_f32 v[100:101], s[16:17], v[0:1]
	v_pk_mul_f32 v[86:87], s[16:17], v[32:33]
	s_and_saveexec_b64 s[18:19], s[0:1]
; %bb.82:                               ;   in Loop: Header=BB205_50 Depth=1
	v_cmp_gt_i32_e32 vcc, s33, v7
	s_nop 1
	v_cndmask_b32_e32 v100, 0, v100, vcc
	v_cmp_gt_i32_e32 vcc, s33, v8
	s_nop 1
	v_cndmask_b32_e32 v101, 0, v101, vcc
	;; [unrolled: 3-line block ×4, first 2 shown]
; %bb.83:                               ;   in Loop: Header=BB205_50 Depth=1
	s_or_b64 exec, exec, s[18:19]
	v_add_co_u32_e32 v0, vcc, 0x1000, v56
	s_nop 1
	v_addc_co_u32_e32 v1, vcc, 0, v57, vcc
	global_load_dword v0, v[0:1], off
	s_waitcnt vmcnt(0)
	v_and_b32_e32 v1, 0xffff, v0
	v_lshrrev_b32_e32 v10, 16, v0
	v_cvt_pk_f32_fp8_e32 v[0:1], v1
	v_cvt_pk_f32_fp8_e32 v[32:33], v10
	v_pk_mul_f32 v[104:105], s[16:17], v[0:1]
	v_pk_mul_f32 v[102:103], s[16:17], v[32:33]
	s_and_saveexec_b64 s[18:19], s[0:1]
; %bb.84:                               ;   in Loop: Header=BB205_50 Depth=1
	v_cmp_gt_i32_e32 vcc, s33, v7
	s_nop 1
	v_cndmask_b32_e32 v104, 0, v104, vcc
	v_cmp_gt_i32_e32 vcc, s33, v8
	s_nop 1
	v_cndmask_b32_e32 v105, 0, v105, vcc
	v_cmp_gt_i32_e32 vcc, s33, v9
	s_nop 1
	v_cndmask_b32_e32 v102, 0, v102, vcc
	v_cmp_gt_i32_e32 vcc, s33, v118
	s_nop 1
	v_cndmask_b32_e32 v103, 0, v103, vcc
; %bb.85:                               ;   in Loop: Header=BB205_50 Depth=1
	s_or_b64 exec, exec, s[18:19]
	v_add_co_u32_e32 v0, vcc, 0x1000, v56
	s_nop 1
	v_addc_co_u32_e32 v1, vcc, 0, v57, vcc
	global_load_dword v0, v[0:1], off offset:256
	s_waitcnt vmcnt(0)
	v_and_b32_e32 v1, 0xffff, v0
	v_lshrrev_b32_e32 v10, 16, v0
	v_cvt_pk_f32_fp8_e32 v[0:1], v1
	v_cvt_pk_f32_fp8_e32 v[32:33], v10
	v_pk_mul_f32 v[108:109], s[16:17], v[0:1]
	v_pk_mul_f32 v[106:107], s[16:17], v[32:33]
	s_and_saveexec_b64 s[18:19], s[0:1]
; %bb.86:                               ;   in Loop: Header=BB205_50 Depth=1
	v_cmp_gt_i32_e32 vcc, s33, v7
	s_nop 1
	v_cndmask_b32_e32 v108, 0, v108, vcc
	v_cmp_gt_i32_e32 vcc, s33, v8
	s_nop 1
	v_cndmask_b32_e32 v109, 0, v109, vcc
	v_cmp_gt_i32_e32 vcc, s33, v9
	s_nop 1
	v_cndmask_b32_e32 v106, 0, v106, vcc
	v_cmp_gt_i32_e32 vcc, s33, v118
	s_nop 1
	v_cndmask_b32_e32 v107, 0, v107, vcc
; %bb.87:                               ;   in Loop: Header=BB205_50 Depth=1
	s_or_b64 exec, exec, s[18:19]
	v_add_co_u32_e32 v0, vcc, 0x1000, v56
	s_nop 1
	v_addc_co_u32_e32 v1, vcc, 0, v57, vcc
	global_load_dword v0, v[0:1], off offset:512
	;; [unrolled: 27-line block ×7, first 2 shown]
	s_waitcnt vmcnt(0)
	v_and_b32_e32 v10, 0xffff, v9
	v_lshrrev_b32_e32 v9, 16, v9
	v_cvt_pk_f32_fp8_e32 v[56:57], v10
	v_cvt_pk_f32_fp8_e32 v[10:11], v9
	v_pk_mul_f32 v[118:119], s[16:17], v[56:57]
	v_pk_mul_f32 v[56:57], s[16:17], v[10:11]
	s_and_saveexec_b64 s[16:17], s[0:1]
	s_cbranch_execz .LBB205_48
; %bb.98:                               ;   in Loop: Header=BB205_50 Depth=1
	v_cmp_gt_i32_e32 vcc, s37, v8
	v_or_b32_e32 v8, 3, v7
	s_nop 0
	v_cndmask_b32_e32 v119, 0, v119, vcc
	v_cmp_gt_i32_e32 vcc, s33, v7
	v_or_b32_e32 v7, 2, v7
	s_nop 0
	v_cndmask_b32_e32 v118, 0, v118, vcc
	v_cmp_gt_i32_e32 vcc, s37, v8
	s_nop 1
	v_cndmask_b32_e32 v57, 0, v57, vcc
	v_cmp_gt_i32_e32 vcc, s33, v7
	s_nop 1
	v_cndmask_b32_e32 v56, 0, v56, vcc
	s_branch .LBB205_48
.LBB205_99:
	s_or_b64 exec, exec, s[8:9]
	scratch_load_dword v34, off, off offset:64 ; 4-byte Folded Reload
	scratch_load_dword v35, off, off offset:68 ; 4-byte Folded Reload
.LBB205_100:
	s_or_b64 exec, exec, s[2:3]
	scratch_load_dword v40, off, off offset:48 ; 4-byte Folded Reload
	s_waitcnt vmcnt(2)
	ds_bpermute_b32 v2, v34, v26
	ds_bpermute_b32 v3, v34, v27
	v_mov_b64_e32 v[42:43], v[8:9]
	ds_bpermute_b32 v0, v34, v28
	ds_bpermute_b32 v1, v34, v29
	ds_bpermute_b32 v8, v34, v24
	s_waitcnt lgkmcnt(3)
	v_pk_add_f32 v[2:3], v[26:27], v[2:3]
	s_waitcnt vmcnt(1)
	ds_bpermute_b32 v6, v35, v2
	ds_bpermute_b32 v7, v35, v3
	;; [unrolled: 1-line block ×3, first 2 shown]
	s_waitcnt lgkmcnt(4)
	v_pk_add_f32 v[0:1], v[28:29], v[0:1]
	ds_bpermute_b32 v4, v35, v0
	ds_bpermute_b32 v5, v35, v1
	s_waitcnt lgkmcnt(3)
	v_pk_add_f32 v[2:3], v[2:3], v[6:7]
	s_waitcnt lgkmcnt(2)
	v_pk_add_f32 v[6:7], v[24:25], v[8:9]
	ds_bpermute_b32 v8, v35, v6
	ds_bpermute_b32 v9, v35, v7
	s_waitcnt lgkmcnt(2)
	v_pk_add_f32 v[0:1], v[0:1], v[4:5]
	ds_bpermute_b32 v26, v34, v22
	ds_bpermute_b32 v27, v34, v23
	v_mov_b64_e32 v[46:47], v[32:33]
	s_waitcnt lgkmcnt(2)
	v_pk_add_f32 v[6:7], v[6:7], v[8:9]
	v_mov_b32_e32 v38, v34
	v_mov_b64_e32 v[44:45], v[10:11]
	s_waitcnt lgkmcnt(0)
	v_pk_add_f32 v[26:27], v[22:23], v[26:27]
	ds_bpermute_b32 v28, v35, v26
	ds_bpermute_b32 v29, v35, v27
	v_mov_b32_e32 v39, v35
	s_waitcnt lgkmcnt(0)
	s_barrier
	s_waitcnt vmcnt(0)
	ds_bpermute_b32 v4, v40, v0
	ds_bpermute_b32 v5, v40, v1
	;; [unrolled: 1-line block ×6, first 2 shown]
	s_waitcnt lgkmcnt(4)
	v_pk_add_f32 v[22:23], v[0:1], v[4:5]
	v_pk_add_f32 v[0:1], v[26:27], v[28:29]
	s_waitcnt lgkmcnt(2)
	v_pk_add_f32 v[4:5], v[2:3], v[24:25]
	ds_bpermute_b32 v24, v34, v18
	s_waitcnt lgkmcnt(1)
	v_pk_add_f32 v[2:3], v[6:7], v[8:9]
	ds_bpermute_b32 v6, v34, v20
	ds_bpermute_b32 v7, v34, v21
	;; [unrolled: 1-line block ×6, first 2 shown]
	s_waitcnt lgkmcnt(4)
	v_pk_add_f32 v[6:7], v[20:21], v[6:7]
	s_waitcnt lgkmcnt(3)
	v_pk_add_f32 v[18:19], v[18:19], v[24:25]
	ds_bpermute_b32 v20, v35, v6
	ds_bpermute_b32 v21, v35, v7
	ds_bpermute_b32 v24, v35, v18
	ds_bpermute_b32 v25, v35, v19
	s_waitcnt lgkmcnt(5)
	v_pk_add_f32 v[16:17], v[16:17], v[26:27]
	ds_bpermute_b32 v9, v40, v1
	s_waitcnt lgkmcnt(3)
	v_pk_add_f32 v[6:7], v[6:7], v[20:21]
	ds_bpermute_b32 v28, v40, v6
	;; [unrolled: 3-line block ×3, first 2 shown]
	ds_bpermute_b32 v18, v35, v16
	ds_bpermute_b32 v19, v35, v17
	;; [unrolled: 1-line block ×6, first 2 shown]
	s_waitcnt lgkmcnt(4)
	v_pk_add_f32 v[30:31], v[16:17], v[18:19]
	v_pk_add_f32 v[18:19], v[6:7], v[28:29]
	s_waitcnt lgkmcnt(2)
	v_pk_add_f32 v[16:17], v[24:25], v[26:27]
	ds_bpermute_b32 v6, v38, v12
	ds_bpermute_b32 v7, v38, v13
	;; [unrolled: 1-line block ×6, first 2 shown]
	s_waitcnt lgkmcnt(4)
	v_pk_add_f32 v[6:7], v[12:13], v[6:7]
	ds_bpermute_b32 v12, v39, v6
	s_waitcnt lgkmcnt(3)
	v_pk_add_f32 v[10:11], v[46:47], v[24:25]
	ds_bpermute_b32 v13, v39, v7
	ds_bpermute_b32 v24, v39, v10
	;; [unrolled: 1-line block ×5, first 2 shown]
	s_waitcnt lgkmcnt(4)
	v_pk_add_f32 v[6:7], v[6:7], v[12:13]
	ds_bpermute_b32 v28, v40, v6
	s_waitcnt lgkmcnt(3)
	v_pk_add_f32 v[24:25], v[10:11], v[24:25]
	v_pk_add_f32 v[10:11], v[44:45], v[26:27]
	ds_bpermute_b32 v29, v40, v7
	ds_bpermute_b32 v12, v39, v10
	;; [unrolled: 1-line block ×3, first 2 shown]
	v_pk_add_f32 v[34:35], v[14:15], v[20:21]
	s_waitcnt lgkmcnt(4)
	v_pk_add_f32 v[14:15], v[30:31], v[32:33]
	ds_bpermute_b32 v36, v39, v34
	ds_bpermute_b32 v37, v39, v35
	s_waitcnt lgkmcnt(2)
	v_pk_add_f32 v[32:33], v[10:11], v[12:13]
	v_pk_add_f32 v[10:11], v[6:7], v[28:29]
	scratch_load_dword v28, off, off offset:52 ; 4-byte Folded Reload
	ds_bpermute_b32 v30, v38, v42
	ds_bpermute_b32 v31, v38, v43
	v_pk_add_f32 v[20:21], v[0:1], v[8:9]
	s_waitcnt lgkmcnt(2)
	v_pk_add_f32 v[0:1], v[34:35], v[36:37]
	ds_bpermute_b32 v8, v40, v0
	ds_bpermute_b32 v9, v40, v1
	s_waitcnt lgkmcnt(2)
	v_pk_add_f32 v[30:31], v[42:43], v[30:31]
	ds_bpermute_b32 v26, v40, v24
	ds_bpermute_b32 v27, v40, v25
	;; [unrolled: 1-line block ×6, first 2 shown]
	s_waitcnt lgkmcnt(6)
	v_pk_add_f32 v[12:13], v[0:1], v[8:9]
	s_waitcnt lgkmcnt(4)
	v_pk_add_f32 v[8:9], v[24:25], v[26:27]
	;; [unrolled: 2-line block ×3, first 2 shown]
	ds_bpermute_b32 v26, v40, v24
	ds_bpermute_b32 v27, v40, v25
	s_waitcnt lgkmcnt(2)
	v_pk_add_f32 v[6:7], v[32:33], v[34:35]
	s_waitcnt vmcnt(0)
	v_and_b32_e32 v0, 0x3c7, v28
	v_cmp_ne_u32_e32 vcc, 64, v0
	s_and_saveexec_b64 s[0:1], vcc
	s_xor_b64 s[0:1], exec, s[0:1]
; %bb.101:
                                        ; implicit-def: $vgpr1
                                        ; kill: killed $vgpr1
; %bb.102:
	s_or_saveexec_b64 s[0:1], s[0:1]
	scratch_load_dword v1, off, off offset:56 ; 4-byte Folded Reload
	s_waitcnt lgkmcnt(0)
	v_pk_add_f32 v[24:25], v[24:25], v[26:27]
	s_xor_b64 exec, exec, s[0:1]
	s_cbranch_execz .LBB205_104
; %bb.103:
	s_waitcnt vmcnt(0)
	v_lshrrev_b32_e32 v1, 1, v1
	v_add_u32_e32 v1, 0x310, v1
	ds_write2_b32 v1, v22, v23 offset1:8
	ds_write2_b32 v1, v4, v5 offset0:16 offset1:24
	ds_write2_b32 v1, v2, v3 offset0:32 offset1:40
	;; [unrolled: 1-line block ×11, first 2 shown]
.LBB205_104:
	s_or_b64 exec, exec, s[0:1]
	v_cmp_gt_u32_e32 vcc, 64, v28
	s_waitcnt vmcnt(0)
	v_lshrrev_b32_e32 v1, 3, v28
	s_waitcnt lgkmcnt(0)
	s_barrier
	s_and_saveexec_b64 s[0:1], vcc
	s_cbranch_execz .LBB205_131
; %bb.105:
	scratch_load_dword v26, off, off offset:60 ; 4-byte Folded Reload
	s_waitcnt vmcnt(0)
	v_cmp_eq_u32_e32 vcc, 0, v26
	v_mov_b32_e32 v26, 0x310
	v_lshl_add_u32 v26, v1, 2, v26
	s_and_saveexec_b64 s[2:3], vcc
	s_cbranch_execnz .LBB205_134
; %bb.106:
	s_or_b64 exec, exec, s[2:3]
	s_and_saveexec_b64 s[2:3], vcc
	s_cbranch_execnz .LBB205_135
.LBB205_107:
	s_or_b64 exec, exec, s[2:3]
	s_and_saveexec_b64 s[2:3], vcc
	s_cbranch_execnz .LBB205_136
.LBB205_108:
	s_or_b64 exec, exec, s[2:3]
	s_and_saveexec_b64 s[2:3], vcc
	s_cbranch_execnz .LBB205_137
.LBB205_109:
	s_or_b64 exec, exec, s[2:3]
	s_and_saveexec_b64 s[2:3], vcc
	s_cbranch_execnz .LBB205_138
.LBB205_110:
	s_or_b64 exec, exec, s[2:3]
	s_and_saveexec_b64 s[2:3], vcc
	s_cbranch_execnz .LBB205_139
.LBB205_111:
	s_or_b64 exec, exec, s[2:3]
	s_and_saveexec_b64 s[2:3], vcc
	s_cbranch_execnz .LBB205_140
.LBB205_112:
	s_or_b64 exec, exec, s[2:3]
	s_and_saveexec_b64 s[2:3], vcc
	s_cbranch_execnz .LBB205_141
.LBB205_113:
	s_or_b64 exec, exec, s[2:3]
	s_and_saveexec_b64 s[2:3], vcc
	s_cbranch_execnz .LBB205_142
.LBB205_114:
	s_or_b64 exec, exec, s[2:3]
	s_and_saveexec_b64 s[2:3], vcc
	s_cbranch_execnz .LBB205_143
.LBB205_115:
	s_or_b64 exec, exec, s[2:3]
	s_and_saveexec_b64 s[2:3], vcc
	s_cbranch_execnz .LBB205_144
.LBB205_116:
	s_or_b64 exec, exec, s[2:3]
	s_and_saveexec_b64 s[2:3], vcc
	s_cbranch_execnz .LBB205_145
.LBB205_117:
	s_or_b64 exec, exec, s[2:3]
	s_and_saveexec_b64 s[2:3], vcc
	s_cbranch_execnz .LBB205_146
.LBB205_118:
	s_or_b64 exec, exec, s[2:3]
	s_and_saveexec_b64 s[2:3], vcc
	s_cbranch_execnz .LBB205_147
.LBB205_119:
	s_or_b64 exec, exec, s[2:3]
	s_and_saveexec_b64 s[2:3], vcc
	s_cbranch_execnz .LBB205_148
.LBB205_120:
	s_or_b64 exec, exec, s[2:3]
	s_and_saveexec_b64 s[2:3], vcc
	s_cbranch_execnz .LBB205_149
.LBB205_121:
	s_or_b64 exec, exec, s[2:3]
	s_and_saveexec_b64 s[2:3], vcc
	s_cbranch_execnz .LBB205_150
.LBB205_122:
	s_or_b64 exec, exec, s[2:3]
	s_and_saveexec_b64 s[2:3], vcc
	s_cbranch_execnz .LBB205_151
.LBB205_123:
	s_or_b64 exec, exec, s[2:3]
	s_and_saveexec_b64 s[2:3], vcc
	s_cbranch_execnz .LBB205_152
.LBB205_124:
	s_or_b64 exec, exec, s[2:3]
	s_and_saveexec_b64 s[2:3], vcc
	s_cbranch_execnz .LBB205_153
.LBB205_125:
	s_or_b64 exec, exec, s[2:3]
	s_and_saveexec_b64 s[2:3], vcc
	s_cbranch_execnz .LBB205_154
.LBB205_126:
	s_or_b64 exec, exec, s[2:3]
	s_and_saveexec_b64 s[2:3], vcc
	s_cbranch_execnz .LBB205_155
.LBB205_127:
	s_or_b64 exec, exec, s[2:3]
	s_and_saveexec_b64 s[2:3], vcc
	s_cbranch_execnz .LBB205_156
.LBB205_128:
	s_or_b64 exec, exec, s[2:3]
	s_and_saveexec_b64 s[2:3], vcc
	s_cbranch_execz .LBB205_130
.LBB205_129:
	ds_read_b32 v26, v26 offset:736
	s_waitcnt lgkmcnt(0)
	v_add_f32_e32 v25, v25, v26
.LBB205_130:
	s_or_b64 exec, exec, s[2:3]
.LBB205_131:
	s_or_b64 exec, exec, s[0:1]
	v_cmp_eq_u32_e32 vcc, 0, v0
	s_barrier
	s_and_saveexec_b64 s[0:1], vcc
	s_cbranch_execz .LBB205_133
; %bb.132:
	s_mul_i32 s0, s10, s11
	s_mul_i32 s0, s0, s5
	s_mulk_i32 s0, 0xc0
	s_ashr_i32 s1, s0, 31
	s_lshl_b64 s[0:1], s[0:1], 2
	s_add_u32 s2, s26, s0
	s_mul_i32 s0, s11, s24
	s_addc_u32 s3, s27, s1
	s_ashr_i32 s1, s0, 31
	s_lshl_b64 s[0:1], s[0:1], 2
	s_add_u32 s2, s2, s0
	s_mul_i32 s0, s4, 0xc0
	s_addc_u32 s3, s3, s1
	s_ashr_i32 s1, s0, 31
	s_lshl_b64 s[0:1], s[0:1], 2
	s_add_u32 s0, s2, s0
	s_addc_u32 s1, s3, s1
	v_lshlrev_b32_e32 v0, 2, v1
	global_store_dword v0, v22, s[0:1]
	global_store_dword v0, v23, s[0:1] offset:32
	global_store_dword v0, v4, s[0:1] offset:64
	;; [unrolled: 1-line block ×23, first 2 shown]
.LBB205_133:
	s_endpgm
.LBB205_134:
	ds_read_b32 v27, v26
	s_waitcnt lgkmcnt(0)
	v_add_f32_e32 v22, v22, v27
	s_or_b64 exec, exec, s[2:3]
	s_and_saveexec_b64 s[2:3], vcc
	s_cbranch_execz .LBB205_107
.LBB205_135:
	ds_read_b32 v27, v26 offset:32
	s_waitcnt lgkmcnt(0)
	v_add_f32_e32 v23, v23, v27
	s_or_b64 exec, exec, s[2:3]
	s_and_saveexec_b64 s[2:3], vcc
	s_cbranch_execz .LBB205_108
.LBB205_136:
	ds_read_b32 v27, v26 offset:64
	s_waitcnt lgkmcnt(0)
	v_add_f32_e32 v4, v4, v27
	s_or_b64 exec, exec, s[2:3]
	s_and_saveexec_b64 s[2:3], vcc
	s_cbranch_execz .LBB205_109
.LBB205_137:
	ds_read_b32 v27, v26 offset:96
	s_waitcnt lgkmcnt(0)
	v_add_f32_e32 v5, v5, v27
	s_or_b64 exec, exec, s[2:3]
	s_and_saveexec_b64 s[2:3], vcc
	s_cbranch_execz .LBB205_110
.LBB205_138:
	ds_read_b32 v27, v26 offset:128
	s_waitcnt lgkmcnt(0)
	v_add_f32_e32 v2, v2, v27
	s_or_b64 exec, exec, s[2:3]
	s_and_saveexec_b64 s[2:3], vcc
	s_cbranch_execz .LBB205_111
.LBB205_139:
	ds_read_b32 v27, v26 offset:160
	s_waitcnt lgkmcnt(0)
	v_add_f32_e32 v3, v3, v27
	s_or_b64 exec, exec, s[2:3]
	s_and_saveexec_b64 s[2:3], vcc
	s_cbranch_execz .LBB205_112
.LBB205_140:
	ds_read_b32 v27, v26 offset:192
	s_waitcnt lgkmcnt(0)
	v_add_f32_e32 v20, v20, v27
	s_or_b64 exec, exec, s[2:3]
	s_and_saveexec_b64 s[2:3], vcc
	s_cbranch_execz .LBB205_113
.LBB205_141:
	ds_read_b32 v27, v26 offset:224
	s_waitcnt lgkmcnt(0)
	v_add_f32_e32 v21, v21, v27
	s_or_b64 exec, exec, s[2:3]
	s_and_saveexec_b64 s[2:3], vcc
	s_cbranch_execz .LBB205_114
.LBB205_142:
	ds_read_b32 v27, v26 offset:256
	s_waitcnt lgkmcnt(0)
	v_add_f32_e32 v18, v18, v27
	s_or_b64 exec, exec, s[2:3]
	s_and_saveexec_b64 s[2:3], vcc
	s_cbranch_execz .LBB205_115
.LBB205_143:
	ds_read_b32 v27, v26 offset:288
	s_waitcnt lgkmcnt(0)
	v_add_f32_e32 v19, v19, v27
	s_or_b64 exec, exec, s[2:3]
	s_and_saveexec_b64 s[2:3], vcc
	s_cbranch_execz .LBB205_116
.LBB205_144:
	ds_read_b32 v27, v26 offset:320
	s_waitcnt lgkmcnt(0)
	v_add_f32_e32 v16, v16, v27
	s_or_b64 exec, exec, s[2:3]
	s_and_saveexec_b64 s[2:3], vcc
	s_cbranch_execz .LBB205_117
.LBB205_145:
	ds_read_b32 v27, v26 offset:352
	s_waitcnt lgkmcnt(0)
	v_add_f32_e32 v17, v17, v27
	s_or_b64 exec, exec, s[2:3]
	s_and_saveexec_b64 s[2:3], vcc
	s_cbranch_execz .LBB205_118
.LBB205_146:
	ds_read_b32 v27, v26 offset:384
	s_waitcnt lgkmcnt(0)
	v_add_f32_e32 v14, v14, v27
	s_or_b64 exec, exec, s[2:3]
	s_and_saveexec_b64 s[2:3], vcc
	s_cbranch_execz .LBB205_119
.LBB205_147:
	ds_read_b32 v27, v26 offset:416
	s_waitcnt lgkmcnt(0)
	v_add_f32_e32 v15, v15, v27
	s_or_b64 exec, exec, s[2:3]
	s_and_saveexec_b64 s[2:3], vcc
	s_cbranch_execz .LBB205_120
.LBB205_148:
	ds_read_b32 v27, v26 offset:448
	s_waitcnt lgkmcnt(0)
	v_add_f32_e32 v12, v12, v27
	s_or_b64 exec, exec, s[2:3]
	s_and_saveexec_b64 s[2:3], vcc
	s_cbranch_execz .LBB205_121
.LBB205_149:
	ds_read_b32 v27, v26 offset:480
	s_waitcnt lgkmcnt(0)
	v_add_f32_e32 v13, v13, v27
	s_or_b64 exec, exec, s[2:3]
	s_and_saveexec_b64 s[2:3], vcc
	s_cbranch_execz .LBB205_122
.LBB205_150:
	ds_read_b32 v27, v26 offset:512
	s_waitcnt lgkmcnt(0)
	v_add_f32_e32 v10, v10, v27
	s_or_b64 exec, exec, s[2:3]
	s_and_saveexec_b64 s[2:3], vcc
	s_cbranch_execz .LBB205_123
.LBB205_151:
	ds_read_b32 v27, v26 offset:544
	s_waitcnt lgkmcnt(0)
	v_add_f32_e32 v11, v11, v27
	s_or_b64 exec, exec, s[2:3]
	s_and_saveexec_b64 s[2:3], vcc
	s_cbranch_execz .LBB205_124
.LBB205_152:
	ds_read_b32 v27, v26 offset:576
	s_waitcnt lgkmcnt(0)
	v_add_f32_e32 v8, v8, v27
	s_or_b64 exec, exec, s[2:3]
	s_and_saveexec_b64 s[2:3], vcc
	s_cbranch_execz .LBB205_125
.LBB205_153:
	ds_read_b32 v27, v26 offset:608
	s_waitcnt lgkmcnt(0)
	v_add_f32_e32 v9, v9, v27
	s_or_b64 exec, exec, s[2:3]
	s_and_saveexec_b64 s[2:3], vcc
	s_cbranch_execz .LBB205_126
.LBB205_154:
	ds_read_b32 v27, v26 offset:640
	s_waitcnt lgkmcnt(0)
	v_add_f32_e32 v6, v6, v27
	s_or_b64 exec, exec, s[2:3]
	s_and_saveexec_b64 s[2:3], vcc
	s_cbranch_execz .LBB205_127
.LBB205_155:
	ds_read_b32 v27, v26 offset:672
	s_waitcnt lgkmcnt(0)
	v_add_f32_e32 v7, v7, v27
	s_or_b64 exec, exec, s[2:3]
	s_and_saveexec_b64 s[2:3], vcc
	s_cbranch_execz .LBB205_128
.LBB205_156:
	ds_read_b32 v27, v26 offset:704
	s_waitcnt lgkmcnt(0)
	v_add_f32_e32 v24, v24, v27
	s_or_b64 exec, exec, s[2:3]
	s_and_saveexec_b64 s[2:3], vcc
	s_cbranch_execnz .LBB205_129
	s_branch .LBB205_130
	.section	.rodata,"a",@progbits
	.p2align	6, 0x0
	.amdhsa_kernel _ZN4vllm25paged_attention_v1_kernelIfhLi192ELi32ELi128ELNS_18Fp8KVCacheDataTypeE1ELb1EEEvPT_PKS2_PKT0_S8_ifPKiSA_iPKfiiiSC_SC_iiiii
		.amdhsa_group_segment_fixed_size 784
		.amdhsa_private_segment_fixed_size 76
		.amdhsa_kernarg_size 384
		.amdhsa_user_sgpr_count 2
		.amdhsa_user_sgpr_dispatch_ptr 0
		.amdhsa_user_sgpr_queue_ptr 0
		.amdhsa_user_sgpr_kernarg_segment_ptr 1
		.amdhsa_user_sgpr_dispatch_id 0
		.amdhsa_user_sgpr_kernarg_preload_length 0
		.amdhsa_user_sgpr_kernarg_preload_offset 0
		.amdhsa_user_sgpr_private_segment_size 0
		.amdhsa_uses_dynamic_stack 0
		.amdhsa_enable_private_segment 1
		.amdhsa_system_sgpr_workgroup_id_x 1
		.amdhsa_system_sgpr_workgroup_id_y 1
		.amdhsa_system_sgpr_workgroup_id_z 1
		.amdhsa_system_sgpr_workgroup_info 0
		.amdhsa_system_vgpr_workitem_id 0
		.amdhsa_next_free_vgpr 128
		.amdhsa_next_free_sgpr 57
		.amdhsa_accum_offset 128
		.amdhsa_reserve_vcc 1
		.amdhsa_float_round_mode_32 0
		.amdhsa_float_round_mode_16_64 0
		.amdhsa_float_denorm_mode_32 3
		.amdhsa_float_denorm_mode_16_64 3
		.amdhsa_dx10_clamp 1
		.amdhsa_ieee_mode 1
		.amdhsa_fp16_overflow 0
		.amdhsa_tg_split 0
		.amdhsa_exception_fp_ieee_invalid_op 0
		.amdhsa_exception_fp_denorm_src 0
		.amdhsa_exception_fp_ieee_div_zero 0
		.amdhsa_exception_fp_ieee_overflow 0
		.amdhsa_exception_fp_ieee_underflow 0
		.amdhsa_exception_fp_ieee_inexact 0
		.amdhsa_exception_int_div_zero 0
	.end_amdhsa_kernel
	.section	.text._ZN4vllm25paged_attention_v1_kernelIfhLi192ELi32ELi128ELNS_18Fp8KVCacheDataTypeE1ELb1EEEvPT_PKS2_PKT0_S8_ifPKiSA_iPKfiiiSC_SC_iiiii,"axG",@progbits,_ZN4vllm25paged_attention_v1_kernelIfhLi192ELi32ELi128ELNS_18Fp8KVCacheDataTypeE1ELb1EEEvPT_PKS2_PKT0_S8_ifPKiSA_iPKfiiiSC_SC_iiiii,comdat
.Lfunc_end205:
	.size	_ZN4vllm25paged_attention_v1_kernelIfhLi192ELi32ELi128ELNS_18Fp8KVCacheDataTypeE1ELb1EEEvPT_PKS2_PKT0_S8_ifPKiSA_iPKfiiiSC_SC_iiiii, .Lfunc_end205-_ZN4vllm25paged_attention_v1_kernelIfhLi192ELi32ELi128ELNS_18Fp8KVCacheDataTypeE1ELb1EEEvPT_PKS2_PKT0_S8_ifPKiSA_iPKfiiiSC_SC_iiiii
                                        ; -- End function
	.set _ZN4vllm25paged_attention_v1_kernelIfhLi192ELi32ELi128ELNS_18Fp8KVCacheDataTypeE1ELb1EEEvPT_PKS2_PKT0_S8_ifPKiSA_iPKfiiiSC_SC_iiiii.num_vgpr, 128
	.set _ZN4vllm25paged_attention_v1_kernelIfhLi192ELi32ELi128ELNS_18Fp8KVCacheDataTypeE1ELb1EEEvPT_PKS2_PKT0_S8_ifPKiSA_iPKfiiiSC_SC_iiiii.num_agpr, 0
	.set _ZN4vllm25paged_attention_v1_kernelIfhLi192ELi32ELi128ELNS_18Fp8KVCacheDataTypeE1ELb1EEEvPT_PKS2_PKT0_S8_ifPKiSA_iPKfiiiSC_SC_iiiii.numbered_sgpr, 57
	.set _ZN4vllm25paged_attention_v1_kernelIfhLi192ELi32ELi128ELNS_18Fp8KVCacheDataTypeE1ELb1EEEvPT_PKS2_PKT0_S8_ifPKiSA_iPKfiiiSC_SC_iiiii.num_named_barrier, 0
	.set _ZN4vllm25paged_attention_v1_kernelIfhLi192ELi32ELi128ELNS_18Fp8KVCacheDataTypeE1ELb1EEEvPT_PKS2_PKT0_S8_ifPKiSA_iPKfiiiSC_SC_iiiii.private_seg_size, 76
	.set _ZN4vllm25paged_attention_v1_kernelIfhLi192ELi32ELi128ELNS_18Fp8KVCacheDataTypeE1ELb1EEEvPT_PKS2_PKT0_S8_ifPKiSA_iPKfiiiSC_SC_iiiii.uses_vcc, 1
	.set _ZN4vllm25paged_attention_v1_kernelIfhLi192ELi32ELi128ELNS_18Fp8KVCacheDataTypeE1ELb1EEEvPT_PKS2_PKT0_S8_ifPKiSA_iPKfiiiSC_SC_iiiii.uses_flat_scratch, 0
	.set _ZN4vllm25paged_attention_v1_kernelIfhLi192ELi32ELi128ELNS_18Fp8KVCacheDataTypeE1ELb1EEEvPT_PKS2_PKT0_S8_ifPKiSA_iPKfiiiSC_SC_iiiii.has_dyn_sized_stack, 0
	.set _ZN4vllm25paged_attention_v1_kernelIfhLi192ELi32ELi128ELNS_18Fp8KVCacheDataTypeE1ELb1EEEvPT_PKS2_PKT0_S8_ifPKiSA_iPKfiiiSC_SC_iiiii.has_recursion, 0
	.set _ZN4vllm25paged_attention_v1_kernelIfhLi192ELi32ELi128ELNS_18Fp8KVCacheDataTypeE1ELb1EEEvPT_PKS2_PKT0_S8_ifPKiSA_iPKfiiiSC_SC_iiiii.has_indirect_call, 0
	.section	.AMDGPU.csdata,"",@progbits
; Kernel info:
; codeLenInByte = 11392
; TotalNumSgprs: 63
; NumVgprs: 128
; NumAgprs: 0
; TotalNumVgprs: 128
; ScratchSize: 76
; MemoryBound: 0
; FloatMode: 240
; IeeeMode: 1
; LDSByteSize: 784 bytes/workgroup (compile time only)
; SGPRBlocks: 7
; VGPRBlocks: 15
; NumSGPRsForWavesPerEU: 63
; NumVGPRsForWavesPerEU: 128
; AccumOffset: 128
; Occupancy: 4
; WaveLimiterHint : 1
; COMPUTE_PGM_RSRC2:SCRATCH_EN: 1
; COMPUTE_PGM_RSRC2:USER_SGPR: 2
; COMPUTE_PGM_RSRC2:TRAP_HANDLER: 0
; COMPUTE_PGM_RSRC2:TGID_X_EN: 1
; COMPUTE_PGM_RSRC2:TGID_Y_EN: 1
; COMPUTE_PGM_RSRC2:TGID_Z_EN: 1
; COMPUTE_PGM_RSRC2:TIDIG_COMP_CNT: 0
; COMPUTE_PGM_RSRC3_GFX90A:ACCUM_OFFSET: 31
; COMPUTE_PGM_RSRC3_GFX90A:TG_SPLIT: 0
	.section	.text._ZN4vllm25paged_attention_v1_kernelIfhLi256ELi32ELi128ELNS_18Fp8KVCacheDataTypeE1ELb1EEEvPT_PKS2_PKT0_S8_ifPKiSA_iPKfiiiSC_SC_iiiii,"axG",@progbits,_ZN4vllm25paged_attention_v1_kernelIfhLi256ELi32ELi128ELNS_18Fp8KVCacheDataTypeE1ELb1EEEvPT_PKS2_PKT0_S8_ifPKiSA_iPKfiiiSC_SC_iiiii,comdat
	.protected	_ZN4vllm25paged_attention_v1_kernelIfhLi256ELi32ELi128ELNS_18Fp8KVCacheDataTypeE1ELb1EEEvPT_PKS2_PKT0_S8_ifPKiSA_iPKfiiiSC_SC_iiiii ; -- Begin function _ZN4vllm25paged_attention_v1_kernelIfhLi256ELi32ELi128ELNS_18Fp8KVCacheDataTypeE1ELb1EEEvPT_PKS2_PKT0_S8_ifPKiSA_iPKfiiiSC_SC_iiiii
	.globl	_ZN4vllm25paged_attention_v1_kernelIfhLi256ELi32ELi128ELNS_18Fp8KVCacheDataTypeE1ELb1EEEvPT_PKS2_PKT0_S8_ifPKiSA_iPKfiiiSC_SC_iiiii
	.p2align	8
	.type	_ZN4vllm25paged_attention_v1_kernelIfhLi256ELi32ELi128ELNS_18Fp8KVCacheDataTypeE1ELb1EEEvPT_PKS2_PKT0_S8_ifPKiSA_iPKfiiiSC_SC_iiiii,@function
_ZN4vllm25paged_attention_v1_kernelIfhLi256ELi32ELi128ELNS_18Fp8KVCacheDataTypeE1ELb1EEEvPT_PKS2_PKT0_S8_ifPKiSA_iPKfiiiSC_SC_iiiii: ; @_ZN4vllm25paged_attention_v1_kernelIfhLi256ELi32ELi128ELNS_18Fp8KVCacheDataTypeE1ELb1EEEvPT_PKS2_PKT0_S8_ifPKiSA_iPKfiiiSC_SC_iiiii
; %bb.0:
	s_load_dword s5, s[0:1], 0x80
	s_load_dwordx2 s[6:7], s[0:1], 0x30
	s_load_dwordx2 s[36:37], s[0:1], 0x20
	s_mov_b32 s10, s3
	s_ashr_i32 s11, s3, 31
	s_lshl_b64 s[8:9], s[10:11], 2
	s_waitcnt lgkmcnt(0)
	s_add_u32 s6, s6, s8
	s_addc_u32 s7, s7, s9
	s_abs_i32 s3, s36
	v_mov_b32_e32 v46, v0
	v_cvt_f32_u32_e32 v0, s3
	s_sub_i32 s11, 0, s3
	s_abs_i32 s9, s5
	s_xor_b32 s8, s5, s36
	v_rcp_iflag_f32_e32 v0, v0
	s_ashr_i32 s8, s8, 31
	s_mov_b32 s61, 0
	v_mul_f32_e32 v0, 0x4f7ffffe, v0
	v_cvt_u32_f32_e32 v0, v0
	s_nop 0
	v_readfirstlane_b32 s12, v0
	s_mul_i32 s11, s11, s12
	s_mul_hi_u32 s11, s12, s11
	s_add_i32 s12, s12, s11
	s_mul_hi_u32 s11, s9, s12
	s_mul_i32 s12, s11, s3
	s_sub_i32 s9, s9, s12
	s_add_i32 s12, s11, 1
	s_sub_i32 s13, s9, s3
	s_cmp_ge_u32 s9, s3
	s_cselect_b32 s11, s12, s11
	s_cselect_b32 s9, s13, s9
	s_add_i32 s12, s11, 1
	s_cmp_ge_u32 s9, s3
	s_cselect_b32 s3, s12, s11
	s_xor_b32 s3, s3, s8
	s_sub_i32 s14, s3, s8
	s_abs_i32 s11, s14
	v_cvt_f32_u32_e32 v0, s11
	s_load_dwordx2 s[8:9], s[0:1], 0x40
	s_sub_i32 s3, 0, s11
	s_abs_i32 s12, s2
	v_rcp_iflag_f32_e32 v0, v0
	s_nop 0
	v_mul_f32_e32 v0, 0x4f7ffffe, v0
	v_cvt_u32_f32_e32 v0, v0
	s_nop 0
	v_readfirstlane_b32 s13, v0
	s_mul_i32 s3, s3, s13
	s_mul_hi_u32 s3, s13, s3
	s_add_i32 s13, s13, s3
	s_waitcnt lgkmcnt(0)
	s_cmp_eq_u64 s[8:9], 0
	s_mul_hi_u32 s13, s12, s13
	s_cbranch_scc1 .LBB206_2
; %bb.1:
	s_ashr_i32 s3, s2, 31
	s_lshl_b64 s[16:17], s[2:3], 2
	s_add_u32 s8, s8, s16
	s_addc_u32 s9, s9, s17
	s_load_dword s61, s[8:9], 0x0
.LBB206_2:
	s_load_dword s33, s[6:7], 0x0
	s_load_dwordx4 s[16:19], s[0:1], 0x48
	s_movk_i32 s3, 0x80
	s_ashr_i32 s8, s2, 31
	s_ashr_i32 s9, s14, 31
	v_and_b32_e32 v0, 1, v46
	s_lshl_b32 s24, s2, 8
	v_cmp_gt_u32_e32 vcc, s3, v46
	v_lshlrev_b32_e32 v38, 2, v46
	s_and_saveexec_b64 s[6:7], vcc
	s_cbranch_execz .LBB206_4
; %bb.3:
	s_load_dwordx2 s[14:15], s[0:1], 0x8
	s_waitcnt lgkmcnt(0)
	s_mul_i32 s20, s16, s10
	s_ashr_i32 s21, s20, 31
	s_lshl_b64 s[20:21], s[20:21], 2
	v_lshlrev_b32_e32 v1, 3, v46
	s_add_u32 s3, s14, s20
	s_addc_u32 s16, s15, s21
	s_ashr_i32 s25, s24, 31
	s_lshl_b64 s[14:15], s[24:25], 2
	s_add_u32 s14, s3, s14
	s_addc_u32 s15, s16, s15
	global_load_dwordx2 v[2:3], v1, s[14:15]
	v_and_b32_e32 v1, 0xff8, v38
	v_lshl_add_u32 v1, v0, 9, v1
	s_waitcnt vmcnt(0)
	ds_write_b64 v1, v[2:3]
.LBB206_4:
	s_or_b64 exec, exec, s[6:7]
	s_mul_i32 s7, s13, s11
	s_sub_i32 s7, s12, s7
	s_xor_b32 s6, s8, s9
	s_add_i32 s8, s13, 1
	s_sub_i32 s9, s7, s11
	s_load_dwordx4 s[20:23], s[0:1], 0x68
	s_load_dword s3, s[0:1], 0x78
	s_cmp_ge_u32 s7, s11
	s_cselect_b32 s8, s8, s13
	s_cselect_b32 s7, s9, s7
	s_add_i32 s9, s8, 1
	s_cmp_ge_u32 s7, s11
	s_cselect_b32 s7, s9, s8
	s_waitcnt lgkmcnt(0)
	s_abs_i32 s25, s23
	v_cvt_f32_u32_e32 v1, s25
	s_xor_b32 s7, s7, s6
	s_sub_i32 s60, s7, s6
	s_sub_i32 s6, 0, s25
	v_rcp_iflag_f32_e32 v1, v1
	s_add_i32 s11, s33, -1
	s_abs_i32 s8, s11
	v_mul_f32_e32 v1, 0x4f7ffffe, v1
	v_cvt_u32_f32_e32 v1, v1
	s_barrier
	v_readfirstlane_b32 s58, v1
	s_mul_i32 s6, s6, s58
	s_mul_hi_u32 s6, s58, s6
	s_add_i32 s58, s58, s6
	s_cmp_lt_i32 s3, 0
	s_mul_hi_u32 s9, s8, s58
	s_cbranch_scc0 .LBB206_6
; %bb.5:
	s_mul_i32 s6, s20, s36
	s_add_i32 s6, s60, s6
	s_mul_i32 s6, s6, s3
	s_sub_i32 s36, 1, s6
	s_mov_b64 s[6:7], 0
	s_branch .LBB206_7
.LBB206_6:
	s_mov_b64 s[6:7], -1
                                        ; implicit-def: $sgpr36
.LBB206_7:
	s_load_dwordx2 s[28:29], s[0:1], 0x28
	s_ashr_i32 s16, s11, 31
	s_andn2_b64 vcc, exec, s[6:7]
	s_ashr_i32 s23, s23, 31
	s_cbranch_vccnz .LBB206_9
; %bb.8:
	s_mul_i32 s6, s5, s20
	s_add_i32 s2, s6, s2
	s_mul_i32 s2, s2, s3
	s_add_i32 s36, s2, 1
.LBB206_9:
	s_load_dword s2, s[0:1], 0x38
	s_load_dwordx2 s[26:27], s[0:1], 0x0
	s_load_dwordx2 s[34:35], s[0:1], 0x18
	s_load_dword s11, s[0:1], 0x88
	s_load_dwordx4 s[12:15], s[0:1], 0x58
	s_mul_i32 s3, s9, s25
	s_waitcnt lgkmcnt(0)
	s_mul_i32 s30, s2, s10
	s_sub_i32 s3, s8, s3
	s_ashr_i32 s31, s30, 31
	s_xor_b32 s2, s16, s23
	s_add_i32 s6, s9, 1
	s_sub_i32 s7, s3, s25
	s_cmp_ge_u32 s3, s25
	s_cselect_b32 s6, s6, s9
	s_cselect_b32 s3, s7, s3
	s_add_i32 s7, s6, 1
	s_cmp_ge_u32 s3, s25
	s_cselect_b32 s3, s7, s6
	s_xor_b32 s3, s3, s2
	s_sub_i32 s59, s3, s2
	s_add_i32 s2, s33, 31
	s_ashr_i32 s3, s2, 31
	s_lshr_b32 s3, s3, 27
	s_add_i32 s2, s2, s3
	s_ashr_i32 s20, s2, 5
	v_lshrrev_b32_e32 v52, 6, v46
	v_cmp_gt_i32_e64 s[6:7], s20, v52
	v_mov_b32_e32 v44, 0xff7fffff
	s_mul_i32 s60, s60, s18
	v_lshrrev_b32_e32 v39, 4, v46
	v_lshlrev_b32_e32 v53, 5, v52
	v_mbcnt_lo_u32_b32 v40, -1, 0
	s_and_saveexec_b64 s[18:19], s[6:7]
	s_cbranch_execz .LBB206_21
; %bb.10:
	s_load_dwordx2 s[0:1], s[0:1], 0x10
	s_sub_i32 s62, s59, s21
	s_ashr_i32 s2, s60, 31
	v_bfe_u32 v41, v46, 1, 5
	v_lshlrev_b32_e32 v22, 4, v41
	s_waitcnt lgkmcnt(0)
	s_add_u32 s0, s0, s60
	s_addc_u32 s1, s1, s2
	s_abs_i32 s64, s22
	v_cvt_f32_u32_e32 v1, s64
	v_mov_b32_e32 v23, 0
	v_cmp_eq_u32_e32 vcc, 0, v0
	v_lshl_add_u64 v[24:25], s[0:1], 0, v[22:23]
	v_lshlrev_b32_e32 v22, 1, v0
	v_lshlrev_b32_e32 v42, 9, v0
	v_rcp_iflag_f32_e32 v0, v1
	s_sub_i32 s0, 0, s64
	v_mov_b32_e32 v86, v46
	v_mbcnt_hi_u32_b32 v49, -1, v40
	v_mul_f32_e32 v0, 0x4f7ffffe, v0
	v_cvt_u32_f32_e32 v0, v0
	s_mov_b32 s63, s17
	v_cmp_neq_f32_e64 s[2:3], s61, 0
	v_or_b32_e32 v26, 4, v22
	v_mul_lo_u32 v1, s0, v0
	s_lshl_b64 s[0:1], s[30:31], 2
	v_mul_hi_u32 v1, v0, v1
	s_add_u32 s0, s28, s0
	v_add_u32_e32 v43, v0, v1
	v_and_b32_e32 v0, 60, v39
	v_mov_b32_e32 v1, v23
	s_addc_u32 s1, s29, s1
	v_lshl_add_u64 v[32:33], s[0:1], 0, v[0:1]
	v_subrev_u32_e32 v0, s33, v41
	v_add_u32_e32 v46, 1, v0
	v_lshlrev_b32_e32 v0, 2, v41
	v_lshl_or_b32 v0, v52, 7, v0
	v_add_u32_e32 v47, 0x410, v0
	v_and_b32_e32 v0, 64, v49
	v_mov_b32_e32 v27, v23
	v_or_b32_e32 v28, 8, v22
	v_mov_b32_e32 v29, v23
	v_or_b32_e32 v30, 12, v22
	v_mov_b32_e32 v31, v23
	v_lshlrev_b32_e32 v45, 5, v52
	v_mov_b32_e32 v48, 0xff7fffff
	s_mov_b64 s[38:39], 0
	s_mov_b64 s[40:41], 0x1000
	;; [unrolled: 1-line block ×9, first 2 shown]
	v_xor_b32_e32 v50, 1, v49
	v_add_u32_e32 v51, 64, v0
	v_mov_b32_e32 v44, 0xff7fffff
	v_mov_b32_e32 v54, v52
	s_branch .LBB206_13
.LBB206_11:                             ;   in Loop: Header=BB206_13 Depth=1
	s_or_b64 exec, exec, s[56:57]
.LBB206_12:                             ;   in Loop: Header=BB206_13 Depth=1
	s_or_b64 exec, exec, s[8:9]
	v_add_u32_e32 v54, 2, v54
	v_cmp_le_i32_e64 s[0:1], s20, v54
	v_lshl_add_u64 v[32:33], v[32:33], 0, 8
	v_add_u32_e32 v45, 64, v45
	s_or_b64 s[38:39], s[0:1], s[38:39]
	v_add_u32_e32 v47, 0x100, v47
	s_andn2_b64 exec, exec, s[38:39]
	s_cbranch_execz .LBB206_20
.LBB206_13:                             ; =>This Inner Loop Header: Depth=1
	v_mul_hi_u32 v0, v45, s58
	s_waitcnt lgkmcnt(0)
	v_mul_lo_u32 v1, v0, s25
	v_sub_u32_e32 v1, v45, v1
	v_add_u32_e32 v2, 1, v0
	v_cmp_le_u32_e64 s[0:1], s25, v1
	s_nop 1
	v_cndmask_b32_e64 v0, v0, v2, s[0:1]
	v_subrev_u32_e32 v2, s25, v1
	v_cndmask_b32_e64 v1, v1, v2, s[0:1]
	v_add_u32_e32 v2, 1, v0
	v_cmp_le_u32_e64 s[0:1], s25, v1
	s_nop 1
	v_cndmask_b32_e64 v0, v0, v2, s[0:1]
	v_xor_b32_e32 v0, s23, v0
	v_subrev_u32_e32 v0, s23, v0
	v_add_u32_e32 v1, s36, v0
	v_sub_u32_e32 v3, 0, v1
	v_ashrrev_i32_e32 v2, 31, v1
	v_max_i32_e32 v1, v1, v3
	v_mul_hi_u32 v3, v1, v43
	v_mul_lo_u32 v3, v3, s64
	v_sub_u32_e32 v1, v1, v3
	v_subrev_u32_e32 v3, s64, v1
	v_cmp_le_u32_e64 s[0:1], s64, v1
	v_cmp_ge_i32_e64 s[8:9], s62, v0
	s_nop 0
	v_cndmask_b32_e64 v1, v1, v3, s[0:1]
	v_subrev_u32_e32 v3, s64, v1
	v_cmp_le_u32_e64 s[0:1], s64, v1
	s_nop 1
	v_cndmask_b32_e64 v1, v1, v3, s[0:1]
	v_xor_b32_e32 v1, v1, v2
	v_sub_u32_e32 v1, v1, v2
	v_cmp_ne_u32_e64 s[0:1], 0, v1
	s_and_b64 s[0:1], s[0:1], s[8:9]
	s_and_saveexec_b64 s[8:9], s[0:1]
	s_xor_b64 s[0:1], exec, s[8:9]
	s_cbranch_execz .LBB206_17
; %bb.14:                               ;   in Loop: Header=BB206_13 Depth=1
	s_and_saveexec_b64 s[8:9], vcc
; %bb.15:                               ;   in Loop: Header=BB206_13 Depth=1
	ds_write_b32 v47, v48
; %bb.16:                               ;   in Loop: Header=BB206_13 Depth=1
	s_or_b64 exec, exec, s[8:9]
.LBB206_17:                             ;   in Loop: Header=BB206_13 Depth=1
	s_andn2_saveexec_b64 s[8:9], s[0:1]
	s_cbranch_execz .LBB206_12
; %bb.18:                               ;   in Loop: Header=BB206_13 Depth=1
	global_load_dword v0, v[32:33], off
	s_waitcnt vmcnt(0)
	v_mad_i64_i32 v[34:35], s[0:1], v0, s63, v[24:25]
	v_lshl_add_u64 v[0:1], v[34:35], 0, v[22:23]
	global_load_ushort v6, v[0:1], off
	global_load_ushort v8, v[0:1], off offset:4
	global_load_ushort v36, v[0:1], off offset:8
	;; [unrolled: 1-line block ×11, first 2 shown]
	ds_read_b128 v[2:5], v42
	ds_read_b128 v[18:21], v42 offset:16
	global_load_ushort v60, v[0:1], off offset:1536
	global_load_ushort v61, v[0:1], off offset:1540
	ds_read_b128 v[14:17], v42 offset:32
	ds_read_b128 v[10:13], v42 offset:48
	s_load_dword s16, s[12:13], 0x0
	global_load_ushort v62, v[0:1], off offset:1544
	global_load_ushort v63, v[0:1], off offset:1548
	;; [unrolled: 1-line block ×3, first 2 shown]
	v_cmp_lt_i32_e64 s[0:1], v50, v51
	s_waitcnt vmcnt(16)
	v_cvt_pk_f32_fp8_e32 v[6:7], v6
	s_waitcnt vmcnt(15)
	v_cvt_pk_f32_fp8_e32 v[8:9], v8
	s_waitcnt vmcnt(14)
	v_cvt_pk_f32_fp8_e32 v[36:37], v36
	s_waitcnt vmcnt(13)
	v_cvt_pk_f32_fp8_e32 v[72:73], v69
	s_waitcnt lgkmcnt(0)
	v_pk_mul_f32 v[6:7], v[6:7], s[16:17] op_sel_hi:[1,0]
	v_pk_mul_f32 v[8:9], s[16:17], v[8:9] op_sel_hi:[0,1]
	v_mul_f32_e32 v55, v4, v8
	v_mul_f32_e32 v56, v5, v9
	v_fmac_f32_e32 v55, v2, v6
	v_fmac_f32_e32 v56, v3, v7
	ds_read_b128 v[6:9], v42 offset:64
	ds_read_b128 v[2:5], v42 offset:80
	global_load_ushort v74, v[0:1], off offset:2052
	v_pk_mul_f32 v[36:37], s[16:17], v[36:37] op_sel_hi:[0,1]
	v_fmac_f32_e32 v55, v18, v36
	v_fmac_f32_e32 v56, v19, v37
	s_waitcnt vmcnt(13)
	v_cvt_pk_f32_fp8_e32 v[18:19], v68
	v_pk_mul_f32 v[68:69], s[16:17], v[72:73] op_sel_hi:[0,1]
	global_load_ushort v72, v[0:1], off offset:2056
	global_load_ushort v73, v[0:1], off offset:2060
	s_waitcnt vmcnt(14)
	v_cvt_pk_f32_fp8_e32 v[36:37], v70
	v_fmac_f32_e32 v55, v20, v68
	v_fmac_f32_e32 v56, v21, v69
	s_waitcnt vmcnt(13)
	v_cvt_pk_f32_fp8_e32 v[68:69], v67
	v_pk_mul_f32 v[18:19], s[16:17], v[18:19] op_sel_hi:[0,1]
	v_pk_mul_f32 v[20:21], s[16:17], v[36:37] op_sel_hi:[0,1]
	v_fmac_f32_e32 v55, v14, v18
	v_fmac_f32_e32 v56, v15, v19
	;; [unrolled: 1-line block ×4, first 2 shown]
	s_waitcnt vmcnt(12)
	v_cvt_pk_f32_fp8_e32 v[70:71], v65
	v_pk_mul_f32 v[68:69], s[16:17], v[68:69] op_sel_hi:[0,1]
	v_fmac_f32_e32 v55, v10, v68
	v_fmac_f32_e32 v56, v11, v69
	s_waitcnt vmcnt(11)
	v_cvt_pk_f32_fp8_e32 v[10:11], v64
	s_waitcnt vmcnt(10)
	v_cvt_pk_f32_fp8_e32 v[64:65], v66
	v_pk_mul_f32 v[66:67], s[16:17], v[70:71] op_sel_hi:[0,1]
	ds_read_b128 v[18:21], v42 offset:96
	ds_read_b128 v[14:17], v42 offset:112
	v_lshl_add_u64 v[36:37], v[34:35], 0, s[40:41]
	v_fmac_f32_e32 v55, v12, v66
	v_fmac_f32_e32 v56, v13, v67
	global_load_ushort v66, v[0:1], off offset:2560
	global_load_ushort v67, v[0:1], off offset:2564
	;; [unrolled: 1-line block ×5, first 2 shown]
	v_pk_mul_f32 v[10:11], s[16:17], v[10:11] op_sel_hi:[0,1]
	v_pk_mul_f32 v[12:13], s[16:17], v[64:65] op_sel_hi:[0,1]
	s_waitcnt lgkmcnt(3)
	v_fmac_f32_e32 v55, v6, v10
	v_fmac_f32_e32 v56, v7, v11
	global_load_ushort v64, v[0:1], off offset:3076
	global_load_ushort v65, v[0:1], off offset:3080
	;; [unrolled: 1-line block ×7, first 2 shown]
	v_lshl_add_u64 v[0:1], v[36:37], 0, v[22:23]
	v_lshl_add_u64 v[6:7], v[36:37], 0, v[26:27]
	global_load_ushort v79, v[0:1], off
	global_load_ushort v80, v[6:7], off
	v_lshl_add_u64 v[0:1], v[36:37], 0, v[28:29]
	v_lshl_add_u64 v[6:7], v[36:37], 0, v[30:31]
	global_load_ushort v81, v[0:1], off
	global_load_ushort v82, v[6:7], off
	s_waitcnt vmcnt(25)
	v_cvt_pk_f32_fp8_e32 v[0:1], v59
	s_waitcnt vmcnt(24)
	v_cvt_pk_f32_fp8_e32 v[6:7], v58
	v_fmac_f32_e32 v55, v8, v12
	v_fmac_f32_e32 v56, v9, v13
	v_pk_mul_f32 v[0:1], s[16:17], v[0:1] op_sel_hi:[0,1]
	s_waitcnt lgkmcnt(2)
	v_fmac_f32_e32 v55, v2, v0
	v_fmac_f32_e32 v56, v3, v1
	s_waitcnt vmcnt(23)
	v_cvt_pk_f32_fp8_e32 v[0:1], v60
	s_waitcnt vmcnt(22)
	v_cvt_pk_f32_fp8_e32 v[2:3], v61
	v_pk_mul_f32 v[6:7], s[16:17], v[6:7] op_sel_hi:[0,1]
	v_fmac_f32_e32 v55, v4, v6
	v_fmac_f32_e32 v56, v5, v7
	s_waitcnt vmcnt(21)
	v_cvt_pk_f32_fp8_e32 v[4:5], v62
	v_pk_mul_f32 v[0:1], s[16:17], v[0:1] op_sel_hi:[0,1]
	s_waitcnt vmcnt(20)
	v_cvt_pk_f32_fp8_e32 v[6:7], v63
	v_pk_mul_f32 v[2:3], s[16:17], v[2:3] op_sel_hi:[0,1]
	s_waitcnt lgkmcnt(1)
	v_fmac_f32_e32 v55, v18, v0
	v_fmac_f32_e32 v56, v19, v1
	;; [unrolled: 1-line block ×4, first 2 shown]
	s_waitcnt vmcnt(19)
	v_cvt_pk_f32_fp8_e32 v[0:1], v57
	v_pk_mul_f32 v[2:3], s[16:17], v[4:5] op_sel_hi:[0,1]
	ds_read_b128 v[10:13], v42 offset:128
	ds_read_b128 v[18:21], v42 offset:144
	s_waitcnt lgkmcnt(2)
	v_fmac_f32_e32 v55, v14, v2
	v_fmac_f32_e32 v56, v15, v3
	v_pk_mul_f32 v[4:5], s[16:17], v[6:7] op_sel_hi:[0,1]
	v_fmac_f32_e32 v55, v16, v4
	v_fmac_f32_e32 v56, v17, v5
	v_pk_mul_f32 v[0:1], s[16:17], v[0:1] op_sel_hi:[0,1]
	s_waitcnt lgkmcnt(1)
	v_fmac_f32_e32 v55, v10, v0
	v_fmac_f32_e32 v56, v11, v1
	v_lshl_add_u64 v[10:11], v[34:35], 0, s[42:43]
	ds_read_b128 v[58:61], v42 offset:160
	ds_read_b128 v[6:9], v42 offset:176
	;; [unrolled: 1-line block ×3, first 2 shown]
	v_lshl_add_u64 v[36:37], v[10:11], 0, v[28:29]
	v_cndmask_b32_e64 v16, v49, v50, s[0:1]
	v_lshlrev_b32_e32 v16, 2, v16
	s_waitcnt vmcnt(18)
	v_cvt_pk_f32_fp8_e32 v[14:15], v74
	v_pk_mul_f32 v[0:1], s[16:17], v[14:15] op_sel_hi:[0,1]
	v_fmac_f32_e32 v55, v12, v0
	v_fmac_f32_e32 v56, v13, v1
	s_waitcnt vmcnt(17)
	v_cvt_pk_f32_fp8_e32 v[0:1], v72
	s_waitcnt vmcnt(16)
	v_cvt_pk_f32_fp8_e32 v[12:13], v73
	v_lshl_add_u64 v[14:15], v[10:11], 0, v[26:27]
	v_pk_mul_f32 v[0:1], s[16:17], v[0:1] op_sel_hi:[0,1]
	s_waitcnt lgkmcnt(3)
	v_fmac_f32_e32 v55, v18, v0
	v_fmac_f32_e32 v56, v19, v1
	v_pk_mul_f32 v[12:13], s[16:17], v[12:13] op_sel_hi:[0,1]
	v_fmac_f32_e32 v55, v20, v12
	v_fmac_f32_e32 v56, v21, v13
	v_lshl_add_u64 v[12:13], v[10:11], 0, v[22:23]
	v_lshl_add_u64 v[10:11], v[10:11], 0, v[30:31]
	global_load_ushort v20, v[12:13], off
	global_load_ushort v19, v[14:15], off
	;; [unrolled: 1-line block ×4, first 2 shown]
	v_lshl_add_u64 v[0:1], v[34:35], 0, s[44:45]
	s_waitcnt vmcnt(19)
	v_cvt_pk_f32_fp8_e32 v[10:11], v66
	s_waitcnt vmcnt(18)
	v_cvt_pk_f32_fp8_e32 v[12:13], v67
	;; [unrolled: 2-line block ×4, first 2 shown]
	v_pk_mul_f32 v[10:11], s[16:17], v[10:11] op_sel_hi:[0,1]
	s_waitcnt lgkmcnt(2)
	v_fmac_f32_e32 v55, v58, v10
	v_fmac_f32_e32 v56, v59, v11
	v_pk_mul_f32 v[12:13], s[16:17], v[12:13] op_sel_hi:[0,1]
	v_fmac_f32_e32 v55, v60, v12
	v_fmac_f32_e32 v56, v61, v13
	v_pk_mul_f32 v[14:15], s[16:17], v[14:15] op_sel_hi:[0,1]
	s_waitcnt vmcnt(14)
	v_cvt_pk_f32_fp8_e32 v[10:11], v64
	s_waitcnt lgkmcnt(1)
	v_fmac_f32_e32 v55, v6, v14
	v_fmac_f32_e32 v56, v7, v15
	s_waitcnt vmcnt(6)
	v_cvt_pk_f32_fp8_e32 v[6:7], v80
	v_pk_mul_f32 v[14:15], s[16:17], v[36:37] op_sel_hi:[0,1]
	s_waitcnt vmcnt(4)
	v_cvt_pk_f32_fp8_e32 v[36:37], v82
	v_cvt_pk_f32_fp8_e32 v[62:63], v70
	;; [unrolled: 1-line block ×5, first 2 shown]
	v_pk_mul_f32 v[74:75], s[16:17], v[10:11] op_sel_hi:[0,1]
	v_pk_mul_f32 v[10:11], s[16:17], v[6:7] op_sel_hi:[0,1]
	v_pk_mul_f32 v[6:7], s[16:17], v[36:37] op_sel_hi:[0,1]
	v_lshl_add_u64 v[36:37], v[0:1], 0, v[22:23]
	global_load_ushort v21, v[36:37], off
	v_fmac_f32_e32 v55, v8, v14
	v_fmac_f32_e32 v56, v9, v15
	v_pk_mul_f32 v[62:63], s[16:17], v[62:63] op_sel_hi:[0,1]
	v_lshl_add_u64 v[36:37], v[34:35], 0, s[46:47]
	s_waitcnt lgkmcnt(0)
	v_fmac_f32_e32 v55, v2, v62
	v_fmac_f32_e32 v56, v3, v63
	v_lshl_add_u64 v[2:3], v[0:1], 0, v[26:27]
	v_lshl_add_u64 v[62:63], v[36:37], 0, v[22:23]
	v_cvt_pk_f32_fp8_e32 v[12:13], v71
	v_cvt_pk_f32_fp8_e32 v[64:65], v76
	;; [unrolled: 1-line block ×5, first 2 shown]
	v_pk_mul_f32 v[76:77], s[16:17], v[58:59] op_sel_hi:[0,1]
	v_pk_mul_f32 v[80:81], s[16:17], v[60:61] op_sel_hi:[0,1]
	v_pk_mul_f32 v[14:15], s[16:17], v[68:69] op_sel_hi:[0,1]
	ds_read_b128 v[58:61], v42 offset:208
	v_fmac_f32_e32 v55, v74, v4
	v_fmac_f32_e32 v56, v75, v5
	v_lshl_add_u64 v[4:5], v[0:1], 0, v[28:29]
	v_lshl_add_u64 v[0:1], v[0:1], 0, v[30:31]
	global_load_ushort v57, v[2:3], off
	global_load_ushort v68, v[4:5], off
	;; [unrolled: 1-line block ×3, first 2 shown]
	s_nop 0
	global_load_ushort v62, v[62:63], off
	v_lshl_add_u64 v[0:1], v[36:37], 0, v[26:27]
	v_lshl_add_u64 v[2:3], v[36:37], 0, v[28:29]
	v_pk_mul_f32 v[78:79], s[16:17], v[12:13] op_sel_hi:[0,1]
	v_pk_mul_f32 v[12:13], s[16:17], v[70:71] op_sel_hi:[0,1]
	v_lshl_add_u64 v[4:5], v[36:37], 0, v[30:31]
	global_load_ushort v63, v[0:1], off
	global_load_ushort v70, v[2:3], off
	;; [unrolled: 1-line block ×3, first 2 shown]
	ds_read_b128 v[0:3], v42 offset:224
	s_waitcnt lgkmcnt(1)
	v_fmac_f32_e32 v55, v76, v58
	v_fmac_f32_e32 v56, v77, v59
	;; [unrolled: 1-line block ×4, first 2 shown]
	v_lshl_add_u64 v[4:5], v[34:35], 0, s[48:49]
	v_lshl_add_u64 v[36:37], v[4:5], 0, v[22:23]
	ds_read_b128 v[58:61], v42 offset:240
	s_waitcnt lgkmcnt(1)
	v_fmac_f32_e32 v55, v80, v0
	v_fmac_f32_e32 v56, v81, v1
	v_lshl_add_u64 v[0:1], v[4:5], 0, v[26:27]
	v_pk_mul_f32 v[8:9], s[16:17], v[72:73] op_sel_hi:[0,1]
	global_load_ushort v72, v[36:37], off
	global_load_ushort v73, v[0:1], off
	v_pk_mul_f32 v[64:65], s[16:17], v[64:65] op_sel_hi:[0,1]
	v_fmac_f32_e32 v55, v64, v2
	v_fmac_f32_e32 v56, v65, v3
	v_lshl_add_u64 v[0:1], v[4:5], 0, v[28:29]
	v_lshl_add_u64 v[2:3], v[4:5], 0, v[30:31]
	;; [unrolled: 1-line block ×4, first 2 shown]
	global_load_ushort v64, v[0:1], off
	global_load_ushort v65, v[2:3], off
	;; [unrolled: 1-line block ×3, first 2 shown]
	v_lshl_add_u64 v[0:1], v[4:5], 0, v[26:27]
	v_lshl_add_u64 v[2:3], v[4:5], 0, v[28:29]
	;; [unrolled: 1-line block ×3, first 2 shown]
	global_load_ushort v75, v[0:1], off
	global_load_ushort v76, v[2:3], off
	;; [unrolled: 1-line block ×3, first 2 shown]
	ds_read_b128 v[0:3], v42 offset:256
	v_pk_mul_f32 v[66:67], s[16:17], v[66:67] op_sel_hi:[0,1]
	s_waitcnt lgkmcnt(1)
	v_fmac_f32_e32 v55, v66, v58
	v_fmac_f32_e32 v56, v67, v59
	;; [unrolled: 1-line block ×4, first 2 shown]
	v_lshl_add_u64 v[4:5], v[34:35], 0, s[52:53]
	ds_read_b128 v[58:61], v42 offset:272
	s_waitcnt lgkmcnt(1)
	v_fmac_f32_e32 v55, v12, v0
	v_fmac_f32_e32 v56, v13, v1
	v_lshl_add_u64 v[0:1], v[4:5], 0, v[26:27]
	global_load_ushort v79, v[0:1], off
	v_lshl_add_u64 v[14:15], v[4:5], 0, v[22:23]
	v_fmac_f32_e32 v55, v10, v2
	v_fmac_f32_e32 v56, v11, v3
	v_lshl_add_u64 v[10:11], v[4:5], 0, v[28:29]
	global_load_ushort v78, v[14:15], off
	global_load_ushort v80, v[10:11], off
	v_lshl_add_u64 v[4:5], v[4:5], 0, v[30:31]
	v_lshl_add_u64 v[10:11], v[34:35], 0, s[54:55]
	;; [unrolled: 1-line block ×4, first 2 shown]
	global_load_ushort v81, v[4:5], off
	global_load_ushort v82, v[12:13], off
	;; [unrolled: 1-line block ×3, first 2 shown]
	s_waitcnt vmcnt(25)
	v_cvt_pk_f32_fp8_e32 v[0:1], v20
	s_waitcnt vmcnt(24)
	v_cvt_pk_f32_fp8_e32 v[2:3], v19
	s_waitcnt lgkmcnt(0)
	v_fmac_f32_e32 v55, v8, v58
	v_fmac_f32_e32 v56, v9, v59
	v_pk_mul_f32 v[12:13], s[16:17], v[0:1] op_sel_hi:[0,1]
	v_lshl_add_u64 v[0:1], v[10:11], 0, v[28:29]
	v_pk_mul_f32 v[14:15], s[16:17], v[2:3] op_sel_hi:[0,1]
	v_lshl_add_u64 v[2:3], v[10:11], 0, v[30:31]
	global_load_ushort v84, v[0:1], off
	global_load_ushort v85, v[2:3], off
	ds_read_b128 v[0:3], v42 offset:288
	v_fmac_f32_e32 v55, v6, v60
	v_fmac_f32_e32 v56, v7, v61
	s_waitcnt vmcnt(25)
	v_cvt_pk_f32_fp8_e32 v[10:11], v18
	s_waitcnt vmcnt(23)
	v_cvt_pk_f32_fp8_e32 v[18:19], v21
	ds_read_b128 v[4:7], v42 offset:304
	s_waitcnt lgkmcnt(1)
	v_fmac_f32_e32 v55, v12, v0
	v_fmac_f32_e32 v56, v13, v1
	v_pk_mul_f32 v[12:13], s[16:17], v[18:19] op_sel_hi:[0,1]
	v_fmac_f32_e32 v55, v14, v2
	v_fmac_f32_e32 v56, v15, v3
	v_cvt_pk_f32_fp8_e32 v[8:9], v17
	s_waitcnt vmcnt(22)
	v_cvt_pk_f32_fp8_e32 v[0:1], v57
	v_pk_mul_f32 v[10:11], s[16:17], v[10:11] op_sel_hi:[0,1]
	s_waitcnt vmcnt(20)
	v_cvt_pk_f32_fp8_e32 v[2:3], v69
	v_pk_mul_f32 v[8:9], s[16:17], v[8:9] op_sel_hi:[0,1]
	v_pk_mul_f32 v[18:19], s[16:17], v[0:1] op_sel_hi:[0,1]
	v_cvt_pk_f32_fp8_e32 v[0:1], v68
	v_pk_mul_f32 v[36:37], s[16:17], v[2:3] op_sel_hi:[0,1]
	s_waitcnt lgkmcnt(0)
	v_fmac_f32_e32 v55, v10, v4
	v_fmac_f32_e32 v56, v11, v5
	v_pk_mul_f32 v[34:35], s[16:17], v[0:1] op_sel_hi:[0,1]
	ds_read_b128 v[0:3], v42 offset:320
	v_fmac_f32_e32 v55, v8, v6
	v_fmac_f32_e32 v56, v9, v7
	s_waitcnt vmcnt(17)
	v_cvt_pk_f32_fp8_e32 v[58:59], v70
	ds_read_b128 v[4:7], v42 offset:336
	s_waitcnt lgkmcnt(1)
	v_fmac_f32_e32 v55, v12, v0
	v_fmac_f32_e32 v56, v13, v1
	v_pk_mul_f32 v[12:13], s[16:17], v[58:59] op_sel_hi:[0,1]
	v_fmac_f32_e32 v55, v18, v2
	v_fmac_f32_e32 v56, v19, v3
	v_cvt_pk_f32_fp8_e32 v[14:15], v62
	v_cvt_pk_f32_fp8_e32 v[20:21], v63
	s_waitcnt lgkmcnt(0)
	v_fmac_f32_e32 v55, v34, v4
	s_waitcnt vmcnt(14)
	v_cvt_pk_f32_fp8_e32 v[0:1], v73
	v_fmac_f32_e32 v56, v35, v5
	v_pk_mul_f32 v[14:15], s[16:17], v[14:15] op_sel_hi:[0,1]
	v_fmac_f32_e32 v55, v36, v6
	v_pk_mul_f32 v[58:59], s[16:17], v[0:1] op_sel_hi:[0,1]
	v_fmac_f32_e32 v56, v37, v7
	s_waitcnt vmcnt(13)
	v_cvt_pk_f32_fp8_e32 v[0:1], v64
	s_waitcnt vmcnt(12)
	v_cvt_pk_f32_fp8_e32 v[2:3], v65
	ds_read_b128 v[4:7], v42 offset:368
	v_pk_mul_f32 v[20:21], s[16:17], v[20:21] op_sel_hi:[0,1]
	v_pk_mul_f32 v[62:63], s[16:17], v[0:1] op_sel_hi:[0,1]
	v_pk_mul_f32 v[64:65], s[16:17], v[2:3] op_sel_hi:[0,1]
	ds_read_b128 v[0:3], v42 offset:352
	s_waitcnt vmcnt(9)
	v_cvt_pk_f32_fp8_e32 v[66:67], v76
	v_cvt_pk_f32_fp8_e32 v[8:9], v71
	;; [unrolled: 1-line block ×4, first 2 shown]
	s_waitcnt lgkmcnt(0)
	v_fmac_f32_e32 v55, v14, v0
	v_fmac_f32_e32 v56, v15, v1
	v_pk_mul_f32 v[14:15], s[16:17], v[66:67] op_sel_hi:[0,1]
	v_fmac_f32_e32 v55, v20, v2
	v_fmac_f32_e32 v56, v21, v3
	v_pk_mul_f32 v[8:9], s[16:17], v[8:9] op_sel_hi:[0,1]
	v_fmac_f32_e32 v55, v12, v4
	s_waitcnt vmcnt(7)
	v_cvt_pk_f32_fp8_e32 v[0:1], v79
	v_fmac_f32_e32 v56, v13, v5
	v_fmac_f32_e32 v55, v8, v6
	;; [unrolled: 1-line block ×3, first 2 shown]
	v_pk_mul_f32 v[66:67], s[16:17], v[0:1] op_sel_hi:[0,1]
	ds_read_b128 v[4:7], v42 offset:400
	s_waitcnt vmcnt(5)
	v_cvt_pk_f32_fp8_e32 v[0:1], v80
	v_pk_mul_f32 v[10:11], s[16:17], v[10:11] op_sel_hi:[0,1]
	v_cvt_pk_f32_fp8_e32 v[60:61], v75
	s_waitcnt vmcnt(4)
	v_cvt_pk_f32_fp8_e32 v[2:3], v81
	v_pk_mul_f32 v[70:71], s[16:17], v[0:1] op_sel_hi:[0,1]
	v_cvt_pk_f32_fp8_e32 v[34:35], v77
	v_pk_mul_f32 v[18:19], s[16:17], v[18:19] op_sel_hi:[0,1]
	v_pk_mul_f32 v[72:73], s[16:17], v[2:3] op_sel_hi:[0,1]
	ds_read_b128 v[0:3], v42 offset:384
	v_pk_mul_f32 v[60:61], s[16:17], v[60:61] op_sel_hi:[0,1]
	v_cvt_pk_f32_fp8_e32 v[36:37], v78
	v_pk_mul_f32 v[34:35], s[16:17], v[34:35] op_sel_hi:[0,1]
	s_waitcnt vmcnt(3)
	v_cvt_pk_f32_fp8_e32 v[20:21], v82
	s_waitcnt lgkmcnt(0)
	v_fmac_f32_e32 v55, v10, v0
	v_fmac_f32_e32 v56, v11, v1
	;; [unrolled: 1-line block ×4, first 2 shown]
	ds_read_b128 v[0:3], v42 offset:416
	v_fmac_f32_e32 v55, v62, v4
	v_fmac_f32_e32 v56, v63, v5
	;; [unrolled: 1-line block ×4, first 2 shown]
	ds_read_b128 v[4:7], v42 offset:432
	s_waitcnt lgkmcnt(1)
	v_fmac_f32_e32 v55, v18, v0
	v_fmac_f32_e32 v56, v19, v1
	;; [unrolled: 1-line block ×4, first 2 shown]
	ds_read_b128 v[0:3], v42 offset:448
	s_waitcnt lgkmcnt(1)
	v_fmac_f32_e32 v55, v14, v4
	v_fmac_f32_e32 v56, v15, v5
	v_fmac_f32_e32 v55, v34, v6
	v_fmac_f32_e32 v56, v35, v7
	ds_read_b128 v[4:7], v42 offset:464
	v_pk_mul_f32 v[36:37], s[16:17], v[36:37] op_sel_hi:[0,1]
	s_waitcnt lgkmcnt(1)
	v_fmac_f32_e32 v55, v36, v0
	v_fmac_f32_e32 v56, v37, v1
	;; [unrolled: 1-line block ×4, first 2 shown]
	ds_read_b128 v[0:3], v42 offset:480
	s_waitcnt vmcnt(2)
	v_cvt_pk_f32_fp8_e32 v[68:69], v83
	s_waitcnt lgkmcnt(1)
	v_fmac_f32_e32 v55, v70, v4
	v_fmac_f32_e32 v56, v71, v5
	s_waitcnt vmcnt(1)
	v_cvt_pk_f32_fp8_e32 v[74:75], v84
	v_fmac_f32_e32 v55, v72, v6
	v_fmac_f32_e32 v56, v73, v7
	ds_read_b128 v[4:7], v42 offset:496
	s_waitcnt vmcnt(0)
	v_cvt_pk_f32_fp8_e32 v[76:77], v85
	v_pk_mul_f32 v[20:21], s[16:17], v[20:21] op_sel_hi:[0,1]
	v_pk_mul_f32 v[68:69], s[16:17], v[68:69] op_sel_hi:[0,1]
	s_waitcnt lgkmcnt(1)
	v_fmac_f32_e32 v55, v20, v0
	v_fmac_f32_e32 v56, v21, v1
	v_pk_mul_f32 v[8:9], s[16:17], v[74:75] op_sel_hi:[0,1]
	v_fmac_f32_e32 v55, v68, v2
	v_fmac_f32_e32 v56, v69, v3
	v_pk_mul_f32 v[12:13], s[16:17], v[76:77] op_sel_hi:[0,1]
	s_waitcnt lgkmcnt(0)
	v_fmac_f32_e32 v55, v8, v4
	v_fmac_f32_e32 v56, v9, v5
	;; [unrolled: 1-line block ×4, first 2 shown]
	v_add_f32_e32 v0, v55, v56
	ds_bpermute_b32 v1, v16, v0
	s_and_saveexec_b64 s[56:57], vcc
	s_cbranch_execz .LBB206_11
; %bb.19:                               ;   in Loop: Header=BB206_13 Depth=1
	v_add_u32_e32 v2, v46, v45
	v_cvt_f32_i32_e32 v2, v2
	s_waitcnt lgkmcnt(0)
	v_add_f32_e32 v0, v0, v1
	v_add_u32_e32 v3, v41, v45
	v_cmp_gt_i32_e64 s[0:1], s33, v3
	v_mul_f32_e32 v1, s61, v2
	v_cndmask_b32_e64 v1, 0, v1, s[2:3]
	v_fmac_f32_e32 v1, s37, v0
	v_cndmask_b32_e64 v0, 0, v1, s[0:1]
	ds_write_b32 v47, v0
	v_max_f32_e32 v0, v44, v44
	v_max_f32_e32 v0, v0, v1
	v_cndmask_b32_e64 v44, v44, v0, s[0:1]
	s_branch .LBB206_11
.LBB206_20:
	s_or_b64 exec, exec, s[38:39]
	v_mov_b32_e32 v46, v86
.LBB206_21:
	s_or_b64 exec, exec, s[18:19]
	v_mbcnt_hi_u32_b32 v0, -1, v40
	v_and_b32_e32 v6, 64, v0
	v_add_u32_e32 v7, 64, v6
	s_waitcnt lgkmcnt(0)
	v_xor_b32_e32 v1, 32, v0
	v_cmp_lt_i32_e32 vcc, v1, v7
	v_xor_b32_e32 v4, 16, v0
	v_max_f32_e32 v3, v44, v44
	v_cndmask_b32_e32 v1, v0, v1, vcc
	v_lshlrev_b32_e32 v1, 2, v1
	ds_bpermute_b32 v2, v1, v44
	v_cmp_lt_i32_e32 vcc, v4, v7
	v_xor_b32_e32 v5, 8, v0
	v_xor_b32_e32 v8, 4, v0
	v_and_b32_e32 v47, 63, v46
	s_waitcnt lgkmcnt(0)
	v_max_f32_e32 v2, v2, v2
	v_max_f32_e32 v3, v3, v2
	v_cndmask_b32_e32 v2, v0, v4, vcc
	v_lshlrev_b32_e32 v2, 2, v2
	ds_bpermute_b32 v4, v2, v3
	v_cmp_lt_i32_e32 vcc, v5, v7
	s_waitcnt lgkmcnt(0)
	v_max_f32_e32 v4, v4, v4
	v_max_f32_e32 v4, v3, v4
	v_cndmask_b32_e32 v3, v0, v5, vcc
	v_lshlrev_b32_e32 v3, 2, v3
	ds_bpermute_b32 v5, v3, v4
	v_cmp_lt_i32_e32 vcc, v8, v7
	s_waitcnt lgkmcnt(0)
	v_max_f32_e32 v5, v5, v5
	v_max_f32_e32 v4, v4, v5
	v_cndmask_b32_e32 v5, v0, v8, vcc
	v_lshlrev_b32_e32 v40, 2, v5
	ds_bpermute_b32 v5, v40, v4
	v_xor_b32_e32 v8, 2, v0
	v_cmp_lt_i32_e32 vcc, v8, v7
	s_waitcnt lgkmcnt(0)
	v_max_f32_e32 v5, v5, v5
	v_max_f32_e32 v5, v4, v5
	v_cndmask_b32_e32 v4, v0, v8, vcc
	v_lshlrev_b32_e32 v45, 2, v4
	ds_bpermute_b32 v8, v45, v5
	v_cmp_eq_u32_e32 vcc, 0, v47
	v_lshlrev_b32_e32 v4, 2, v52
	s_and_saveexec_b64 s[0:1], vcc
	s_cbranch_execz .LBB206_23
; %bb.22:
	s_waitcnt lgkmcnt(0)
	v_max_f32_e32 v8, v8, v8
	v_max_f32_e32 v5, v5, v5
	;; [unrolled: 1-line block ×3, first 2 shown]
	ds_write_b32 v4, v5 offset:1024
.LBB206_23:
	s_or_b64 exec, exec, s[0:1]
	v_cmp_gt_u32_e64 s[0:1], 2, v47
	s_waitcnt lgkmcnt(0)
	v_mov_b32_e32 v8, 0xff7fffff
	v_lshlrev_b32_e32 v5, 2, v47
	s_barrier
	s_and_saveexec_b64 s[2:3], s[0:1]
; %bb.24:
	ds_read_b32 v8, v5 offset:1024
; %bb.25:
	s_or_b64 exec, exec, s[2:3]
	v_xor_b32_e32 v9, 1, v0
	v_cmp_lt_i32_e64 s[2:3], v9, v7
	v_lshlrev_b32_e32 v6, 2, v6
	s_nop 0
	v_cndmask_b32_e64 v7, v0, v9, s[2:3]
	v_lshlrev_b32_e32 v48, 2, v7
	s_waitcnt lgkmcnt(0)
	ds_bpermute_b32 v7, v48, v8
	v_max_f32_e32 v8, v8, v8
	s_lshl_b32 s2, s20, 5
	s_min_i32 s16, s2, s33
	v_cmp_gt_i32_e64 s[2:3], s16, v46
	s_waitcnt lgkmcnt(0)
	v_max_f32_e32 v7, v7, v7
	v_max_f32_e32 v7, v8, v7
	ds_bpermute_b32 v7, v6, v7
	v_mov_b32_e32 v6, 0
	s_and_saveexec_b64 s[12:13], s[2:3]
	s_cbranch_execz .LBB206_29
; %bb.26:
	v_mov_b32_e32 v6, 0x410
	v_lshl_add_u32 v8, v46, 2, v6
	v_mov_b32_e32 v6, 0
	s_mov_b64 s[18:19], 0
	v_mov_b32_e32 v9, v46
.LBB206_27:                             ; =>This Inner Loop Header: Depth=1
	ds_read_b32 v10, v8
	v_add_u32_e32 v9, 0x80, v9
	v_cmp_le_i32_e64 s[8:9], s16, v9
	s_or_b64 s[18:19], s[8:9], s[18:19]
	s_waitcnt lgkmcnt(0)
	v_sub_f32_e32 v10, v10, v7
	v_mul_f32_e32 v10, 0x3fb8aa3b, v10
	v_exp_f32_e32 v10, v10
	ds_write_b32 v8, v10
	v_add_f32_e32 v6, v6, v10
	v_add_u32_e32 v8, 0x200, v8
	s_andn2_b64 exec, exec, s[18:19]
	s_cbranch_execnz .LBB206_27
; %bb.28:
	s_or_b64 exec, exec, s[18:19]
.LBB206_29:
	s_or_b64 exec, exec, s[12:13]
	ds_bpermute_b32 v1, v1, v6
	s_waitcnt lgkmcnt(0)
	v_add_f32_e32 v1, v6, v1
	ds_bpermute_b32 v2, v2, v1
	s_waitcnt lgkmcnt(0)
	v_add_f32_e32 v1, v1, v2
	ds_bpermute_b32 v2, v3, v1
	s_waitcnt lgkmcnt(0)
	v_add_f32_e32 v1, v1, v2
	ds_bpermute_b32 v2, v40, v1
	s_waitcnt lgkmcnt(0)
	v_add_f32_e32 v1, v1, v2
	ds_bpermute_b32 v2, v45, v1
	s_waitcnt lgkmcnt(0)
	v_add_f32_e32 v1, v1, v2
	ds_bpermute_b32 v2, v48, v1
	s_waitcnt lgkmcnt(0)
	v_add_f32_e32 v1, v1, v2
	s_and_saveexec_b64 s[8:9], vcc
; %bb.30:
	ds_write_b32 v4, v1 offset:1032
; %bb.31:
	s_or_b64 exec, exec, s[8:9]
	s_waitcnt lgkmcnt(0)
	s_barrier
	s_and_saveexec_b64 s[8:9], s[0:1]
; %bb.32:
	ds_read_b32 v1, v5 offset:1032
; %bb.33:
	s_or_b64 exec, exec, s[8:9]
	s_waitcnt lgkmcnt(0)
	ds_bpermute_b32 v2, v48, v1
	v_lshlrev_b32_e32 v0, 2, v0
	v_and_b32_e32 v0, 0x100, v0
	s_waitcnt lgkmcnt(0)
	v_add_f32_e32 v1, v1, v2
	ds_bpermute_b32 v0, v0, v1
	s_and_saveexec_b64 s[0:1], s[2:3]
	s_cbranch_execz .LBB206_46
; %bb.34:
	s_waitcnt lgkmcnt(0)
	v_add_f32_e32 v0, 0x358637bd, v0
	v_div_scale_f32 v1, s[2:3], v0, v0, 1.0
	v_rcp_f32_e32 v2, v1
	v_div_scale_f32 v3, vcc, 1.0, v0, 1.0
	s_movk_i32 s2, 0x7f
	v_fma_f32 v4, -v1, v2, 1.0
	v_fmac_f32_e32 v2, v4, v2
	v_mul_f32_e32 v4, v3, v2
	v_fma_f32 v5, -v1, v4, v3
	v_fmac_f32_e32 v4, v5, v2
	v_fma_f32 v1, -v1, v4, v3
	v_div_fmas_f32 v1, v1, v2, v4
	v_xad_u32 v2, v46, -1, s16
	v_div_fixup_f32 v0, v1, v0, 1.0
	v_cmp_lt_u32_e32 vcc, s2, v2
	s_mov_b64 s[8:9], -1
	v_mov_b32_e32 v1, v46
	s_and_saveexec_b64 s[2:3], vcc
	s_cbranch_execz .LBB206_43
; %bb.35:
	v_lshrrev_b32_e32 v2, 7, v2
	v_add_u32_e32 v4, -1, v2
	v_lshrrev_b32_e32 v3, 1, v4
	v_mov_b32_e32 v1, v0
	v_add_u32_e32 v3, 1, v3
	v_cmp_lt_u32_e32 vcc, 13, v4
	v_mov_b32_e32 v6, 0
	s_and_saveexec_b64 s[8:9], vcc
	s_cbranch_execz .LBB206_39
; %bb.36:
	v_mov_b32_e32 v5, 0x410
	v_and_b32_e32 v4, -8, v3
	v_lshl_add_u32 v5, v46, 2, v5
	s_mov_b32 s18, 0
	s_mov_b64 s[12:13], 0
.LBB206_37:                             ; =>This Inner Loop Header: Depth=1
	ds_read2st64_b32 v[6:7], v5 offset1:2
	ds_read2st64_b32 v[8:9], v5 offset0:4 offset1:6
	ds_read2st64_b32 v[10:11], v5 offset0:8 offset1:10
	;; [unrolled: 1-line block ×3, first 2 shown]
	v_add_u32_e32 v4, -8, v4
	s_waitcnt lgkmcnt(3)
	v_pk_mul_f32 v[6:7], v[0:1], v[6:7]
	s_waitcnt lgkmcnt(2)
	v_pk_mul_f32 v[8:9], v[0:1], v[8:9]
	ds_write2st64_b32 v5, v6, v7 offset1:2
	ds_write2st64_b32 v5, v8, v9 offset0:4 offset1:6
	ds_read2st64_b32 v[8:9], v5 offset0:16 offset1:18
	s_waitcnt lgkmcnt(4)
	v_pk_mul_f32 v[6:7], v[0:1], v[10:11]
	ds_write2st64_b32 v5, v6, v7 offset0:8 offset1:10
	s_waitcnt lgkmcnt(4)
	v_pk_mul_f32 v[6:7], v[0:1], v[12:13]
	ds_write2st64_b32 v5, v6, v7 offset0:12 offset1:14
	ds_read2st64_b32 v[6:7], v5 offset0:20 offset1:22
	s_waitcnt lgkmcnt(3)
	v_pk_mul_f32 v[8:9], v[0:1], v[8:9]
	ds_read2st64_b32 v[10:11], v5 offset0:24 offset1:26
	ds_write2st64_b32 v5, v8, v9 offset0:16 offset1:18
	ds_read2st64_b32 v[8:9], v5 offset0:28 offset1:30
	s_waitcnt lgkmcnt(3)
	v_pk_mul_f32 v[6:7], v[0:1], v[6:7]
	ds_write2st64_b32 v5, v6, v7 offset0:20 offset1:22
	s_waitcnt lgkmcnt(3)
	v_pk_mul_f32 v[6:7], v[0:1], v[10:11]
	ds_write2st64_b32 v5, v6, v7 offset0:24 offset1:26
	s_waitcnt lgkmcnt(2)
	v_pk_mul_f32 v[6:7], v[0:1], v[8:9]
	s_add_i32 s18, s18, 16
	v_cmp_eq_u32_e32 vcc, 0, v4
	ds_write2st64_b32 v5, v6, v7 offset0:28 offset1:30
	v_add_u32_e32 v5, 0x2000, v5
	s_or_b64 s[12:13], vcc, s[12:13]
	v_mov_b32_e32 v6, s18
	s_andn2_b64 exec, exec, s[12:13]
	s_cbranch_execnz .LBB206_37
; %bb.38:
	s_or_b64 exec, exec, s[12:13]
.LBB206_39:
	s_or_b64 exec, exec, s[8:9]
	v_and_b32_e32 v3, 7, v3
	v_cmp_ne_u32_e32 vcc, 0, v3
	s_and_saveexec_b64 s[8:9], vcc
	s_cbranch_execz .LBB206_42
; %bb.40:
	v_lshlrev_b32_e32 v4, 9, v6
	s_movk_i32 s12, 0x410
	v_add3_u32 v4, v4, v38, s12
	s_mov_b64 s[12:13], 0
.LBB206_41:                             ; =>This Inner Loop Header: Depth=1
	ds_read2st64_b32 v[6:7], v4 offset1:2
	v_add_u32_e32 v3, -1, v3
	v_cmp_eq_u32_e32 vcc, 0, v3
	s_or_b64 s[12:13], vcc, s[12:13]
	s_waitcnt lgkmcnt(0)
	v_pk_mul_f32 v[6:7], v[0:1], v[6:7]
	ds_write2st64_b32 v4, v6, v7 offset1:2
	v_add_u32_e32 v4, 0x400, v4
	s_andn2_b64 exec, exec, s[12:13]
	s_cbranch_execnz .LBB206_41
.LBB206_42:
	s_or_b64 exec, exec, s[8:9]
	v_add_u32_e32 v2, 1, v2
	v_and_b32_e32 v3, 0x3fffffe, v2
	v_cmp_ne_u32_e32 vcc, v2, v3
	v_lshl_add_u32 v1, v3, 7, v46
	s_orn2_b64 s[8:9], vcc, exec
.LBB206_43:
	s_or_b64 exec, exec, s[2:3]
	s_and_b64 exec, exec, s[8:9]
	s_cbranch_execz .LBB206_46
; %bb.44:
	v_mov_b32_e32 v2, 0x410
	v_lshl_add_u32 v2, v1, 2, v2
	s_mov_b64 s[2:3], 0
.LBB206_45:                             ; =>This Inner Loop Header: Depth=1
	ds_read_b32 v3, v2
	v_add_u32_e32 v1, 0x80, v1
	v_cmp_le_i32_e32 vcc, s16, v1
	s_or_b64 s[2:3], vcc, s[2:3]
	s_waitcnt lgkmcnt(0)
	v_mul_f32_e32 v3, v0, v3
	ds_write_b32 v2, v3
	v_add_u32_e32 v2, 0x200, v2
	s_andn2_b64 exec, exec, s[2:3]
	s_cbranch_execnz .LBB206_45
.LBB206_46:
	s_or_b64 exec, exec, s[0:1]
	v_mov_b32_e32 v1, 0
	s_waitcnt lgkmcnt(0)
	v_mov_b32_e32 v0, 0
	s_barrier
	scratch_store_dwordx2 off, v[0:1], off offset:64 ; 8-byte Folded Spill
	v_mov_b32_e32 v1, 0
	v_mov_b32_e32 v0, 0
	scratch_store_dwordx2 off, v[0:1], off offset:72 ; 8-byte Folded Spill
	v_mov_b32_e32 v1, 0
	v_mov_b32_e32 v0, 0
	;; [unrolled: 3-line block ×9, first 2 shown]
	v_mov_b32_e32 v51, 0
	v_and_b32_e32 v49, 7, v46
	v_mov_b32_e32 v50, 0
	v_mov_b32_e32 v43, 0
	;; [unrolled: 1-line block ×7, first 2 shown]
	scratch_store_dwordx2 off, v[0:1], off offset:136 ; 8-byte Folded Spill
	v_mov_b32_e32 v3, 0
	v_mov_b32_e32 v2, 0
	;; [unrolled: 1-line block ×4, first 2 shown]
	s_and_saveexec_b64 s[2:3], s[6:7]
	s_cbranch_execz .LBB206_116
; %bb.47:
	s_sub_i32 s21, s59, s21
	s_ashr_i32 s0, s60, 31
	s_add_u32 s6, s34, s60
	v_and_b32_e32 v0, 28, v38
	s_addc_u32 s7, s35, s0
	s_abs_i32 s22, s22
	scratch_store_dword off, v48, off offset:240 ; 4-byte Folded Spill
	scratch_store_dword off, v45, off offset:236 ; 4-byte Folded Spill
	;; [unrolled: 1-line block ×6, first 2 shown]
	v_cvt_f32_u32_e32 v0, s22
	s_sub_i32 s0, 0, s22
	s_add_i32 s34, s20, -1
	v_mov_b32_e32 v3, 0
	v_rcp_iflag_f32_e32 v0, v0
	v_or_b32_e32 v4, 0xf00, v38
	v_mov_b32_e32 v5, v3
	s_mov_b32 s37, s17
	v_mul_f32_e32 v0, 0x4f7ffffe, v0
	v_cvt_u32_f32_e32 v0, v0
	scratch_store_dwordx2 off, v[4:5], off offset:208 ; 8-byte Folded Spill
	v_or_b32_e32 v4, 0x1f00, v38
	s_mov_b32 s35, s33
	v_mul_lo_u32 v1, s0, v0
	v_mul_hi_u32 v1, v0, v1
	s_lshl_b64 s[0:1], s[30:31], 2
	v_add_u32_e32 v0, v0, v1
	s_add_u32 s0, s28, s0
	scratch_store_dword off, v0, off offset:184 ; 4-byte Folded Spill
	v_and_b32_e32 v0, 60, v39
	v_mov_b32_e32 v1, v3
	s_addc_u32 s1, s29, s1
	v_lshl_add_u64 v[44:45], s[0:1], 0, v[0:1]
	v_lshlrev_b32_e32 v0, 4, v49
	v_lshl_or_b32 v0, v52, 7, v0
	v_add_u32_e32 v54, 0x410, v0
	s_mov_b64 s[8:9], 0
	v_mov_b32_e32 v0, v3
	v_mov_b32_e32 v6, v3
	;; [unrolled: 1-line block ×3, first 2 shown]
	v_and_b32_e32 v2, 0xfc, v38
	scratch_store_dwordx2 off, v[4:5], off offset:216 ; 8-byte Folded Spill
	scratch_store_dword off, v49, off offset:244 ; 4-byte Folded Spill
	scratch_store_dwordx2 off, v[0:1], off offset:176 ; 8-byte Folded Spill
	scratch_store_dwordx2 off, v[0:1], off offset:168 ; 8-byte Folded Spill
	;; [unrolled: 1-line block ×16, first 2 shown]
	s_branch .LBB206_50
.LBB206_48:                             ;   in Loop: Header=BB206_50 Depth=1
	s_or_b64 exec, exec, s[16:17]
	v_mul_f32_e32 v14, v2, v14
	v_mul_f32_e32 v10, v2, v10
	v_fmac_f32_e32 v14, v3, v15
	v_fmac_f32_e32 v10, v3, v11
	;; [unrolled: 1-line block ×6, first 2 shown]
	scratch_load_dwordx2 v[8:9], off, off offset:144 ; 8-byte Folded Reload
	scratch_load_dwordx2 v[12:13], off, off offset:152 ; 8-byte Folded Reload
	v_mul_f32_e32 v46, v2, v46
	v_mul_f32_e32 v34, v2, v34
	v_fmac_f32_e32 v46, v3, v47
	v_fmac_f32_e32 v34, v3, v35
	v_fmac_f32_e32 v46, v4, v36
	v_fmac_f32_e32 v34, v4, v32
	v_fmac_f32_e32 v46, v5, v37
	v_fmac_f32_e32 v34, v5, v33
	v_mul_f32_e32 v30, v2, v30
	v_mul_f32_e32 v26, v2, v26
	v_fmac_f32_e32 v30, v3, v31
	v_fmac_f32_e32 v26, v3, v27
	v_fmac_f32_e32 v30, v4, v28
	v_fmac_f32_e32 v26, v4, v24
	v_fmac_f32_e32 v30, v5, v29
	v_fmac_f32_e32 v26, v5, v25
	;; [unrolled: 8-line block ×3, first 2 shown]
	v_mul_f32_e32 v6, v2, v6
	v_fmac_f32_e32 v6, v3, v7
	v_mul_f32_e32 v7, v2, v42
	v_fmac_f32_e32 v7, v3, v43
	v_fmac_f32_e32 v6, v4, v38
	;; [unrolled: 1-line block ×5, first 2 shown]
	v_mul_f32_e32 v0, v2, v40
	v_fmac_f32_e32 v0, v3, v41
	v_fmac_f32_e32 v0, v4, v126
	;; [unrolled: 1-line block ×3, first 2 shown]
	v_mul_f32_e32 v50, v2, v50
	v_fmac_f32_e32 v50, v3, v51
	v_fmac_f32_e32 v50, v4, v48
	v_fmac_f32_e32 v50, v5, v49
	s_waitcnt vmcnt(0)
	v_add_f32_e32 v13, v13, v46
	v_add_f32_e32 v12, v12, v34
	scratch_store_dwordx2 off, v[12:13], off offset:152 ; 8-byte Folded Spill
	scratch_load_dwordx2 v[12:13], off, off offset:160 ; 8-byte Folded Reload
	s_waitcnt vmcnt(0)
	v_add_f32_e32 v13, v13, v30
	v_add_f32_e32 v12, v12, v26
	scratch_store_dwordx2 off, v[12:13], off offset:160 ; 8-byte Folded Spill
	scratch_load_dwordx2 v[12:13], off, off offset:64 ; 8-byte Folded Reload
	s_waitcnt vmcnt(0)
	v_add_f32_e32 v13, v13, v22
	v_add_f32_e32 v12, v12, v18
	scratch_store_dwordx2 off, v[12:13], off offset:64 ; 8-byte Folded Spill
	scratch_load_dwordx2 v[12:13], off, off offset:72 ; 8-byte Folded Reload
	s_waitcnt vmcnt(0)
	v_add_f32_e32 v12, v12, v10
	scratch_load_dwordx2 v[10:11], off, off offset:80 ; 8-byte Folded Reload
	v_add_f32_e32 v13, v13, v14
	scratch_store_dwordx2 off, v[12:13], off offset:72 ; 8-byte Folded Spill
	scratch_load_dwordx2 v[12:13], off, off offset:32 ; 8-byte Folded Reload
	s_waitcnt vmcnt(2)
	v_add_f32_e32 v11, v11, v6
	v_add_f32_e32 v10, v10, v7
	scratch_load_dwordx2 v[6:7], off, off offset:188 ; 8-byte Folded Reload
	s_nop 0
	scratch_store_dwordx2 off, v[10:11], off offset:80 ; 8-byte Folded Spill
	scratch_load_dwordx2 v[10:11], off, off offset:88 ; 8-byte Folded Reload
	s_waitcnt vmcnt(2)
	v_add_f32_e32 v7, v7, v0
	v_mul_f32_e32 v0, v2, v124
	v_fmac_f32_e32 v0, v3, v125
	v_fmac_f32_e32 v0, v4, v122
	;; [unrolled: 1-line block ×3, first 2 shown]
	v_add_f32_e32 v6, v6, v0
	v_mul_f32_e32 v0, v2, v120
	v_fmac_f32_e32 v0, v3, v121
	v_fmac_f32_e32 v0, v4, v118
	v_fmac_f32_e32 v0, v5, v119
	s_waitcnt vmcnt(0)
	v_add_f32_e32 v11, v11, v0
	v_mul_f32_e32 v0, v2, v116
	v_fmac_f32_e32 v0, v3, v117
	v_fmac_f32_e32 v0, v4, v114
	v_fmac_f32_e32 v0, v5, v115
	v_add_f32_e32 v10, v10, v0
	scratch_store_dwordx2 off, v[10:11], off offset:88 ; 8-byte Folded Spill
	scratch_load_dwordx2 v[10:11], off, off offset:96 ; 8-byte Folded Reload
	v_mul_f32_e32 v0, v2, v112
	v_fmac_f32_e32 v0, v3, v113
	v_fmac_f32_e32 v0, v4, v110
	v_fmac_f32_e32 v0, v5, v111
	s_waitcnt vmcnt(0)
	v_add_f32_e32 v11, v11, v0
	v_mul_f32_e32 v0, v2, v108
	v_fmac_f32_e32 v0, v3, v109
	v_fmac_f32_e32 v0, v4, v106
	v_fmac_f32_e32 v0, v5, v107
	v_add_f32_e32 v10, v10, v0
	scratch_store_dwordx2 off, v[10:11], off offset:96 ; 8-byte Folded Spill
	scratch_load_dwordx2 v[10:11], off, off offset:104 ; 8-byte Folded Reload
	;; [unrolled: 13-line block ×6, first 2 shown]
	v_mul_f32_e32 v0, v2, v68
	v_fmac_f32_e32 v0, v3, v69
	v_fmac_f32_e32 v0, v4, v66
	;; [unrolled: 1-line block ×3, first 2 shown]
	s_waitcnt vmcnt(0)
	v_add_f32_e32 v11, v11, v0
	v_mul_f32_e32 v0, v2, v64
	v_fmac_f32_e32 v0, v3, v65
	v_fmac_f32_e32 v0, v4, v62
	;; [unrolled: 1-line block ×3, first 2 shown]
	v_add_f32_e32 v10, v10, v0
	scratch_load_dwordx2 v[0:1], off, off offset:56 ; 8-byte Folded Reload
	s_nop 0
	scratch_store_dwordx2 off, v[10:11], off offset:136 ; 8-byte Folded Spill
	scratch_load_dwordx2 v[10:11], off, off offset:48 ; 8-byte Folded Reload
	s_waitcnt vmcnt(2)
	v_mul_f32_e32 v0, v2, v0
	v_fmac_f32_e32 v0, v3, v1
	s_waitcnt vmcnt(0)
	v_fmac_f32_e32 v0, v4, v10
	v_fmac_f32_e32 v0, v5, v11
	scratch_load_dwordx2 v[10:11], off, off offset:168 ; 8-byte Folded Reload
	s_waitcnt vmcnt(0)
	v_add_f32_e32 v11, v11, v0
	scratch_load_dwordx2 v[0:1], off, off offset:40 ; 8-byte Folded Reload
	s_waitcnt vmcnt(0)
	v_mul_f32_e32 v0, v2, v0
	v_fmac_f32_e32 v0, v3, v1
	v_fmac_f32_e32 v0, v4, v12
	;; [unrolled: 1-line block ×3, first 2 shown]
	v_add_f32_e32 v10, v10, v0
	scratch_load_dwordx2 v[0:1], off, off offset:24 ; 8-byte Folded Reload
	scratch_load_dwordx2 v[12:13], off, off ; 8-byte Folded Reload
	s_nop 0
	scratch_store_dwordx2 off, v[10:11], off offset:168 ; 8-byte Folded Spill
	scratch_load_dwordx2 v[10:11], off, off offset:16 ; 8-byte Folded Reload
	s_waitcnt vmcnt(3)
	v_mul_f32_e32 v0, v2, v0
	v_fmac_f32_e32 v0, v3, v1
	s_waitcnt vmcnt(0)
	v_fmac_f32_e32 v0, v4, v10
	v_fmac_f32_e32 v0, v5, v11
	scratch_load_dwordx2 v[10:11], off, off offset:176 ; 8-byte Folded Reload
	s_waitcnt vmcnt(0)
	v_add_f32_e32 v11, v11, v0
	scratch_load_dwordx2 v[0:1], off, off offset:8 ; 8-byte Folded Reload
	v_add_f32_e32 v8, v8, v50
	s_waitcnt vmcnt(0)
	v_mul_f32_e32 v0, v2, v0
	v_fmac_f32_e32 v0, v3, v1
	v_fmac_f32_e32 v0, v4, v12
	;; [unrolled: 1-line block ×3, first 2 shown]
	v_add_f32_e32 v10, v10, v0
	v_pk_mul_f32 v[0:1], v[2:3], v[76:77]
	v_pk_mul_f32 v[2:3], v[4:5], v[72:73]
	v_add_f32_e32 v0, v1, v0
	v_add_f32_e32 v0, v2, v0
	;; [unrolled: 1-line block ×4, first 2 shown]
	scratch_store_dwordx2 off, v[10:11], off offset:176 ; 8-byte Folded Spill
	scratch_store_dwordx2 off, v[8:9], off offset:144 ; 8-byte Folded Spill
.LBB206_49:                             ;   in Loop: Header=BB206_50 Depth=1
	s_or_b64 exec, exec, s[12:13]
	v_add_u32_e32 v52, 2, v52
	v_cmp_le_i32_e32 vcc, s20, v52
	v_lshl_add_u64 v[44:45], v[44:45], 0, 8
	v_add_u32_e32 v53, 64, v53
	s_or_b64 s[8:9], vcc, s[8:9]
	v_add_u32_e32 v54, 0x100, v54
	s_andn2_b64 exec, exec, s[8:9]
	s_cbranch_execz .LBB206_115
.LBB206_50:                             ; =>This Inner Loop Header: Depth=1
	v_mul_hi_u32 v0, v53, s58
	v_mul_lo_u32 v1, v0, s25
	v_sub_u32_e32 v1, v53, v1
	v_add_u32_e32 v2, 1, v0
	v_cmp_le_u32_e32 vcc, s25, v1
	s_nop 1
	v_cndmask_b32_e32 v0, v0, v2, vcc
	v_subrev_u32_e32 v2, s25, v1
	v_cndmask_b32_e32 v1, v1, v2, vcc
	v_add_u32_e32 v2, 1, v0
	v_cmp_le_u32_e32 vcc, s25, v1
	s_nop 1
	v_cndmask_b32_e32 v0, v0, v2, vcc
	v_xor_b32_e32 v0, s23, v0
	v_subrev_u32_e32 v0, s23, v0
	v_add_u32_e32 v1, s36, v0
	v_sub_u32_e32 v3, 0, v1
	v_ashrrev_i32_e32 v2, 31, v1
	v_max_i32_e32 v1, v1, v3
	scratch_load_dword v3, off, off offset:184 ; 4-byte Folded Reload
	v_cmp_lt_i32_e64 s[0:1], s21, v0
	s_waitcnt vmcnt(0)
	v_mul_hi_u32 v3, v1, v3
	v_mul_lo_u32 v3, v3, s22
	v_sub_u32_e32 v1, v1, v3
	v_subrev_u32_e32 v3, s22, v1
	v_cmp_le_u32_e32 vcc, s22, v1
	s_nop 1
	v_cndmask_b32_e32 v1, v1, v3, vcc
	v_subrev_u32_e32 v3, s22, v1
	v_cmp_le_u32_e32 vcc, s22, v1
	s_nop 1
	v_cndmask_b32_e32 v1, v1, v3, vcc
	v_xor_b32_e32 v1, v1, v2
	v_sub_u32_e32 v1, v1, v2
	v_cmp_eq_u32_e32 vcc, 0, v1
	s_or_b64 s[0:1], vcc, s[0:1]
	s_and_saveexec_b64 s[12:13], s[0:1]
	s_cbranch_execz .LBB206_49
; %bb.51:                               ;   in Loop: Header=BB206_50 Depth=1
	global_load_dword v2, v[44:45], off
	v_mov_b64_e32 v[0:1], s[6:7]
	scratch_store_dwordx2 off, v[6:7], off offset:188 ; 8-byte Folded Spill
	s_waitcnt vmcnt(1)
	v_mad_i64_i32 v[60:61], s[0:1], v2, s37, v[0:1]
	scratch_load_dwordx2 v[0:1], off, off offset:200 ; 8-byte Folded Reload
	v_cmp_eq_u32_e64 s[0:1], s34, v52
	s_waitcnt vmcnt(0)
	v_lshl_add_u64 v[76:77], v[60:61], 0, v[0:1]
	global_load_dword v0, v[76:77], off
	scratch_load_dword v1, off, off offset:196 ; 4-byte Folded Reload
	s_load_dword s16, s[14:15], 0x0
	ds_read_b128 v[2:5], v54
	s_waitcnt vmcnt(1)
	v_lshrrev_b32_e32 v6, 16, v0
	s_waitcnt vmcnt(0)
	v_add_u32_e32 v55, v1, v53
	v_and_b32_e32 v1, 0xffff, v0
	v_cvt_pk_f32_fp8_e32 v[0:1], v1
	v_cvt_pk_f32_fp8_e32 v[6:7], v6
	v_add_u32_e32 v56, 1, v55
	v_add_u32_e32 v57, 2, v55
	s_waitcnt lgkmcnt(0)
	v_pk_mul_f32 v[0:1], v[0:1], s[16:17] op_sel_hi:[1,0]
	scratch_store_dwordx2 off, v[0:1], off offset:8 ; 8-byte Folded Spill
	v_pk_mul_f32 v[0:1], s[16:17], v[6:7] op_sel_hi:[0,1]
	v_add_u32_e32 v72, 3, v55
	scratch_store_dwordx2 off, v[0:1], off  ; 8-byte Folded Spill
	s_and_saveexec_b64 s[18:19], s[0:1]
	s_cbranch_execz .LBB206_53
; %bb.52:                               ;   in Loop: Header=BB206_50 Depth=1
	scratch_load_dwordx2 v[0:1], off, off offset:8 ; 8-byte Folded Reload
	v_cmp_gt_i32_e32 vcc, s33, v55
	s_waitcnt vmcnt(0)
	s_nop 0
	v_cndmask_b32_e32 v0, 0, v0, vcc
	v_cmp_gt_i32_e32 vcc, s33, v56
	s_nop 1
	v_cndmask_b32_e32 v1, 0, v1, vcc
	scratch_store_dwordx2 off, v[0:1], off offset:8 ; 8-byte Folded Spill
	scratch_load_dwordx2 v[0:1], off, off   ; 8-byte Folded Reload
	v_cmp_gt_i32_e32 vcc, s33, v57
	s_waitcnt vmcnt(0)
	s_nop 0
	v_cndmask_b32_e32 v0, 0, v0, vcc
	v_cmp_gt_i32_e32 vcc, s33, v72
	s_nop 1
	v_cndmask_b32_e32 v1, 0, v1, vcc
	scratch_store_dwordx2 off, v[0:1], off  ; 8-byte Folded Spill
.LBB206_53:                             ;   in Loop: Header=BB206_50 Depth=1
	s_or_b64 exec, exec, s[18:19]
	global_load_dword v0, v[76:77], off offset:256
	s_mov_b32 s17, s16
	s_waitcnt vmcnt(0)
	v_and_b32_e32 v1, 0xffff, v0
	v_lshrrev_b32_e32 v6, 16, v0
	v_cvt_pk_f32_fp8_e32 v[0:1], v1
	v_cvt_pk_f32_fp8_e32 v[6:7], v6
	v_pk_mul_f32 v[0:1], s[16:17], v[0:1]
	scratch_store_dwordx2 off, v[0:1], off offset:24 ; 8-byte Folded Spill
	v_pk_mul_f32 v[0:1], s[16:17], v[6:7]
	scratch_store_dwordx2 off, v[0:1], off offset:16 ; 8-byte Folded Spill
	s_and_saveexec_b64 s[18:19], s[0:1]
	s_cbranch_execz .LBB206_55
; %bb.54:                               ;   in Loop: Header=BB206_50 Depth=1
	scratch_load_dwordx2 v[0:1], off, off offset:24 ; 8-byte Folded Reload
	v_cmp_gt_i32_e32 vcc, s33, v55
	s_waitcnt vmcnt(0)
	s_nop 0
	v_cndmask_b32_e32 v0, 0, v0, vcc
	v_cmp_gt_i32_e32 vcc, s33, v56
	s_nop 1
	v_cndmask_b32_e32 v1, 0, v1, vcc
	scratch_store_dwordx2 off, v[0:1], off offset:24 ; 8-byte Folded Spill
	scratch_load_dwordx2 v[0:1], off, off offset:16 ; 8-byte Folded Reload
	v_cmp_gt_i32_e32 vcc, s33, v57
	s_waitcnt vmcnt(0)
	s_nop 0
	v_cndmask_b32_e32 v0, 0, v0, vcc
	v_cmp_gt_i32_e32 vcc, s33, v72
	s_nop 1
	v_cndmask_b32_e32 v1, 0, v1, vcc
	scratch_store_dwordx2 off, v[0:1], off offset:16 ; 8-byte Folded Spill
.LBB206_55:                             ;   in Loop: Header=BB206_50 Depth=1
	s_or_b64 exec, exec, s[18:19]
	global_load_dword v0, v[76:77], off offset:512
	s_waitcnt vmcnt(0)
	v_and_b32_e32 v1, 0xffff, v0
	v_lshrrev_b32_e32 v6, 16, v0
	v_cvt_pk_f32_fp8_e32 v[0:1], v1
	v_cvt_pk_f32_fp8_e32 v[6:7], v6
	v_pk_mul_f32 v[0:1], s[16:17], v[0:1]
	scratch_store_dwordx2 off, v[0:1], off offset:40 ; 8-byte Folded Spill
	v_pk_mul_f32 v[0:1], s[16:17], v[6:7]
	scratch_store_dwordx2 off, v[0:1], off offset:32 ; 8-byte Folded Spill
	s_and_saveexec_b64 s[18:19], s[0:1]
	s_cbranch_execz .LBB206_57
; %bb.56:                               ;   in Loop: Header=BB206_50 Depth=1
	scratch_load_dwordx2 v[0:1], off, off offset:40 ; 8-byte Folded Reload
	v_cmp_gt_i32_e32 vcc, s33, v55
	s_waitcnt vmcnt(0)
	s_nop 0
	v_cndmask_b32_e32 v0, 0, v0, vcc
	v_cmp_gt_i32_e32 vcc, s33, v56
	s_nop 1
	v_cndmask_b32_e32 v1, 0, v1, vcc
	scratch_store_dwordx2 off, v[0:1], off offset:40 ; 8-byte Folded Spill
	scratch_load_dwordx2 v[0:1], off, off offset:32 ; 8-byte Folded Reload
	v_cmp_gt_i32_e32 vcc, s33, v57
	s_waitcnt vmcnt(0)
	s_nop 0
	v_cndmask_b32_e32 v0, 0, v0, vcc
	v_cmp_gt_i32_e32 vcc, s33, v72
	s_nop 1
	v_cndmask_b32_e32 v1, 0, v1, vcc
	scratch_store_dwordx2 off, v[0:1], off offset:32 ; 8-byte Folded Spill
.LBB206_57:                             ;   in Loop: Header=BB206_50 Depth=1
	s_or_b64 exec, exec, s[18:19]
	global_load_dword v0, v[76:77], off offset:768
	;; [unrolled: 33-line block ×3, first 2 shown]
	s_waitcnt vmcnt(0)
	v_and_b32_e32 v1, 0xffff, v0
	v_lshrrev_b32_e32 v6, 16, v0
	v_cvt_pk_f32_fp8_e32 v[0:1], v1
	v_cvt_pk_f32_fp8_e32 v[6:7], v6
	v_pk_mul_f32 v[64:65], s[16:17], v[0:1]
	v_pk_mul_f32 v[62:63], s[16:17], v[6:7]
	s_and_saveexec_b64 s[18:19], s[0:1]
; %bb.60:                               ;   in Loop: Header=BB206_50 Depth=1
	v_cmp_gt_i32_e32 vcc, s33, v55
	s_nop 1
	v_cndmask_b32_e32 v64, 0, v64, vcc
	v_cmp_gt_i32_e32 vcc, s33, v56
	s_nop 1
	v_cndmask_b32_e32 v65, 0, v65, vcc
	v_cmp_gt_i32_e32 vcc, s33, v57
	s_nop 1
	v_cndmask_b32_e32 v62, 0, v62, vcc
	v_cmp_gt_i32_e32 vcc, s33, v72
	s_nop 1
	v_cndmask_b32_e32 v63, 0, v63, vcc
; %bb.61:                               ;   in Loop: Header=BB206_50 Depth=1
	s_or_b64 exec, exec, s[18:19]
	global_load_dword v0, v[76:77], off offset:1280
	s_waitcnt vmcnt(0)
	v_and_b32_e32 v1, 0xffff, v0
	v_lshrrev_b32_e32 v6, 16, v0
	v_cvt_pk_f32_fp8_e32 v[0:1], v1
	v_cvt_pk_f32_fp8_e32 v[6:7], v6
	v_pk_mul_f32 v[68:69], s[16:17], v[0:1]
	v_pk_mul_f32 v[66:67], s[16:17], v[6:7]
	s_and_saveexec_b64 s[18:19], s[0:1]
; %bb.62:                               ;   in Loop: Header=BB206_50 Depth=1
	v_cmp_gt_i32_e32 vcc, s33, v55
	s_nop 1
	v_cndmask_b32_e32 v68, 0, v68, vcc
	v_cmp_gt_i32_e32 vcc, s33, v56
	s_nop 1
	v_cndmask_b32_e32 v69, 0, v69, vcc
	v_cmp_gt_i32_e32 vcc, s33, v57
	s_nop 1
	v_cndmask_b32_e32 v66, 0, v66, vcc
	v_cmp_gt_i32_e32 vcc, s33, v72
	s_nop 1
	v_cndmask_b32_e32 v67, 0, v67, vcc
; %bb.63:                               ;   in Loop: Header=BB206_50 Depth=1
	s_or_b64 exec, exec, s[18:19]
	global_load_dword v0, v[76:77], off offset:1536
	;; [unrolled: 24-line block ×10, first 2 shown]
	s_waitcnt vmcnt(0)
	v_and_b32_e32 v1, 0xffff, v0
	v_lshrrev_b32_e32 v6, 16, v0
	v_cvt_pk_f32_fp8_e32 v[0:1], v1
	v_cvt_pk_f32_fp8_e32 v[6:7], v6
	v_pk_mul_f32 v[108:109], s[16:17], v[0:1]
	v_pk_mul_f32 v[106:107], s[16:17], v[6:7]
	s_and_saveexec_b64 s[18:19], s[0:1]
; %bb.80:                               ;   in Loop: Header=BB206_50 Depth=1
	v_cmp_gt_i32_e32 vcc, s33, v55
	s_nop 1
	v_cndmask_b32_e32 v108, 0, v108, vcc
	v_cmp_gt_i32_e32 vcc, s33, v56
	s_nop 1
	v_cndmask_b32_e32 v109, 0, v109, vcc
	;; [unrolled: 3-line block ×4, first 2 shown]
; %bb.81:                               ;   in Loop: Header=BB206_50 Depth=1
	s_or_b64 exec, exec, s[18:19]
	scratch_load_dwordx2 v[0:1], off, off offset:208 ; 8-byte Folded Reload
	s_waitcnt vmcnt(0)
	v_lshl_add_u64 v[0:1], v[60:61], 0, v[0:1]
	global_load_dword v0, v[0:1], off
	s_waitcnt vmcnt(0)
	v_and_b32_e32 v1, 0xffff, v0
	v_lshrrev_b32_e32 v6, 16, v0
	v_cvt_pk_f32_fp8_e32 v[0:1], v1
	v_cvt_pk_f32_fp8_e32 v[6:7], v6
	v_pk_mul_f32 v[112:113], s[16:17], v[0:1]
	v_pk_mul_f32 v[110:111], s[16:17], v[6:7]
	s_and_saveexec_b64 s[18:19], s[0:1]
; %bb.82:                               ;   in Loop: Header=BB206_50 Depth=1
	v_cmp_gt_i32_e32 vcc, s33, v55
	s_nop 1
	v_cndmask_b32_e32 v112, 0, v112, vcc
	v_cmp_gt_i32_e32 vcc, s33, v56
	s_nop 1
	v_cndmask_b32_e32 v113, 0, v113, vcc
	;; [unrolled: 3-line block ×4, first 2 shown]
; %bb.83:                               ;   in Loop: Header=BB206_50 Depth=1
	s_or_b64 exec, exec, s[18:19]
	v_add_co_u32_e32 v0, vcc, 0x1000, v76
	s_nop 1
	v_addc_co_u32_e32 v1, vcc, 0, v77, vcc
	global_load_dword v0, v[0:1], off
	s_waitcnt vmcnt(0)
	v_and_b32_e32 v1, 0xffff, v0
	v_lshrrev_b32_e32 v6, 16, v0
	v_cvt_pk_f32_fp8_e32 v[0:1], v1
	v_cvt_pk_f32_fp8_e32 v[6:7], v6
	v_pk_mul_f32 v[116:117], s[16:17], v[0:1]
	v_pk_mul_f32 v[114:115], s[16:17], v[6:7]
	s_and_saveexec_b64 s[18:19], s[0:1]
; %bb.84:                               ;   in Loop: Header=BB206_50 Depth=1
	v_cmp_gt_i32_e32 vcc, s33, v55
	s_nop 1
	v_cndmask_b32_e32 v116, 0, v116, vcc
	v_cmp_gt_i32_e32 vcc, s33, v56
	s_nop 1
	v_cndmask_b32_e32 v117, 0, v117, vcc
	v_cmp_gt_i32_e32 vcc, s33, v57
	s_nop 1
	v_cndmask_b32_e32 v114, 0, v114, vcc
	v_cmp_gt_i32_e32 vcc, s33, v72
	s_nop 1
	v_cndmask_b32_e32 v115, 0, v115, vcc
; %bb.85:                               ;   in Loop: Header=BB206_50 Depth=1
	s_or_b64 exec, exec, s[18:19]
	v_add_co_u32_e32 v0, vcc, 0x1000, v76
	s_nop 1
	v_addc_co_u32_e32 v1, vcc, 0, v77, vcc
	global_load_dword v0, v[0:1], off offset:256
	s_waitcnt vmcnt(0)
	v_and_b32_e32 v1, 0xffff, v0
	v_lshrrev_b32_e32 v6, 16, v0
	v_cvt_pk_f32_fp8_e32 v[0:1], v1
	v_cvt_pk_f32_fp8_e32 v[6:7], v6
	v_pk_mul_f32 v[120:121], s[16:17], v[0:1]
	v_pk_mul_f32 v[118:119], s[16:17], v[6:7]
	s_and_saveexec_b64 s[18:19], s[0:1]
; %bb.86:                               ;   in Loop: Header=BB206_50 Depth=1
	v_cmp_gt_i32_e32 vcc, s33, v55
	s_nop 1
	v_cndmask_b32_e32 v120, 0, v120, vcc
	v_cmp_gt_i32_e32 vcc, s33, v56
	s_nop 1
	v_cndmask_b32_e32 v121, 0, v121, vcc
	v_cmp_gt_i32_e32 vcc, s33, v57
	s_nop 1
	v_cndmask_b32_e32 v118, 0, v118, vcc
	v_cmp_gt_i32_e32 vcc, s33, v72
	s_nop 1
	v_cndmask_b32_e32 v119, 0, v119, vcc
; %bb.87:                               ;   in Loop: Header=BB206_50 Depth=1
	s_or_b64 exec, exec, s[18:19]
	v_add_co_u32_e32 v0, vcc, 0x1000, v76
	s_nop 1
	v_addc_co_u32_e32 v1, vcc, 0, v77, vcc
	global_load_dword v0, v[0:1], off offset:512
	;; [unrolled: 27-line block ×8, first 2 shown]
	s_waitcnt vmcnt(0)
	v_and_b32_e32 v17, 0xffff, v16
	v_lshrrev_b32_e32 v18, 16, v16
	v_cvt_pk_f32_fp8_e32 v[16:17], v17
	v_cvt_pk_f32_fp8_e32 v[20:21], v18
	v_pk_mul_f32 v[18:19], s[16:17], v[16:17]
	v_pk_mul_f32 v[16:17], s[16:17], v[20:21]
	s_and_saveexec_b64 s[18:19], s[0:1]
; %bb.100:                              ;   in Loop: Header=BB206_50 Depth=1
	v_cmp_gt_i32_e32 vcc, s33, v55
	s_nop 1
	v_cndmask_b32_e32 v18, 0, v18, vcc
	v_cmp_gt_i32_e32 vcc, s33, v56
	s_nop 1
	v_cndmask_b32_e32 v19, 0, v19, vcc
	v_cmp_gt_i32_e32 vcc, s33, v57
	s_nop 1
	v_cndmask_b32_e32 v16, 0, v16, vcc
	v_cmp_gt_i32_e32 vcc, s33, v72
	s_nop 1
	v_cndmask_b32_e32 v17, 0, v17, vcc
; %bb.101:                              ;   in Loop: Header=BB206_50 Depth=1
	s_or_b64 exec, exec, s[18:19]
	v_add_co_u32_e32 v20, vcc, 0x1000, v76
	s_nop 1
	v_addc_co_u32_e32 v21, vcc, 0, v77, vcc
	global_load_dword v20, v[20:21], off offset:2304
	s_waitcnt vmcnt(0)
	v_and_b32_e32 v21, 0xffff, v20
	v_lshrrev_b32_e32 v22, 16, v20
	v_cvt_pk_f32_fp8_e32 v[20:21], v21
	v_cvt_pk_f32_fp8_e32 v[24:25], v22
	v_pk_mul_f32 v[22:23], s[16:17], v[20:21]
	v_pk_mul_f32 v[20:21], s[16:17], v[24:25]
	s_and_saveexec_b64 s[18:19], s[0:1]
; %bb.102:                              ;   in Loop: Header=BB206_50 Depth=1
	v_cmp_gt_i32_e32 vcc, s33, v55
	s_nop 1
	v_cndmask_b32_e32 v22, 0, v22, vcc
	v_cmp_gt_i32_e32 vcc, s33, v56
	s_nop 1
	v_cndmask_b32_e32 v23, 0, v23, vcc
	v_cmp_gt_i32_e32 vcc, s33, v57
	s_nop 1
	v_cndmask_b32_e32 v20, 0, v20, vcc
	v_cmp_gt_i32_e32 vcc, s33, v72
	s_nop 1
	v_cndmask_b32_e32 v21, 0, v21, vcc
; %bb.103:                              ;   in Loop: Header=BB206_50 Depth=1
	s_or_b64 exec, exec, s[18:19]
	v_add_co_u32_e32 v24, vcc, 0x1000, v76
	s_nop 1
	v_addc_co_u32_e32 v25, vcc, 0, v77, vcc
	global_load_dword v24, v[24:25], off offset:2560
	;; [unrolled: 27-line block ×6, first 2 shown]
	s_waitcnt vmcnt(0)
	v_and_b32_e32 v49, 0xffff, v48
	v_lshrrev_b32_e32 v50, 16, v48
	v_cvt_pk_f32_fp8_e32 v[48:49], v49
	v_cvt_pk_f32_fp8_e32 v[76:77], v50
	v_pk_mul_f32 v[50:51], s[16:17], v[48:49]
	v_pk_mul_f32 v[48:49], s[16:17], v[76:77]
	s_and_saveexec_b64 s[18:19], s[0:1]
; %bb.112:                              ;   in Loop: Header=BB206_50 Depth=1
	v_cmp_gt_i32_e32 vcc, s33, v55
	s_nop 1
	v_cndmask_b32_e32 v50, 0, v50, vcc
	v_cmp_gt_i32_e32 vcc, s33, v56
	s_nop 1
	v_cndmask_b32_e32 v51, 0, v51, vcc
	v_cmp_gt_i32_e32 vcc, s33, v57
	s_nop 1
	v_cndmask_b32_e32 v48, 0, v48, vcc
	v_cmp_gt_i32_e32 vcc, s33, v72
	s_nop 1
	v_cndmask_b32_e32 v49, 0, v49, vcc
; %bb.113:                              ;   in Loop: Header=BB206_50 Depth=1
	s_or_b64 exec, exec, s[18:19]
	scratch_load_dwordx2 v[58:59], off, off offset:216 ; 8-byte Folded Reload
	s_waitcnt vmcnt(0)
	v_lshl_add_u64 v[72:73], v[60:61], 0, v[58:59]
	global_load_dword v57, v[72:73], off
	s_waitcnt vmcnt(0)
	v_and_b32_e32 v58, 0xffff, v57
	v_lshrrev_b32_e32 v57, 16, v57
	v_cvt_pk_f32_fp8_e32 v[72:73], v58
	v_cvt_pk_f32_fp8_e32 v[58:59], v57
	v_pk_mul_f32 v[76:77], s[16:17], v[72:73]
	v_pk_mul_f32 v[72:73], s[16:17], v[58:59]
	s_and_saveexec_b64 s[16:17], s[0:1]
	s_cbranch_execz .LBB206_48
; %bb.114:                              ;   in Loop: Header=BB206_50 Depth=1
	v_cmp_gt_i32_e32 vcc, s35, v56
	v_or_b32_e32 v56, 3, v55
	s_nop 0
	v_cndmask_b32_e32 v77, 0, v77, vcc
	v_cmp_gt_i32_e32 vcc, s33, v55
	v_or_b32_e32 v55, 2, v55
	s_nop 0
	v_cndmask_b32_e32 v76, 0, v76, vcc
	v_cmp_gt_i32_e32 vcc, s35, v56
	s_nop 1
	v_cndmask_b32_e32 v73, 0, v73, vcc
	v_cmp_gt_i32_e32 vcc, s33, v55
	s_nop 1
	v_cndmask_b32_e32 v72, 0, v72, vcc
	s_branch .LBB206_48
.LBB206_115:
	s_or_b64 exec, exec, s[8:9]
	scratch_load_dword v46, off, off offset:224 ; 4-byte Folded Reload
	scratch_load_dword v47, off, off offset:228 ; 4-byte Folded Reload
	;; [unrolled: 1-line block ×6, first 2 shown]
	scratch_load_dwordx2 v[50:51], off, off offset:144 ; 8-byte Folded Reload
	scratch_load_dwordx2 v[42:43], off, off offset:152 ; 8-byte Folded Reload
	;; [unrolled: 1-line block ×5, first 2 shown]
.LBB206_116:
	s_or_b64 exec, exec, s[2:3]
	scratch_load_dwordx2 v[14:15], off, off offset:128 ; 8-byte Folded Reload
	s_waitcnt vmcnt(1)
	v_mov_b64_e32 v[4:5], v[0:1]
	ds_bpermute_b32 v0, v40, v4
	ds_bpermute_b32 v1, v40, v5
	scratch_load_dwordx2 v[10:11], off, off offset:136 ; 8-byte Folded Reload
	scratch_load_dwordx2 v[18:19], off, off offset:104 ; 8-byte Folded Reload
	;; [unrolled: 1-line block ×3, first 2 shown]
	v_mov_b64_e32 v[34:35], v[6:7]
	s_waitcnt lgkmcnt(0)
	v_pk_add_f32 v[0:1], v[4:5], v[0:1]
	ds_bpermute_b32 v4, v45, v0
	ds_bpermute_b32 v5, v45, v1
	v_mov_b64_e32 v[6:7], v[2:3]
	ds_bpermute_b32 v2, v40, v6
	ds_bpermute_b32 v3, v40, v7
	s_waitcnt lgkmcnt(2)
	v_pk_add_f32 v[0:1], v[0:1], v[4:5]
	ds_bpermute_b32 v4, v48, v0
	ds_bpermute_b32 v5, v48, v1
	s_waitcnt lgkmcnt(2)
	v_pk_add_f32 v[2:3], v[6:7], v[2:3]
	;; [unrolled: 4-line block ×3, first 2 shown]
	s_waitcnt lgkmcnt(0)
	v_pk_add_f32 v[2:3], v[2:3], v[6:7]
	s_waitcnt vmcnt(3)
	ds_bpermute_b32 v12, v40, v14
	ds_bpermute_b32 v13, v40, v15
	s_waitcnt vmcnt(1)
	ds_bpermute_b32 v16, v40, v18
	s_waitcnt lgkmcnt(1)
	v_pk_add_f32 v[12:13], v[14:15], v[12:13]
	ds_bpermute_b32 v14, v45, v12
	ds_bpermute_b32 v15, v45, v13
	;; [unrolled: 1-line block ×3, first 2 shown]
	s_waitcnt lgkmcnt(1)
	v_pk_add_f32 v[0:1], v[12:13], v[14:15]
	scratch_load_dwordx2 v[12:13], off, off offset:120 ; 8-byte Folded Reload
	scratch_load_dwordx2 v[14:15], off, off offset:112 ; 8-byte Folded Reload
	ds_bpermute_b32 v8, v40, v10
	ds_bpermute_b32 v9, v40, v11
	s_waitcnt lgkmcnt(0)
	v_pk_add_f32 v[6:7], v[10:11], v[8:9]
	ds_bpermute_b32 v8, v45, v6
	ds_bpermute_b32 v9, v45, v7
	;; [unrolled: 1-line block ×4, first 2 shown]
	s_waitcnt lgkmcnt(2)
	v_pk_add_f32 v[6:7], v[6:7], v[8:9]
	ds_bpermute_b32 v8, v48, v6
	ds_bpermute_b32 v9, v48, v7
	s_waitcnt lgkmcnt(2)
	v_pk_add_f32 v[4:5], v[2:3], v[10:11]
	s_waitcnt lgkmcnt(0)
	v_pk_add_f32 v[2:3], v[6:7], v[8:9]
	ds_bpermute_b32 v8, v48, v0
	ds_bpermute_b32 v9, v48, v1
	s_waitcnt lgkmcnt(0)
	v_pk_add_f32 v[28:29], v[0:1], v[8:9]
	s_waitcnt vmcnt(1)
	ds_bpermute_b32 v6, v40, v12
	ds_bpermute_b32 v7, v40, v13
	s_waitcnt vmcnt(0)
	ds_bpermute_b32 v10, v40, v14
	ds_bpermute_b32 v11, v40, v15
	s_waitcnt lgkmcnt(2)
	v_pk_add_f32 v[6:7], v[12:13], v[6:7]
	ds_bpermute_b32 v12, v45, v6
	ds_bpermute_b32 v13, v45, v7
	s_waitcnt lgkmcnt(2)
	v_pk_add_f32 v[10:11], v[14:15], v[10:11]
	;; [unrolled: 4-line block ×4, first 2 shown]
	v_pk_add_f32 v[14:15], v[18:19], v[16:17]
	ds_bpermute_b32 v18, v48, v10
	ds_bpermute_b32 v19, v48, v11
	s_waitcnt lgkmcnt(2)
	v_pk_add_f32 v[26:27], v[6:7], v[12:13]
	scratch_load_dwordx2 v[12:13], off, off offset:88 ; 8-byte Folded Reload
	ds_bpermute_b32 v20, v40, v22
	ds_bpermute_b32 v21, v40, v23
	s_waitcnt lgkmcnt(2)
	v_pk_add_f32 v[24:25], v[10:11], v[18:19]
	scratch_load_dwordx2 v[18:19], off, off offset:80 ; 8-byte Folded Reload
	ds_bpermute_b32 v16, v45, v14
	ds_bpermute_b32 v17, v45, v15
	s_waitcnt lgkmcnt(2)
	v_pk_add_f32 v[20:21], v[22:23], v[20:21]
	ds_bpermute_b32 v32, v45, v20
	ds_bpermute_b32 v33, v45, v21
	;; [unrolled: 1-line block ×3, first 2 shown]
	s_waitcnt lgkmcnt(3)
	v_pk_add_f32 v[14:15], v[14:15], v[16:17]
	ds_bpermute_b32 v11, v40, v35
	ds_bpermute_b32 v16, v48, v14
	s_waitcnt lgkmcnt(3)
	v_pk_add_f32 v[0:1], v[20:21], v[32:33]
	scratch_load_dwordx2 v[20:21], off, off offset:72 ; 8-byte Folded Reload
	ds_bpermute_b32 v17, v48, v15
	s_waitcnt lgkmcnt(2)
	v_pk_add_f32 v[10:11], v[34:35], v[10:11]
	ds_bpermute_b32 v8, v48, v0
	ds_bpermute_b32 v9, v48, v1
	s_waitcnt lgkmcnt(2)
	v_pk_add_f32 v[22:23], v[14:15], v[16:17]
	ds_bpermute_b32 v14, v45, v10
	ds_bpermute_b32 v15, v45, v11
	s_waitcnt lgkmcnt(0)
	v_pk_add_f32 v[10:11], v[10:11], v[14:15]
	ds_bpermute_b32 v32, v48, v10
	ds_bpermute_b32 v33, v48, v11
	s_waitcnt vmcnt(2)
	ds_bpermute_b32 v6, v40, v12
	ds_bpermute_b32 v7, v40, v13
	s_waitcnt vmcnt(1)
	ds_bpermute_b32 v16, v40, v18
	ds_bpermute_b32 v17, v40, v19
	s_waitcnt lgkmcnt(2)
	v_pk_add_f32 v[6:7], v[12:13], v[6:7]
	ds_bpermute_b32 v12, v45, v6
	ds_bpermute_b32 v13, v45, v7
	s_waitcnt lgkmcnt(2)
	v_pk_add_f32 v[14:15], v[18:19], v[16:17]
	;; [unrolled: 4-line block ×3, first 2 shown]
	ds_bpermute_b32 v12, v48, v6
	ds_bpermute_b32 v13, v48, v7
	s_waitcnt vmcnt(0)
	ds_bpermute_b32 v18, v40, v20
	ds_bpermute_b32 v19, v40, v21
	s_waitcnt lgkmcnt(4)
	v_pk_add_f32 v[14:15], v[14:15], v[16:17]
	v_pk_add_f32 v[16:17], v[10:11], v[32:33]
	ds_bpermute_b32 v10, v40, v54
	ds_bpermute_b32 v11, v40, v55
	s_waitcnt lgkmcnt(2)
	v_pk_add_f32 v[36:37], v[20:21], v[18:19]
	v_pk_add_f32 v[18:19], v[6:7], v[12:13]
	scratch_load_dwordx2 v[12:13], off, off offset:64 ; 8-byte Folded Reload
	ds_bpermute_b32 v34, v48, v14
	ds_bpermute_b32 v35, v48, v15
	;; [unrolled: 1-line block ×4, first 2 shown]
	s_waitcnt lgkmcnt(4)
	v_pk_add_f32 v[10:11], v[54:55], v[10:11]
	ds_bpermute_b32 v32, v45, v10
	s_waitcnt lgkmcnt(3)
	v_pk_add_f32 v[14:15], v[14:15], v[34:35]
	ds_bpermute_b32 v33, v45, v11
	ds_bpermute_b32 v34, v40, v42
	;; [unrolled: 1-line block ×3, first 2 shown]
	v_pk_add_f32 v[20:21], v[0:1], v[8:9]
	s_waitcnt lgkmcnt(4)
	v_pk_add_f32 v[0:1], v[36:37], v[38:39]
	ds_bpermute_b32 v38, v40, v50
	ds_bpermute_b32 v39, v40, v51
	s_waitcnt lgkmcnt(4)
	v_pk_add_f32 v[32:33], v[10:11], v[32:33]
	s_waitcnt lgkmcnt(2)
	v_pk_add_f32 v[10:11], v[42:43], v[34:35]
	ds_bpermute_b32 v8, v48, v0
	ds_bpermute_b32 v9, v48, v1
	s_waitcnt lgkmcnt(2)
	v_pk_add_f32 v[38:39], v[50:51], v[38:39]
	ds_bpermute_b32 v44, v45, v38
	ds_bpermute_b32 v34, v48, v32
	;; [unrolled: 1-line block ×3, first 2 shown]
	s_waitcnt lgkmcnt(0)
	s_barrier
	s_waitcnt vmcnt(0)
	ds_bpermute_b32 v6, v40, v12
	ds_bpermute_b32 v7, v40, v13
	s_waitcnt lgkmcnt(0)
	v_pk_add_f32 v[6:7], v[12:13], v[6:7]
	ds_bpermute_b32 v12, v45, v6
	ds_bpermute_b32 v13, v45, v7
	s_waitcnt lgkmcnt(0)
	v_pk_add_f32 v[6:7], v[6:7], v[12:13]
	ds_bpermute_b32 v12, v45, v10
	ds_bpermute_b32 v13, v45, v11
	ds_bpermute_b32 v45, v45, v39
	ds_bpermute_b32 v36, v48, v6
	ds_bpermute_b32 v37, v48, v7
	s_waitcnt lgkmcnt(3)
	v_pk_add_f32 v[40:41], v[10:11], v[12:13]
	ds_bpermute_b32 v42, v48, v40
	ds_bpermute_b32 v43, v48, v41
	v_pk_add_f32 v[12:13], v[0:1], v[8:9]
	s_waitcnt lgkmcnt(4)
	v_pk_add_f32 v[0:1], v[38:39], v[44:45]
	v_pk_add_f32 v[8:9], v[32:33], v[34:35]
	ds_bpermute_b32 v32, v48, v0
	ds_bpermute_b32 v33, v48, v1
	v_and_b32_e32 v34, 0x3c7, v46
	s_waitcnt lgkmcnt(4)
	v_pk_add_f32 v[10:11], v[6:7], v[36:37]
	s_waitcnt lgkmcnt(2)
	v_pk_add_f32 v[6:7], v[40:41], v[42:43]
	v_cmp_ne_u32_e32 vcc, 64, v34
	s_and_saveexec_b64 s[0:1], vcc
	s_xor_b64 s[0:1], exec, s[0:1]
; %bb.117:
                                        ; implicit-def: $vgpr47
; %bb.118:
	s_or_saveexec_b64 s[0:1], s[0:1]
	s_waitcnt lgkmcnt(0)
	v_pk_add_f32 v[0:1], v[0:1], v[32:33]
	s_xor_b64 exec, exec, s[0:1]
	s_cbranch_execz .LBB206_120
; %bb.119:
	v_lshrrev_b32_e32 v32, 1, v47
	v_add_u32_e32 v32, 0x410, v32
	ds_write2_b32 v32, v30, v31 offset1:8
	ds_write2_b32 v32, v4, v5 offset0:16 offset1:24
	ds_write2_b32 v32, v2, v3 offset0:32 offset1:40
	ds_write2_b32 v32, v28, v29 offset0:48 offset1:56
	ds_write2_b32 v32, v26, v27 offset0:64 offset1:72
	ds_write2_b32 v32, v24, v25 offset0:80 offset1:88
	ds_write2_b32 v32, v22, v23 offset0:96 offset1:104
	ds_write2_b32 v32, v20, v21 offset0:112 offset1:120
	ds_write2_b32 v32, v18, v19 offset0:128 offset1:136
	ds_write2_b32 v32, v16, v17 offset0:144 offset1:152
	ds_write2_b32 v32, v14, v15 offset0:160 offset1:168
	ds_write2_b32 v32, v12, v13 offset0:176 offset1:184
	ds_write2_b32 v32, v10, v11 offset0:192 offset1:200
	ds_write2_b32 v32, v8, v9 offset0:208 offset1:216
	ds_write2_b32 v32, v6, v7 offset0:224 offset1:232
	ds_write2_b32 v32, v0, v1 offset0:240 offset1:248
.LBB206_120:
	s_or_b64 exec, exec, s[0:1]
	v_cmp_gt_u32_e32 vcc, 64, v46
	v_lshrrev_b32_e32 v32, 3, v46
	s_waitcnt lgkmcnt(0)
	s_barrier
	s_and_saveexec_b64 s[0:1], vcc
	s_cbranch_execz .LBB206_155
; %bb.121:
	v_mov_b32_e32 v33, 0x410
	v_cmp_eq_u32_e32 vcc, 0, v49
	v_lshl_add_u32 v33, v32, 2, v33
	s_and_saveexec_b64 s[2:3], vcc
	s_cbranch_execnz .LBB206_158
; %bb.122:
	s_or_b64 exec, exec, s[2:3]
	s_and_saveexec_b64 s[2:3], vcc
	s_cbranch_execnz .LBB206_159
.LBB206_123:
	s_or_b64 exec, exec, s[2:3]
	s_and_saveexec_b64 s[2:3], vcc
	s_cbranch_execnz .LBB206_160
.LBB206_124:
	s_or_b64 exec, exec, s[2:3]
	s_and_saveexec_b64 s[2:3], vcc
	s_cbranch_execnz .LBB206_161
.LBB206_125:
	s_or_b64 exec, exec, s[2:3]
	s_and_saveexec_b64 s[2:3], vcc
	s_cbranch_execnz .LBB206_162
.LBB206_126:
	s_or_b64 exec, exec, s[2:3]
	s_and_saveexec_b64 s[2:3], vcc
	s_cbranch_execnz .LBB206_163
.LBB206_127:
	s_or_b64 exec, exec, s[2:3]
	s_and_saveexec_b64 s[2:3], vcc
	s_cbranch_execnz .LBB206_164
.LBB206_128:
	s_or_b64 exec, exec, s[2:3]
	s_and_saveexec_b64 s[2:3], vcc
	s_cbranch_execnz .LBB206_165
.LBB206_129:
	s_or_b64 exec, exec, s[2:3]
	s_and_saveexec_b64 s[2:3], vcc
	s_cbranch_execnz .LBB206_166
.LBB206_130:
	s_or_b64 exec, exec, s[2:3]
	s_and_saveexec_b64 s[2:3], vcc
	s_cbranch_execnz .LBB206_167
.LBB206_131:
	s_or_b64 exec, exec, s[2:3]
	s_and_saveexec_b64 s[2:3], vcc
	s_cbranch_execnz .LBB206_168
.LBB206_132:
	s_or_b64 exec, exec, s[2:3]
	s_and_saveexec_b64 s[2:3], vcc
	s_cbranch_execnz .LBB206_169
.LBB206_133:
	s_or_b64 exec, exec, s[2:3]
	s_and_saveexec_b64 s[2:3], vcc
	s_cbranch_execnz .LBB206_170
.LBB206_134:
	s_or_b64 exec, exec, s[2:3]
	s_and_saveexec_b64 s[2:3], vcc
	s_cbranch_execnz .LBB206_171
.LBB206_135:
	s_or_b64 exec, exec, s[2:3]
	s_and_saveexec_b64 s[2:3], vcc
	s_cbranch_execnz .LBB206_172
.LBB206_136:
	s_or_b64 exec, exec, s[2:3]
	s_and_saveexec_b64 s[2:3], vcc
	s_cbranch_execnz .LBB206_173
.LBB206_137:
	s_or_b64 exec, exec, s[2:3]
	s_and_saveexec_b64 s[2:3], vcc
	s_cbranch_execnz .LBB206_174
.LBB206_138:
	s_or_b64 exec, exec, s[2:3]
	s_and_saveexec_b64 s[2:3], vcc
	s_cbranch_execnz .LBB206_175
.LBB206_139:
	s_or_b64 exec, exec, s[2:3]
	s_and_saveexec_b64 s[2:3], vcc
	s_cbranch_execnz .LBB206_176
.LBB206_140:
	s_or_b64 exec, exec, s[2:3]
	s_and_saveexec_b64 s[2:3], vcc
	s_cbranch_execnz .LBB206_177
.LBB206_141:
	s_or_b64 exec, exec, s[2:3]
	s_and_saveexec_b64 s[2:3], vcc
	s_cbranch_execnz .LBB206_178
.LBB206_142:
	s_or_b64 exec, exec, s[2:3]
	s_and_saveexec_b64 s[2:3], vcc
	s_cbranch_execnz .LBB206_179
.LBB206_143:
	s_or_b64 exec, exec, s[2:3]
	s_and_saveexec_b64 s[2:3], vcc
	s_cbranch_execnz .LBB206_180
.LBB206_144:
	s_or_b64 exec, exec, s[2:3]
	s_and_saveexec_b64 s[2:3], vcc
	s_cbranch_execnz .LBB206_181
.LBB206_145:
	s_or_b64 exec, exec, s[2:3]
	s_and_saveexec_b64 s[2:3], vcc
	s_cbranch_execnz .LBB206_182
.LBB206_146:
	s_or_b64 exec, exec, s[2:3]
	s_and_saveexec_b64 s[2:3], vcc
	s_cbranch_execnz .LBB206_183
.LBB206_147:
	s_or_b64 exec, exec, s[2:3]
	s_and_saveexec_b64 s[2:3], vcc
	s_cbranch_execnz .LBB206_184
.LBB206_148:
	s_or_b64 exec, exec, s[2:3]
	s_and_saveexec_b64 s[2:3], vcc
	s_cbranch_execnz .LBB206_185
.LBB206_149:
	s_or_b64 exec, exec, s[2:3]
	s_and_saveexec_b64 s[2:3], vcc
	s_cbranch_execnz .LBB206_186
.LBB206_150:
	s_or_b64 exec, exec, s[2:3]
	s_and_saveexec_b64 s[2:3], vcc
	s_cbranch_execnz .LBB206_187
.LBB206_151:
	s_or_b64 exec, exec, s[2:3]
	s_and_saveexec_b64 s[2:3], vcc
	s_cbranch_execnz .LBB206_188
.LBB206_152:
	s_or_b64 exec, exec, s[2:3]
	s_and_saveexec_b64 s[2:3], vcc
	s_cbranch_execz .LBB206_154
.LBB206_153:
	ds_read_b32 v33, v33 offset:992
	s_waitcnt lgkmcnt(0)
	v_add_f32_e32 v1, v1, v33
.LBB206_154:
	s_or_b64 exec, exec, s[2:3]
.LBB206_155:
	s_or_b64 exec, exec, s[0:1]
	v_cmp_eq_u32_e32 vcc, 0, v34
	s_barrier
	s_and_saveexec_b64 s[0:1], vcc
	s_cbranch_execz .LBB206_157
; %bb.156:
	s_mul_i32 s0, s10, s11
	s_mul_i32 s0, s0, s5
	s_lshl_b32 s0, s0, 8
	s_ashr_i32 s1, s0, 31
	s_lshl_b64 s[0:1], s[0:1], 2
	s_add_u32 s2, s26, s0
	s_mul_i32 s0, s11, s24
	s_addc_u32 s3, s27, s1
	s_ashr_i32 s1, s0, 31
	s_lshl_b64 s[0:1], s[0:1], 2
	s_add_u32 s2, s2, s0
	s_addc_u32 s3, s3, s1
	s_lshl_b32 s0, s4, 8
	s_ashr_i32 s1, s0, 31
	s_lshl_b64 s[0:1], s[0:1], 2
	s_add_u32 s0, s2, s0
	s_addc_u32 s1, s3, s1
	v_lshlrev_b32_e32 v32, 2, v32
	global_store_dword v32, v30, s[0:1]
	global_store_dword v32, v31, s[0:1] offset:32
	global_store_dword v32, v4, s[0:1] offset:64
	;; [unrolled: 1-line block ×31, first 2 shown]
.LBB206_157:
	s_endpgm
.LBB206_158:
	ds_read_b32 v35, v33
	s_waitcnt lgkmcnt(0)
	v_add_f32_e32 v30, v30, v35
	s_or_b64 exec, exec, s[2:3]
	s_and_saveexec_b64 s[2:3], vcc
	s_cbranch_execz .LBB206_123
.LBB206_159:
	ds_read_b32 v35, v33 offset:32
	s_waitcnt lgkmcnt(0)
	v_add_f32_e32 v31, v31, v35
	s_or_b64 exec, exec, s[2:3]
	s_and_saveexec_b64 s[2:3], vcc
	s_cbranch_execz .LBB206_124
.LBB206_160:
	ds_read_b32 v35, v33 offset:64
	s_waitcnt lgkmcnt(0)
	v_add_f32_e32 v4, v4, v35
	s_or_b64 exec, exec, s[2:3]
	s_and_saveexec_b64 s[2:3], vcc
	s_cbranch_execz .LBB206_125
.LBB206_161:
	ds_read_b32 v35, v33 offset:96
	s_waitcnt lgkmcnt(0)
	v_add_f32_e32 v5, v5, v35
	s_or_b64 exec, exec, s[2:3]
	s_and_saveexec_b64 s[2:3], vcc
	s_cbranch_execz .LBB206_126
.LBB206_162:
	ds_read_b32 v35, v33 offset:128
	s_waitcnt lgkmcnt(0)
	v_add_f32_e32 v2, v2, v35
	s_or_b64 exec, exec, s[2:3]
	s_and_saveexec_b64 s[2:3], vcc
	s_cbranch_execz .LBB206_127
.LBB206_163:
	ds_read_b32 v35, v33 offset:160
	s_waitcnt lgkmcnt(0)
	v_add_f32_e32 v3, v3, v35
	s_or_b64 exec, exec, s[2:3]
	s_and_saveexec_b64 s[2:3], vcc
	s_cbranch_execz .LBB206_128
.LBB206_164:
	ds_read_b32 v35, v33 offset:192
	s_waitcnt lgkmcnt(0)
	v_add_f32_e32 v28, v28, v35
	s_or_b64 exec, exec, s[2:3]
	s_and_saveexec_b64 s[2:3], vcc
	s_cbranch_execz .LBB206_129
.LBB206_165:
	ds_read_b32 v35, v33 offset:224
	s_waitcnt lgkmcnt(0)
	v_add_f32_e32 v29, v29, v35
	s_or_b64 exec, exec, s[2:3]
	s_and_saveexec_b64 s[2:3], vcc
	s_cbranch_execz .LBB206_130
.LBB206_166:
	ds_read_b32 v35, v33 offset:256
	s_waitcnt lgkmcnt(0)
	v_add_f32_e32 v26, v26, v35
	s_or_b64 exec, exec, s[2:3]
	s_and_saveexec_b64 s[2:3], vcc
	s_cbranch_execz .LBB206_131
.LBB206_167:
	ds_read_b32 v35, v33 offset:288
	s_waitcnt lgkmcnt(0)
	v_add_f32_e32 v27, v27, v35
	s_or_b64 exec, exec, s[2:3]
	s_and_saveexec_b64 s[2:3], vcc
	s_cbranch_execz .LBB206_132
.LBB206_168:
	ds_read_b32 v35, v33 offset:320
	s_waitcnt lgkmcnt(0)
	v_add_f32_e32 v24, v24, v35
	s_or_b64 exec, exec, s[2:3]
	s_and_saveexec_b64 s[2:3], vcc
	s_cbranch_execz .LBB206_133
.LBB206_169:
	ds_read_b32 v35, v33 offset:352
	s_waitcnt lgkmcnt(0)
	v_add_f32_e32 v25, v25, v35
	s_or_b64 exec, exec, s[2:3]
	s_and_saveexec_b64 s[2:3], vcc
	s_cbranch_execz .LBB206_134
.LBB206_170:
	ds_read_b32 v35, v33 offset:384
	s_waitcnt lgkmcnt(0)
	v_add_f32_e32 v22, v22, v35
	s_or_b64 exec, exec, s[2:3]
	s_and_saveexec_b64 s[2:3], vcc
	s_cbranch_execz .LBB206_135
.LBB206_171:
	ds_read_b32 v35, v33 offset:416
	s_waitcnt lgkmcnt(0)
	v_add_f32_e32 v23, v23, v35
	s_or_b64 exec, exec, s[2:3]
	s_and_saveexec_b64 s[2:3], vcc
	s_cbranch_execz .LBB206_136
.LBB206_172:
	ds_read_b32 v35, v33 offset:448
	s_waitcnt lgkmcnt(0)
	v_add_f32_e32 v20, v20, v35
	s_or_b64 exec, exec, s[2:3]
	s_and_saveexec_b64 s[2:3], vcc
	s_cbranch_execz .LBB206_137
.LBB206_173:
	ds_read_b32 v35, v33 offset:480
	s_waitcnt lgkmcnt(0)
	v_add_f32_e32 v21, v21, v35
	s_or_b64 exec, exec, s[2:3]
	s_and_saveexec_b64 s[2:3], vcc
	s_cbranch_execz .LBB206_138
.LBB206_174:
	ds_read_b32 v35, v33 offset:512
	s_waitcnt lgkmcnt(0)
	v_add_f32_e32 v18, v18, v35
	s_or_b64 exec, exec, s[2:3]
	s_and_saveexec_b64 s[2:3], vcc
	s_cbranch_execz .LBB206_139
.LBB206_175:
	ds_read_b32 v35, v33 offset:544
	s_waitcnt lgkmcnt(0)
	v_add_f32_e32 v19, v19, v35
	s_or_b64 exec, exec, s[2:3]
	s_and_saveexec_b64 s[2:3], vcc
	s_cbranch_execz .LBB206_140
.LBB206_176:
	ds_read_b32 v35, v33 offset:576
	s_waitcnt lgkmcnt(0)
	v_add_f32_e32 v16, v16, v35
	s_or_b64 exec, exec, s[2:3]
	s_and_saveexec_b64 s[2:3], vcc
	s_cbranch_execz .LBB206_141
.LBB206_177:
	ds_read_b32 v35, v33 offset:608
	s_waitcnt lgkmcnt(0)
	v_add_f32_e32 v17, v17, v35
	s_or_b64 exec, exec, s[2:3]
	s_and_saveexec_b64 s[2:3], vcc
	s_cbranch_execz .LBB206_142
.LBB206_178:
	ds_read_b32 v35, v33 offset:640
	s_waitcnt lgkmcnt(0)
	v_add_f32_e32 v14, v14, v35
	s_or_b64 exec, exec, s[2:3]
	s_and_saveexec_b64 s[2:3], vcc
	s_cbranch_execz .LBB206_143
.LBB206_179:
	ds_read_b32 v35, v33 offset:672
	s_waitcnt lgkmcnt(0)
	v_add_f32_e32 v15, v15, v35
	s_or_b64 exec, exec, s[2:3]
	s_and_saveexec_b64 s[2:3], vcc
	s_cbranch_execz .LBB206_144
.LBB206_180:
	ds_read_b32 v35, v33 offset:704
	s_waitcnt lgkmcnt(0)
	v_add_f32_e32 v12, v12, v35
	s_or_b64 exec, exec, s[2:3]
	s_and_saveexec_b64 s[2:3], vcc
	s_cbranch_execz .LBB206_145
.LBB206_181:
	ds_read_b32 v35, v33 offset:736
	s_waitcnt lgkmcnt(0)
	v_add_f32_e32 v13, v13, v35
	s_or_b64 exec, exec, s[2:3]
	s_and_saveexec_b64 s[2:3], vcc
	s_cbranch_execz .LBB206_146
.LBB206_182:
	ds_read_b32 v35, v33 offset:768
	s_waitcnt lgkmcnt(0)
	v_add_f32_e32 v10, v10, v35
	s_or_b64 exec, exec, s[2:3]
	s_and_saveexec_b64 s[2:3], vcc
	s_cbranch_execz .LBB206_147
.LBB206_183:
	ds_read_b32 v35, v33 offset:800
	s_waitcnt lgkmcnt(0)
	v_add_f32_e32 v11, v11, v35
	s_or_b64 exec, exec, s[2:3]
	s_and_saveexec_b64 s[2:3], vcc
	s_cbranch_execz .LBB206_148
.LBB206_184:
	ds_read_b32 v35, v33 offset:832
	s_waitcnt lgkmcnt(0)
	v_add_f32_e32 v8, v8, v35
	s_or_b64 exec, exec, s[2:3]
	s_and_saveexec_b64 s[2:3], vcc
	s_cbranch_execz .LBB206_149
.LBB206_185:
	ds_read_b32 v35, v33 offset:864
	s_waitcnt lgkmcnt(0)
	v_add_f32_e32 v9, v9, v35
	s_or_b64 exec, exec, s[2:3]
	s_and_saveexec_b64 s[2:3], vcc
	s_cbranch_execz .LBB206_150
.LBB206_186:
	ds_read_b32 v35, v33 offset:896
	s_waitcnt lgkmcnt(0)
	v_add_f32_e32 v6, v6, v35
	s_or_b64 exec, exec, s[2:3]
	s_and_saveexec_b64 s[2:3], vcc
	s_cbranch_execz .LBB206_151
.LBB206_187:
	ds_read_b32 v35, v33 offset:928
	s_waitcnt lgkmcnt(0)
	v_add_f32_e32 v7, v7, v35
	s_or_b64 exec, exec, s[2:3]
	s_and_saveexec_b64 s[2:3], vcc
	s_cbranch_execz .LBB206_152
.LBB206_188:
	ds_read_b32 v35, v33 offset:960
	s_waitcnt lgkmcnt(0)
	v_add_f32_e32 v0, v0, v35
	s_or_b64 exec, exec, s[2:3]
	s_and_saveexec_b64 s[2:3], vcc
	s_cbranch_execnz .LBB206_153
	s_branch .LBB206_154
	.section	.rodata,"a",@progbits
	.p2align	6, 0x0
	.amdhsa_kernel _ZN4vllm25paged_attention_v1_kernelIfhLi256ELi32ELi128ELNS_18Fp8KVCacheDataTypeE1ELb1EEEvPT_PKS2_PKT0_S8_ifPKiSA_iPKfiiiSC_SC_iiiii
		.amdhsa_group_segment_fixed_size 1040
		.amdhsa_private_segment_fixed_size 252
		.amdhsa_kernarg_size 384
		.amdhsa_user_sgpr_count 2
		.amdhsa_user_sgpr_dispatch_ptr 0
		.amdhsa_user_sgpr_queue_ptr 0
		.amdhsa_user_sgpr_kernarg_segment_ptr 1
		.amdhsa_user_sgpr_dispatch_id 0
		.amdhsa_user_sgpr_kernarg_preload_length 0
		.amdhsa_user_sgpr_kernarg_preload_offset 0
		.amdhsa_user_sgpr_private_segment_size 0
		.amdhsa_uses_dynamic_stack 0
		.amdhsa_enable_private_segment 1
		.amdhsa_system_sgpr_workgroup_id_x 1
		.amdhsa_system_sgpr_workgroup_id_y 1
		.amdhsa_system_sgpr_workgroup_id_z 1
		.amdhsa_system_sgpr_workgroup_info 0
		.amdhsa_system_vgpr_workitem_id 0
		.amdhsa_next_free_vgpr 128
		.amdhsa_next_free_sgpr 65
		.amdhsa_accum_offset 128
		.amdhsa_reserve_vcc 1
		.amdhsa_float_round_mode_32 0
		.amdhsa_float_round_mode_16_64 0
		.amdhsa_float_denorm_mode_32 3
		.amdhsa_float_denorm_mode_16_64 3
		.amdhsa_dx10_clamp 1
		.amdhsa_ieee_mode 1
		.amdhsa_fp16_overflow 0
		.amdhsa_tg_split 0
		.amdhsa_exception_fp_ieee_invalid_op 0
		.amdhsa_exception_fp_denorm_src 0
		.amdhsa_exception_fp_ieee_div_zero 0
		.amdhsa_exception_fp_ieee_overflow 0
		.amdhsa_exception_fp_ieee_underflow 0
		.amdhsa_exception_fp_ieee_inexact 0
		.amdhsa_exception_int_div_zero 0
	.end_amdhsa_kernel
	.section	.text._ZN4vllm25paged_attention_v1_kernelIfhLi256ELi32ELi128ELNS_18Fp8KVCacheDataTypeE1ELb1EEEvPT_PKS2_PKT0_S8_ifPKiSA_iPKfiiiSC_SC_iiiii,"axG",@progbits,_ZN4vllm25paged_attention_v1_kernelIfhLi256ELi32ELi128ELNS_18Fp8KVCacheDataTypeE1ELb1EEEvPT_PKS2_PKT0_S8_ifPKiSA_iPKfiiiSC_SC_iiiii,comdat
.Lfunc_end206:
	.size	_ZN4vllm25paged_attention_v1_kernelIfhLi256ELi32ELi128ELNS_18Fp8KVCacheDataTypeE1ELb1EEEvPT_PKS2_PKT0_S8_ifPKiSA_iPKfiiiSC_SC_iiiii, .Lfunc_end206-_ZN4vllm25paged_attention_v1_kernelIfhLi256ELi32ELi128ELNS_18Fp8KVCacheDataTypeE1ELb1EEEvPT_PKS2_PKT0_S8_ifPKiSA_iPKfiiiSC_SC_iiiii
                                        ; -- End function
	.set _ZN4vllm25paged_attention_v1_kernelIfhLi256ELi32ELi128ELNS_18Fp8KVCacheDataTypeE1ELb1EEEvPT_PKS2_PKT0_S8_ifPKiSA_iPKfiiiSC_SC_iiiii.num_vgpr, 128
	.set _ZN4vllm25paged_attention_v1_kernelIfhLi256ELi32ELi128ELNS_18Fp8KVCacheDataTypeE1ELb1EEEvPT_PKS2_PKT0_S8_ifPKiSA_iPKfiiiSC_SC_iiiii.num_agpr, 0
	.set _ZN4vllm25paged_attention_v1_kernelIfhLi256ELi32ELi128ELNS_18Fp8KVCacheDataTypeE1ELb1EEEvPT_PKS2_PKT0_S8_ifPKiSA_iPKfiiiSC_SC_iiiii.numbered_sgpr, 65
	.set _ZN4vllm25paged_attention_v1_kernelIfhLi256ELi32ELi128ELNS_18Fp8KVCacheDataTypeE1ELb1EEEvPT_PKS2_PKT0_S8_ifPKiSA_iPKfiiiSC_SC_iiiii.num_named_barrier, 0
	.set _ZN4vllm25paged_attention_v1_kernelIfhLi256ELi32ELi128ELNS_18Fp8KVCacheDataTypeE1ELb1EEEvPT_PKS2_PKT0_S8_ifPKiSA_iPKfiiiSC_SC_iiiii.private_seg_size, 252
	.set _ZN4vllm25paged_attention_v1_kernelIfhLi256ELi32ELi128ELNS_18Fp8KVCacheDataTypeE1ELb1EEEvPT_PKS2_PKT0_S8_ifPKiSA_iPKfiiiSC_SC_iiiii.uses_vcc, 1
	.set _ZN4vllm25paged_attention_v1_kernelIfhLi256ELi32ELi128ELNS_18Fp8KVCacheDataTypeE1ELb1EEEvPT_PKS2_PKT0_S8_ifPKiSA_iPKfiiiSC_SC_iiiii.uses_flat_scratch, 0
	.set _ZN4vllm25paged_attention_v1_kernelIfhLi256ELi32ELi128ELNS_18Fp8KVCacheDataTypeE1ELb1EEEvPT_PKS2_PKT0_S8_ifPKiSA_iPKfiiiSC_SC_iiiii.has_dyn_sized_stack, 0
	.set _ZN4vllm25paged_attention_v1_kernelIfhLi256ELi32ELi128ELNS_18Fp8KVCacheDataTypeE1ELb1EEEvPT_PKS2_PKT0_S8_ifPKiSA_iPKfiiiSC_SC_iiiii.has_recursion, 0
	.set _ZN4vllm25paged_attention_v1_kernelIfhLi256ELi32ELi128ELNS_18Fp8KVCacheDataTypeE1ELb1EEEvPT_PKS2_PKT0_S8_ifPKiSA_iPKfiiiSC_SC_iiiii.has_indirect_call, 0
	.section	.AMDGPU.csdata,"",@progbits
; Kernel info:
; codeLenInByte = 14852
; TotalNumSgprs: 71
; NumVgprs: 128
; NumAgprs: 0
; TotalNumVgprs: 128
; ScratchSize: 252
; MemoryBound: 0
; FloatMode: 240
; IeeeMode: 1
; LDSByteSize: 1040 bytes/workgroup (compile time only)
; SGPRBlocks: 8
; VGPRBlocks: 15
; NumSGPRsForWavesPerEU: 71
; NumVGPRsForWavesPerEU: 128
; AccumOffset: 128
; Occupancy: 4
; WaveLimiterHint : 1
; COMPUTE_PGM_RSRC2:SCRATCH_EN: 1
; COMPUTE_PGM_RSRC2:USER_SGPR: 2
; COMPUTE_PGM_RSRC2:TRAP_HANDLER: 0
; COMPUTE_PGM_RSRC2:TGID_X_EN: 1
; COMPUTE_PGM_RSRC2:TGID_Y_EN: 1
; COMPUTE_PGM_RSRC2:TGID_Z_EN: 1
; COMPUTE_PGM_RSRC2:TIDIG_COMP_CNT: 0
; COMPUTE_PGM_RSRC3_GFX90A:ACCUM_OFFSET: 31
; COMPUTE_PGM_RSRC3_GFX90A:TG_SPLIT: 0
	.section	.text._ZN4vllm25paged_attention_v1_kernelIfhLi32ELi32ELi128ELNS_18Fp8KVCacheDataTypeE1ELb0EEEvPT_PKS2_PKT0_S8_ifPKiSA_iPKfiiiSC_SC_iiiii,"axG",@progbits,_ZN4vllm25paged_attention_v1_kernelIfhLi32ELi32ELi128ELNS_18Fp8KVCacheDataTypeE1ELb0EEEvPT_PKS2_PKT0_S8_ifPKiSA_iPKfiiiSC_SC_iiiii,comdat
	.protected	_ZN4vllm25paged_attention_v1_kernelIfhLi32ELi32ELi128ELNS_18Fp8KVCacheDataTypeE1ELb0EEEvPT_PKS2_PKT0_S8_ifPKiSA_iPKfiiiSC_SC_iiiii ; -- Begin function _ZN4vllm25paged_attention_v1_kernelIfhLi32ELi32ELi128ELNS_18Fp8KVCacheDataTypeE1ELb0EEEvPT_PKS2_PKT0_S8_ifPKiSA_iPKfiiiSC_SC_iiiii
	.globl	_ZN4vllm25paged_attention_v1_kernelIfhLi32ELi32ELi128ELNS_18Fp8KVCacheDataTypeE1ELb0EEEvPT_PKS2_PKT0_S8_ifPKiSA_iPKfiiiSC_SC_iiiii
	.p2align	8
	.type	_ZN4vllm25paged_attention_v1_kernelIfhLi32ELi32ELi128ELNS_18Fp8KVCacheDataTypeE1ELb0EEEvPT_PKS2_PKT0_S8_ifPKiSA_iPKfiiiSC_SC_iiiii,@function
_ZN4vllm25paged_attention_v1_kernelIfhLi32ELi32ELi128ELNS_18Fp8KVCacheDataTypeE1ELb0EEEvPT_PKS2_PKT0_S8_ifPKiSA_iPKfiiiSC_SC_iiiii: ; @_ZN4vllm25paged_attention_v1_kernelIfhLi32ELi32ELi128ELNS_18Fp8KVCacheDataTypeE1ELb0EEEvPT_PKS2_PKT0_S8_ifPKiSA_iPKfiiiSC_SC_iiiii
; %bb.0:
	s_load_dword s5, s[0:1], 0x80
	s_load_dwordx2 s[6:7], s[0:1], 0x30
	s_load_dwordx2 s[28:29], s[0:1], 0x20
	s_mov_b32 s16, s3
	s_ashr_i32 s17, s3, 31
	s_lshl_b64 s[8:9], s[16:17], 2
	s_waitcnt lgkmcnt(0)
	s_add_u32 s6, s6, s8
	s_addc_u32 s7, s7, s9
	s_abs_i32 s3, s28
	v_cvt_f32_u32_e32 v1, s3
	s_sub_i32 s10, 0, s3
	s_abs_i32 s9, s5
	s_xor_b32 s8, s5, s28
	v_rcp_iflag_f32_e32 v1, v1
	s_ashr_i32 s8, s8, 31
	s_mov_b32 s28, 0
	v_mul_f32_e32 v1, 0x4f7ffffe, v1
	v_cvt_u32_f32_e32 v1, v1
	s_nop 0
	v_readfirstlane_b32 s11, v1
	s_mul_i32 s10, s10, s11
	s_mul_hi_u32 s10, s11, s10
	s_add_i32 s11, s11, s10
	s_mul_hi_u32 s10, s9, s11
	s_mul_i32 s11, s10, s3
	s_sub_i32 s9, s9, s11
	s_add_i32 s11, s10, 1
	s_sub_i32 s12, s9, s3
	s_cmp_ge_u32 s9, s3
	s_cselect_b32 s10, s11, s10
	s_cselect_b32 s9, s12, s9
	s_add_i32 s11, s10, 1
	s_cmp_ge_u32 s9, s3
	s_cselect_b32 s3, s11, s10
	s_xor_b32 s3, s3, s8
	s_sub_i32 s12, s3, s8
	s_abs_i32 s10, s12
	v_cvt_f32_u32_e32 v1, s10
	s_load_dwordx2 s[8:9], s[0:1], 0x40
	s_sub_i32 s3, 0, s10
	s_abs_i32 s11, s2
	v_rcp_iflag_f32_e32 v1, v1
	s_nop 0
	v_mul_f32_e32 v1, 0x4f7ffffe, v1
	v_cvt_u32_f32_e32 v1, v1
	s_nop 0
	v_readfirstlane_b32 s13, v1
	s_mul_i32 s3, s3, s13
	s_mul_hi_u32 s3, s13, s3
	s_add_i32 s13, s13, s3
	s_waitcnt lgkmcnt(0)
	s_cmp_eq_u64 s[8:9], 0
	s_mul_hi_u32 s20, s11, s13
	s_cbranch_scc1 .LBB207_2
; %bb.1:
	s_ashr_i32 s3, s2, 31
	s_lshl_b64 s[14:15], s[2:3], 2
	s_add_u32 s8, s8, s14
	s_addc_u32 s9, s9, s15
	s_load_dword s28, s[8:9], 0x0
.LBB207_2:
	s_load_dword s17, s[6:7], 0x0
	s_ashr_i32 s7, s12, 31
	s_load_dwordx4 s[12:15], s[0:1], 0x48
	s_ashr_i32 s6, s2, 31
	v_and_b32_e32 v18, 1, v0
	s_lshl_b32 s18, s2, 5
	v_cmp_gt_u32_e32 vcc, 16, v0
	v_lshlrev_b32_e32 v22, 2, v0
	s_and_saveexec_b64 s[2:3], vcc
	s_cbranch_execz .LBB207_4
; %bb.3:
	s_load_dwordx2 s[8:9], s[0:1], 0x8
	s_waitcnt lgkmcnt(0)
	s_mul_i32 s22, s12, s16
	s_ashr_i32 s23, s22, 31
	s_lshl_b64 s[22:23], s[22:23], 2
	v_lshlrev_b32_e32 v1, 3, v0
	s_add_u32 s12, s8, s22
	s_addc_u32 s15, s9, s23
	s_ashr_i32 s19, s18, 31
	s_lshl_b64 s[8:9], s[18:19], 2
	s_add_u32 s8, s12, s8
	s_addc_u32 s9, s15, s9
	global_load_dwordx2 v[2:3], v1, s[8:9]
	v_and_b32_e32 v1, 0xff8, v22
	v_lshl_add_u32 v1, v18, 6, v1
	s_waitcnt vmcnt(0)
	ds_write_b64 v1, v[2:3]
.LBB207_4:
	s_or_b64 exec, exec, s[2:3]
	s_waitcnt lgkmcnt(0)
	s_add_i32 s3, s17, 31
	s_ashr_i32 s8, s3, 31
	s_lshr_b32 s8, s8, 27
	s_add_i32 s3, s3, s8
	s_ashr_i32 s19, s3, 5
	s_xor_b32 s3, s6, s7
	s_mul_i32 s6, s20, s10
	s_sub_i32 s6, s11, s6
	s_add_i32 s7, s20, 1
	s_sub_i32 s8, s6, s10
	s_load_dwordx2 s[22:23], s[0:1], 0x28
	s_load_dword s2, s[0:1], 0x38
	s_cmp_ge_u32 s6, s10
	s_cselect_b32 s7, s7, s20
	s_cselect_b32 s6, s8, s6
	s_add_i32 s8, s7, 1
	s_cmp_ge_u32 s6, s10
	s_cselect_b32 s6, s8, s7
	v_lshrrev_b32_e32 v1, 6, v0
	s_xor_b32 s6, s6, s3
	s_waitcnt lgkmcnt(0)
	s_mul_i32 s24, s2, s16
	s_sub_i32 s33, s6, s3
	s_ashr_i32 s25, s24, 31
	v_cmp_gt_i32_e64 s[2:3], s19, v1
	v_cmp_le_i32_e32 vcc, s19, v1
	v_mbcnt_lo_u32_b32 v19, -1, 0
	s_barrier
                                        ; implicit-def: $vgpr24
                                        ; implicit-def: $vgpr25
                                        ; implicit-def: $vgpr26
	s_and_saveexec_b64 s[6:7], vcc
	s_xor_b64 s[6:7], exec, s[6:7]
; %bb.5:
	v_mbcnt_hi_u32_b32 v24, -1, v19
	v_and_b32_e32 v25, 64, v24
	v_add_u32_e32 v26, 64, v25
                                        ; implicit-def: $vgpr18
                                        ; implicit-def: $vgpr19
; %bb.6:
	s_or_saveexec_b64 s[30:31], s[6:7]
	s_load_dwordx2 s[20:21], s[0:1], 0x0
	s_load_dwordx2 s[26:27], s[0:1], 0x18
	s_load_dword s12, s[0:1], 0x88
	s_load_dwordx4 s[8:11], s[0:1], 0x58
	v_mov_b32_e32 v27, 0xff7fffff
	s_mul_i32 s33, s33, s14
	v_lshrrev_b32_e32 v23, 4, v0
	s_xor_b64 exec, exec, s[30:31]
	s_cbranch_execz .LBB207_12
; %bb.7:
	s_load_dwordx2 s[0:1], s[0:1], 0x10
	v_mbcnt_hi_u32_b32 v24, -1, v19
	s_ashr_i32 s6, s33, 31
	v_lshlrev_b32_e32 v14, 6, v18
	v_and_b32_e32 v25, 64, v24
	v_bfe_u32 v27, v0, 1, 5
	s_waitcnt lgkmcnt(0)
	s_add_u32 s0, s0, s33
	ds_read_b128 v[2:5], v14
	ds_read_b128 v[6:9], v14 offset:16
	ds_read_b128 v[10:13], v14 offset:32
	;; [unrolled: 1-line block ×3, first 2 shown]
	v_xor_b32_e32 v19, 1, v24
	v_add_u32_e32 v26, 64, v25
	v_lshlrev_b32_e32 v20, 4, v27
	s_addc_u32 s1, s1, s6
	v_mov_b32_e32 v21, 0
	s_load_dword s8, s[8:9], 0x0
	v_cmp_lt_i32_e32 vcc, v19, v26
	v_lshl_add_u64 v[30:31], s[0:1], 0, v[20:21]
	v_lshlrev_b32_e32 v20, 1, v18
	v_cndmask_b32_e32 v19, v24, v19, vcc
	v_lshlrev_b32_e32 v28, 2, v19
	v_cmp_eq_u32_e32 vcc, 0, v18
	v_lshl_add_u64 v[18:19], v[30:31], 0, v[20:21]
	s_sub_i32 s37, 1, s17
	v_lshlrev_b32_e32 v20, 2, v27
	s_lshl_b64 s[6:7], s[24:25], 2
	v_lshl_or_b32 v20, v1, 7, v20
	s_add_u32 s6, s22, s6
	v_add_u32_e32 v30, 0x90, v20
	v_and_b32_e32 v20, 60, v23
	s_addc_u32 s7, s23, s7
	s_mov_b32 s36, s13
	v_cmp_neq_f32_e64 s[0:1], s28, 0
	s_waitcnt lgkmcnt(0)
	s_mov_b32 s9, s8
	v_lshl_or_b32 v29, v1, 5, v27
	v_lshl_add_u64 v[20:21], s[6:7], 0, v[20:21]
	v_mov_b32_e32 v27, 0xff7fffff
	s_mov_b64 s[14:15], 0
	v_mov_b32_e32 v31, v1
	s_branch .LBB207_9
.LBB207_8:                              ;   in Loop: Header=BB207_9 Depth=1
	s_or_b64 exec, exec, s[34:35]
	v_add_u32_e32 v31, 2, v31
	v_cmp_le_i32_e64 s[6:7], s19, v31
	v_add_u32_e32 v29, 64, v29
	v_add_u32_e32 v30, 0x100, v30
	s_or_b64 s[14:15], s[6:7], s[14:15]
	v_lshl_add_u64 v[20:21], v[20:21], 0, 8
	s_andn2_b64 exec, exec, s[14:15]
	s_cbranch_execz .LBB207_11
.LBB207_9:                              ; =>This Inner Loop Header: Depth=1
	global_load_dword v32, v[20:21], off
	s_waitcnt vmcnt(0) lgkmcnt(0)
	v_mad_i64_i32 v[32:33], s[6:7], v32, s36, v[18:19]
	global_load_ushort v34, v[32:33], off
	global_load_ushort v35, v[32:33], off offset:4
	global_load_ushort v36, v[32:33], off offset:8
	;; [unrolled: 1-line block ×7, first 2 shown]
	s_waitcnt vmcnt(7)
	v_cvt_pk_f32_fp8_e32 v[32:33], v34
	s_waitcnt vmcnt(6)
	v_cvt_pk_f32_fp8_e32 v[34:35], v35
	;; [unrolled: 2-line block ×5, first 2 shown]
	v_pk_mul_f32 v[34:35], s[8:9], v[34:35]
	s_waitcnt vmcnt(2)
	v_cvt_pk_f32_fp8_e32 v[42:43], v42
	v_pk_mul_f32 v[32:33], v[32:33], s[8:9]
	v_mul_f32_e32 v34, v4, v34
	v_mul_f32_e32 v35, v5, v35
	s_waitcnt vmcnt(1)
	v_cvt_pk_f32_fp8_e32 v[44:45], v44
	v_pk_mul_f32 v[36:37], s[8:9], v[36:37]
	v_fmac_f32_e32 v34, v2, v32
	v_fmac_f32_e32 v35, v3, v33
	s_waitcnt vmcnt(0)
	v_cvt_pk_f32_fp8_e32 v[46:47], v46
	v_pk_mul_f32 v[38:39], s[8:9], v[38:39]
	v_fmac_f32_e32 v34, v6, v36
	v_fmac_f32_e32 v35, v7, v37
	v_pk_mul_f32 v[40:41], s[8:9], v[40:41]
	v_fmac_f32_e32 v34, v8, v38
	v_fmac_f32_e32 v35, v9, v39
	;; [unrolled: 3-line block ×5, first 2 shown]
	v_fmac_f32_e32 v34, v16, v46
	v_fmac_f32_e32 v35, v17, v47
	v_add_f32_e32 v32, v34, v35
	ds_bpermute_b32 v33, v28, v32
	s_and_saveexec_b64 s[34:35], vcc
	s_cbranch_execz .LBB207_8
; %bb.10:                               ;   in Loop: Header=BB207_9 Depth=1
	v_add_u32_e32 v34, s37, v29
	v_cvt_f32_i32_e32 v34, v34
	s_waitcnt lgkmcnt(0)
	v_add_f32_e32 v32, v32, v33
	v_cmp_gt_i32_e64 s[6:7], s17, v29
	v_max_f32_e32 v33, v27, v27
	v_mul_f32_e32 v34, s28, v34
	v_cndmask_b32_e64 v34, 0, v34, s[0:1]
	v_fmac_f32_e32 v34, s29, v32
	v_cndmask_b32_e64 v32, 0, v34, s[6:7]
	ds_write_b32 v30, v32
	v_max_f32_e32 v32, v33, v34
	v_cndmask_b32_e64 v27, v27, v32, s[6:7]
	s_branch .LBB207_8
.LBB207_11:
	s_or_b64 exec, exec, s[14:15]
.LBB207_12:
	s_or_b64 exec, exec, s[30:31]
	v_xor_b32_e32 v2, 32, v24
	v_cmp_lt_i32_e32 vcc, v2, v26
	v_xor_b32_e32 v5, 16, v24
	v_max_f32_e32 v4, v27, v27
	v_cndmask_b32_e32 v2, v24, v2, vcc
	v_lshlrev_b32_e32 v2, 2, v2
	ds_bpermute_b32 v3, v2, v27
	v_cmp_lt_i32_e32 vcc, v5, v26
	v_xor_b32_e32 v6, 8, v24
	v_xor_b32_e32 v7, 4, v24
	v_and_b32_e32 v30, 63, v0
	s_waitcnt lgkmcnt(0)
	v_max_f32_e32 v3, v3, v3
	v_max_f32_e32 v4, v4, v3
	v_cndmask_b32_e32 v3, v24, v5, vcc
	v_lshlrev_b32_e32 v3, 2, v3
	ds_bpermute_b32 v5, v3, v4
	v_cmp_lt_i32_e32 vcc, v6, v26
	s_waitcnt lgkmcnt(0)
	v_max_f32_e32 v5, v5, v5
	v_max_f32_e32 v5, v4, v5
	v_cndmask_b32_e32 v4, v24, v6, vcc
	v_lshlrev_b32_e32 v4, 2, v4
	ds_bpermute_b32 v6, v4, v5
	v_cmp_lt_i32_e32 vcc, v7, v26
	s_waitcnt lgkmcnt(0)
	v_max_f32_e32 v6, v6, v6
	v_max_f32_e32 v5, v5, v6
	v_cndmask_b32_e32 v6, v24, v7, vcc
	v_lshlrev_b32_e32 v31, 2, v6
	ds_bpermute_b32 v6, v31, v5
	v_xor_b32_e32 v7, 2, v24
	v_cmp_lt_i32_e32 vcc, v7, v26
	s_waitcnt lgkmcnt(0)
	v_max_f32_e32 v6, v6, v6
	v_max_f32_e32 v6, v5, v6
	v_cndmask_b32_e32 v5, v24, v7, vcc
	v_lshlrev_b32_e32 v32, 2, v5
	ds_bpermute_b32 v7, v32, v6
	v_cmp_eq_u32_e32 vcc, 0, v30
	v_lshlrev_b32_e32 v5, 2, v1
	s_and_saveexec_b64 s[0:1], vcc
	s_cbranch_execz .LBB207_14
; %bb.13:
	s_waitcnt lgkmcnt(0)
	v_max_f32_e32 v7, v7, v7
	v_max_f32_e32 v6, v6, v6
	;; [unrolled: 1-line block ×3, first 2 shown]
	ds_write_b32 v5, v6 offset:128
.LBB207_14:
	s_or_b64 exec, exec, s[0:1]
	v_cmp_gt_u32_e64 s[0:1], 2, v30
	s_waitcnt lgkmcnt(0)
	v_mov_b32_e32 v7, 0xff7fffff
	v_lshlrev_b32_e32 v6, 2, v30
	s_barrier
	s_and_saveexec_b64 s[6:7], s[0:1]
; %bb.15:
	ds_read_b32 v7, v6 offset:128
; %bb.16:
	s_or_b64 exec, exec, s[6:7]
	v_xor_b32_e32 v8, 1, v24
	v_cmp_lt_i32_e64 s[6:7], v8, v26
	s_nop 1
	v_cndmask_b32_e64 v8, v24, v8, s[6:7]
	v_lshlrev_b32_e32 v33, 2, v8
	s_waitcnt lgkmcnt(0)
	ds_bpermute_b32 v8, v33, v7
	v_max_f32_e32 v7, v7, v7
	s_lshl_b32 s6, s19, 5
	s_min_i32 s30, s6, s17
	v_cmp_gt_i32_e64 s[6:7], s30, v0
	s_waitcnt lgkmcnt(0)
	v_max_f32_e32 v8, v8, v8
	v_max_f32_e32 v7, v7, v8
	v_lshlrev_b32_e32 v8, 2, v25
	ds_bpermute_b32 v8, v8, v7
	v_mov_b32_e32 v7, 0
	s_and_saveexec_b64 s[14:15], s[6:7]
	s_cbranch_execz .LBB207_20
; %bb.17:
	v_mov_b32_e32 v7, 0x90
	v_lshl_add_u32 v9, v0, 2, v7
	v_mov_b32_e32 v7, 0
	s_mov_b64 s[28:29], 0
	v_mov_b32_e32 v10, v0
.LBB207_18:                             ; =>This Inner Loop Header: Depth=1
	ds_read_b32 v11, v9
	v_add_u32_e32 v10, 0x80, v10
	v_cmp_le_i32_e64 s[8:9], s30, v10
	s_or_b64 s[28:29], s[8:9], s[28:29]
	s_waitcnt lgkmcnt(0)
	v_sub_f32_e32 v11, v11, v8
	v_mul_f32_e32 v11, 0x3fb8aa3b, v11
	v_exp_f32_e32 v11, v11
	ds_write_b32 v9, v11
	v_add_f32_e32 v7, v7, v11
	v_add_u32_e32 v9, 0x200, v9
	s_andn2_b64 exec, exec, s[28:29]
	s_cbranch_execnz .LBB207_18
; %bb.19:
	s_or_b64 exec, exec, s[28:29]
.LBB207_20:
	s_or_b64 exec, exec, s[14:15]
	ds_bpermute_b32 v2, v2, v7
	s_waitcnt lgkmcnt(0)
	v_add_f32_e32 v2, v7, v2
	ds_bpermute_b32 v3, v3, v2
	s_waitcnt lgkmcnt(0)
	v_add_f32_e32 v2, v2, v3
	;; [unrolled: 3-line block ×6, first 2 shown]
	s_and_saveexec_b64 s[8:9], vcc
; %bb.21:
	ds_write_b32 v5, v2 offset:136
; %bb.22:
	s_or_b64 exec, exec, s[8:9]
	s_waitcnt lgkmcnt(0)
	s_barrier
	s_and_saveexec_b64 s[8:9], s[0:1]
; %bb.23:
	ds_read_b32 v2, v6 offset:136
; %bb.24:
	s_or_b64 exec, exec, s[8:9]
	s_waitcnt lgkmcnt(0)
	ds_bpermute_b32 v3, v33, v2
	v_lshlrev_b32_e32 v4, 2, v24
	s_waitcnt lgkmcnt(0)
	v_add_f32_e32 v2, v2, v3
	v_and_b32_e32 v3, 0xffffff00, v4
	ds_bpermute_b32 v2, v3, v2
	s_and_saveexec_b64 s[0:1], s[6:7]
	s_cbranch_execz .LBB207_37
; %bb.25:
	s_waitcnt lgkmcnt(0)
	v_add_f32_e32 v2, 0x358637bd, v2
	v_div_scale_f32 v3, s[6:7], v2, v2, 1.0
	v_rcp_f32_e32 v4, v3
	v_div_scale_f32 v5, vcc, 1.0, v2, 1.0
	s_movk_i32 s6, 0x7f
	v_fma_f32 v6, -v3, v4, 1.0
	v_fmac_f32_e32 v4, v6, v4
	v_mul_f32_e32 v6, v5, v4
	v_fma_f32 v7, -v3, v6, v5
	v_fmac_f32_e32 v6, v7, v4
	v_fma_f32 v3, -v3, v6, v5
	v_div_fmas_f32 v3, v3, v4, v6
	v_xad_u32 v4, v0, -1, s30
	v_div_fixup_f32 v2, v3, v2, 1.0
	v_cmp_lt_u32_e32 vcc, s6, v4
	s_mov_b64 s[8:9], -1
	v_mov_b32_e32 v3, v0
	s_and_saveexec_b64 s[6:7], vcc
	s_cbranch_execz .LBB207_34
; %bb.26:
	v_lshrrev_b32_e32 v4, 7, v4
	v_add_u32_e32 v6, -1, v4
	v_lshrrev_b32_e32 v5, 1, v6
	v_mov_b32_e32 v3, v2
	v_add_u32_e32 v5, 1, v5
	v_cmp_lt_u32_e32 vcc, 13, v6
	v_mov_b32_e32 v8, 0
	s_and_saveexec_b64 s[8:9], vcc
	s_cbranch_execz .LBB207_30
; %bb.27:
	v_mov_b32_e32 v7, 0x90
	v_and_b32_e32 v6, -8, v5
	v_lshl_add_u32 v7, v0, 2, v7
	s_mov_b32 s28, 0
	s_mov_b64 s[14:15], 0
.LBB207_28:                             ; =>This Inner Loop Header: Depth=1
	ds_read2st64_b32 v[8:9], v7 offset1:2
	ds_read2st64_b32 v[10:11], v7 offset0:4 offset1:6
	ds_read2st64_b32 v[12:13], v7 offset0:8 offset1:10
	ds_read2st64_b32 v[14:15], v7 offset0:12 offset1:14
	v_add_u32_e32 v6, -8, v6
	s_waitcnt lgkmcnt(3)
	v_pk_mul_f32 v[8:9], v[2:3], v[8:9]
	s_waitcnt lgkmcnt(2)
	v_pk_mul_f32 v[10:11], v[2:3], v[10:11]
	ds_write2st64_b32 v7, v8, v9 offset1:2
	ds_write2st64_b32 v7, v10, v11 offset0:4 offset1:6
	ds_read2st64_b32 v[10:11], v7 offset0:16 offset1:18
	s_waitcnt lgkmcnt(4)
	v_pk_mul_f32 v[8:9], v[2:3], v[12:13]
	ds_write2st64_b32 v7, v8, v9 offset0:8 offset1:10
	s_waitcnt lgkmcnt(4)
	v_pk_mul_f32 v[8:9], v[2:3], v[14:15]
	ds_write2st64_b32 v7, v8, v9 offset0:12 offset1:14
	ds_read2st64_b32 v[8:9], v7 offset0:20 offset1:22
	s_waitcnt lgkmcnt(3)
	v_pk_mul_f32 v[10:11], v[2:3], v[10:11]
	ds_read2st64_b32 v[12:13], v7 offset0:24 offset1:26
	ds_write2st64_b32 v7, v10, v11 offset0:16 offset1:18
	ds_read2st64_b32 v[10:11], v7 offset0:28 offset1:30
	s_waitcnt lgkmcnt(3)
	v_pk_mul_f32 v[8:9], v[2:3], v[8:9]
	ds_write2st64_b32 v7, v8, v9 offset0:20 offset1:22
	s_waitcnt lgkmcnt(3)
	v_pk_mul_f32 v[8:9], v[2:3], v[12:13]
	ds_write2st64_b32 v7, v8, v9 offset0:24 offset1:26
	s_waitcnt lgkmcnt(2)
	v_pk_mul_f32 v[8:9], v[2:3], v[10:11]
	s_add_i32 s28, s28, 16
	v_cmp_eq_u32_e32 vcc, 0, v6
	ds_write2st64_b32 v7, v8, v9 offset0:28 offset1:30
	v_add_u32_e32 v7, 0x2000, v7
	s_or_b64 s[14:15], vcc, s[14:15]
	v_mov_b32_e32 v8, s28
	s_andn2_b64 exec, exec, s[14:15]
	s_cbranch_execnz .LBB207_28
; %bb.29:
	s_or_b64 exec, exec, s[14:15]
.LBB207_30:
	s_or_b64 exec, exec, s[8:9]
	v_and_b32_e32 v5, 7, v5
	v_cmp_ne_u32_e32 vcc, 0, v5
	s_and_saveexec_b64 s[8:9], vcc
	s_cbranch_execz .LBB207_33
; %bb.31:
	v_lshlrev_b32_e32 v6, 9, v8
	s_movk_i32 s14, 0x90
	v_add3_u32 v6, v6, v22, s14
	s_mov_b64 s[14:15], 0
.LBB207_32:                             ; =>This Inner Loop Header: Depth=1
	ds_read2st64_b32 v[8:9], v6 offset1:2
	v_add_u32_e32 v5, -1, v5
	v_cmp_eq_u32_e32 vcc, 0, v5
	s_or_b64 s[14:15], vcc, s[14:15]
	s_waitcnt lgkmcnt(0)
	v_pk_mul_f32 v[8:9], v[2:3], v[8:9]
	ds_write2st64_b32 v6, v8, v9 offset1:2
	v_add_u32_e32 v6, 0x400, v6
	s_andn2_b64 exec, exec, s[14:15]
	s_cbranch_execnz .LBB207_32
.LBB207_33:
	s_or_b64 exec, exec, s[8:9]
	v_add_u32_e32 v4, 1, v4
	v_and_b32_e32 v5, 0x3fffffe, v4
	v_cmp_ne_u32_e32 vcc, v4, v5
	v_lshl_add_u32 v3, v5, 7, v0
	s_orn2_b64 s[8:9], vcc, exec
.LBB207_34:
	s_or_b64 exec, exec, s[6:7]
	s_and_b64 exec, exec, s[8:9]
	s_cbranch_execz .LBB207_37
; %bb.35:
	v_mov_b32_e32 v4, 0x90
	v_lshl_add_u32 v4, v3, 2, v4
	s_mov_b64 s[6:7], 0
.LBB207_36:                             ; =>This Inner Loop Header: Depth=1
	ds_read_b32 v5, v4
	v_add_u32_e32 v3, 0x80, v3
	v_cmp_le_i32_e32 vcc, s30, v3
	s_or_b64 s[6:7], vcc, s[6:7]
	s_waitcnt lgkmcnt(0)
	v_mul_f32_e32 v5, v2, v5
	ds_write_b32 v4, v5
	v_add_u32_e32 v4, 0x200, v4
	s_andn2_b64 exec, exec, s[6:7]
	s_cbranch_execnz .LBB207_36
.LBB207_37:
	s_or_b64 exec, exec, s[0:1]
	v_mov_b32_e32 v7, 0
	v_and_b32_e32 v34, 7, v0
	v_mov_b32_e32 v6, 0
	v_mov_b32_e32 v9, 0
	;; [unrolled: 1-line block ×3, first 2 shown]
	s_waitcnt lgkmcnt(0)
	s_barrier
	s_and_saveexec_b64 s[6:7], s[2:3]
	s_cbranch_execz .LBB207_49
; %bb.38:
	s_ashr_i32 s1, s33, 31
	s_load_dword s2, s[10:11], 0x0
	s_add_u32 s0, s26, s33
	s_addc_u32 s1, s27, s1
	v_and_b32_e32 v6, 0xfc, v22
	v_mov_b32_e32 v7, 0
	v_and_b32_e32 v2, 28, v22
	s_add_i32 s14, s19, -1
	v_lshl_add_u64 v[10:11], s[0:1], 0, v[6:7]
	s_lshl_b64 s[0:1], s[24:25], 2
	v_lshl_or_b32 v35, v1, 5, v2
	v_lshlrev_b32_e32 v2, 4, v34
	s_add_u32 s0, s22, s0
	v_lshl_or_b32 v2, v1, 7, v2
	v_and_b32_e32 v6, 60, v23
	s_addc_u32 s1, s23, s1
	s_waitcnt lgkmcnt(0)
	s_mov_b32 s3, s2
	s_mov_b32 s15, s17
	v_add_u32_e32 v36, 0x90, v2
	v_lshl_add_u64 v[12:13], s[0:1], 0, v[6:7]
	s_mov_b64 s[8:9], 0
	v_mov_b32_e32 v6, v7
	v_mov_b32_e32 v9, v7
	;; [unrolled: 1-line block ×3, first 2 shown]
	s_branch .LBB207_40
.LBB207_39:                             ;   in Loop: Header=BB207_40 Depth=1
	s_or_b64 exec, exec, s[0:1]
	s_waitcnt lgkmcnt(0)
	v_mul_f32_e32 v26, v2, v26
	v_mul_f32_e32 v22, v2, v22
	;; [unrolled: 1-line block ×3, first 2 shown]
	v_fmac_f32_e32 v26, v3, v27
	v_fmac_f32_e32 v22, v3, v23
	;; [unrolled: 1-line block ×6, first 2 shown]
	v_pk_mul_f32 v[2:3], v[2:3], v[28:29]
	v_fmac_f32_e32 v26, v5, v25
	v_fmac_f32_e32 v22, v5, v21
	;; [unrolled: 1-line block ×3, first 2 shown]
	v_pk_mul_f32 v[4:5], v[4:5], v[18:19]
	v_add_f32_e32 v2, v3, v2
	v_add_f32_e32 v2, v4, v2
	v_add_u32_e32 v1, 2, v1
	v_add_f32_e32 v2, v5, v2
	v_cmp_le_i32_e32 vcc, s19, v1
	v_add_f32_e32 v6, v6, v26
	v_add_f32_e32 v9, v9, v22
	;; [unrolled: 1-line block ×4, first 2 shown]
	v_add_u32_e32 v35, 64, v35
	v_add_u32_e32 v36, 0x100, v36
	s_or_b64 s[8:9], vcc, s[8:9]
	v_lshl_add_u64 v[12:13], v[12:13], 0, 8
	s_andn2_b64 exec, exec, s[8:9]
	s_cbranch_execz .LBB207_48
.LBB207_40:                             ; =>This Inner Loop Header: Depth=1
	global_load_dword v2, v[12:13], off
	v_cmp_eq_u32_e32 vcc, s14, v1
	v_add_u32_e32 v37, 1, v35
	v_add_u32_e32 v28, 2, v35
	;; [unrolled: 1-line block ×3, first 2 shown]
	s_waitcnt vmcnt(0)
	v_mad_i64_i32 v[18:19], s[0:1], v2, s13, v[10:11]
	global_load_dword v14, v[18:19], off
	ds_read_b128 v[2:5], v36
	s_waitcnt vmcnt(0)
	v_and_b32_e32 v15, 0xffff, v14
	v_lshrrev_b32_e32 v16, 16, v14
	v_cvt_pk_f32_fp8_e32 v[14:15], v15
	v_cvt_pk_f32_fp8_e32 v[20:21], v16
	v_pk_mul_f32 v[16:17], s[2:3], v[14:15]
	v_pk_mul_f32 v[14:15], s[2:3], v[20:21]
	s_and_saveexec_b64 s[10:11], vcc
; %bb.41:                               ;   in Loop: Header=BB207_40 Depth=1
	v_cmp_gt_i32_e64 s[0:1], s17, v35
	s_nop 1
	v_cndmask_b32_e64 v16, 0, v16, s[0:1]
	v_cmp_gt_i32_e64 s[0:1], s17, v37
	s_nop 1
	v_cndmask_b32_e64 v17, 0, v17, s[0:1]
	v_cmp_gt_i32_e64 s[0:1], s17, v28
	s_nop 1
	v_cndmask_b32_e64 v14, 0, v14, s[0:1]
	v_cmp_gt_i32_e64 s[0:1], s17, v29
	s_nop 1
	v_cndmask_b32_e64 v15, 0, v15, s[0:1]
; %bb.42:                               ;   in Loop: Header=BB207_40 Depth=1
	s_or_b64 exec, exec, s[10:11]
	global_load_dword v20, v[18:19], off offset:256
	s_waitcnt vmcnt(0)
	v_and_b32_e32 v21, 0xffff, v20
	v_lshrrev_b32_e32 v22, 16, v20
	v_cvt_pk_f32_fp8_e32 v[20:21], v21
	v_cvt_pk_f32_fp8_e32 v[24:25], v22
	v_pk_mul_f32 v[22:23], s[2:3], v[20:21]
	v_pk_mul_f32 v[20:21], s[2:3], v[24:25]
	s_and_saveexec_b64 s[10:11], vcc
; %bb.43:                               ;   in Loop: Header=BB207_40 Depth=1
	v_cmp_gt_i32_e64 s[0:1], s17, v35
	s_nop 1
	v_cndmask_b32_e64 v22, 0, v22, s[0:1]
	v_cmp_gt_i32_e64 s[0:1], s17, v37
	s_nop 1
	v_cndmask_b32_e64 v23, 0, v23, s[0:1]
	v_cmp_gt_i32_e64 s[0:1], s17, v28
	s_nop 1
	v_cndmask_b32_e64 v20, 0, v20, s[0:1]
	v_cmp_gt_i32_e64 s[0:1], s17, v29
	s_nop 1
	v_cndmask_b32_e64 v21, 0, v21, s[0:1]
; %bb.44:                               ;   in Loop: Header=BB207_40 Depth=1
	s_or_b64 exec, exec, s[10:11]
	global_load_dword v24, v[18:19], off offset:512
	;; [unrolled: 24-line block ×3, first 2 shown]
	s_waitcnt vmcnt(0)
	v_and_b32_e32 v19, 0xffff, v18
	v_lshrrev_b32_e32 v28, 16, v18
	v_cvt_pk_f32_fp8_e32 v[18:19], v19
	v_cvt_pk_f32_fp8_e32 v[38:39], v28
	v_pk_mul_f32 v[28:29], s[2:3], v[18:19]
	v_pk_mul_f32 v[18:19], s[2:3], v[38:39]
	s_and_saveexec_b64 s[0:1], vcc
	s_cbranch_execz .LBB207_39
; %bb.47:                               ;   in Loop: Header=BB207_40 Depth=1
	v_cmp_gt_i32_e32 vcc, s15, v37
	v_or_b32_e32 v37, 3, v35
	v_or_b32_e32 v38, 2, v35
	v_cndmask_b32_e32 v29, 0, v29, vcc
	v_cmp_gt_i32_e32 vcc, s17, v35
	s_nop 1
	v_cndmask_b32_e32 v28, 0, v28, vcc
	v_cmp_gt_i32_e32 vcc, s15, v37
	s_nop 1
	;; [unrolled: 3-line block ×3, first 2 shown]
	v_cndmask_b32_e32 v18, 0, v18, vcc
	s_branch .LBB207_39
.LBB207_48:
	s_or_b64 exec, exec, s[8:9]
.LBB207_49:
	s_or_b64 exec, exec, s[6:7]
	ds_bpermute_b32 v2, v31, v8
	ds_bpermute_b32 v3, v31, v9
	ds_bpermute_b32 v4, v31, v6
	ds_bpermute_b32 v5, v31, v7
	v_and_b32_e32 v1, 0x3c7, v0
	v_cmp_ne_u32_e32 vcc, 64, v1
	s_waitcnt lgkmcnt(2)
	v_pk_add_f32 v[2:3], v[8:9], v[2:3]
	ds_bpermute_b32 v8, v32, v2
	ds_bpermute_b32 v9, v32, v3
	s_waitcnt lgkmcnt(2)
	v_pk_add_f32 v[4:5], v[6:7], v[4:5]
	ds_bpermute_b32 v6, v32, v4
	ds_bpermute_b32 v7, v32, v5
	;; [unrolled: 4-line block ×3, first 2 shown]
	v_pk_add_f32 v[4:5], v[4:5], v[6:7]
	ds_bpermute_b32 v6, v33, v4
	ds_bpermute_b32 v7, v33, v5
	s_barrier
	s_waitcnt lgkmcnt(2)
	v_pk_add_f32 v[2:3], v[2:3], v[8:9]
	s_waitcnt lgkmcnt(0)
	s_and_saveexec_b64 s[0:1], vcc
	s_xor_b64 s[0:1], exec, s[0:1]
; %bb.50:
                                        ; implicit-def: $vgpr30
; %bb.51:
	s_or_saveexec_b64 s[0:1], s[0:1]
	v_pk_add_f32 v[4:5], v[4:5], v[6:7]
	s_xor_b64 exec, exec, s[0:1]
	s_cbranch_execz .LBB207_53
; %bb.52:
	v_lshrrev_b32_e32 v6, 1, v30
	v_add_u32_e32 v6, 0x90, v6
	ds_write2_b32 v6, v2, v3 offset1:8
	ds_write2_b32 v6, v4, v5 offset0:16 offset1:24
.LBB207_53:
	s_or_b64 exec, exec, s[0:1]
	v_cmp_gt_u32_e32 vcc, 64, v0
	v_lshrrev_b32_e32 v0, 3, v0
	s_waitcnt lgkmcnt(0)
	s_barrier
	s_and_saveexec_b64 s[0:1], vcc
	s_cbranch_execz .LBB207_60
; %bb.54:
	v_mov_b32_e32 v6, 0x90
	v_cmp_eq_u32_e32 vcc, 0, v34
	v_lshl_add_u32 v6, v0, 2, v6
	s_and_saveexec_b64 s[2:3], vcc
	s_cbranch_execnz .LBB207_63
; %bb.55:
	s_or_b64 exec, exec, s[2:3]
	s_and_saveexec_b64 s[2:3], vcc
	s_cbranch_execnz .LBB207_64
.LBB207_56:
	s_or_b64 exec, exec, s[2:3]
	s_and_saveexec_b64 s[2:3], vcc
	s_cbranch_execnz .LBB207_65
.LBB207_57:
	s_or_b64 exec, exec, s[2:3]
	s_and_saveexec_b64 s[2:3], vcc
	s_cbranch_execz .LBB207_59
.LBB207_58:
	ds_read_b32 v6, v6 offset:96
	s_waitcnt lgkmcnt(0)
	v_add_f32_e32 v5, v5, v6
.LBB207_59:
	s_or_b64 exec, exec, s[2:3]
.LBB207_60:
	s_or_b64 exec, exec, s[0:1]
	v_cmp_eq_u32_e32 vcc, 0, v1
	s_barrier
	s_and_saveexec_b64 s[0:1], vcc
	s_cbranch_execz .LBB207_62
; %bb.61:
	s_mul_i32 s0, s16, s12
	s_mul_i32 s0, s0, s5
	s_lshl_b32 s0, s0, 5
	s_ashr_i32 s1, s0, 31
	s_lshl_b64 s[0:1], s[0:1], 2
	s_add_u32 s2, s20, s0
	s_mul_i32 s0, s12, s18
	s_addc_u32 s3, s21, s1
	s_ashr_i32 s1, s0, 31
	s_lshl_b64 s[0:1], s[0:1], 2
	s_add_u32 s2, s2, s0
	s_addc_u32 s3, s3, s1
	s_lshl_b32 s0, s4, 5
	s_ashr_i32 s1, s0, 31
	s_lshl_b64 s[0:1], s[0:1], 2
	s_add_u32 s0, s2, s0
	s_addc_u32 s1, s3, s1
	v_lshlrev_b32_e32 v0, 2, v0
	global_store_dword v0, v2, s[0:1]
	global_store_dword v0, v3, s[0:1] offset:32
	global_store_dword v0, v4, s[0:1] offset:64
	;; [unrolled: 1-line block ×3, first 2 shown]
.LBB207_62:
	s_endpgm
.LBB207_63:
	ds_read_b32 v7, v6
	s_waitcnt lgkmcnt(0)
	v_add_f32_e32 v2, v2, v7
	s_or_b64 exec, exec, s[2:3]
	s_and_saveexec_b64 s[2:3], vcc
	s_cbranch_execz .LBB207_56
.LBB207_64:
	ds_read_b32 v7, v6 offset:32
	s_waitcnt lgkmcnt(0)
	v_add_f32_e32 v3, v3, v7
	s_or_b64 exec, exec, s[2:3]
	s_and_saveexec_b64 s[2:3], vcc
	s_cbranch_execz .LBB207_57
.LBB207_65:
	ds_read_b32 v7, v6 offset:64
	s_waitcnt lgkmcnt(0)
	v_add_f32_e32 v4, v4, v7
	s_or_b64 exec, exec, s[2:3]
	s_and_saveexec_b64 s[2:3], vcc
	s_cbranch_execnz .LBB207_58
	s_branch .LBB207_59
	.section	.rodata,"a",@progbits
	.p2align	6, 0x0
	.amdhsa_kernel _ZN4vllm25paged_attention_v1_kernelIfhLi32ELi32ELi128ELNS_18Fp8KVCacheDataTypeE1ELb0EEEvPT_PKS2_PKT0_S8_ifPKiSA_iPKfiiiSC_SC_iiiii
		.amdhsa_group_segment_fixed_size 144
		.amdhsa_private_segment_fixed_size 0
		.amdhsa_kernarg_size 384
		.amdhsa_user_sgpr_count 2
		.amdhsa_user_sgpr_dispatch_ptr 0
		.amdhsa_user_sgpr_queue_ptr 0
		.amdhsa_user_sgpr_kernarg_segment_ptr 1
		.amdhsa_user_sgpr_dispatch_id 0
		.amdhsa_user_sgpr_kernarg_preload_length 0
		.amdhsa_user_sgpr_kernarg_preload_offset 0
		.amdhsa_user_sgpr_private_segment_size 0
		.amdhsa_uses_dynamic_stack 0
		.amdhsa_enable_private_segment 0
		.amdhsa_system_sgpr_workgroup_id_x 1
		.amdhsa_system_sgpr_workgroup_id_y 1
		.amdhsa_system_sgpr_workgroup_id_z 1
		.amdhsa_system_sgpr_workgroup_info 0
		.amdhsa_system_vgpr_workitem_id 0
		.amdhsa_next_free_vgpr 48
		.amdhsa_next_free_sgpr 38
		.amdhsa_accum_offset 48
		.amdhsa_reserve_vcc 1
		.amdhsa_float_round_mode_32 0
		.amdhsa_float_round_mode_16_64 0
		.amdhsa_float_denorm_mode_32 3
		.amdhsa_float_denorm_mode_16_64 3
		.amdhsa_dx10_clamp 1
		.amdhsa_ieee_mode 1
		.amdhsa_fp16_overflow 0
		.amdhsa_tg_split 0
		.amdhsa_exception_fp_ieee_invalid_op 0
		.amdhsa_exception_fp_denorm_src 0
		.amdhsa_exception_fp_ieee_div_zero 0
		.amdhsa_exception_fp_ieee_overflow 0
		.amdhsa_exception_fp_ieee_underflow 0
		.amdhsa_exception_fp_ieee_inexact 0
		.amdhsa_exception_int_div_zero 0
	.end_amdhsa_kernel
	.section	.text._ZN4vllm25paged_attention_v1_kernelIfhLi32ELi32ELi128ELNS_18Fp8KVCacheDataTypeE1ELb0EEEvPT_PKS2_PKT0_S8_ifPKiSA_iPKfiiiSC_SC_iiiii,"axG",@progbits,_ZN4vllm25paged_attention_v1_kernelIfhLi32ELi32ELi128ELNS_18Fp8KVCacheDataTypeE1ELb0EEEvPT_PKS2_PKT0_S8_ifPKiSA_iPKfiiiSC_SC_iiiii,comdat
.Lfunc_end207:
	.size	_ZN4vllm25paged_attention_v1_kernelIfhLi32ELi32ELi128ELNS_18Fp8KVCacheDataTypeE1ELb0EEEvPT_PKS2_PKT0_S8_ifPKiSA_iPKfiiiSC_SC_iiiii, .Lfunc_end207-_ZN4vllm25paged_attention_v1_kernelIfhLi32ELi32ELi128ELNS_18Fp8KVCacheDataTypeE1ELb0EEEvPT_PKS2_PKT0_S8_ifPKiSA_iPKfiiiSC_SC_iiiii
                                        ; -- End function
	.set _ZN4vllm25paged_attention_v1_kernelIfhLi32ELi32ELi128ELNS_18Fp8KVCacheDataTypeE1ELb0EEEvPT_PKS2_PKT0_S8_ifPKiSA_iPKfiiiSC_SC_iiiii.num_vgpr, 48
	.set _ZN4vllm25paged_attention_v1_kernelIfhLi32ELi32ELi128ELNS_18Fp8KVCacheDataTypeE1ELb0EEEvPT_PKS2_PKT0_S8_ifPKiSA_iPKfiiiSC_SC_iiiii.num_agpr, 0
	.set _ZN4vllm25paged_attention_v1_kernelIfhLi32ELi32ELi128ELNS_18Fp8KVCacheDataTypeE1ELb0EEEvPT_PKS2_PKT0_S8_ifPKiSA_iPKfiiiSC_SC_iiiii.numbered_sgpr, 38
	.set _ZN4vllm25paged_attention_v1_kernelIfhLi32ELi32ELi128ELNS_18Fp8KVCacheDataTypeE1ELb0EEEvPT_PKS2_PKT0_S8_ifPKiSA_iPKfiiiSC_SC_iiiii.num_named_barrier, 0
	.set _ZN4vllm25paged_attention_v1_kernelIfhLi32ELi32ELi128ELNS_18Fp8KVCacheDataTypeE1ELb0EEEvPT_PKS2_PKT0_S8_ifPKiSA_iPKfiiiSC_SC_iiiii.private_seg_size, 0
	.set _ZN4vllm25paged_attention_v1_kernelIfhLi32ELi32ELi128ELNS_18Fp8KVCacheDataTypeE1ELb0EEEvPT_PKS2_PKT0_S8_ifPKiSA_iPKfiiiSC_SC_iiiii.uses_vcc, 1
	.set _ZN4vllm25paged_attention_v1_kernelIfhLi32ELi32ELi128ELNS_18Fp8KVCacheDataTypeE1ELb0EEEvPT_PKS2_PKT0_S8_ifPKiSA_iPKfiiiSC_SC_iiiii.uses_flat_scratch, 0
	.set _ZN4vllm25paged_attention_v1_kernelIfhLi32ELi32ELi128ELNS_18Fp8KVCacheDataTypeE1ELb0EEEvPT_PKS2_PKT0_S8_ifPKiSA_iPKfiiiSC_SC_iiiii.has_dyn_sized_stack, 0
	.set _ZN4vllm25paged_attention_v1_kernelIfhLi32ELi32ELi128ELNS_18Fp8KVCacheDataTypeE1ELb0EEEvPT_PKS2_PKT0_S8_ifPKiSA_iPKfiiiSC_SC_iiiii.has_recursion, 0
	.set _ZN4vllm25paged_attention_v1_kernelIfhLi32ELi32ELi128ELNS_18Fp8KVCacheDataTypeE1ELb0EEEvPT_PKS2_PKT0_S8_ifPKiSA_iPKfiiiSC_SC_iiiii.has_indirect_call, 0
	.section	.AMDGPU.csdata,"",@progbits
; Kernel info:
; codeLenInByte = 4044
; TotalNumSgprs: 44
; NumVgprs: 48
; NumAgprs: 0
; TotalNumVgprs: 48
; ScratchSize: 0
; MemoryBound: 0
; FloatMode: 240
; IeeeMode: 1
; LDSByteSize: 144 bytes/workgroup (compile time only)
; SGPRBlocks: 5
; VGPRBlocks: 5
; NumSGPRsForWavesPerEU: 44
; NumVGPRsForWavesPerEU: 48
; AccumOffset: 48
; Occupancy: 8
; WaveLimiterHint : 1
; COMPUTE_PGM_RSRC2:SCRATCH_EN: 0
; COMPUTE_PGM_RSRC2:USER_SGPR: 2
; COMPUTE_PGM_RSRC2:TRAP_HANDLER: 0
; COMPUTE_PGM_RSRC2:TGID_X_EN: 1
; COMPUTE_PGM_RSRC2:TGID_Y_EN: 1
; COMPUTE_PGM_RSRC2:TGID_Z_EN: 1
; COMPUTE_PGM_RSRC2:TIDIG_COMP_CNT: 0
; COMPUTE_PGM_RSRC3_GFX90A:ACCUM_OFFSET: 11
; COMPUTE_PGM_RSRC3_GFX90A:TG_SPLIT: 0
	.section	.text._ZN4vllm25paged_attention_v1_kernelIfhLi64ELi32ELi128ELNS_18Fp8KVCacheDataTypeE1ELb0EEEvPT_PKS2_PKT0_S8_ifPKiSA_iPKfiiiSC_SC_iiiii,"axG",@progbits,_ZN4vllm25paged_attention_v1_kernelIfhLi64ELi32ELi128ELNS_18Fp8KVCacheDataTypeE1ELb0EEEvPT_PKS2_PKT0_S8_ifPKiSA_iPKfiiiSC_SC_iiiii,comdat
	.protected	_ZN4vllm25paged_attention_v1_kernelIfhLi64ELi32ELi128ELNS_18Fp8KVCacheDataTypeE1ELb0EEEvPT_PKS2_PKT0_S8_ifPKiSA_iPKfiiiSC_SC_iiiii ; -- Begin function _ZN4vllm25paged_attention_v1_kernelIfhLi64ELi32ELi128ELNS_18Fp8KVCacheDataTypeE1ELb0EEEvPT_PKS2_PKT0_S8_ifPKiSA_iPKfiiiSC_SC_iiiii
	.globl	_ZN4vllm25paged_attention_v1_kernelIfhLi64ELi32ELi128ELNS_18Fp8KVCacheDataTypeE1ELb0EEEvPT_PKS2_PKT0_S8_ifPKiSA_iPKfiiiSC_SC_iiiii
	.p2align	8
	.type	_ZN4vllm25paged_attention_v1_kernelIfhLi64ELi32ELi128ELNS_18Fp8KVCacheDataTypeE1ELb0EEEvPT_PKS2_PKT0_S8_ifPKiSA_iPKfiiiSC_SC_iiiii,@function
_ZN4vllm25paged_attention_v1_kernelIfhLi64ELi32ELi128ELNS_18Fp8KVCacheDataTypeE1ELb0EEEvPT_PKS2_PKT0_S8_ifPKiSA_iPKfiiiSC_SC_iiiii: ; @_ZN4vllm25paged_attention_v1_kernelIfhLi64ELi32ELi128ELNS_18Fp8KVCacheDataTypeE1ELb0EEEvPT_PKS2_PKT0_S8_ifPKiSA_iPKfiiiSC_SC_iiiii
; %bb.0:
	s_load_dword s5, s[0:1], 0x80
	s_load_dwordx2 s[6:7], s[0:1], 0x30
	s_load_dwordx2 s[28:29], s[0:1], 0x20
	s_mov_b32 s16, s3
	s_ashr_i32 s17, s3, 31
	s_lshl_b64 s[8:9], s[16:17], 2
	s_waitcnt lgkmcnt(0)
	s_add_u32 s6, s6, s8
	s_addc_u32 s7, s7, s9
	s_abs_i32 s3, s28
	v_cvt_f32_u32_e32 v1, s3
	s_sub_i32 s10, 0, s3
	s_abs_i32 s9, s5
	s_xor_b32 s8, s5, s28
	v_rcp_iflag_f32_e32 v1, v1
	s_ashr_i32 s8, s8, 31
	s_mov_b32 s28, 0
	v_mul_f32_e32 v1, 0x4f7ffffe, v1
	v_cvt_u32_f32_e32 v1, v1
	s_nop 0
	v_readfirstlane_b32 s11, v1
	s_mul_i32 s10, s10, s11
	s_mul_hi_u32 s10, s11, s10
	s_add_i32 s11, s11, s10
	s_mul_hi_u32 s10, s9, s11
	s_mul_i32 s11, s10, s3
	s_sub_i32 s9, s9, s11
	s_add_i32 s11, s10, 1
	s_sub_i32 s12, s9, s3
	s_cmp_ge_u32 s9, s3
	s_cselect_b32 s10, s11, s10
	s_cselect_b32 s9, s12, s9
	s_add_i32 s11, s10, 1
	s_cmp_ge_u32 s9, s3
	s_cselect_b32 s3, s11, s10
	s_xor_b32 s3, s3, s8
	s_sub_i32 s12, s3, s8
	s_abs_i32 s10, s12
	v_cvt_f32_u32_e32 v1, s10
	s_load_dwordx2 s[8:9], s[0:1], 0x40
	s_sub_i32 s3, 0, s10
	s_abs_i32 s11, s2
	v_rcp_iflag_f32_e32 v1, v1
	s_nop 0
	v_mul_f32_e32 v1, 0x4f7ffffe, v1
	v_cvt_u32_f32_e32 v1, v1
	s_nop 0
	v_readfirstlane_b32 s13, v1
	s_mul_i32 s3, s3, s13
	s_mul_hi_u32 s3, s13, s3
	s_add_i32 s13, s13, s3
	s_waitcnt lgkmcnt(0)
	s_cmp_eq_u64 s[8:9], 0
	s_mul_hi_u32 s20, s11, s13
	s_cbranch_scc1 .LBB208_2
; %bb.1:
	s_ashr_i32 s3, s2, 31
	s_lshl_b64 s[14:15], s[2:3], 2
	s_add_u32 s8, s8, s14
	s_addc_u32 s9, s9, s15
	s_load_dword s28, s[8:9], 0x0
.LBB208_2:
	s_load_dword s17, s[6:7], 0x0
	s_ashr_i32 s7, s12, 31
	s_load_dwordx4 s[12:15], s[0:1], 0x48
	s_ashr_i32 s6, s2, 31
	v_and_b32_e32 v34, 1, v0
	s_lshl_b32 s18, s2, 6
	v_cmp_gt_u32_e32 vcc, 32, v0
	v_lshlrev_b32_e32 v38, 2, v0
	s_and_saveexec_b64 s[2:3], vcc
	s_cbranch_execz .LBB208_4
; %bb.3:
	s_load_dwordx2 s[8:9], s[0:1], 0x8
	s_waitcnt lgkmcnt(0)
	s_mul_i32 s22, s12, s16
	s_ashr_i32 s23, s22, 31
	s_lshl_b64 s[22:23], s[22:23], 2
	v_lshlrev_b32_e32 v1, 3, v0
	s_add_u32 s12, s8, s22
	s_addc_u32 s15, s9, s23
	s_ashr_i32 s19, s18, 31
	s_lshl_b64 s[8:9], s[18:19], 2
	s_add_u32 s8, s12, s8
	s_addc_u32 s9, s15, s9
	global_load_dwordx2 v[2:3], v1, s[8:9]
	v_and_b32_e32 v1, 0xff8, v38
	v_lshl_add_u32 v1, v34, 7, v1
	s_waitcnt vmcnt(0)
	ds_write_b64 v1, v[2:3]
.LBB208_4:
	s_or_b64 exec, exec, s[2:3]
	s_waitcnt lgkmcnt(0)
	s_add_i32 s3, s17, 31
	s_ashr_i32 s8, s3, 31
	s_lshr_b32 s8, s8, 27
	s_add_i32 s3, s3, s8
	s_ashr_i32 s19, s3, 5
	s_xor_b32 s3, s6, s7
	s_mul_i32 s6, s20, s10
	s_sub_i32 s6, s11, s6
	s_add_i32 s7, s20, 1
	s_sub_i32 s8, s6, s10
	s_load_dwordx2 s[22:23], s[0:1], 0x28
	s_load_dword s2, s[0:1], 0x38
	s_cmp_ge_u32 s6, s10
	s_cselect_b32 s7, s7, s20
	s_cselect_b32 s6, s8, s6
	s_add_i32 s8, s7, 1
	s_cmp_ge_u32 s6, s10
	s_cselect_b32 s6, s8, s7
	v_lshrrev_b32_e32 v1, 6, v0
	s_xor_b32 s6, s6, s3
	s_waitcnt lgkmcnt(0)
	s_mul_i32 s24, s2, s16
	s_sub_i32 s33, s6, s3
	s_ashr_i32 s25, s24, 31
	v_cmp_gt_i32_e64 s[6:7], s19, v1
	v_cmp_le_i32_e32 vcc, s19, v1
	v_mbcnt_lo_u32_b32 v35, -1, 0
	s_barrier
                                        ; implicit-def: $vgpr40
                                        ; implicit-def: $vgpr41
                                        ; implicit-def: $vgpr42
	s_and_saveexec_b64 s[2:3], vcc
	s_xor_b64 s[2:3], exec, s[2:3]
; %bb.5:
	v_mbcnt_hi_u32_b32 v40, -1, v35
	v_and_b32_e32 v41, 64, v40
	v_add_u32_e32 v42, 64, v41
                                        ; implicit-def: $vgpr34
                                        ; implicit-def: $vgpr35
; %bb.6:
	s_or_saveexec_b64 s[30:31], s[2:3]
	s_load_dwordx2 s[20:21], s[0:1], 0x0
	s_load_dwordx2 s[26:27], s[0:1], 0x18
	s_load_dword s12, s[0:1], 0x88
	s_load_dwordx4 s[8:11], s[0:1], 0x58
	v_mov_b32_e32 v43, 0xff7fffff
	s_mul_i32 s33, s33, s14
	v_lshrrev_b32_e32 v39, 4, v0
	s_xor_b64 exec, exec, s[30:31]
	s_cbranch_execz .LBB208_12
; %bb.7:
	s_load_dwordx2 s[0:1], s[0:1], 0x10
	v_lshlrev_b32_e32 v30, 7, v34
	ds_read_b128 v[2:5], v30
	ds_read_b128 v[6:9], v30 offset:16
	ds_read_b128 v[10:13], v30 offset:32
	;; [unrolled: 1-line block ×7, first 2 shown]
	v_mbcnt_hi_u32_b32 v40, -1, v35
	s_ashr_i32 s2, s33, 31
	v_and_b32_e32 v41, 64, v40
	v_bfe_u32 v43, v0, 1, 5
	s_waitcnt lgkmcnt(0)
	s_add_u32 s0, s0, s33
	v_xor_b32_e32 v35, 1, v40
	v_add_u32_e32 v42, 64, v41
	v_lshlrev_b32_e32 v36, 4, v43
	s_addc_u32 s1, s1, s2
	v_mov_b32_e32 v37, 0
	s_load_dword s8, s[8:9], 0x0
	v_cmp_lt_i32_e32 vcc, v35, v42
	v_lshl_add_u64 v[46:47], s[0:1], 0, v[36:37]
	v_lshlrev_b32_e32 v36, 1, v34
	v_cndmask_b32_e32 v35, v40, v35, vcc
	v_lshlrev_b32_e32 v44, 2, v35
	v_cmp_eq_u32_e32 vcc, 0, v34
	v_lshl_add_u64 v[34:35], v[46:47], 0, v[36:37]
	s_sub_i32 s37, 1, s17
	v_lshlrev_b32_e32 v36, 2, v43
	s_lshl_b64 s[0:1], s[24:25], 2
	v_lshl_or_b32 v36, v1, 7, v36
	s_add_u32 s0, s22, s0
	v_add_u32_e32 v46, 0x110, v36
	v_and_b32_e32 v36, 60, v39
	s_addc_u32 s1, s23, s1
	s_mov_b32 s36, s13
	v_cmp_neq_f32_e64 s[2:3], s28, 0
	s_waitcnt lgkmcnt(0)
	s_mov_b32 s9, s8
	v_lshl_or_b32 v45, v1, 5, v43
	v_lshl_add_u64 v[36:37], s[0:1], 0, v[36:37]
	v_mov_b32_e32 v43, 0xff7fffff
	s_mov_b64 s[14:15], 0
	v_mov_b32_e32 v47, v1
	s_branch .LBB208_9
.LBB208_8:                              ;   in Loop: Header=BB208_9 Depth=1
	s_or_b64 exec, exec, s[34:35]
	v_add_u32_e32 v47, 2, v47
	v_cmp_le_i32_e64 s[0:1], s19, v47
	v_add_u32_e32 v45, 64, v45
	v_add_u32_e32 v46, 0x100, v46
	s_or_b64 s[14:15], s[0:1], s[14:15]
	v_lshl_add_u64 v[36:37], v[36:37], 0, 8
	s_andn2_b64 exec, exec, s[14:15]
	s_cbranch_execz .LBB208_11
.LBB208_9:                              ; =>This Inner Loop Header: Depth=1
	global_load_dword v48, v[36:37], off
	s_waitcnt vmcnt(0) lgkmcnt(0)
	v_mad_i64_i32 v[48:49], s[0:1], v48, s36, v[34:35]
	global_load_ushort v50, v[48:49], off
	global_load_ushort v51, v[48:49], off offset:4
	global_load_ushort v52, v[48:49], off offset:8
	;; [unrolled: 1-line block ×15, first 2 shown]
	s_waitcnt vmcnt(15)
	v_cvt_pk_f32_fp8_e32 v[48:49], v50
	s_waitcnt vmcnt(14)
	v_cvt_pk_f32_fp8_e32 v[50:51], v51
	s_waitcnt vmcnt(13)
	v_cvt_pk_f32_fp8_e32 v[52:53], v52
	s_waitcnt vmcnt(12)
	v_cvt_pk_f32_fp8_e32 v[54:55], v54
	s_waitcnt vmcnt(11)
	v_cvt_pk_f32_fp8_e32 v[56:57], v56
	v_pk_mul_f32 v[50:51], s[8:9], v[50:51]
	s_waitcnt vmcnt(10)
	v_cvt_pk_f32_fp8_e32 v[58:59], v58
	v_pk_mul_f32 v[48:49], v[48:49], s[8:9]
	v_mul_f32_e32 v50, v4, v50
	v_mul_f32_e32 v51, v5, v51
	s_waitcnt vmcnt(9)
	v_cvt_pk_f32_fp8_e32 v[60:61], v60
	v_pk_mul_f32 v[52:53], s[8:9], v[52:53]
	v_fmac_f32_e32 v50, v2, v48
	v_fmac_f32_e32 v51, v3, v49
	s_waitcnt vmcnt(8)
	v_cvt_pk_f32_fp8_e32 v[62:63], v62
	v_pk_mul_f32 v[54:55], s[8:9], v[54:55]
	v_fmac_f32_e32 v50, v6, v52
	v_fmac_f32_e32 v51, v7, v53
	;; [unrolled: 5-line block ×10, first 2 shown]
	v_pk_mul_f32 v[72:73], s[8:9], v[72:73]
	v_fmac_f32_e32 v50, v24, v70
	v_fmac_f32_e32 v51, v25, v71
	v_pk_mul_f32 v[74:75], s[8:9], v[74:75]
	v_fmac_f32_e32 v50, v26, v72
	v_fmac_f32_e32 v51, v27, v73
	;; [unrolled: 3-line block ×4, first 2 shown]
	v_fmac_f32_e32 v50, v32, v78
	v_fmac_f32_e32 v51, v33, v79
	v_add_f32_e32 v48, v50, v51
	ds_bpermute_b32 v49, v44, v48
	s_and_saveexec_b64 s[34:35], vcc
	s_cbranch_execz .LBB208_8
; %bb.10:                               ;   in Loop: Header=BB208_9 Depth=1
	v_add_u32_e32 v50, s37, v45
	v_cvt_f32_i32_e32 v50, v50
	s_waitcnt lgkmcnt(0)
	v_add_f32_e32 v48, v48, v49
	v_cmp_gt_i32_e64 s[0:1], s17, v45
	v_max_f32_e32 v49, v43, v43
	v_mul_f32_e32 v50, s28, v50
	v_cndmask_b32_e64 v50, 0, v50, s[2:3]
	v_fmac_f32_e32 v50, s29, v48
	v_cndmask_b32_e64 v48, 0, v50, s[0:1]
	ds_write_b32 v46, v48
	v_max_f32_e32 v48, v49, v50
	v_cndmask_b32_e64 v43, v43, v48, s[0:1]
	s_branch .LBB208_8
.LBB208_11:
	s_or_b64 exec, exec, s[14:15]
.LBB208_12:
	s_or_b64 exec, exec, s[30:31]
	v_xor_b32_e32 v2, 32, v40
	v_cmp_lt_i32_e32 vcc, v2, v42
	v_xor_b32_e32 v5, 16, v40
	v_max_f32_e32 v4, v43, v43
	v_cndmask_b32_e32 v2, v40, v2, vcc
	v_lshlrev_b32_e32 v2, 2, v2
	ds_bpermute_b32 v3, v2, v43
	v_cmp_lt_i32_e32 vcc, v5, v42
	v_xor_b32_e32 v6, 8, v40
	v_xor_b32_e32 v7, 4, v40
	v_and_b32_e32 v50, 63, v0
	s_waitcnt lgkmcnt(0)
	v_max_f32_e32 v3, v3, v3
	v_max_f32_e32 v4, v4, v3
	v_cndmask_b32_e32 v3, v40, v5, vcc
	v_lshlrev_b32_e32 v3, 2, v3
	ds_bpermute_b32 v5, v3, v4
	v_cmp_lt_i32_e32 vcc, v6, v42
	s_waitcnt lgkmcnt(0)
	v_max_f32_e32 v5, v5, v5
	v_max_f32_e32 v5, v4, v5
	v_cndmask_b32_e32 v4, v40, v6, vcc
	v_lshlrev_b32_e32 v4, 2, v4
	ds_bpermute_b32 v6, v4, v5
	v_cmp_lt_i32_e32 vcc, v7, v42
	s_waitcnt lgkmcnt(0)
	v_max_f32_e32 v6, v6, v6
	v_max_f32_e32 v5, v5, v6
	v_cndmask_b32_e32 v6, v40, v7, vcc
	v_lshlrev_b32_e32 v51, 2, v6
	ds_bpermute_b32 v6, v51, v5
	v_xor_b32_e32 v7, 2, v40
	v_cmp_lt_i32_e32 vcc, v7, v42
	s_waitcnt lgkmcnt(0)
	v_max_f32_e32 v6, v6, v6
	v_max_f32_e32 v6, v5, v6
	v_cndmask_b32_e32 v5, v40, v7, vcc
	v_lshlrev_b32_e32 v52, 2, v5
	ds_bpermute_b32 v7, v52, v6
	v_cmp_eq_u32_e32 vcc, 0, v50
	v_lshlrev_b32_e32 v5, 2, v1
	s_and_saveexec_b64 s[0:1], vcc
	s_cbranch_execz .LBB208_14
; %bb.13:
	s_waitcnt lgkmcnt(0)
	v_max_f32_e32 v7, v7, v7
	v_max_f32_e32 v6, v6, v6
	;; [unrolled: 1-line block ×3, first 2 shown]
	ds_write_b32 v5, v6 offset:256
.LBB208_14:
	s_or_b64 exec, exec, s[0:1]
	v_cmp_gt_u32_e64 s[0:1], 2, v50
	s_waitcnt lgkmcnt(0)
	v_mov_b32_e32 v7, 0xff7fffff
	v_lshlrev_b32_e32 v6, 2, v50
	s_barrier
	s_and_saveexec_b64 s[2:3], s[0:1]
; %bb.15:
	ds_read_b32 v7, v6 offset:256
; %bb.16:
	s_or_b64 exec, exec, s[2:3]
	v_xor_b32_e32 v8, 1, v40
	v_cmp_lt_i32_e64 s[2:3], v8, v42
	s_nop 1
	v_cndmask_b32_e64 v8, v40, v8, s[2:3]
	v_lshlrev_b32_e32 v53, 2, v8
	s_waitcnt lgkmcnt(0)
	ds_bpermute_b32 v8, v53, v7
	v_max_f32_e32 v7, v7, v7
	s_lshl_b32 s2, s19, 5
	s_min_i32 s30, s2, s17
	v_cmp_gt_i32_e64 s[2:3], s30, v0
	s_waitcnt lgkmcnt(0)
	v_max_f32_e32 v8, v8, v8
	v_max_f32_e32 v7, v7, v8
	v_lshlrev_b32_e32 v8, 2, v41
	ds_bpermute_b32 v8, v8, v7
	v_mov_b32_e32 v7, 0
	s_and_saveexec_b64 s[14:15], s[2:3]
	s_cbranch_execz .LBB208_20
; %bb.17:
	v_mov_b32_e32 v7, 0x110
	v_lshl_add_u32 v9, v0, 2, v7
	v_mov_b32_e32 v7, 0
	s_mov_b64 s[28:29], 0
	v_mov_b32_e32 v10, v0
.LBB208_18:                             ; =>This Inner Loop Header: Depth=1
	ds_read_b32 v11, v9
	v_add_u32_e32 v10, 0x80, v10
	v_cmp_le_i32_e64 s[8:9], s30, v10
	s_or_b64 s[28:29], s[8:9], s[28:29]
	s_waitcnt lgkmcnt(0)
	v_sub_f32_e32 v11, v11, v8
	v_mul_f32_e32 v11, 0x3fb8aa3b, v11
	v_exp_f32_e32 v11, v11
	ds_write_b32 v9, v11
	v_add_f32_e32 v7, v7, v11
	v_add_u32_e32 v9, 0x200, v9
	s_andn2_b64 exec, exec, s[28:29]
	s_cbranch_execnz .LBB208_18
; %bb.19:
	s_or_b64 exec, exec, s[28:29]
.LBB208_20:
	s_or_b64 exec, exec, s[14:15]
	ds_bpermute_b32 v2, v2, v7
	s_waitcnt lgkmcnt(0)
	v_add_f32_e32 v2, v7, v2
	ds_bpermute_b32 v3, v3, v2
	s_waitcnt lgkmcnt(0)
	v_add_f32_e32 v2, v2, v3
	;; [unrolled: 3-line block ×6, first 2 shown]
	s_and_saveexec_b64 s[8:9], vcc
; %bb.21:
	ds_write_b32 v5, v2 offset:264
; %bb.22:
	s_or_b64 exec, exec, s[8:9]
	s_waitcnt lgkmcnt(0)
	s_barrier
	s_and_saveexec_b64 s[8:9], s[0:1]
; %bb.23:
	ds_read_b32 v2, v6 offset:264
; %bb.24:
	s_or_b64 exec, exec, s[8:9]
	s_waitcnt lgkmcnt(0)
	ds_bpermute_b32 v3, v53, v2
	v_lshlrev_b32_e32 v4, 2, v40
	s_waitcnt lgkmcnt(0)
	v_add_f32_e32 v2, v2, v3
	v_and_b32_e32 v3, 0xffffff00, v4
	ds_bpermute_b32 v2, v3, v2
	s_and_saveexec_b64 s[0:1], s[2:3]
	s_cbranch_execz .LBB208_37
; %bb.25:
	s_waitcnt lgkmcnt(0)
	v_add_f32_e32 v2, 0x358637bd, v2
	v_div_scale_f32 v3, s[2:3], v2, v2, 1.0
	v_rcp_f32_e32 v4, v3
	v_div_scale_f32 v5, vcc, 1.0, v2, 1.0
	s_movk_i32 s2, 0x7f
	v_fma_f32 v6, -v3, v4, 1.0
	v_fmac_f32_e32 v4, v6, v4
	v_mul_f32_e32 v6, v5, v4
	v_fma_f32 v7, -v3, v6, v5
	v_fmac_f32_e32 v6, v7, v4
	v_fma_f32 v3, -v3, v6, v5
	v_div_fmas_f32 v3, v3, v4, v6
	v_xad_u32 v4, v0, -1, s30
	v_div_fixup_f32 v2, v3, v2, 1.0
	v_cmp_lt_u32_e32 vcc, s2, v4
	s_mov_b64 s[8:9], -1
	v_mov_b32_e32 v3, v0
	s_and_saveexec_b64 s[2:3], vcc
	s_cbranch_execz .LBB208_34
; %bb.26:
	v_lshrrev_b32_e32 v4, 7, v4
	v_add_u32_e32 v6, -1, v4
	v_lshrrev_b32_e32 v5, 1, v6
	v_mov_b32_e32 v3, v2
	v_add_u32_e32 v5, 1, v5
	v_cmp_lt_u32_e32 vcc, 13, v6
	v_mov_b32_e32 v8, 0
	s_and_saveexec_b64 s[8:9], vcc
	s_cbranch_execz .LBB208_30
; %bb.27:
	v_mov_b32_e32 v7, 0x110
	v_and_b32_e32 v6, -8, v5
	v_lshl_add_u32 v7, v0, 2, v7
	s_mov_b32 s28, 0
	s_mov_b64 s[14:15], 0
.LBB208_28:                             ; =>This Inner Loop Header: Depth=1
	ds_read2st64_b32 v[8:9], v7 offset1:2
	ds_read2st64_b32 v[10:11], v7 offset0:4 offset1:6
	ds_read2st64_b32 v[12:13], v7 offset0:8 offset1:10
	ds_read2st64_b32 v[14:15], v7 offset0:12 offset1:14
	v_add_u32_e32 v6, -8, v6
	s_waitcnt lgkmcnt(3)
	v_pk_mul_f32 v[8:9], v[2:3], v[8:9]
	s_waitcnt lgkmcnt(2)
	v_pk_mul_f32 v[10:11], v[2:3], v[10:11]
	ds_write2st64_b32 v7, v8, v9 offset1:2
	ds_write2st64_b32 v7, v10, v11 offset0:4 offset1:6
	ds_read2st64_b32 v[10:11], v7 offset0:16 offset1:18
	s_waitcnt lgkmcnt(4)
	v_pk_mul_f32 v[8:9], v[2:3], v[12:13]
	ds_write2st64_b32 v7, v8, v9 offset0:8 offset1:10
	s_waitcnt lgkmcnt(4)
	v_pk_mul_f32 v[8:9], v[2:3], v[14:15]
	ds_write2st64_b32 v7, v8, v9 offset0:12 offset1:14
	ds_read2st64_b32 v[8:9], v7 offset0:20 offset1:22
	s_waitcnt lgkmcnt(3)
	v_pk_mul_f32 v[10:11], v[2:3], v[10:11]
	ds_read2st64_b32 v[12:13], v7 offset0:24 offset1:26
	ds_write2st64_b32 v7, v10, v11 offset0:16 offset1:18
	ds_read2st64_b32 v[10:11], v7 offset0:28 offset1:30
	s_waitcnt lgkmcnt(3)
	v_pk_mul_f32 v[8:9], v[2:3], v[8:9]
	ds_write2st64_b32 v7, v8, v9 offset0:20 offset1:22
	s_waitcnt lgkmcnt(3)
	v_pk_mul_f32 v[8:9], v[2:3], v[12:13]
	ds_write2st64_b32 v7, v8, v9 offset0:24 offset1:26
	s_waitcnt lgkmcnt(2)
	v_pk_mul_f32 v[8:9], v[2:3], v[10:11]
	s_add_i32 s28, s28, 16
	v_cmp_eq_u32_e32 vcc, 0, v6
	ds_write2st64_b32 v7, v8, v9 offset0:28 offset1:30
	v_add_u32_e32 v7, 0x2000, v7
	s_or_b64 s[14:15], vcc, s[14:15]
	v_mov_b32_e32 v8, s28
	s_andn2_b64 exec, exec, s[14:15]
	s_cbranch_execnz .LBB208_28
; %bb.29:
	s_or_b64 exec, exec, s[14:15]
.LBB208_30:
	s_or_b64 exec, exec, s[8:9]
	v_and_b32_e32 v5, 7, v5
	v_cmp_ne_u32_e32 vcc, 0, v5
	s_and_saveexec_b64 s[8:9], vcc
	s_cbranch_execz .LBB208_33
; %bb.31:
	v_lshlrev_b32_e32 v6, 9, v8
	s_movk_i32 s14, 0x110
	v_add3_u32 v6, v6, v38, s14
	s_mov_b64 s[14:15], 0
.LBB208_32:                             ; =>This Inner Loop Header: Depth=1
	ds_read2st64_b32 v[8:9], v6 offset1:2
	v_add_u32_e32 v5, -1, v5
	v_cmp_eq_u32_e32 vcc, 0, v5
	s_or_b64 s[14:15], vcc, s[14:15]
	s_waitcnt lgkmcnt(0)
	v_pk_mul_f32 v[8:9], v[2:3], v[8:9]
	ds_write2st64_b32 v6, v8, v9 offset1:2
	v_add_u32_e32 v6, 0x400, v6
	s_andn2_b64 exec, exec, s[14:15]
	s_cbranch_execnz .LBB208_32
.LBB208_33:
	s_or_b64 exec, exec, s[8:9]
	v_add_u32_e32 v4, 1, v4
	v_and_b32_e32 v5, 0x3fffffe, v4
	v_cmp_ne_u32_e32 vcc, v4, v5
	v_lshl_add_u32 v3, v5, 7, v0
	s_orn2_b64 s[8:9], vcc, exec
.LBB208_34:
	s_or_b64 exec, exec, s[2:3]
	s_and_b64 exec, exec, s[8:9]
	s_cbranch_execz .LBB208_37
; %bb.35:
	v_mov_b32_e32 v4, 0x110
	v_lshl_add_u32 v4, v3, 2, v4
	s_mov_b64 s[2:3], 0
.LBB208_36:                             ; =>This Inner Loop Header: Depth=1
	ds_read_b32 v5, v4
	v_add_u32_e32 v3, 0x80, v3
	v_cmp_le_i32_e32 vcc, s30, v3
	s_or_b64 s[2:3], vcc, s[2:3]
	s_waitcnt lgkmcnt(0)
	v_mul_f32_e32 v5, v2, v5
	ds_write_b32 v4, v5
	v_add_u32_e32 v4, 0x200, v4
	s_andn2_b64 exec, exec, s[2:3]
	s_cbranch_execnz .LBB208_36
.LBB208_37:
	s_or_b64 exec, exec, s[0:1]
	v_mov_b32_e32 v7, 0
	v_and_b32_e32 v54, 7, v0
	v_mov_b32_e32 v6, 0
	v_mov_b32_e32 v9, 0
	;; [unrolled: 1-line block ×7, first 2 shown]
	s_waitcnt lgkmcnt(0)
	s_barrier
	s_and_saveexec_b64 s[2:3], s[6:7]
	s_cbranch_execz .LBB208_57
; %bb.38:
	s_ashr_i32 s1, s33, 31
	s_load_dword s6, s[10:11], 0x0
	s_add_u32 s0, s26, s33
	s_addc_u32 s1, s27, s1
	v_and_b32_e32 v6, 0xfc, v38
	v_mov_b32_e32 v7, 0
	v_and_b32_e32 v2, 28, v38
	s_add_i32 s14, s19, -1
	v_lshl_add_u64 v[14:15], s[0:1], 0, v[6:7]
	s_lshl_b64 s[0:1], s[24:25], 2
	v_lshl_or_b32 v55, v1, 5, v2
	v_lshlrev_b32_e32 v2, 4, v54
	s_add_u32 s0, s22, s0
	v_lshl_or_b32 v2, v1, 7, v2
	v_and_b32_e32 v6, 60, v39
	s_addc_u32 s1, s23, s1
	s_waitcnt lgkmcnt(0)
	s_mov_b32 s7, s6
	s_mov_b32 s15, s17
	v_add_u32_e32 v56, 0x110, v2
	v_lshl_add_u64 v[16:17], s[0:1], 0, v[6:7]
	s_mov_b64 s[8:9], 0
	v_mov_b32_e32 v6, v7
	v_mov_b32_e32 v9, v7
	;; [unrolled: 1-line block ×7, first 2 shown]
	s_branch .LBB208_40
.LBB208_39:                             ;   in Loop: Header=BB208_40 Depth=1
	s_or_b64 exec, exec, s[0:1]
	s_waitcnt lgkmcnt(0)
	v_mul_f32_e32 v48, v2, v48
	v_mul_f32_e32 v42, v2, v42
	;; [unrolled: 1-line block ×7, first 2 shown]
	v_fmac_f32_e32 v48, v3, v49
	v_fmac_f32_e32 v42, v3, v43
	v_fmac_f32_e32 v38, v3, v39
	v_fmac_f32_e32 v34, v3, v35
	v_fmac_f32_e32 v30, v3, v31
	v_fmac_f32_e32 v24, v3, v25
	v_fmac_f32_e32 v20, v3, v21
	v_fmac_f32_e32 v48, v4, v46
	v_fmac_f32_e32 v42, v4, v40
	v_fmac_f32_e32 v38, v4, v36
	v_fmac_f32_e32 v34, v4, v32
	v_fmac_f32_e32 v30, v4, v28
	v_fmac_f32_e32 v24, v4, v22
	v_fmac_f32_e32 v20, v4, v18
	v_pk_mul_f32 v[2:3], v[2:3], v[44:45]
	v_fmac_f32_e32 v48, v5, v47
	v_fmac_f32_e32 v42, v5, v41
	;; [unrolled: 1-line block ×7, first 2 shown]
	v_pk_mul_f32 v[4:5], v[4:5], v[26:27]
	v_add_f32_e32 v2, v3, v2
	v_add_f32_e32 v2, v4, v2
	v_add_u32_e32 v1, 2, v1
	v_add_f32_e32 v2, v5, v2
	v_cmp_le_i32_e32 vcc, s19, v1
	v_add_f32_e32 v6, v6, v48
	v_add_f32_e32 v9, v9, v42
	;; [unrolled: 1-line block ×8, first 2 shown]
	v_add_u32_e32 v55, 64, v55
	v_add_u32_e32 v56, 0x100, v56
	s_or_b64 s[8:9], vcc, s[8:9]
	v_lshl_add_u64 v[16:17], v[16:17], 0, 8
	s_andn2_b64 exec, exec, s[8:9]
	s_cbranch_execz .LBB208_56
.LBB208_40:                             ; =>This Inner Loop Header: Depth=1
	global_load_dword v2, v[16:17], off
	v_cmp_eq_u32_e32 vcc, s14, v1
	v_add_u32_e32 v57, 1, v55
	v_add_u32_e32 v44, 2, v55
	v_add_u32_e32 v45, 3, v55
	s_waitcnt vmcnt(0)
	v_mad_i64_i32 v[26:27], s[0:1], v2, s13, v[14:15]
	global_load_dword v18, v[26:27], off
	ds_read_b128 v[2:5], v56
	s_waitcnt vmcnt(0)
	v_and_b32_e32 v19, 0xffff, v18
	v_lshrrev_b32_e32 v20, 16, v18
	v_cvt_pk_f32_fp8_e32 v[18:19], v19
	v_cvt_pk_f32_fp8_e32 v[22:23], v20
	v_pk_mul_f32 v[20:21], s[6:7], v[18:19]
	v_pk_mul_f32 v[18:19], s[6:7], v[22:23]
	s_and_saveexec_b64 s[10:11], vcc
; %bb.41:                               ;   in Loop: Header=BB208_40 Depth=1
	v_cmp_gt_i32_e64 s[0:1], s17, v55
	s_nop 1
	v_cndmask_b32_e64 v20, 0, v20, s[0:1]
	v_cmp_gt_i32_e64 s[0:1], s17, v57
	s_nop 1
	v_cndmask_b32_e64 v21, 0, v21, s[0:1]
	v_cmp_gt_i32_e64 s[0:1], s17, v44
	s_nop 1
	v_cndmask_b32_e64 v18, 0, v18, s[0:1]
	v_cmp_gt_i32_e64 s[0:1], s17, v45
	s_nop 1
	v_cndmask_b32_e64 v19, 0, v19, s[0:1]
; %bb.42:                               ;   in Loop: Header=BB208_40 Depth=1
	s_or_b64 exec, exec, s[10:11]
	global_load_dword v22, v[26:27], off offset:256
	s_waitcnt vmcnt(0)
	v_and_b32_e32 v23, 0xffff, v22
	v_lshrrev_b32_e32 v24, 16, v22
	v_cvt_pk_f32_fp8_e32 v[22:23], v23
	v_cvt_pk_f32_fp8_e32 v[28:29], v24
	v_pk_mul_f32 v[24:25], s[6:7], v[22:23]
	v_pk_mul_f32 v[22:23], s[6:7], v[28:29]
	s_and_saveexec_b64 s[10:11], vcc
; %bb.43:                               ;   in Loop: Header=BB208_40 Depth=1
	v_cmp_gt_i32_e64 s[0:1], s17, v55
	s_nop 1
	v_cndmask_b32_e64 v24, 0, v24, s[0:1]
	v_cmp_gt_i32_e64 s[0:1], s17, v57
	s_nop 1
	v_cndmask_b32_e64 v25, 0, v25, s[0:1]
	v_cmp_gt_i32_e64 s[0:1], s17, v44
	s_nop 1
	v_cndmask_b32_e64 v22, 0, v22, s[0:1]
	v_cmp_gt_i32_e64 s[0:1], s17, v45
	s_nop 1
	v_cndmask_b32_e64 v23, 0, v23, s[0:1]
; %bb.44:                               ;   in Loop: Header=BB208_40 Depth=1
	s_or_b64 exec, exec, s[10:11]
	global_load_dword v28, v[26:27], off offset:512
	s_waitcnt vmcnt(0)
	v_and_b32_e32 v29, 0xffff, v28
	v_lshrrev_b32_e32 v30, 16, v28
	v_cvt_pk_f32_fp8_e32 v[28:29], v29
	v_cvt_pk_f32_fp8_e32 v[32:33], v30
	v_pk_mul_f32 v[30:31], s[6:7], v[28:29]
	v_pk_mul_f32 v[28:29], s[6:7], v[32:33]
	s_and_saveexec_b64 s[10:11], vcc
; %bb.45:                               ;   in Loop: Header=BB208_40 Depth=1
	v_cmp_gt_i32_e64 s[0:1], s17, v55
	s_nop 1
	v_cndmask_b32_e64 v30, 0, v30, s[0:1]
	v_cmp_gt_i32_e64 s[0:1], s17, v57
	s_nop 1
	v_cndmask_b32_e64 v31, 0, v31, s[0:1]
	v_cmp_gt_i32_e64 s[0:1], s17, v44
	s_nop 1
	v_cndmask_b32_e64 v28, 0, v28, s[0:1]
	v_cmp_gt_i32_e64 s[0:1], s17, v45
	s_nop 1
	v_cndmask_b32_e64 v29, 0, v29, s[0:1]
; %bb.46:                               ;   in Loop: Header=BB208_40 Depth=1
	s_or_b64 exec, exec, s[10:11]
	global_load_dword v32, v[26:27], off offset:768
	s_waitcnt vmcnt(0)
	v_and_b32_e32 v33, 0xffff, v32
	v_lshrrev_b32_e32 v34, 16, v32
	v_cvt_pk_f32_fp8_e32 v[32:33], v33
	v_cvt_pk_f32_fp8_e32 v[36:37], v34
	v_pk_mul_f32 v[34:35], s[6:7], v[32:33]
	v_pk_mul_f32 v[32:33], s[6:7], v[36:37]
	s_and_saveexec_b64 s[10:11], vcc
; %bb.47:                               ;   in Loop: Header=BB208_40 Depth=1
	v_cmp_gt_i32_e64 s[0:1], s17, v55
	s_nop 1
	v_cndmask_b32_e64 v34, 0, v34, s[0:1]
	v_cmp_gt_i32_e64 s[0:1], s17, v57
	s_nop 1
	v_cndmask_b32_e64 v35, 0, v35, s[0:1]
	v_cmp_gt_i32_e64 s[0:1], s17, v44
	s_nop 1
	v_cndmask_b32_e64 v32, 0, v32, s[0:1]
	v_cmp_gt_i32_e64 s[0:1], s17, v45
	s_nop 1
	v_cndmask_b32_e64 v33, 0, v33, s[0:1]
; %bb.48:                               ;   in Loop: Header=BB208_40 Depth=1
	s_or_b64 exec, exec, s[10:11]
	global_load_dword v36, v[26:27], off offset:1024
	s_waitcnt vmcnt(0)
	v_and_b32_e32 v37, 0xffff, v36
	v_lshrrev_b32_e32 v38, 16, v36
	v_cvt_pk_f32_fp8_e32 v[36:37], v37
	v_cvt_pk_f32_fp8_e32 v[40:41], v38
	v_pk_mul_f32 v[38:39], s[6:7], v[36:37]
	v_pk_mul_f32 v[36:37], s[6:7], v[40:41]
	s_and_saveexec_b64 s[10:11], vcc
; %bb.49:                               ;   in Loop: Header=BB208_40 Depth=1
	v_cmp_gt_i32_e64 s[0:1], s17, v55
	s_nop 1
	v_cndmask_b32_e64 v38, 0, v38, s[0:1]
	v_cmp_gt_i32_e64 s[0:1], s17, v57
	s_nop 1
	v_cndmask_b32_e64 v39, 0, v39, s[0:1]
	v_cmp_gt_i32_e64 s[0:1], s17, v44
	s_nop 1
	v_cndmask_b32_e64 v36, 0, v36, s[0:1]
	v_cmp_gt_i32_e64 s[0:1], s17, v45
	s_nop 1
	v_cndmask_b32_e64 v37, 0, v37, s[0:1]
; %bb.50:                               ;   in Loop: Header=BB208_40 Depth=1
	s_or_b64 exec, exec, s[10:11]
	global_load_dword v40, v[26:27], off offset:1280
	s_waitcnt vmcnt(0)
	v_and_b32_e32 v41, 0xffff, v40
	v_lshrrev_b32_e32 v42, 16, v40
	v_cvt_pk_f32_fp8_e32 v[40:41], v41
	v_cvt_pk_f32_fp8_e32 v[46:47], v42
	v_pk_mul_f32 v[42:43], s[6:7], v[40:41]
	v_pk_mul_f32 v[40:41], s[6:7], v[46:47]
	s_and_saveexec_b64 s[10:11], vcc
; %bb.51:                               ;   in Loop: Header=BB208_40 Depth=1
	v_cmp_gt_i32_e64 s[0:1], s17, v55
	s_nop 1
	v_cndmask_b32_e64 v42, 0, v42, s[0:1]
	v_cmp_gt_i32_e64 s[0:1], s17, v57
	s_nop 1
	v_cndmask_b32_e64 v43, 0, v43, s[0:1]
	v_cmp_gt_i32_e64 s[0:1], s17, v44
	s_nop 1
	v_cndmask_b32_e64 v40, 0, v40, s[0:1]
	v_cmp_gt_i32_e64 s[0:1], s17, v45
	s_nop 1
	v_cndmask_b32_e64 v41, 0, v41, s[0:1]
; %bb.52:                               ;   in Loop: Header=BB208_40 Depth=1
	s_or_b64 exec, exec, s[10:11]
	global_load_dword v46, v[26:27], off offset:1536
	s_waitcnt vmcnt(0)
	v_and_b32_e32 v47, 0xffff, v46
	v_lshrrev_b32_e32 v48, 16, v46
	v_cvt_pk_f32_fp8_e32 v[46:47], v47
	v_cvt_pk_f32_fp8_e32 v[58:59], v48
	v_pk_mul_f32 v[48:49], s[6:7], v[46:47]
	v_pk_mul_f32 v[46:47], s[6:7], v[58:59]
	s_and_saveexec_b64 s[10:11], vcc
; %bb.53:                               ;   in Loop: Header=BB208_40 Depth=1
	v_cmp_gt_i32_e64 s[0:1], s17, v55
	s_nop 1
	v_cndmask_b32_e64 v48, 0, v48, s[0:1]
	v_cmp_gt_i32_e64 s[0:1], s17, v57
	s_nop 1
	v_cndmask_b32_e64 v49, 0, v49, s[0:1]
	v_cmp_gt_i32_e64 s[0:1], s17, v44
	s_nop 1
	v_cndmask_b32_e64 v46, 0, v46, s[0:1]
	v_cmp_gt_i32_e64 s[0:1], s17, v45
	s_nop 1
	v_cndmask_b32_e64 v47, 0, v47, s[0:1]
; %bb.54:                               ;   in Loop: Header=BB208_40 Depth=1
	s_or_b64 exec, exec, s[10:11]
	global_load_dword v26, v[26:27], off offset:1792
	s_waitcnt vmcnt(0)
	v_and_b32_e32 v27, 0xffff, v26
	v_lshrrev_b32_e32 v44, 16, v26
	v_cvt_pk_f32_fp8_e32 v[26:27], v27
	v_cvt_pk_f32_fp8_e32 v[58:59], v44
	v_pk_mul_f32 v[44:45], s[6:7], v[26:27]
	v_pk_mul_f32 v[26:27], s[6:7], v[58:59]
	s_and_saveexec_b64 s[0:1], vcc
	s_cbranch_execz .LBB208_39
; %bb.55:                               ;   in Loop: Header=BB208_40 Depth=1
	v_cmp_gt_i32_e32 vcc, s15, v57
	v_or_b32_e32 v57, 3, v55
	v_or_b32_e32 v58, 2, v55
	v_cndmask_b32_e32 v45, 0, v45, vcc
	v_cmp_gt_i32_e32 vcc, s17, v55
	s_nop 1
	v_cndmask_b32_e32 v44, 0, v44, vcc
	v_cmp_gt_i32_e32 vcc, s15, v57
	s_nop 1
	;; [unrolled: 3-line block ×3, first 2 shown]
	v_cndmask_b32_e32 v26, 0, v26, vcc
	s_branch .LBB208_39
.LBB208_56:
	s_or_b64 exec, exec, s[8:9]
.LBB208_57:
	s_or_b64 exec, exec, s[2:3]
	ds_bpermute_b32 v4, v51, v10
	ds_bpermute_b32 v5, v51, v11
	;; [unrolled: 1-line block ×6, first 2 shown]
	s_waitcnt lgkmcnt(4)
	v_pk_add_f32 v[4:5], v[10:11], v[4:5]
	ds_bpermute_b32 v10, v52, v4
	ds_bpermute_b32 v11, v52, v5
	s_waitcnt lgkmcnt(4)
	v_pk_add_f32 v[2:3], v[12:13], v[2:3]
	s_waitcnt lgkmcnt(2)
	v_pk_add_f32 v[8:9], v[8:9], v[14:15]
	ds_bpermute_b32 v12, v52, v2
	ds_bpermute_b32 v13, v52, v3
	s_waitcnt lgkmcnt(2)
	v_pk_add_f32 v[4:5], v[4:5], v[10:11]
	ds_bpermute_b32 v10, v52, v8
	ds_bpermute_b32 v11, v52, v9
	;; [unrolled: 1-line block ×4, first 2 shown]
	s_waitcnt lgkmcnt(4)
	v_pk_add_f32 v[2:3], v[2:3], v[12:13]
	ds_bpermute_b32 v12, v53, v2
	s_waitcnt lgkmcnt(3)
	v_pk_add_f32 v[8:9], v[8:9], v[10:11]
	ds_bpermute_b32 v13, v53, v3
	;; [unrolled: 3-line block ×3, first 2 shown]
	ds_bpermute_b32 v11, v53, v9
	ds_bpermute_b32 v18, v52, v16
	;; [unrolled: 1-line block ×5, first 2 shown]
	s_waitcnt lgkmcnt(6)
	v_pk_add_f32 v[6:7], v[2:3], v[12:13]
	s_waitcnt lgkmcnt(4)
	v_pk_add_f32 v[2:3], v[8:9], v[10:11]
	;; [unrolled: 2-line block ×3, first 2 shown]
	ds_bpermute_b32 v10, v53, v8
	ds_bpermute_b32 v11, v53, v9
	v_and_b32_e32 v1, 0x3c7, v0
	s_waitcnt lgkmcnt(2)
	v_pk_add_f32 v[4:5], v[4:5], v[14:15]
	v_cmp_ne_u32_e32 vcc, 64, v1
	s_waitcnt lgkmcnt(0)
	s_barrier
	s_and_saveexec_b64 s[0:1], vcc
	s_xor_b64 s[0:1], exec, s[0:1]
; %bb.58:
                                        ; implicit-def: $vgpr50
; %bb.59:
	s_or_saveexec_b64 s[0:1], s[0:1]
	v_pk_add_f32 v[8:9], v[8:9], v[10:11]
	s_xor_b64 exec, exec, s[0:1]
	s_cbranch_execz .LBB208_61
; %bb.60:
	v_lshrrev_b32_e32 v10, 1, v50
	v_add_u32_e32 v10, 0x110, v10
	ds_write2_b32 v10, v6, v7 offset1:8
	ds_write2_b32 v10, v4, v5 offset0:16 offset1:24
	ds_write2_b32 v10, v2, v3 offset0:32 offset1:40
	;; [unrolled: 1-line block ×3, first 2 shown]
.LBB208_61:
	s_or_b64 exec, exec, s[0:1]
	v_cmp_gt_u32_e32 vcc, 64, v0
	v_lshrrev_b32_e32 v0, 3, v0
	s_waitcnt lgkmcnt(0)
	s_barrier
	s_and_saveexec_b64 s[0:1], vcc
	s_cbranch_execz .LBB208_72
; %bb.62:
	v_mov_b32_e32 v10, 0x110
	v_cmp_eq_u32_e32 vcc, 0, v54
	v_lshl_add_u32 v10, v0, 2, v10
	s_and_saveexec_b64 s[2:3], vcc
	s_cbranch_execnz .LBB208_75
; %bb.63:
	s_or_b64 exec, exec, s[2:3]
	s_and_saveexec_b64 s[2:3], vcc
	s_cbranch_execnz .LBB208_76
.LBB208_64:
	s_or_b64 exec, exec, s[2:3]
	s_and_saveexec_b64 s[2:3], vcc
	s_cbranch_execnz .LBB208_77
.LBB208_65:
	s_or_b64 exec, exec, s[2:3]
	s_and_saveexec_b64 s[2:3], vcc
	s_cbranch_execnz .LBB208_78
.LBB208_66:
	s_or_b64 exec, exec, s[2:3]
	s_and_saveexec_b64 s[2:3], vcc
	s_cbranch_execnz .LBB208_79
.LBB208_67:
	s_or_b64 exec, exec, s[2:3]
	s_and_saveexec_b64 s[2:3], vcc
	s_cbranch_execnz .LBB208_80
.LBB208_68:
	s_or_b64 exec, exec, s[2:3]
	s_and_saveexec_b64 s[2:3], vcc
	s_cbranch_execnz .LBB208_81
.LBB208_69:
	s_or_b64 exec, exec, s[2:3]
	s_and_saveexec_b64 s[2:3], vcc
	s_cbranch_execz .LBB208_71
.LBB208_70:
	ds_read_b32 v10, v10 offset:224
	s_waitcnt lgkmcnt(0)
	v_add_f32_e32 v9, v9, v10
.LBB208_71:
	s_or_b64 exec, exec, s[2:3]
.LBB208_72:
	s_or_b64 exec, exec, s[0:1]
	v_cmp_eq_u32_e32 vcc, 0, v1
	s_barrier
	s_and_saveexec_b64 s[0:1], vcc
	s_cbranch_execz .LBB208_74
; %bb.73:
	s_mul_i32 s0, s16, s12
	s_mul_i32 s0, s0, s5
	s_lshl_b32 s0, s0, 6
	s_ashr_i32 s1, s0, 31
	s_lshl_b64 s[0:1], s[0:1], 2
	s_add_u32 s2, s20, s0
	s_mul_i32 s0, s12, s18
	s_addc_u32 s3, s21, s1
	s_ashr_i32 s1, s0, 31
	s_lshl_b64 s[0:1], s[0:1], 2
	s_add_u32 s2, s2, s0
	s_addc_u32 s3, s3, s1
	s_lshl_b32 s0, s4, 6
	s_ashr_i32 s1, s0, 31
	s_lshl_b64 s[0:1], s[0:1], 2
	s_add_u32 s0, s2, s0
	s_addc_u32 s1, s3, s1
	v_lshlrev_b32_e32 v0, 2, v0
	global_store_dword v0, v6, s[0:1]
	global_store_dword v0, v7, s[0:1] offset:32
	global_store_dword v0, v4, s[0:1] offset:64
	;; [unrolled: 1-line block ×7, first 2 shown]
.LBB208_74:
	s_endpgm
.LBB208_75:
	ds_read_b32 v11, v10
	s_waitcnt lgkmcnt(0)
	v_add_f32_e32 v6, v6, v11
	s_or_b64 exec, exec, s[2:3]
	s_and_saveexec_b64 s[2:3], vcc
	s_cbranch_execz .LBB208_64
.LBB208_76:
	ds_read_b32 v11, v10 offset:32
	s_waitcnt lgkmcnt(0)
	v_add_f32_e32 v7, v7, v11
	s_or_b64 exec, exec, s[2:3]
	s_and_saveexec_b64 s[2:3], vcc
	s_cbranch_execz .LBB208_65
.LBB208_77:
	ds_read_b32 v11, v10 offset:64
	s_waitcnt lgkmcnt(0)
	v_add_f32_e32 v4, v4, v11
	s_or_b64 exec, exec, s[2:3]
	s_and_saveexec_b64 s[2:3], vcc
	s_cbranch_execz .LBB208_66
.LBB208_78:
	ds_read_b32 v11, v10 offset:96
	s_waitcnt lgkmcnt(0)
	v_add_f32_e32 v5, v5, v11
	s_or_b64 exec, exec, s[2:3]
	s_and_saveexec_b64 s[2:3], vcc
	s_cbranch_execz .LBB208_67
.LBB208_79:
	ds_read_b32 v11, v10 offset:128
	s_waitcnt lgkmcnt(0)
	v_add_f32_e32 v2, v2, v11
	s_or_b64 exec, exec, s[2:3]
	s_and_saveexec_b64 s[2:3], vcc
	s_cbranch_execz .LBB208_68
.LBB208_80:
	ds_read_b32 v11, v10 offset:160
	s_waitcnt lgkmcnt(0)
	v_add_f32_e32 v3, v3, v11
	s_or_b64 exec, exec, s[2:3]
	s_and_saveexec_b64 s[2:3], vcc
	s_cbranch_execz .LBB208_69
.LBB208_81:
	ds_read_b32 v11, v10 offset:192
	s_waitcnt lgkmcnt(0)
	v_add_f32_e32 v8, v8, v11
	s_or_b64 exec, exec, s[2:3]
	s_and_saveexec_b64 s[2:3], vcc
	s_cbranch_execnz .LBB208_70
	s_branch .LBB208_71
	.section	.rodata,"a",@progbits
	.p2align	6, 0x0
	.amdhsa_kernel _ZN4vllm25paged_attention_v1_kernelIfhLi64ELi32ELi128ELNS_18Fp8KVCacheDataTypeE1ELb0EEEvPT_PKS2_PKT0_S8_ifPKiSA_iPKfiiiSC_SC_iiiii
		.amdhsa_group_segment_fixed_size 272
		.amdhsa_private_segment_fixed_size 0
		.amdhsa_kernarg_size 384
		.amdhsa_user_sgpr_count 2
		.amdhsa_user_sgpr_dispatch_ptr 0
		.amdhsa_user_sgpr_queue_ptr 0
		.amdhsa_user_sgpr_kernarg_segment_ptr 1
		.amdhsa_user_sgpr_dispatch_id 0
		.amdhsa_user_sgpr_kernarg_preload_length 0
		.amdhsa_user_sgpr_kernarg_preload_offset 0
		.amdhsa_user_sgpr_private_segment_size 0
		.amdhsa_uses_dynamic_stack 0
		.amdhsa_enable_private_segment 0
		.amdhsa_system_sgpr_workgroup_id_x 1
		.amdhsa_system_sgpr_workgroup_id_y 1
		.amdhsa_system_sgpr_workgroup_id_z 1
		.amdhsa_system_sgpr_workgroup_info 0
		.amdhsa_system_vgpr_workitem_id 0
		.amdhsa_next_free_vgpr 80
		.amdhsa_next_free_sgpr 38
		.amdhsa_accum_offset 80
		.amdhsa_reserve_vcc 1
		.amdhsa_float_round_mode_32 0
		.amdhsa_float_round_mode_16_64 0
		.amdhsa_float_denorm_mode_32 3
		.amdhsa_float_denorm_mode_16_64 3
		.amdhsa_dx10_clamp 1
		.amdhsa_ieee_mode 1
		.amdhsa_fp16_overflow 0
		.amdhsa_tg_split 0
		.amdhsa_exception_fp_ieee_invalid_op 0
		.amdhsa_exception_fp_denorm_src 0
		.amdhsa_exception_fp_ieee_div_zero 0
		.amdhsa_exception_fp_ieee_overflow 0
		.amdhsa_exception_fp_ieee_underflow 0
		.amdhsa_exception_fp_ieee_inexact 0
		.amdhsa_exception_int_div_zero 0
	.end_amdhsa_kernel
	.section	.text._ZN4vllm25paged_attention_v1_kernelIfhLi64ELi32ELi128ELNS_18Fp8KVCacheDataTypeE1ELb0EEEvPT_PKS2_PKT0_S8_ifPKiSA_iPKfiiiSC_SC_iiiii,"axG",@progbits,_ZN4vllm25paged_attention_v1_kernelIfhLi64ELi32ELi128ELNS_18Fp8KVCacheDataTypeE1ELb0EEEvPT_PKS2_PKT0_S8_ifPKiSA_iPKfiiiSC_SC_iiiii,comdat
.Lfunc_end208:
	.size	_ZN4vllm25paged_attention_v1_kernelIfhLi64ELi32ELi128ELNS_18Fp8KVCacheDataTypeE1ELb0EEEvPT_PKS2_PKT0_S8_ifPKiSA_iPKfiiiSC_SC_iiiii, .Lfunc_end208-_ZN4vllm25paged_attention_v1_kernelIfhLi64ELi32ELi128ELNS_18Fp8KVCacheDataTypeE1ELb0EEEvPT_PKS2_PKT0_S8_ifPKiSA_iPKfiiiSC_SC_iiiii
                                        ; -- End function
	.set _ZN4vllm25paged_attention_v1_kernelIfhLi64ELi32ELi128ELNS_18Fp8KVCacheDataTypeE1ELb0EEEvPT_PKS2_PKT0_S8_ifPKiSA_iPKfiiiSC_SC_iiiii.num_vgpr, 80
	.set _ZN4vllm25paged_attention_v1_kernelIfhLi64ELi32ELi128ELNS_18Fp8KVCacheDataTypeE1ELb0EEEvPT_PKS2_PKT0_S8_ifPKiSA_iPKfiiiSC_SC_iiiii.num_agpr, 0
	.set _ZN4vllm25paged_attention_v1_kernelIfhLi64ELi32ELi128ELNS_18Fp8KVCacheDataTypeE1ELb0EEEvPT_PKS2_PKT0_S8_ifPKiSA_iPKfiiiSC_SC_iiiii.numbered_sgpr, 38
	.set _ZN4vllm25paged_attention_v1_kernelIfhLi64ELi32ELi128ELNS_18Fp8KVCacheDataTypeE1ELb0EEEvPT_PKS2_PKT0_S8_ifPKiSA_iPKfiiiSC_SC_iiiii.num_named_barrier, 0
	.set _ZN4vllm25paged_attention_v1_kernelIfhLi64ELi32ELi128ELNS_18Fp8KVCacheDataTypeE1ELb0EEEvPT_PKS2_PKT0_S8_ifPKiSA_iPKfiiiSC_SC_iiiii.private_seg_size, 0
	.set _ZN4vllm25paged_attention_v1_kernelIfhLi64ELi32ELi128ELNS_18Fp8KVCacheDataTypeE1ELb0EEEvPT_PKS2_PKT0_S8_ifPKiSA_iPKfiiiSC_SC_iiiii.uses_vcc, 1
	.set _ZN4vllm25paged_attention_v1_kernelIfhLi64ELi32ELi128ELNS_18Fp8KVCacheDataTypeE1ELb0EEEvPT_PKS2_PKT0_S8_ifPKiSA_iPKfiiiSC_SC_iiiii.uses_flat_scratch, 0
	.set _ZN4vllm25paged_attention_v1_kernelIfhLi64ELi32ELi128ELNS_18Fp8KVCacheDataTypeE1ELb0EEEvPT_PKS2_PKT0_S8_ifPKiSA_iPKfiiiSC_SC_iiiii.has_dyn_sized_stack, 0
	.set _ZN4vllm25paged_attention_v1_kernelIfhLi64ELi32ELi128ELNS_18Fp8KVCacheDataTypeE1ELb0EEEvPT_PKS2_PKT0_S8_ifPKiSA_iPKfiiiSC_SC_iiiii.has_recursion, 0
	.set _ZN4vllm25paged_attention_v1_kernelIfhLi64ELi32ELi128ELNS_18Fp8KVCacheDataTypeE1ELb0EEEvPT_PKS2_PKT0_S8_ifPKiSA_iPKfiiiSC_SC_iiiii.has_indirect_call, 0
	.section	.AMDGPU.csdata,"",@progbits
; Kernel info:
; codeLenInByte = 5368
; TotalNumSgprs: 44
; NumVgprs: 80
; NumAgprs: 0
; TotalNumVgprs: 80
; ScratchSize: 0
; MemoryBound: 0
; FloatMode: 240
; IeeeMode: 1
; LDSByteSize: 272 bytes/workgroup (compile time only)
; SGPRBlocks: 5
; VGPRBlocks: 9
; NumSGPRsForWavesPerEU: 44
; NumVGPRsForWavesPerEU: 80
; AccumOffset: 80
; Occupancy: 6
; WaveLimiterHint : 1
; COMPUTE_PGM_RSRC2:SCRATCH_EN: 0
; COMPUTE_PGM_RSRC2:USER_SGPR: 2
; COMPUTE_PGM_RSRC2:TRAP_HANDLER: 0
; COMPUTE_PGM_RSRC2:TGID_X_EN: 1
; COMPUTE_PGM_RSRC2:TGID_Y_EN: 1
; COMPUTE_PGM_RSRC2:TGID_Z_EN: 1
; COMPUTE_PGM_RSRC2:TIDIG_COMP_CNT: 0
; COMPUTE_PGM_RSRC3_GFX90A:ACCUM_OFFSET: 19
; COMPUTE_PGM_RSRC3_GFX90A:TG_SPLIT: 0
	.section	.text._ZN4vllm25paged_attention_v1_kernelIfhLi80ELi32ELi128ELNS_18Fp8KVCacheDataTypeE1ELb0EEEvPT_PKS2_PKT0_S8_ifPKiSA_iPKfiiiSC_SC_iiiii,"axG",@progbits,_ZN4vllm25paged_attention_v1_kernelIfhLi80ELi32ELi128ELNS_18Fp8KVCacheDataTypeE1ELb0EEEvPT_PKS2_PKT0_S8_ifPKiSA_iPKfiiiSC_SC_iiiii,comdat
	.protected	_ZN4vllm25paged_attention_v1_kernelIfhLi80ELi32ELi128ELNS_18Fp8KVCacheDataTypeE1ELb0EEEvPT_PKS2_PKT0_S8_ifPKiSA_iPKfiiiSC_SC_iiiii ; -- Begin function _ZN4vllm25paged_attention_v1_kernelIfhLi80ELi32ELi128ELNS_18Fp8KVCacheDataTypeE1ELb0EEEvPT_PKS2_PKT0_S8_ifPKiSA_iPKfiiiSC_SC_iiiii
	.globl	_ZN4vllm25paged_attention_v1_kernelIfhLi80ELi32ELi128ELNS_18Fp8KVCacheDataTypeE1ELb0EEEvPT_PKS2_PKT0_S8_ifPKiSA_iPKfiiiSC_SC_iiiii
	.p2align	8
	.type	_ZN4vllm25paged_attention_v1_kernelIfhLi80ELi32ELi128ELNS_18Fp8KVCacheDataTypeE1ELb0EEEvPT_PKS2_PKT0_S8_ifPKiSA_iPKfiiiSC_SC_iiiii,@function
_ZN4vllm25paged_attention_v1_kernelIfhLi80ELi32ELi128ELNS_18Fp8KVCacheDataTypeE1ELb0EEEvPT_PKS2_PKT0_S8_ifPKiSA_iPKfiiiSC_SC_iiiii: ; @_ZN4vllm25paged_attention_v1_kernelIfhLi80ELi32ELi128ELNS_18Fp8KVCacheDataTypeE1ELb0EEEvPT_PKS2_PKT0_S8_ifPKiSA_iPKfiiiSC_SC_iiiii
; %bb.0:
	s_load_dword s5, s[0:1], 0x80
	s_load_dwordx2 s[6:7], s[0:1], 0x30
	s_load_dwordx2 s[28:29], s[0:1], 0x20
	s_mov_b32 s16, s3
	s_ashr_i32 s17, s3, 31
	s_lshl_b64 s[8:9], s[16:17], 2
	s_waitcnt lgkmcnt(0)
	s_add_u32 s6, s6, s8
	s_addc_u32 s7, s7, s9
	s_abs_i32 s3, s28
	v_cvt_f32_u32_e32 v1, s3
	s_sub_i32 s10, 0, s3
	s_abs_i32 s9, s5
	s_xor_b32 s8, s5, s28
	v_rcp_iflag_f32_e32 v1, v1
	s_ashr_i32 s8, s8, 31
	s_mov_b32 s28, 0
	v_mul_f32_e32 v1, 0x4f7ffffe, v1
	v_cvt_u32_f32_e32 v1, v1
	s_nop 0
	v_readfirstlane_b32 s11, v1
	s_mul_i32 s10, s10, s11
	s_mul_hi_u32 s10, s11, s10
	s_add_i32 s11, s11, s10
	s_mul_hi_u32 s10, s9, s11
	s_mul_i32 s11, s10, s3
	s_sub_i32 s9, s9, s11
	s_add_i32 s11, s10, 1
	s_sub_i32 s12, s9, s3
	s_cmp_ge_u32 s9, s3
	s_cselect_b32 s10, s11, s10
	s_cselect_b32 s9, s12, s9
	s_add_i32 s11, s10, 1
	s_cmp_ge_u32 s9, s3
	s_cselect_b32 s3, s11, s10
	s_xor_b32 s3, s3, s8
	s_sub_i32 s12, s3, s8
	s_abs_i32 s10, s12
	v_cvt_f32_u32_e32 v1, s10
	s_load_dwordx2 s[8:9], s[0:1], 0x40
	s_sub_i32 s3, 0, s10
	s_abs_i32 s11, s2
	v_rcp_iflag_f32_e32 v1, v1
	s_nop 0
	v_mul_f32_e32 v1, 0x4f7ffffe, v1
	v_cvt_u32_f32_e32 v1, v1
	s_nop 0
	v_readfirstlane_b32 s13, v1
	s_mul_i32 s3, s3, s13
	s_mul_hi_u32 s3, s13, s3
	s_add_i32 s13, s13, s3
	s_waitcnt lgkmcnt(0)
	s_cmp_eq_u64 s[8:9], 0
	s_mul_hi_u32 s20, s11, s13
	s_cbranch_scc1 .LBB209_2
; %bb.1:
	s_ashr_i32 s3, s2, 31
	s_lshl_b64 s[14:15], s[2:3], 2
	s_add_u32 s8, s8, s14
	s_addc_u32 s9, s9, s15
	s_load_dword s28, s[8:9], 0x0
.LBB209_2:
	s_load_dword s17, s[6:7], 0x0
	s_ashr_i32 s7, s12, 31
	s_load_dwordx4 s[12:15], s[0:1], 0x48
	s_ashr_i32 s6, s2, 31
	v_and_b32_e32 v42, 1, v0
	s_mul_i32 s18, s2, 0x50
	v_cmp_gt_u32_e32 vcc, 40, v0
	v_lshlrev_b32_e32 v48, 2, v0
	s_and_saveexec_b64 s[2:3], vcc
	s_cbranch_execz .LBB209_4
; %bb.3:
	s_load_dwordx2 s[8:9], s[0:1], 0x8
	s_waitcnt lgkmcnt(0)
	s_mul_i32 s22, s12, s16
	s_ashr_i32 s23, s22, 31
	s_lshl_b64 s[22:23], s[22:23], 2
	v_lshlrev_b32_e32 v1, 3, v0
	s_add_u32 s12, s8, s22
	s_addc_u32 s15, s9, s23
	s_ashr_i32 s19, s18, 31
	s_lshl_b64 s[8:9], s[18:19], 2
	s_add_u32 s8, s12, s8
	s_addc_u32 s9, s15, s9
	global_load_dwordx2 v[2:3], v1, s[8:9]
	v_and_b32_e32 v1, 0xff8, v48
	s_movk_i32 s8, 0xa0
	v_mad_u32_u24 v1, v42, s8, v1
	s_waitcnt vmcnt(0)
	ds_write_b64 v1, v[2:3]
.LBB209_4:
	s_or_b64 exec, exec, s[2:3]
	s_waitcnt lgkmcnt(0)
	s_add_i32 s3, s17, 31
	s_ashr_i32 s8, s3, 31
	s_lshr_b32 s8, s8, 27
	s_add_i32 s3, s3, s8
	s_ashr_i32 s19, s3, 5
	s_xor_b32 s3, s6, s7
	s_mul_i32 s6, s20, s10
	s_sub_i32 s6, s11, s6
	s_add_i32 s7, s20, 1
	s_sub_i32 s8, s6, s10
	s_load_dwordx2 s[22:23], s[0:1], 0x28
	s_load_dword s2, s[0:1], 0x38
	s_cmp_ge_u32 s6, s10
	s_cselect_b32 s7, s7, s20
	s_cselect_b32 s6, s8, s6
	s_add_i32 s8, s7, 1
	s_cmp_ge_u32 s6, s10
	s_cselect_b32 s6, s8, s7
	v_lshrrev_b32_e32 v1, 6, v0
	s_xor_b32 s6, s6, s3
	s_waitcnt lgkmcnt(0)
	s_mul_i32 s24, s2, s16
	s_sub_i32 s33, s6, s3
	s_ashr_i32 s25, s24, 31
	v_cmp_gt_i32_e64 s[6:7], s19, v1
	v_cmp_le_i32_e32 vcc, s19, v1
	v_mbcnt_lo_u32_b32 v43, -1, 0
	s_barrier
                                        ; implicit-def: $vgpr50
                                        ; implicit-def: $vgpr51
                                        ; implicit-def: $vgpr52
	s_and_saveexec_b64 s[2:3], vcc
	s_xor_b64 s[2:3], exec, s[2:3]
; %bb.5:
	v_mbcnt_hi_u32_b32 v50, -1, v43
	v_and_b32_e32 v51, 64, v50
	v_add_u32_e32 v52, 64, v51
                                        ; implicit-def: $vgpr42
                                        ; implicit-def: $vgpr43
; %bb.6:
	s_or_saveexec_b64 s[30:31], s[2:3]
	s_load_dwordx2 s[20:21], s[0:1], 0x0
	s_load_dwordx2 s[26:27], s[0:1], 0x18
	s_load_dword s12, s[0:1], 0x88
	s_load_dwordx4 s[8:11], s[0:1], 0x58
	v_mov_b32_e32 v53, 0xff7fffff
	s_mul_i32 s33, s33, s14
	v_lshrrev_b32_e32 v49, 4, v0
	s_xor_b64 exec, exec, s[30:31]
	s_cbranch_execz .LBB209_12
; %bb.7:
	v_mul_u32_u24_e32 v38, 0xa0, v42
	ds_read_b128 v[2:5], v38
	ds_read_b128 v[6:9], v38 offset:16
	ds_read_b128 v[10:13], v38 offset:32
	ds_read_b128 v[14:17], v38 offset:48
	ds_read_b128 v[18:21], v38 offset:64
	ds_read_b128 v[22:25], v38 offset:80
	ds_read_b128 v[26:29], v38 offset:96
	ds_read_b128 v[30:33], v38 offset:112
	ds_read_b128 v[34:37], v38 offset:128
	ds_read_b128 v[38:41], v38 offset:144
	s_load_dwordx2 s[0:1], s[0:1], 0x10
	v_mbcnt_hi_u32_b32 v50, -1, v43
	s_ashr_i32 s2, s33, 31
	v_and_b32_e32 v51, 64, v50
	v_bfe_u32 v53, v0, 1, 5
	s_waitcnt lgkmcnt(0)
	s_add_u32 s0, s0, s33
	v_xor_b32_e32 v43, 1, v50
	v_add_u32_e32 v52, 64, v51
	v_lshlrev_b32_e32 v44, 4, v53
	s_addc_u32 s1, s1, s2
	v_mov_b32_e32 v45, 0
	s_load_dword s8, s[8:9], 0x0
	v_cmp_lt_i32_e32 vcc, v43, v52
	v_lshl_add_u64 v[46:47], s[0:1], 0, v[44:45]
	v_lshlrev_b32_e32 v44, 1, v42
	v_cndmask_b32_e32 v43, v50, v43, vcc
	v_lshlrev_b32_e32 v54, 2, v43
	v_cmp_eq_u32_e32 vcc, 0, v42
	v_lshl_add_u64 v[42:43], v[46:47], 0, v[44:45]
	s_sub_i32 s37, 1, s17
	v_lshlrev_b32_e32 v44, 2, v53
	s_lshl_b64 s[0:1], s[24:25], 2
	v_lshl_or_b32 v44, v1, 7, v44
	s_add_u32 s0, s22, s0
	v_add_u32_e32 v56, 0x150, v44
	v_and_b32_e32 v44, 60, v49
	s_addc_u32 s1, s23, s1
	s_mov_b32 s36, s13
	v_cmp_neq_f32_e64 s[2:3], s28, 0
	s_waitcnt lgkmcnt(0)
	s_mov_b32 s9, s8
	v_lshl_or_b32 v55, v1, 5, v53
	v_lshl_add_u64 v[44:45], s[0:1], 0, v[44:45]
	v_mov_b32_e32 v53, 0xff7fffff
	s_mov_b64 s[14:15], 0
	v_mov_b32_e32 v57, v1
	s_branch .LBB209_9
.LBB209_8:                              ;   in Loop: Header=BB209_9 Depth=1
	s_or_b64 exec, exec, s[34:35]
	v_add_u32_e32 v57, 2, v57
	v_cmp_le_i32_e64 s[0:1], s19, v57
	v_add_u32_e32 v55, 64, v55
	v_add_u32_e32 v56, 0x100, v56
	s_or_b64 s[14:15], s[0:1], s[14:15]
	v_lshl_add_u64 v[44:45], v[44:45], 0, 8
	s_andn2_b64 exec, exec, s[14:15]
	s_cbranch_execz .LBB209_11
.LBB209_9:                              ; =>This Inner Loop Header: Depth=1
	global_load_dword v46, v[44:45], off
	s_waitcnt vmcnt(0) lgkmcnt(0)
	v_mad_i64_i32 v[46:47], s[0:1], v46, s36, v[42:43]
	global_load_ushort v58, v[46:47], off offset:4
	global_load_ushort v60, v[46:47], off offset:8
	;; [unrolled: 1-line block ×7, first 2 shown]
	global_load_ushort v59, v[46:47], off
	global_load_ushort v72, v[46:47], off offset:1024
	global_load_ushort v74, v[46:47], off offset:1028
	;; [unrolled: 1-line block ×12, first 2 shown]
	s_waitcnt vmcnt(19)
	v_cvt_pk_f32_fp8_e32 v[46:47], v58
	s_waitcnt vmcnt(18)
	v_cvt_pk_f32_fp8_e32 v[60:61], v60
	;; [unrolled: 2-line block ×4, first 2 shown]
	v_pk_mul_f32 v[46:47], s[8:9], v[46:47]
	s_waitcnt vmcnt(15)
	v_cvt_pk_f32_fp8_e32 v[66:67], v66
	v_mul_f32_e32 v86, v4, v46
	s_waitcnt vmcnt(12)
	v_cvt_pk_f32_fp8_e32 v[58:59], v59
	v_mul_f32_e32 v87, v5, v47
	v_cvt_pk_f32_fp8_e32 v[68:69], v68
	v_pk_mul_f32 v[60:61], s[8:9], v[60:61]
	v_pk_mul_f32 v[58:59], v[58:59], s[8:9]
	v_cvt_pk_f32_fp8_e32 v[70:71], v70
	v_fmac_f32_e32 v86, v2, v58
	v_fmac_f32_e32 v87, v3, v59
	;; [unrolled: 1-line block ×4, first 2 shown]
	v_pk_mul_f32 v[62:63], s[8:9], v[62:63]
	s_waitcnt vmcnt(11)
	v_cvt_pk_f32_fp8_e32 v[72:73], v72
	v_fmac_f32_e32 v86, v8, v62
	v_fmac_f32_e32 v87, v9, v63
	v_pk_mul_f32 v[64:65], s[8:9], v[64:65]
	s_waitcnt vmcnt(10)
	v_cvt_pk_f32_fp8_e32 v[74:75], v74
	v_fmac_f32_e32 v86, v10, v64
	v_fmac_f32_e32 v87, v11, v65
	;; [unrolled: 5-line block ×3, first 2 shown]
	v_pk_mul_f32 v[68:69], s[8:9], v[68:69]
	s_waitcnt vmcnt(8)
	v_cvt_pk_f32_fp8_e32 v[58:59], v77
	v_pk_mul_f32 v[70:71], s[8:9], v[70:71]
	v_fmac_f32_e32 v86, v14, v68
	v_fmac_f32_e32 v87, v15, v69
	s_waitcnt vmcnt(7)
	v_cvt_pk_f32_fp8_e32 v[76:77], v78
	v_pk_mul_f32 v[72:73], s[8:9], v[72:73]
	v_fmac_f32_e32 v86, v16, v70
	v_fmac_f32_e32 v87, v17, v71
	;; [unrolled: 5-line block ×9, first 2 shown]
	v_pk_mul_f32 v[80:81], s[8:9], v[80:81]
	v_fmac_f32_e32 v86, v32, v62
	v_fmac_f32_e32 v87, v33, v63
	v_pk_mul_f32 v[64:65], s[8:9], v[64:65]
	v_fmac_f32_e32 v86, v34, v80
	v_fmac_f32_e32 v87, v35, v81
	;; [unrolled: 3-line block ×4, first 2 shown]
	v_fmac_f32_e32 v86, v40, v66
	v_fmac_f32_e32 v87, v41, v67
	v_add_f32_e32 v46, v86, v87
	ds_bpermute_b32 v47, v54, v46
	s_and_saveexec_b64 s[34:35], vcc
	s_cbranch_execz .LBB209_8
; %bb.10:                               ;   in Loop: Header=BB209_9 Depth=1
	v_add_u32_e32 v58, s37, v55
	v_cvt_f32_i32_e32 v58, v58
	s_waitcnt lgkmcnt(0)
	v_add_f32_e32 v46, v46, v47
	v_cmp_gt_i32_e64 s[0:1], s17, v55
	v_max_f32_e32 v47, v53, v53
	v_mul_f32_e32 v58, s28, v58
	v_cndmask_b32_e64 v58, 0, v58, s[2:3]
	v_fmac_f32_e32 v58, s29, v46
	v_cndmask_b32_e64 v46, 0, v58, s[0:1]
	ds_write_b32 v56, v46
	v_max_f32_e32 v46, v47, v58
	v_cndmask_b32_e64 v53, v53, v46, s[0:1]
	s_branch .LBB209_8
.LBB209_11:
	s_or_b64 exec, exec, s[14:15]
.LBB209_12:
	s_or_b64 exec, exec, s[30:31]
	v_xor_b32_e32 v2, 32, v50
	v_cmp_lt_i32_e32 vcc, v2, v52
	v_xor_b32_e32 v5, 16, v50
	v_max_f32_e32 v4, v53, v53
	v_cndmask_b32_e32 v2, v50, v2, vcc
	v_lshlrev_b32_e32 v2, 2, v2
	ds_bpermute_b32 v3, v2, v53
	v_cmp_lt_i32_e32 vcc, v5, v52
	v_xor_b32_e32 v6, 8, v50
	v_xor_b32_e32 v7, 4, v50
	v_and_b32_e32 v60, 63, v0
	s_waitcnt lgkmcnt(0)
	v_max_f32_e32 v3, v3, v3
	v_max_f32_e32 v4, v4, v3
	v_cndmask_b32_e32 v3, v50, v5, vcc
	v_lshlrev_b32_e32 v3, 2, v3
	ds_bpermute_b32 v5, v3, v4
	v_cmp_lt_i32_e32 vcc, v6, v52
	s_waitcnt lgkmcnt(0)
	v_max_f32_e32 v5, v5, v5
	v_max_f32_e32 v5, v4, v5
	v_cndmask_b32_e32 v4, v50, v6, vcc
	v_lshlrev_b32_e32 v4, 2, v4
	ds_bpermute_b32 v6, v4, v5
	v_cmp_lt_i32_e32 vcc, v7, v52
	s_waitcnt lgkmcnt(0)
	v_max_f32_e32 v6, v6, v6
	v_max_f32_e32 v5, v5, v6
	v_cndmask_b32_e32 v6, v50, v7, vcc
	v_lshlrev_b32_e32 v61, 2, v6
	ds_bpermute_b32 v6, v61, v5
	v_xor_b32_e32 v7, 2, v50
	v_cmp_lt_i32_e32 vcc, v7, v52
	s_waitcnt lgkmcnt(0)
	v_max_f32_e32 v6, v6, v6
	v_max_f32_e32 v6, v5, v6
	v_cndmask_b32_e32 v5, v50, v7, vcc
	v_lshlrev_b32_e32 v62, 2, v5
	ds_bpermute_b32 v7, v62, v6
	v_cmp_eq_u32_e32 vcc, 0, v60
	v_lshlrev_b32_e32 v5, 2, v1
	s_and_saveexec_b64 s[0:1], vcc
	s_cbranch_execz .LBB209_14
; %bb.13:
	s_waitcnt lgkmcnt(0)
	v_max_f32_e32 v7, v7, v7
	v_max_f32_e32 v6, v6, v6
	;; [unrolled: 1-line block ×3, first 2 shown]
	ds_write_b32 v5, v6 offset:320
.LBB209_14:
	s_or_b64 exec, exec, s[0:1]
	v_cmp_gt_u32_e64 s[0:1], 2, v60
	s_waitcnt lgkmcnt(0)
	v_mov_b32_e32 v7, 0xff7fffff
	v_lshlrev_b32_e32 v6, 2, v60
	s_barrier
	s_and_saveexec_b64 s[2:3], s[0:1]
; %bb.15:
	ds_read_b32 v7, v6 offset:320
; %bb.16:
	s_or_b64 exec, exec, s[2:3]
	v_xor_b32_e32 v8, 1, v50
	v_cmp_lt_i32_e64 s[2:3], v8, v52
	s_nop 1
	v_cndmask_b32_e64 v8, v50, v8, s[2:3]
	v_lshlrev_b32_e32 v63, 2, v8
	s_waitcnt lgkmcnt(0)
	ds_bpermute_b32 v8, v63, v7
	v_max_f32_e32 v7, v7, v7
	s_lshl_b32 s2, s19, 5
	s_min_i32 s30, s2, s17
	v_cmp_gt_i32_e64 s[2:3], s30, v0
	s_waitcnt lgkmcnt(0)
	v_max_f32_e32 v8, v8, v8
	v_max_f32_e32 v7, v7, v8
	v_lshlrev_b32_e32 v8, 2, v51
	ds_bpermute_b32 v8, v8, v7
	v_mov_b32_e32 v7, 0
	s_and_saveexec_b64 s[14:15], s[2:3]
	s_cbranch_execz .LBB209_20
; %bb.17:
	v_mov_b32_e32 v7, 0x150
	v_lshl_add_u32 v9, v0, 2, v7
	v_mov_b32_e32 v7, 0
	s_mov_b64 s[28:29], 0
	v_mov_b32_e32 v10, v0
.LBB209_18:                             ; =>This Inner Loop Header: Depth=1
	ds_read_b32 v11, v9
	v_add_u32_e32 v10, 0x80, v10
	v_cmp_le_i32_e64 s[8:9], s30, v10
	s_or_b64 s[28:29], s[8:9], s[28:29]
	s_waitcnt lgkmcnt(0)
	v_sub_f32_e32 v11, v11, v8
	v_mul_f32_e32 v11, 0x3fb8aa3b, v11
	v_exp_f32_e32 v11, v11
	ds_write_b32 v9, v11
	v_add_f32_e32 v7, v7, v11
	v_add_u32_e32 v9, 0x200, v9
	s_andn2_b64 exec, exec, s[28:29]
	s_cbranch_execnz .LBB209_18
; %bb.19:
	s_or_b64 exec, exec, s[28:29]
.LBB209_20:
	s_or_b64 exec, exec, s[14:15]
	ds_bpermute_b32 v2, v2, v7
	s_waitcnt lgkmcnt(0)
	v_add_f32_e32 v2, v7, v2
	ds_bpermute_b32 v3, v3, v2
	s_waitcnt lgkmcnt(0)
	v_add_f32_e32 v2, v2, v3
	;; [unrolled: 3-line block ×6, first 2 shown]
	s_and_saveexec_b64 s[8:9], vcc
; %bb.21:
	ds_write_b32 v5, v2 offset:328
; %bb.22:
	s_or_b64 exec, exec, s[8:9]
	s_waitcnt lgkmcnt(0)
	s_barrier
	s_and_saveexec_b64 s[8:9], s[0:1]
; %bb.23:
	ds_read_b32 v2, v6 offset:328
; %bb.24:
	s_or_b64 exec, exec, s[8:9]
	s_waitcnt lgkmcnt(0)
	ds_bpermute_b32 v3, v63, v2
	v_lshlrev_b32_e32 v4, 2, v50
	s_waitcnt lgkmcnt(0)
	v_add_f32_e32 v2, v2, v3
	v_and_b32_e32 v3, 0xffffff00, v4
	ds_bpermute_b32 v2, v3, v2
	s_and_saveexec_b64 s[0:1], s[2:3]
	s_cbranch_execz .LBB209_37
; %bb.25:
	s_waitcnt lgkmcnt(0)
	v_add_f32_e32 v2, 0x358637bd, v2
	v_div_scale_f32 v3, s[2:3], v2, v2, 1.0
	v_rcp_f32_e32 v4, v3
	v_div_scale_f32 v5, vcc, 1.0, v2, 1.0
	s_movk_i32 s2, 0x7f
	v_fma_f32 v6, -v3, v4, 1.0
	v_fmac_f32_e32 v4, v6, v4
	v_mul_f32_e32 v6, v5, v4
	v_fma_f32 v7, -v3, v6, v5
	v_fmac_f32_e32 v6, v7, v4
	v_fma_f32 v3, -v3, v6, v5
	v_div_fmas_f32 v3, v3, v4, v6
	v_xad_u32 v4, v0, -1, s30
	v_div_fixup_f32 v2, v3, v2, 1.0
	v_cmp_lt_u32_e32 vcc, s2, v4
	s_mov_b64 s[8:9], -1
	v_mov_b32_e32 v3, v0
	s_and_saveexec_b64 s[2:3], vcc
	s_cbranch_execz .LBB209_34
; %bb.26:
	v_lshrrev_b32_e32 v4, 7, v4
	v_add_u32_e32 v6, -1, v4
	v_lshrrev_b32_e32 v5, 1, v6
	v_mov_b32_e32 v3, v2
	v_add_u32_e32 v5, 1, v5
	v_cmp_lt_u32_e32 vcc, 13, v6
	v_mov_b32_e32 v8, 0
	s_and_saveexec_b64 s[8:9], vcc
	s_cbranch_execz .LBB209_30
; %bb.27:
	v_mov_b32_e32 v7, 0x150
	v_and_b32_e32 v6, -8, v5
	v_lshl_add_u32 v7, v0, 2, v7
	s_mov_b32 s28, 0
	s_mov_b64 s[14:15], 0
.LBB209_28:                             ; =>This Inner Loop Header: Depth=1
	ds_read2st64_b32 v[8:9], v7 offset1:2
	ds_read2st64_b32 v[10:11], v7 offset0:4 offset1:6
	ds_read2st64_b32 v[12:13], v7 offset0:8 offset1:10
	;; [unrolled: 1-line block ×3, first 2 shown]
	v_add_u32_e32 v6, -8, v6
	s_waitcnt lgkmcnt(3)
	v_pk_mul_f32 v[8:9], v[2:3], v[8:9]
	s_waitcnt lgkmcnt(2)
	v_pk_mul_f32 v[10:11], v[2:3], v[10:11]
	ds_write2st64_b32 v7, v8, v9 offset1:2
	ds_write2st64_b32 v7, v10, v11 offset0:4 offset1:6
	ds_read2st64_b32 v[10:11], v7 offset0:16 offset1:18
	s_waitcnt lgkmcnt(4)
	v_pk_mul_f32 v[8:9], v[2:3], v[12:13]
	ds_write2st64_b32 v7, v8, v9 offset0:8 offset1:10
	s_waitcnt lgkmcnt(4)
	v_pk_mul_f32 v[8:9], v[2:3], v[14:15]
	ds_write2st64_b32 v7, v8, v9 offset0:12 offset1:14
	ds_read2st64_b32 v[8:9], v7 offset0:20 offset1:22
	s_waitcnt lgkmcnt(3)
	v_pk_mul_f32 v[10:11], v[2:3], v[10:11]
	ds_read2st64_b32 v[12:13], v7 offset0:24 offset1:26
	ds_write2st64_b32 v7, v10, v11 offset0:16 offset1:18
	ds_read2st64_b32 v[10:11], v7 offset0:28 offset1:30
	s_waitcnt lgkmcnt(3)
	v_pk_mul_f32 v[8:9], v[2:3], v[8:9]
	ds_write2st64_b32 v7, v8, v9 offset0:20 offset1:22
	s_waitcnt lgkmcnt(3)
	v_pk_mul_f32 v[8:9], v[2:3], v[12:13]
	ds_write2st64_b32 v7, v8, v9 offset0:24 offset1:26
	s_waitcnt lgkmcnt(2)
	v_pk_mul_f32 v[8:9], v[2:3], v[10:11]
	s_add_i32 s28, s28, 16
	v_cmp_eq_u32_e32 vcc, 0, v6
	ds_write2st64_b32 v7, v8, v9 offset0:28 offset1:30
	v_add_u32_e32 v7, 0x2000, v7
	s_or_b64 s[14:15], vcc, s[14:15]
	v_mov_b32_e32 v8, s28
	s_andn2_b64 exec, exec, s[14:15]
	s_cbranch_execnz .LBB209_28
; %bb.29:
	s_or_b64 exec, exec, s[14:15]
.LBB209_30:
	s_or_b64 exec, exec, s[8:9]
	v_and_b32_e32 v5, 7, v5
	v_cmp_ne_u32_e32 vcc, 0, v5
	s_and_saveexec_b64 s[8:9], vcc
	s_cbranch_execz .LBB209_33
; %bb.31:
	v_lshlrev_b32_e32 v6, 9, v8
	s_movk_i32 s14, 0x150
	v_add3_u32 v6, v6, v48, s14
	s_mov_b64 s[14:15], 0
.LBB209_32:                             ; =>This Inner Loop Header: Depth=1
	ds_read2st64_b32 v[8:9], v6 offset1:2
	v_add_u32_e32 v5, -1, v5
	v_cmp_eq_u32_e32 vcc, 0, v5
	s_or_b64 s[14:15], vcc, s[14:15]
	s_waitcnt lgkmcnt(0)
	v_pk_mul_f32 v[8:9], v[2:3], v[8:9]
	ds_write2st64_b32 v6, v8, v9 offset1:2
	v_add_u32_e32 v6, 0x400, v6
	s_andn2_b64 exec, exec, s[14:15]
	s_cbranch_execnz .LBB209_32
.LBB209_33:
	s_or_b64 exec, exec, s[8:9]
	v_add_u32_e32 v4, 1, v4
	v_and_b32_e32 v5, 0x3fffffe, v4
	v_cmp_ne_u32_e32 vcc, v4, v5
	v_lshl_add_u32 v3, v5, 7, v0
	s_orn2_b64 s[8:9], vcc, exec
.LBB209_34:
	s_or_b64 exec, exec, s[2:3]
	s_and_b64 exec, exec, s[8:9]
	s_cbranch_execz .LBB209_37
; %bb.35:
	v_mov_b32_e32 v4, 0x150
	v_lshl_add_u32 v4, v3, 2, v4
	s_mov_b64 s[2:3], 0
.LBB209_36:                             ; =>This Inner Loop Header: Depth=1
	ds_read_b32 v5, v4
	v_add_u32_e32 v3, 0x80, v3
	v_cmp_le_i32_e32 vcc, s30, v3
	s_or_b64 s[2:3], vcc, s[2:3]
	s_waitcnt lgkmcnt(0)
	v_mul_f32_e32 v5, v2, v5
	ds_write_b32 v4, v5
	v_add_u32_e32 v4, 0x200, v4
	s_andn2_b64 exec, exec, s[2:3]
	s_cbranch_execnz .LBB209_36
.LBB209_37:
	s_or_b64 exec, exec, s[0:1]
	v_mov_b32_e32 v7, 0
	v_and_b32_e32 v64, 7, v0
	v_mov_b32_e32 v6, 0
	v_mov_b32_e32 v9, 0
	;; [unrolled: 1-line block ×9, first 2 shown]
	s_waitcnt lgkmcnt(0)
	s_barrier
	s_and_saveexec_b64 s[2:3], s[6:7]
	s_cbranch_execz .LBB209_61
; %bb.38:
	s_ashr_i32 s1, s33, 31
	s_load_dword s6, s[10:11], 0x0
	s_add_u32 s0, s26, s33
	s_addc_u32 s1, s27, s1
	v_and_b32_e32 v6, 0xfc, v48
	v_mov_b32_e32 v7, 0
	v_and_b32_e32 v2, 28, v48
	s_add_i32 s14, s19, -1
	v_lshl_add_u64 v[16:17], s[0:1], 0, v[6:7]
	s_lshl_b64 s[0:1], s[24:25], 2
	v_lshl_or_b32 v65, v1, 5, v2
	v_lshlrev_b32_e32 v2, 4, v64
	s_add_u32 s0, s22, s0
	v_lshl_or_b32 v2, v1, 7, v2
	v_and_b32_e32 v6, 60, v49
	s_addc_u32 s1, s23, s1
	s_waitcnt lgkmcnt(0)
	s_mov_b32 s7, s6
	s_mov_b32 s15, s17
	v_add_u32_e32 v66, 0x150, v2
	v_lshl_add_u64 v[18:19], s[0:1], 0, v[6:7]
	s_mov_b64 s[8:9], 0
	v_mov_b32_e32 v6, v7
	v_mov_b32_e32 v9, v7
	;; [unrolled: 1-line block ×9, first 2 shown]
	s_branch .LBB209_40
.LBB209_39:                             ;   in Loop: Header=BB209_40 Depth=1
	s_or_b64 exec, exec, s[0:1]
	s_waitcnt lgkmcnt(0)
	v_mul_f32_e32 v58, v2, v58
	v_mul_f32_e32 v52, v2, v52
	;; [unrolled: 1-line block ×9, first 2 shown]
	v_fmac_f32_e32 v58, v3, v59
	v_fmac_f32_e32 v52, v3, v53
	;; [unrolled: 1-line block ×18, first 2 shown]
	v_pk_mul_f32 v[2:3], v[2:3], v[54:55]
	v_fmac_f32_e32 v58, v5, v57
	v_fmac_f32_e32 v52, v5, v51
	;; [unrolled: 1-line block ×9, first 2 shown]
	v_pk_mul_f32 v[4:5], v[4:5], v[28:29]
	v_add_f32_e32 v2, v3, v2
	v_add_f32_e32 v2, v4, v2
	v_add_u32_e32 v1, 2, v1
	v_add_f32_e32 v2, v5, v2
	v_cmp_le_i32_e32 vcc, s19, v1
	v_add_f32_e32 v6, v6, v58
	v_add_f32_e32 v9, v9, v52
	;; [unrolled: 1-line block ×10, first 2 shown]
	v_add_u32_e32 v65, 64, v65
	v_add_u32_e32 v66, 0x100, v66
	s_or_b64 s[8:9], vcc, s[8:9]
	v_lshl_add_u64 v[18:19], v[18:19], 0, 8
	s_andn2_b64 exec, exec, s[8:9]
	s_cbranch_execz .LBB209_60
.LBB209_40:                             ; =>This Inner Loop Header: Depth=1
	global_load_dword v2, v[18:19], off
	v_cmp_eq_u32_e32 vcc, s14, v1
	v_add_u32_e32 v67, 1, v65
	v_add_u32_e32 v54, 2, v65
	;; [unrolled: 1-line block ×3, first 2 shown]
	s_waitcnt vmcnt(0)
	v_mad_i64_i32 v[28:29], s[0:1], v2, s13, v[16:17]
	global_load_dword v20, v[28:29], off
	ds_read_b128 v[2:5], v66
	s_waitcnt vmcnt(0)
	v_and_b32_e32 v21, 0xffff, v20
	v_lshrrev_b32_e32 v22, 16, v20
	v_cvt_pk_f32_fp8_e32 v[20:21], v21
	v_cvt_pk_f32_fp8_e32 v[24:25], v22
	v_pk_mul_f32 v[22:23], s[6:7], v[20:21]
	v_pk_mul_f32 v[20:21], s[6:7], v[24:25]
	s_and_saveexec_b64 s[10:11], vcc
; %bb.41:                               ;   in Loop: Header=BB209_40 Depth=1
	v_cmp_gt_i32_e64 s[0:1], s17, v65
	s_nop 1
	v_cndmask_b32_e64 v22, 0, v22, s[0:1]
	v_cmp_gt_i32_e64 s[0:1], s17, v67
	s_nop 1
	v_cndmask_b32_e64 v23, 0, v23, s[0:1]
	v_cmp_gt_i32_e64 s[0:1], s17, v54
	s_nop 1
	v_cndmask_b32_e64 v20, 0, v20, s[0:1]
	v_cmp_gt_i32_e64 s[0:1], s17, v55
	s_nop 1
	v_cndmask_b32_e64 v21, 0, v21, s[0:1]
; %bb.42:                               ;   in Loop: Header=BB209_40 Depth=1
	s_or_b64 exec, exec, s[10:11]
	global_load_dword v24, v[28:29], off offset:256
	s_waitcnt vmcnt(0)
	v_and_b32_e32 v25, 0xffff, v24
	v_lshrrev_b32_e32 v26, 16, v24
	v_cvt_pk_f32_fp8_e32 v[24:25], v25
	v_cvt_pk_f32_fp8_e32 v[30:31], v26
	v_pk_mul_f32 v[26:27], s[6:7], v[24:25]
	v_pk_mul_f32 v[24:25], s[6:7], v[30:31]
	s_and_saveexec_b64 s[10:11], vcc
; %bb.43:                               ;   in Loop: Header=BB209_40 Depth=1
	v_cmp_gt_i32_e64 s[0:1], s17, v65
	s_nop 1
	v_cndmask_b32_e64 v26, 0, v26, s[0:1]
	v_cmp_gt_i32_e64 s[0:1], s17, v67
	s_nop 1
	v_cndmask_b32_e64 v27, 0, v27, s[0:1]
	v_cmp_gt_i32_e64 s[0:1], s17, v54
	s_nop 1
	v_cndmask_b32_e64 v24, 0, v24, s[0:1]
	v_cmp_gt_i32_e64 s[0:1], s17, v55
	s_nop 1
	v_cndmask_b32_e64 v25, 0, v25, s[0:1]
; %bb.44:                               ;   in Loop: Header=BB209_40 Depth=1
	s_or_b64 exec, exec, s[10:11]
	global_load_dword v30, v[28:29], off offset:512
	s_waitcnt vmcnt(0)
	v_and_b32_e32 v31, 0xffff, v30
	v_lshrrev_b32_e32 v32, 16, v30
	v_cvt_pk_f32_fp8_e32 v[30:31], v31
	v_cvt_pk_f32_fp8_e32 v[34:35], v32
	v_pk_mul_f32 v[32:33], s[6:7], v[30:31]
	v_pk_mul_f32 v[30:31], s[6:7], v[34:35]
	s_and_saveexec_b64 s[10:11], vcc
; %bb.45:                               ;   in Loop: Header=BB209_40 Depth=1
	v_cmp_gt_i32_e64 s[0:1], s17, v65
	s_nop 1
	v_cndmask_b32_e64 v32, 0, v32, s[0:1]
	v_cmp_gt_i32_e64 s[0:1], s17, v67
	s_nop 1
	v_cndmask_b32_e64 v33, 0, v33, s[0:1]
	v_cmp_gt_i32_e64 s[0:1], s17, v54
	s_nop 1
	v_cndmask_b32_e64 v30, 0, v30, s[0:1]
	v_cmp_gt_i32_e64 s[0:1], s17, v55
	s_nop 1
	v_cndmask_b32_e64 v31, 0, v31, s[0:1]
; %bb.46:                               ;   in Loop: Header=BB209_40 Depth=1
	s_or_b64 exec, exec, s[10:11]
	global_load_dword v34, v[28:29], off offset:768
	s_waitcnt vmcnt(0)
	v_and_b32_e32 v35, 0xffff, v34
	v_lshrrev_b32_e32 v36, 16, v34
	v_cvt_pk_f32_fp8_e32 v[34:35], v35
	v_cvt_pk_f32_fp8_e32 v[38:39], v36
	v_pk_mul_f32 v[36:37], s[6:7], v[34:35]
	v_pk_mul_f32 v[34:35], s[6:7], v[38:39]
	s_and_saveexec_b64 s[10:11], vcc
; %bb.47:                               ;   in Loop: Header=BB209_40 Depth=1
	v_cmp_gt_i32_e64 s[0:1], s17, v65
	s_nop 1
	v_cndmask_b32_e64 v36, 0, v36, s[0:1]
	v_cmp_gt_i32_e64 s[0:1], s17, v67
	s_nop 1
	v_cndmask_b32_e64 v37, 0, v37, s[0:1]
	v_cmp_gt_i32_e64 s[0:1], s17, v54
	s_nop 1
	v_cndmask_b32_e64 v34, 0, v34, s[0:1]
	v_cmp_gt_i32_e64 s[0:1], s17, v55
	s_nop 1
	v_cndmask_b32_e64 v35, 0, v35, s[0:1]
; %bb.48:                               ;   in Loop: Header=BB209_40 Depth=1
	s_or_b64 exec, exec, s[10:11]
	global_load_dword v38, v[28:29], off offset:1024
	s_waitcnt vmcnt(0)
	v_and_b32_e32 v39, 0xffff, v38
	v_lshrrev_b32_e32 v40, 16, v38
	v_cvt_pk_f32_fp8_e32 v[38:39], v39
	v_cvt_pk_f32_fp8_e32 v[42:43], v40
	v_pk_mul_f32 v[40:41], s[6:7], v[38:39]
	v_pk_mul_f32 v[38:39], s[6:7], v[42:43]
	s_and_saveexec_b64 s[10:11], vcc
; %bb.49:                               ;   in Loop: Header=BB209_40 Depth=1
	v_cmp_gt_i32_e64 s[0:1], s17, v65
	s_nop 1
	v_cndmask_b32_e64 v40, 0, v40, s[0:1]
	v_cmp_gt_i32_e64 s[0:1], s17, v67
	s_nop 1
	v_cndmask_b32_e64 v41, 0, v41, s[0:1]
	v_cmp_gt_i32_e64 s[0:1], s17, v54
	s_nop 1
	v_cndmask_b32_e64 v38, 0, v38, s[0:1]
	v_cmp_gt_i32_e64 s[0:1], s17, v55
	s_nop 1
	v_cndmask_b32_e64 v39, 0, v39, s[0:1]
; %bb.50:                               ;   in Loop: Header=BB209_40 Depth=1
	s_or_b64 exec, exec, s[10:11]
	global_load_dword v42, v[28:29], off offset:1280
	s_waitcnt vmcnt(0)
	v_and_b32_e32 v43, 0xffff, v42
	v_lshrrev_b32_e32 v44, 16, v42
	v_cvt_pk_f32_fp8_e32 v[42:43], v43
	v_cvt_pk_f32_fp8_e32 v[46:47], v44
	v_pk_mul_f32 v[44:45], s[6:7], v[42:43]
	v_pk_mul_f32 v[42:43], s[6:7], v[46:47]
	s_and_saveexec_b64 s[10:11], vcc
; %bb.51:                               ;   in Loop: Header=BB209_40 Depth=1
	v_cmp_gt_i32_e64 s[0:1], s17, v65
	s_nop 1
	v_cndmask_b32_e64 v44, 0, v44, s[0:1]
	v_cmp_gt_i32_e64 s[0:1], s17, v67
	s_nop 1
	v_cndmask_b32_e64 v45, 0, v45, s[0:1]
	v_cmp_gt_i32_e64 s[0:1], s17, v54
	s_nop 1
	v_cndmask_b32_e64 v42, 0, v42, s[0:1]
	v_cmp_gt_i32_e64 s[0:1], s17, v55
	s_nop 1
	v_cndmask_b32_e64 v43, 0, v43, s[0:1]
; %bb.52:                               ;   in Loop: Header=BB209_40 Depth=1
	s_or_b64 exec, exec, s[10:11]
	global_load_dword v46, v[28:29], off offset:1536
	s_waitcnt vmcnt(0)
	v_and_b32_e32 v47, 0xffff, v46
	v_lshrrev_b32_e32 v48, 16, v46
	v_cvt_pk_f32_fp8_e32 v[46:47], v47
	v_cvt_pk_f32_fp8_e32 v[50:51], v48
	v_pk_mul_f32 v[48:49], s[6:7], v[46:47]
	v_pk_mul_f32 v[46:47], s[6:7], v[50:51]
	s_and_saveexec_b64 s[10:11], vcc
; %bb.53:                               ;   in Loop: Header=BB209_40 Depth=1
	v_cmp_gt_i32_e64 s[0:1], s17, v65
	s_nop 1
	v_cndmask_b32_e64 v48, 0, v48, s[0:1]
	v_cmp_gt_i32_e64 s[0:1], s17, v67
	s_nop 1
	v_cndmask_b32_e64 v49, 0, v49, s[0:1]
	v_cmp_gt_i32_e64 s[0:1], s17, v54
	s_nop 1
	v_cndmask_b32_e64 v46, 0, v46, s[0:1]
	v_cmp_gt_i32_e64 s[0:1], s17, v55
	s_nop 1
	v_cndmask_b32_e64 v47, 0, v47, s[0:1]
; %bb.54:                               ;   in Loop: Header=BB209_40 Depth=1
	s_or_b64 exec, exec, s[10:11]
	global_load_dword v50, v[28:29], off offset:1792
	s_waitcnt vmcnt(0)
	v_and_b32_e32 v51, 0xffff, v50
	v_lshrrev_b32_e32 v52, 16, v50
	v_cvt_pk_f32_fp8_e32 v[50:51], v51
	v_cvt_pk_f32_fp8_e32 v[56:57], v52
	v_pk_mul_f32 v[52:53], s[6:7], v[50:51]
	v_pk_mul_f32 v[50:51], s[6:7], v[56:57]
	s_and_saveexec_b64 s[10:11], vcc
; %bb.55:                               ;   in Loop: Header=BB209_40 Depth=1
	v_cmp_gt_i32_e64 s[0:1], s17, v65
	s_nop 1
	v_cndmask_b32_e64 v52, 0, v52, s[0:1]
	v_cmp_gt_i32_e64 s[0:1], s17, v67
	s_nop 1
	v_cndmask_b32_e64 v53, 0, v53, s[0:1]
	v_cmp_gt_i32_e64 s[0:1], s17, v54
	s_nop 1
	v_cndmask_b32_e64 v50, 0, v50, s[0:1]
	v_cmp_gt_i32_e64 s[0:1], s17, v55
	s_nop 1
	v_cndmask_b32_e64 v51, 0, v51, s[0:1]
; %bb.56:                               ;   in Loop: Header=BB209_40 Depth=1
	s_or_b64 exec, exec, s[10:11]
	global_load_dword v56, v[28:29], off offset:2048
	s_waitcnt vmcnt(0)
	v_and_b32_e32 v57, 0xffff, v56
	v_lshrrev_b32_e32 v58, 16, v56
	v_cvt_pk_f32_fp8_e32 v[56:57], v57
	v_cvt_pk_f32_fp8_e32 v[68:69], v58
	v_pk_mul_f32 v[58:59], s[6:7], v[56:57]
	v_pk_mul_f32 v[56:57], s[6:7], v[68:69]
	s_and_saveexec_b64 s[10:11], vcc
; %bb.57:                               ;   in Loop: Header=BB209_40 Depth=1
	v_cmp_gt_i32_e64 s[0:1], s17, v65
	s_nop 1
	v_cndmask_b32_e64 v58, 0, v58, s[0:1]
	v_cmp_gt_i32_e64 s[0:1], s17, v67
	s_nop 1
	v_cndmask_b32_e64 v59, 0, v59, s[0:1]
	v_cmp_gt_i32_e64 s[0:1], s17, v54
	s_nop 1
	v_cndmask_b32_e64 v56, 0, v56, s[0:1]
	v_cmp_gt_i32_e64 s[0:1], s17, v55
	s_nop 1
	v_cndmask_b32_e64 v57, 0, v57, s[0:1]
; %bb.58:                               ;   in Loop: Header=BB209_40 Depth=1
	s_or_b64 exec, exec, s[10:11]
	global_load_dword v28, v[28:29], off offset:2304
	s_waitcnt vmcnt(0)
	v_and_b32_e32 v29, 0xffff, v28
	v_lshrrev_b32_e32 v54, 16, v28
	v_cvt_pk_f32_fp8_e32 v[28:29], v29
	v_cvt_pk_f32_fp8_e32 v[68:69], v54
	v_pk_mul_f32 v[54:55], s[6:7], v[28:29]
	v_pk_mul_f32 v[28:29], s[6:7], v[68:69]
	s_and_saveexec_b64 s[0:1], vcc
	s_cbranch_execz .LBB209_39
; %bb.59:                               ;   in Loop: Header=BB209_40 Depth=1
	v_cmp_gt_i32_e32 vcc, s15, v67
	v_or_b32_e32 v67, 3, v65
	v_or_b32_e32 v68, 2, v65
	v_cndmask_b32_e32 v55, 0, v55, vcc
	v_cmp_gt_i32_e32 vcc, s17, v65
	s_nop 1
	v_cndmask_b32_e32 v54, 0, v54, vcc
	v_cmp_gt_i32_e32 vcc, s15, v67
	s_nop 1
	;; [unrolled: 3-line block ×3, first 2 shown]
	v_cndmask_b32_e32 v28, 0, v28, vcc
	s_branch .LBB209_39
.LBB209_60:
	s_or_b64 exec, exec, s[8:9]
.LBB209_61:
	s_or_b64 exec, exec, s[2:3]
	ds_bpermute_b32 v2, v61, v14
	ds_bpermute_b32 v3, v61, v15
	;; [unrolled: 1-line block ×6, first 2 shown]
	s_waitcnt lgkmcnt(4)
	v_pk_add_f32 v[2:3], v[14:15], v[2:3]
	ds_bpermute_b32 v14, v62, v2
	ds_bpermute_b32 v15, v62, v3
	s_waitcnt lgkmcnt(4)
	v_pk_add_f32 v[4:5], v[12:13], v[4:5]
	s_waitcnt lgkmcnt(2)
	v_pk_add_f32 v[10:11], v[10:11], v[16:17]
	ds_bpermute_b32 v18, v61, v8
	ds_bpermute_b32 v19, v61, v9
	s_waitcnt lgkmcnt(2)
	v_pk_add_f32 v[2:3], v[2:3], v[14:15]
	ds_bpermute_b32 v14, v62, v4
	ds_bpermute_b32 v15, v62, v5
	;; [unrolled: 1-line block ×6, first 2 shown]
	s_waitcnt lgkmcnt(6)
	v_pk_add_f32 v[8:9], v[8:9], v[18:19]
	s_waitcnt lgkmcnt(4)
	v_pk_add_f32 v[4:5], v[4:5], v[14:15]
	;; [unrolled: 2-line block ×3, first 2 shown]
	ds_bpermute_b32 v16, v62, v8
	ds_bpermute_b32 v17, v62, v9
	s_waitcnt lgkmcnt(2)
	v_pk_add_f32 v[20:21], v[6:7], v[20:21]
	ds_bpermute_b32 v14, v63, v4
	ds_bpermute_b32 v15, v63, v5
	;; [unrolled: 1-line block ×8, first 2 shown]
	s_waitcnt lgkmcnt(8)
	v_pk_add_f32 v[16:17], v[8:9], v[16:17]
	ds_bpermute_b32 v22, v63, v16
	ds_bpermute_b32 v23, v63, v17
	s_waitcnt lgkmcnt(8)
	v_pk_add_f32 v[6:7], v[4:5], v[14:15]
	s_waitcnt lgkmcnt(6)
	v_pk_add_f32 v[4:5], v[10:11], v[18:19]
	;; [unrolled: 2-line block ×4, first 2 shown]
	ds_bpermute_b32 v12, v63, v10
	ds_bpermute_b32 v13, v63, v11
	v_and_b32_e32 v1, 0x3c7, v0
	s_waitcnt lgkmcnt(2)
	v_pk_add_f32 v[2:3], v[16:17], v[22:23]
	v_cmp_ne_u32_e32 vcc, 64, v1
	s_waitcnt lgkmcnt(0)
	s_barrier
	s_and_saveexec_b64 s[0:1], vcc
	s_xor_b64 s[0:1], exec, s[0:1]
; %bb.62:
                                        ; implicit-def: $vgpr60
; %bb.63:
	s_or_saveexec_b64 s[0:1], s[0:1]
	v_pk_add_f32 v[10:11], v[10:11], v[12:13]
	s_xor_b64 exec, exec, s[0:1]
	s_cbranch_execz .LBB209_65
; %bb.64:
	v_lshrrev_b32_e32 v12, 1, v60
	v_add_u32_e32 v12, 0x150, v12
	ds_write2_b32 v12, v8, v9 offset1:8
	ds_write2_b32 v12, v6, v7 offset0:16 offset1:24
	ds_write2_b32 v12, v4, v5 offset0:32 offset1:40
	;; [unrolled: 1-line block ×4, first 2 shown]
.LBB209_65:
	s_or_b64 exec, exec, s[0:1]
	v_cmp_gt_u32_e32 vcc, 64, v0
	v_lshrrev_b32_e32 v0, 3, v0
	s_waitcnt lgkmcnt(0)
	s_barrier
	s_and_saveexec_b64 s[0:1], vcc
	s_cbranch_execz .LBB209_78
; %bb.66:
	v_mov_b32_e32 v12, 0x150
	v_cmp_eq_u32_e32 vcc, 0, v64
	v_lshl_add_u32 v12, v0, 2, v12
	s_and_saveexec_b64 s[2:3], vcc
	s_cbranch_execnz .LBB209_81
; %bb.67:
	s_or_b64 exec, exec, s[2:3]
	s_and_saveexec_b64 s[2:3], vcc
	s_cbranch_execnz .LBB209_82
.LBB209_68:
	s_or_b64 exec, exec, s[2:3]
	s_and_saveexec_b64 s[2:3], vcc
	s_cbranch_execnz .LBB209_83
.LBB209_69:
	s_or_b64 exec, exec, s[2:3]
	s_and_saveexec_b64 s[2:3], vcc
	s_cbranch_execnz .LBB209_84
.LBB209_70:
	s_or_b64 exec, exec, s[2:3]
	s_and_saveexec_b64 s[2:3], vcc
	s_cbranch_execnz .LBB209_85
.LBB209_71:
	s_or_b64 exec, exec, s[2:3]
	s_and_saveexec_b64 s[2:3], vcc
	s_cbranch_execnz .LBB209_86
.LBB209_72:
	s_or_b64 exec, exec, s[2:3]
	s_and_saveexec_b64 s[2:3], vcc
	s_cbranch_execnz .LBB209_87
.LBB209_73:
	s_or_b64 exec, exec, s[2:3]
	s_and_saveexec_b64 s[2:3], vcc
	s_cbranch_execnz .LBB209_88
.LBB209_74:
	s_or_b64 exec, exec, s[2:3]
	s_and_saveexec_b64 s[2:3], vcc
	s_cbranch_execnz .LBB209_89
.LBB209_75:
	s_or_b64 exec, exec, s[2:3]
	s_and_saveexec_b64 s[2:3], vcc
	s_cbranch_execz .LBB209_77
.LBB209_76:
	ds_read_b32 v12, v12 offset:288
	s_waitcnt lgkmcnt(0)
	v_add_f32_e32 v11, v11, v12
.LBB209_77:
	s_or_b64 exec, exec, s[2:3]
.LBB209_78:
	s_or_b64 exec, exec, s[0:1]
	v_cmp_eq_u32_e32 vcc, 0, v1
	s_barrier
	s_and_saveexec_b64 s[0:1], vcc
	s_cbranch_execz .LBB209_80
; %bb.79:
	s_mul_i32 s0, s16, s12
	s_mul_i32 s0, s0, s5
	s_mulk_i32 s0, 0x50
	s_ashr_i32 s1, s0, 31
	s_lshl_b64 s[0:1], s[0:1], 2
	s_add_u32 s2, s20, s0
	s_mul_i32 s0, s12, s18
	s_addc_u32 s3, s21, s1
	s_ashr_i32 s1, s0, 31
	s_lshl_b64 s[0:1], s[0:1], 2
	s_add_u32 s2, s2, s0
	s_mul_i32 s0, s4, 0x50
	s_addc_u32 s3, s3, s1
	s_ashr_i32 s1, s0, 31
	s_lshl_b64 s[0:1], s[0:1], 2
	s_add_u32 s0, s2, s0
	s_addc_u32 s1, s3, s1
	v_lshlrev_b32_e32 v0, 2, v0
	global_store_dword v0, v8, s[0:1]
	global_store_dword v0, v9, s[0:1] offset:32
	global_store_dword v0, v6, s[0:1] offset:64
	;; [unrolled: 1-line block ×9, first 2 shown]
.LBB209_80:
	s_endpgm
.LBB209_81:
	ds_read_b32 v13, v12
	s_waitcnt lgkmcnt(0)
	v_add_f32_e32 v8, v8, v13
	s_or_b64 exec, exec, s[2:3]
	s_and_saveexec_b64 s[2:3], vcc
	s_cbranch_execz .LBB209_68
.LBB209_82:
	ds_read_b32 v13, v12 offset:32
	s_waitcnt lgkmcnt(0)
	v_add_f32_e32 v9, v9, v13
	s_or_b64 exec, exec, s[2:3]
	s_and_saveexec_b64 s[2:3], vcc
	s_cbranch_execz .LBB209_69
.LBB209_83:
	ds_read_b32 v13, v12 offset:64
	s_waitcnt lgkmcnt(0)
	v_add_f32_e32 v6, v6, v13
	s_or_b64 exec, exec, s[2:3]
	s_and_saveexec_b64 s[2:3], vcc
	s_cbranch_execz .LBB209_70
.LBB209_84:
	ds_read_b32 v13, v12 offset:96
	s_waitcnt lgkmcnt(0)
	v_add_f32_e32 v7, v7, v13
	s_or_b64 exec, exec, s[2:3]
	s_and_saveexec_b64 s[2:3], vcc
	s_cbranch_execz .LBB209_71
.LBB209_85:
	ds_read_b32 v13, v12 offset:128
	s_waitcnt lgkmcnt(0)
	v_add_f32_e32 v4, v4, v13
	s_or_b64 exec, exec, s[2:3]
	s_and_saveexec_b64 s[2:3], vcc
	s_cbranch_execz .LBB209_72
.LBB209_86:
	ds_read_b32 v13, v12 offset:160
	s_waitcnt lgkmcnt(0)
	v_add_f32_e32 v5, v5, v13
	s_or_b64 exec, exec, s[2:3]
	s_and_saveexec_b64 s[2:3], vcc
	s_cbranch_execz .LBB209_73
.LBB209_87:
	ds_read_b32 v13, v12 offset:192
	s_waitcnt lgkmcnt(0)
	v_add_f32_e32 v2, v2, v13
	s_or_b64 exec, exec, s[2:3]
	s_and_saveexec_b64 s[2:3], vcc
	s_cbranch_execz .LBB209_74
.LBB209_88:
	ds_read_b32 v13, v12 offset:224
	s_waitcnt lgkmcnt(0)
	v_add_f32_e32 v3, v3, v13
	s_or_b64 exec, exec, s[2:3]
	s_and_saveexec_b64 s[2:3], vcc
	s_cbranch_execz .LBB209_75
.LBB209_89:
	ds_read_b32 v13, v12 offset:256
	s_waitcnt lgkmcnt(0)
	v_add_f32_e32 v10, v10, v13
	s_or_b64 exec, exec, s[2:3]
	s_and_saveexec_b64 s[2:3], vcc
	s_cbranch_execnz .LBB209_76
	s_branch .LBB209_77
	.section	.rodata,"a",@progbits
	.p2align	6, 0x0
	.amdhsa_kernel _ZN4vllm25paged_attention_v1_kernelIfhLi80ELi32ELi128ELNS_18Fp8KVCacheDataTypeE1ELb0EEEvPT_PKS2_PKT0_S8_ifPKiSA_iPKfiiiSC_SC_iiiii
		.amdhsa_group_segment_fixed_size 336
		.amdhsa_private_segment_fixed_size 0
		.amdhsa_kernarg_size 384
		.amdhsa_user_sgpr_count 2
		.amdhsa_user_sgpr_dispatch_ptr 0
		.amdhsa_user_sgpr_queue_ptr 0
		.amdhsa_user_sgpr_kernarg_segment_ptr 1
		.amdhsa_user_sgpr_dispatch_id 0
		.amdhsa_user_sgpr_kernarg_preload_length 0
		.amdhsa_user_sgpr_kernarg_preload_offset 0
		.amdhsa_user_sgpr_private_segment_size 0
		.amdhsa_uses_dynamic_stack 0
		.amdhsa_enable_private_segment 0
		.amdhsa_system_sgpr_workgroup_id_x 1
		.amdhsa_system_sgpr_workgroup_id_y 1
		.amdhsa_system_sgpr_workgroup_id_z 1
		.amdhsa_system_sgpr_workgroup_info 0
		.amdhsa_system_vgpr_workitem_id 0
		.amdhsa_next_free_vgpr 88
		.amdhsa_next_free_sgpr 38
		.amdhsa_accum_offset 88
		.amdhsa_reserve_vcc 1
		.amdhsa_float_round_mode_32 0
		.amdhsa_float_round_mode_16_64 0
		.amdhsa_float_denorm_mode_32 3
		.amdhsa_float_denorm_mode_16_64 3
		.amdhsa_dx10_clamp 1
		.amdhsa_ieee_mode 1
		.amdhsa_fp16_overflow 0
		.amdhsa_tg_split 0
		.amdhsa_exception_fp_ieee_invalid_op 0
		.amdhsa_exception_fp_denorm_src 0
		.amdhsa_exception_fp_ieee_div_zero 0
		.amdhsa_exception_fp_ieee_overflow 0
		.amdhsa_exception_fp_ieee_underflow 0
		.amdhsa_exception_fp_ieee_inexact 0
		.amdhsa_exception_int_div_zero 0
	.end_amdhsa_kernel
	.section	.text._ZN4vllm25paged_attention_v1_kernelIfhLi80ELi32ELi128ELNS_18Fp8KVCacheDataTypeE1ELb0EEEvPT_PKS2_PKT0_S8_ifPKiSA_iPKfiiiSC_SC_iiiii,"axG",@progbits,_ZN4vllm25paged_attention_v1_kernelIfhLi80ELi32ELi128ELNS_18Fp8KVCacheDataTypeE1ELb0EEEvPT_PKS2_PKT0_S8_ifPKiSA_iPKfiiiSC_SC_iiiii,comdat
.Lfunc_end209:
	.size	_ZN4vllm25paged_attention_v1_kernelIfhLi80ELi32ELi128ELNS_18Fp8KVCacheDataTypeE1ELb0EEEvPT_PKS2_PKT0_S8_ifPKiSA_iPKfiiiSC_SC_iiiii, .Lfunc_end209-_ZN4vllm25paged_attention_v1_kernelIfhLi80ELi32ELi128ELNS_18Fp8KVCacheDataTypeE1ELb0EEEvPT_PKS2_PKT0_S8_ifPKiSA_iPKfiiiSC_SC_iiiii
                                        ; -- End function
	.set _ZN4vllm25paged_attention_v1_kernelIfhLi80ELi32ELi128ELNS_18Fp8KVCacheDataTypeE1ELb0EEEvPT_PKS2_PKT0_S8_ifPKiSA_iPKfiiiSC_SC_iiiii.num_vgpr, 88
	.set _ZN4vllm25paged_attention_v1_kernelIfhLi80ELi32ELi128ELNS_18Fp8KVCacheDataTypeE1ELb0EEEvPT_PKS2_PKT0_S8_ifPKiSA_iPKfiiiSC_SC_iiiii.num_agpr, 0
	.set _ZN4vllm25paged_attention_v1_kernelIfhLi80ELi32ELi128ELNS_18Fp8KVCacheDataTypeE1ELb0EEEvPT_PKS2_PKT0_S8_ifPKiSA_iPKfiiiSC_SC_iiiii.numbered_sgpr, 38
	.set _ZN4vllm25paged_attention_v1_kernelIfhLi80ELi32ELi128ELNS_18Fp8KVCacheDataTypeE1ELb0EEEvPT_PKS2_PKT0_S8_ifPKiSA_iPKfiiiSC_SC_iiiii.num_named_barrier, 0
	.set _ZN4vllm25paged_attention_v1_kernelIfhLi80ELi32ELi128ELNS_18Fp8KVCacheDataTypeE1ELb0EEEvPT_PKS2_PKT0_S8_ifPKiSA_iPKfiiiSC_SC_iiiii.private_seg_size, 0
	.set _ZN4vllm25paged_attention_v1_kernelIfhLi80ELi32ELi128ELNS_18Fp8KVCacheDataTypeE1ELb0EEEvPT_PKS2_PKT0_S8_ifPKiSA_iPKfiiiSC_SC_iiiii.uses_vcc, 1
	.set _ZN4vllm25paged_attention_v1_kernelIfhLi80ELi32ELi128ELNS_18Fp8KVCacheDataTypeE1ELb0EEEvPT_PKS2_PKT0_S8_ifPKiSA_iPKfiiiSC_SC_iiiii.uses_flat_scratch, 0
	.set _ZN4vllm25paged_attention_v1_kernelIfhLi80ELi32ELi128ELNS_18Fp8KVCacheDataTypeE1ELb0EEEvPT_PKS2_PKT0_S8_ifPKiSA_iPKfiiiSC_SC_iiiii.has_dyn_sized_stack, 0
	.set _ZN4vllm25paged_attention_v1_kernelIfhLi80ELi32ELi128ELNS_18Fp8KVCacheDataTypeE1ELb0EEEvPT_PKS2_PKT0_S8_ifPKiSA_iPKfiiiSC_SC_iiiii.has_recursion, 0
	.set _ZN4vllm25paged_attention_v1_kernelIfhLi80ELi32ELi128ELNS_18Fp8KVCacheDataTypeE1ELb0EEEvPT_PKS2_PKT0_S8_ifPKiSA_iPKfiiiSC_SC_iiiii.has_indirect_call, 0
	.section	.AMDGPU.csdata,"",@progbits
; Kernel info:
; codeLenInByte = 6036
; TotalNumSgprs: 44
; NumVgprs: 88
; NumAgprs: 0
; TotalNumVgprs: 88
; ScratchSize: 0
; MemoryBound: 0
; FloatMode: 240
; IeeeMode: 1
; LDSByteSize: 336 bytes/workgroup (compile time only)
; SGPRBlocks: 5
; VGPRBlocks: 10
; NumSGPRsForWavesPerEU: 44
; NumVGPRsForWavesPerEU: 88
; AccumOffset: 88
; Occupancy: 5
; WaveLimiterHint : 1
; COMPUTE_PGM_RSRC2:SCRATCH_EN: 0
; COMPUTE_PGM_RSRC2:USER_SGPR: 2
; COMPUTE_PGM_RSRC2:TRAP_HANDLER: 0
; COMPUTE_PGM_RSRC2:TGID_X_EN: 1
; COMPUTE_PGM_RSRC2:TGID_Y_EN: 1
; COMPUTE_PGM_RSRC2:TGID_Z_EN: 1
; COMPUTE_PGM_RSRC2:TIDIG_COMP_CNT: 0
; COMPUTE_PGM_RSRC3_GFX90A:ACCUM_OFFSET: 21
; COMPUTE_PGM_RSRC3_GFX90A:TG_SPLIT: 0
	.section	.text._ZN4vllm25paged_attention_v1_kernelIfhLi96ELi32ELi128ELNS_18Fp8KVCacheDataTypeE1ELb0EEEvPT_PKS2_PKT0_S8_ifPKiSA_iPKfiiiSC_SC_iiiii,"axG",@progbits,_ZN4vllm25paged_attention_v1_kernelIfhLi96ELi32ELi128ELNS_18Fp8KVCacheDataTypeE1ELb0EEEvPT_PKS2_PKT0_S8_ifPKiSA_iPKfiiiSC_SC_iiiii,comdat
	.protected	_ZN4vllm25paged_attention_v1_kernelIfhLi96ELi32ELi128ELNS_18Fp8KVCacheDataTypeE1ELb0EEEvPT_PKS2_PKT0_S8_ifPKiSA_iPKfiiiSC_SC_iiiii ; -- Begin function _ZN4vllm25paged_attention_v1_kernelIfhLi96ELi32ELi128ELNS_18Fp8KVCacheDataTypeE1ELb0EEEvPT_PKS2_PKT0_S8_ifPKiSA_iPKfiiiSC_SC_iiiii
	.globl	_ZN4vllm25paged_attention_v1_kernelIfhLi96ELi32ELi128ELNS_18Fp8KVCacheDataTypeE1ELb0EEEvPT_PKS2_PKT0_S8_ifPKiSA_iPKfiiiSC_SC_iiiii
	.p2align	8
	.type	_ZN4vllm25paged_attention_v1_kernelIfhLi96ELi32ELi128ELNS_18Fp8KVCacheDataTypeE1ELb0EEEvPT_PKS2_PKT0_S8_ifPKiSA_iPKfiiiSC_SC_iiiii,@function
_ZN4vllm25paged_attention_v1_kernelIfhLi96ELi32ELi128ELNS_18Fp8KVCacheDataTypeE1ELb0EEEvPT_PKS2_PKT0_S8_ifPKiSA_iPKfiiiSC_SC_iiiii: ; @_ZN4vllm25paged_attention_v1_kernelIfhLi96ELi32ELi128ELNS_18Fp8KVCacheDataTypeE1ELb0EEEvPT_PKS2_PKT0_S8_ifPKiSA_iPKfiiiSC_SC_iiiii
; %bb.0:
	s_load_dword s5, s[0:1], 0x80
	s_load_dwordx2 s[6:7], s[0:1], 0x30
	s_load_dwordx2 s[28:29], s[0:1], 0x20
	s_mov_b32 s16, s3
	s_ashr_i32 s17, s3, 31
	s_lshl_b64 s[8:9], s[16:17], 2
	s_waitcnt lgkmcnt(0)
	s_add_u32 s6, s6, s8
	s_addc_u32 s7, s7, s9
	s_abs_i32 s3, s28
	v_cvt_f32_u32_e32 v1, s3
	s_sub_i32 s10, 0, s3
	s_abs_i32 s9, s5
	s_xor_b32 s8, s5, s28
	v_rcp_iflag_f32_e32 v1, v1
	s_ashr_i32 s8, s8, 31
	s_mov_b32 s28, 0
	v_mul_f32_e32 v1, 0x4f7ffffe, v1
	v_cvt_u32_f32_e32 v1, v1
	s_nop 0
	v_readfirstlane_b32 s11, v1
	s_mul_i32 s10, s10, s11
	s_mul_hi_u32 s10, s11, s10
	s_add_i32 s11, s11, s10
	s_mul_hi_u32 s10, s9, s11
	s_mul_i32 s11, s10, s3
	s_sub_i32 s9, s9, s11
	s_add_i32 s11, s10, 1
	s_sub_i32 s12, s9, s3
	s_cmp_ge_u32 s9, s3
	s_cselect_b32 s10, s11, s10
	s_cselect_b32 s9, s12, s9
	s_add_i32 s11, s10, 1
	s_cmp_ge_u32 s9, s3
	s_cselect_b32 s3, s11, s10
	s_xor_b32 s3, s3, s8
	s_sub_i32 s12, s3, s8
	s_abs_i32 s10, s12
	v_cvt_f32_u32_e32 v1, s10
	s_load_dwordx2 s[8:9], s[0:1], 0x40
	s_sub_i32 s3, 0, s10
	s_abs_i32 s11, s2
	v_rcp_iflag_f32_e32 v1, v1
	s_nop 0
	v_mul_f32_e32 v1, 0x4f7ffffe, v1
	v_cvt_u32_f32_e32 v1, v1
	s_nop 0
	v_readfirstlane_b32 s13, v1
	s_mul_i32 s3, s3, s13
	s_mul_hi_u32 s3, s13, s3
	s_add_i32 s13, s13, s3
	s_waitcnt lgkmcnt(0)
	s_cmp_eq_u64 s[8:9], 0
	s_mul_hi_u32 s20, s11, s13
	s_cbranch_scc1 .LBB210_2
; %bb.1:
	s_ashr_i32 s3, s2, 31
	s_lshl_b64 s[14:15], s[2:3], 2
	s_add_u32 s8, s8, s14
	s_addc_u32 s9, s9, s15
	s_load_dword s28, s[8:9], 0x0
.LBB210_2:
	s_load_dword s17, s[6:7], 0x0
	s_ashr_i32 s7, s12, 31
	s_load_dwordx4 s[12:15], s[0:1], 0x48
	s_ashr_i32 s6, s2, 31
	v_and_b32_e32 v42, 1, v0
	s_mul_i32 s18, s2, 0x60
	v_cmp_gt_u32_e32 vcc, 48, v0
	v_lshlrev_b32_e32 v56, 2, v0
	s_and_saveexec_b64 s[2:3], vcc
	s_cbranch_execz .LBB210_4
; %bb.3:
	s_load_dwordx2 s[8:9], s[0:1], 0x8
	s_waitcnt lgkmcnt(0)
	s_mul_i32 s22, s12, s16
	s_ashr_i32 s23, s22, 31
	s_lshl_b64 s[22:23], s[22:23], 2
	v_lshlrev_b32_e32 v1, 3, v0
	s_add_u32 s12, s8, s22
	s_addc_u32 s15, s9, s23
	s_ashr_i32 s19, s18, 31
	s_lshl_b64 s[8:9], s[18:19], 2
	s_add_u32 s8, s12, s8
	s_addc_u32 s9, s15, s9
	global_load_dwordx2 v[2:3], v1, s[8:9]
	v_and_b32_e32 v1, 0xff8, v56
	s_movk_i32 s8, 0xc0
	v_mad_u32_u24 v1, v42, s8, v1
	s_waitcnt vmcnt(0)
	ds_write_b64 v1, v[2:3]
.LBB210_4:
	s_or_b64 exec, exec, s[2:3]
	s_waitcnt lgkmcnt(0)
	s_add_i32 s3, s17, 31
	s_ashr_i32 s8, s3, 31
	s_lshr_b32 s8, s8, 27
	s_add_i32 s3, s3, s8
	s_ashr_i32 s19, s3, 5
	s_xor_b32 s3, s6, s7
	s_mul_i32 s6, s20, s10
	s_sub_i32 s6, s11, s6
	s_add_i32 s7, s20, 1
	s_sub_i32 s8, s6, s10
	s_load_dwordx2 s[22:23], s[0:1], 0x28
	s_load_dword s2, s[0:1], 0x38
	s_cmp_ge_u32 s6, s10
	s_cselect_b32 s7, s7, s20
	s_cselect_b32 s6, s8, s6
	s_add_i32 s8, s7, 1
	s_cmp_ge_u32 s6, s10
	s_cselect_b32 s6, s8, s7
	v_lshrrev_b32_e32 v1, 6, v0
	s_xor_b32 s6, s6, s3
	s_waitcnt lgkmcnt(0)
	s_mul_i32 s24, s2, s16
	s_sub_i32 s33, s6, s3
	s_ashr_i32 s25, s24, 31
	v_cmp_gt_i32_e64 s[6:7], s19, v1
	v_cmp_le_i32_e32 vcc, s19, v1
	v_mbcnt_lo_u32_b32 v43, -1, 0
	s_barrier
                                        ; implicit-def: $vgpr58
                                        ; implicit-def: $vgpr59
                                        ; implicit-def: $vgpr60
	s_and_saveexec_b64 s[2:3], vcc
	s_xor_b64 s[2:3], exec, s[2:3]
; %bb.5:
	v_mbcnt_hi_u32_b32 v58, -1, v43
	v_and_b32_e32 v59, 64, v58
	v_add_u32_e32 v60, 64, v59
                                        ; implicit-def: $vgpr42
                                        ; implicit-def: $vgpr43
; %bb.6:
	s_or_saveexec_b64 s[30:31], s[2:3]
	s_load_dwordx2 s[20:21], s[0:1], 0x0
	s_load_dwordx2 s[26:27], s[0:1], 0x18
	s_load_dword s12, s[0:1], 0x88
	s_load_dwordx4 s[8:11], s[0:1], 0x58
	v_mov_b32_e32 v61, 0xff7fffff
	s_mul_i32 s33, s33, s14
	v_lshrrev_b32_e32 v57, 4, v0
	s_xor_b64 exec, exec, s[30:31]
	s_cbranch_execz .LBB210_12
; %bb.7:
	s_load_dwordx2 s[0:1], s[0:1], 0x10
	v_mul_u32_u24_e32 v47, 0xc0, v42
	ds_read_b128 v[2:5], v47
	ds_read_b128 v[6:9], v47 offset:16
	ds_read_b128 v[10:13], v47 offset:32
	ds_read_b128 v[14:17], v47 offset:48
	ds_read_b128 v[18:21], v47 offset:64
	ds_read_b128 v[22:25], v47 offset:80
	ds_read_b128 v[26:29], v47 offset:96
	ds_read_b128 v[30:33], v47 offset:112
	ds_read_b128 v[34:37], v47 offset:128
	ds_read_b128 v[38:41], v47 offset:144
	v_mbcnt_hi_u32_b32 v58, -1, v43
	s_ashr_i32 s2, s33, 31
	v_and_b32_e32 v59, 64, v58
	v_bfe_u32 v46, v0, 1, 5
	s_waitcnt lgkmcnt(0)
	s_add_u32 s0, s0, s33
	v_xor_b32_e32 v43, 1, v58
	v_add_u32_e32 v60, 64, v59
	v_lshlrev_b32_e32 v52, 4, v46
	s_addc_u32 s1, s1, s2
	v_mov_b32_e32 v53, 0
	v_cmp_lt_i32_e32 vcc, v43, v60
	v_lshl_add_u64 v[44:45], s[0:1], 0, v[52:53]
	v_lshlrev_b32_e32 v52, 1, v42
	v_cndmask_b32_e32 v43, v58, v43, vcc
	v_cmp_eq_u32_e32 vcc, 0, v42
	v_lshlrev_b32_e32 v42, 2, v46
	s_load_dword s8, s[8:9], 0x0
	v_lshl_or_b32 v42, v1, 7, v42
	v_lshlrev_b32_e32 v62, 2, v43
	v_lshl_add_u64 v[50:51], v[44:45], 0, v[52:53]
	v_lshl_or_b32 v63, v1, 5, v46
	v_add_u32_e32 v64, 0x190, v42
	ds_read_b128 v[42:45], v47 offset:160
	ds_read_b128 v[46:49], v47 offset:176
	s_sub_i32 s37, 1, s17
	s_lshl_b64 s[0:1], s[24:25], 2
	s_add_u32 s0, s22, s0
	v_and_b32_e32 v52, 60, v57
	s_addc_u32 s1, s23, s1
	s_mov_b32 s36, s13
	v_cmp_neq_f32_e64 s[2:3], s28, 0
	s_waitcnt lgkmcnt(0)
	s_mov_b32 s9, s8
	v_lshl_add_u64 v[52:53], s[0:1], 0, v[52:53]
	v_mov_b32_e32 v61, 0xff7fffff
	s_mov_b64 s[14:15], 0
	v_mov_b32_e32 v65, v1
	s_branch .LBB210_9
.LBB210_8:                              ;   in Loop: Header=BB210_9 Depth=1
	s_or_b64 exec, exec, s[34:35]
	v_add_u32_e32 v65, 2, v65
	v_cmp_le_i32_e64 s[0:1], s19, v65
	v_add_u32_e32 v63, 64, v63
	v_add_u32_e32 v64, 0x100, v64
	s_or_b64 s[14:15], s[0:1], s[14:15]
	v_lshl_add_u64 v[52:53], v[52:53], 0, 8
	s_andn2_b64 exec, exec, s[14:15]
	s_cbranch_execz .LBB210_11
.LBB210_9:                              ; =>This Inner Loop Header: Depth=1
	global_load_dword v54, v[52:53], off
	s_waitcnt vmcnt(0) lgkmcnt(0)
	v_mad_i64_i32 v[54:55], s[0:1], v54, s36, v[50:51]
	global_load_ushort v66, v[54:55], off offset:4
	global_load_ushort v68, v[54:55], off offset:8
	;; [unrolled: 1-line block ×7, first 2 shown]
	global_load_ushort v67, v[54:55], off
	global_load_ushort v80, v[54:55], off offset:1024
	global_load_ushort v82, v[54:55], off offset:1028
	;; [unrolled: 1-line block ×16, first 2 shown]
	s_waitcnt vmcnt(23)
	v_cvt_pk_f32_fp8_e32 v[54:55], v66
	s_waitcnt vmcnt(22)
	v_cvt_pk_f32_fp8_e32 v[68:69], v68
	;; [unrolled: 2-line block ×4, first 2 shown]
	v_pk_mul_f32 v[54:55], s[8:9], v[54:55]
	s_waitcnt vmcnt(19)
	v_cvt_pk_f32_fp8_e32 v[74:75], v74
	v_mul_f32_e32 v102, v4, v54
	s_waitcnt vmcnt(16)
	v_cvt_pk_f32_fp8_e32 v[66:67], v67
	v_mul_f32_e32 v103, v5, v55
	v_cvt_pk_f32_fp8_e32 v[76:77], v76
	v_pk_mul_f32 v[68:69], s[8:9], v[68:69]
	v_pk_mul_f32 v[66:67], v[66:67], s[8:9]
	v_cvt_pk_f32_fp8_e32 v[78:79], v78
	v_fmac_f32_e32 v102, v2, v66
	v_fmac_f32_e32 v103, v3, v67
	;; [unrolled: 1-line block ×4, first 2 shown]
	v_pk_mul_f32 v[70:71], s[8:9], v[70:71]
	s_waitcnt vmcnt(15)
	v_cvt_pk_f32_fp8_e32 v[80:81], v80
	v_fmac_f32_e32 v102, v8, v70
	v_fmac_f32_e32 v103, v9, v71
	v_pk_mul_f32 v[72:73], s[8:9], v[72:73]
	s_waitcnt vmcnt(14)
	v_cvt_pk_f32_fp8_e32 v[82:83], v82
	v_fmac_f32_e32 v102, v10, v72
	v_fmac_f32_e32 v103, v11, v73
	v_pk_mul_f32 v[74:75], s[8:9], v[74:75]
	s_waitcnt vmcnt(13)
	v_cvt_pk_f32_fp8_e32 v[84:85], v84
	v_fmac_f32_e32 v102, v12, v74
	v_fmac_f32_e32 v103, v13, v75
	v_pk_mul_f32 v[76:77], s[8:9], v[76:77]
	s_waitcnt vmcnt(12)
	v_cvt_pk_f32_fp8_e32 v[86:87], v86
	v_pk_mul_f32 v[78:79], s[8:9], v[78:79]
	v_fmac_f32_e32 v102, v14, v76
	v_fmac_f32_e32 v103, v15, v77
	s_waitcnt vmcnt(11)
	v_cvt_pk_f32_fp8_e32 v[88:89], v88
	v_pk_mul_f32 v[80:81], s[8:9], v[80:81]
	v_fmac_f32_e32 v102, v16, v78
	v_fmac_f32_e32 v103, v17, v79
	;; [unrolled: 5-line block ×13, first 2 shown]
	v_pk_mul_f32 v[96:97], s[8:9], v[96:97]
	v_fmac_f32_e32 v102, v40, v70
	v_fmac_f32_e32 v103, v41, v71
	v_pk_mul_f32 v[72:73], s[8:9], v[72:73]
	v_fmac_f32_e32 v102, v42, v96
	v_fmac_f32_e32 v103, v43, v97
	;; [unrolled: 3-line block ×4, first 2 shown]
	v_fmac_f32_e32 v102, v48, v74
	v_fmac_f32_e32 v103, v49, v75
	v_add_f32_e32 v54, v102, v103
	ds_bpermute_b32 v55, v62, v54
	s_and_saveexec_b64 s[34:35], vcc
	s_cbranch_execz .LBB210_8
; %bb.10:                               ;   in Loop: Header=BB210_9 Depth=1
	v_add_u32_e32 v66, s37, v63
	v_cvt_f32_i32_e32 v66, v66
	s_waitcnt lgkmcnt(0)
	v_add_f32_e32 v54, v54, v55
	v_cmp_gt_i32_e64 s[0:1], s17, v63
	v_max_f32_e32 v55, v61, v61
	v_mul_f32_e32 v66, s28, v66
	v_cndmask_b32_e64 v66, 0, v66, s[2:3]
	v_fmac_f32_e32 v66, s29, v54
	v_cndmask_b32_e64 v54, 0, v66, s[0:1]
	ds_write_b32 v64, v54
	v_max_f32_e32 v54, v55, v66
	v_cndmask_b32_e64 v61, v61, v54, s[0:1]
	s_branch .LBB210_8
.LBB210_11:
	s_or_b64 exec, exec, s[14:15]
.LBB210_12:
	s_or_b64 exec, exec, s[30:31]
	v_xor_b32_e32 v2, 32, v58
	v_cmp_lt_i32_e32 vcc, v2, v60
	v_xor_b32_e32 v5, 16, v58
	v_max_f32_e32 v4, v61, v61
	v_cndmask_b32_e32 v2, v58, v2, vcc
	v_lshlrev_b32_e32 v2, 2, v2
	ds_bpermute_b32 v3, v2, v61
	v_cmp_lt_i32_e32 vcc, v5, v60
	v_xor_b32_e32 v6, 8, v58
	v_xor_b32_e32 v7, 4, v58
	v_and_b32_e32 v70, 63, v0
	s_waitcnt lgkmcnt(0)
	v_max_f32_e32 v3, v3, v3
	v_max_f32_e32 v4, v4, v3
	v_cndmask_b32_e32 v3, v58, v5, vcc
	v_lshlrev_b32_e32 v3, 2, v3
	ds_bpermute_b32 v5, v3, v4
	v_cmp_lt_i32_e32 vcc, v6, v60
	s_waitcnt lgkmcnt(0)
	v_max_f32_e32 v5, v5, v5
	v_max_f32_e32 v5, v4, v5
	v_cndmask_b32_e32 v4, v58, v6, vcc
	v_lshlrev_b32_e32 v4, 2, v4
	ds_bpermute_b32 v6, v4, v5
	v_cmp_lt_i32_e32 vcc, v7, v60
	s_waitcnt lgkmcnt(0)
	v_max_f32_e32 v6, v6, v6
	v_max_f32_e32 v5, v5, v6
	v_cndmask_b32_e32 v6, v58, v7, vcc
	v_lshlrev_b32_e32 v71, 2, v6
	ds_bpermute_b32 v6, v71, v5
	v_xor_b32_e32 v7, 2, v58
	v_cmp_lt_i32_e32 vcc, v7, v60
	s_waitcnt lgkmcnt(0)
	v_max_f32_e32 v6, v6, v6
	v_max_f32_e32 v6, v5, v6
	v_cndmask_b32_e32 v5, v58, v7, vcc
	v_lshlrev_b32_e32 v72, 2, v5
	ds_bpermute_b32 v7, v72, v6
	v_cmp_eq_u32_e32 vcc, 0, v70
	v_lshlrev_b32_e32 v5, 2, v1
	s_and_saveexec_b64 s[0:1], vcc
	s_cbranch_execz .LBB210_14
; %bb.13:
	s_waitcnt lgkmcnt(0)
	v_max_f32_e32 v7, v7, v7
	v_max_f32_e32 v6, v6, v6
	;; [unrolled: 1-line block ×3, first 2 shown]
	ds_write_b32 v5, v6 offset:384
.LBB210_14:
	s_or_b64 exec, exec, s[0:1]
	v_cmp_gt_u32_e64 s[0:1], 2, v70
	s_waitcnt lgkmcnt(0)
	v_mov_b32_e32 v7, 0xff7fffff
	v_lshlrev_b32_e32 v6, 2, v70
	s_barrier
	s_and_saveexec_b64 s[2:3], s[0:1]
; %bb.15:
	ds_read_b32 v7, v6 offset:384
; %bb.16:
	s_or_b64 exec, exec, s[2:3]
	v_xor_b32_e32 v8, 1, v58
	v_cmp_lt_i32_e64 s[2:3], v8, v60
	s_nop 1
	v_cndmask_b32_e64 v8, v58, v8, s[2:3]
	v_lshlrev_b32_e32 v73, 2, v8
	s_waitcnt lgkmcnt(0)
	ds_bpermute_b32 v8, v73, v7
	v_max_f32_e32 v7, v7, v7
	s_lshl_b32 s2, s19, 5
	s_min_i32 s30, s2, s17
	v_cmp_gt_i32_e64 s[2:3], s30, v0
	s_waitcnt lgkmcnt(0)
	v_max_f32_e32 v8, v8, v8
	v_max_f32_e32 v7, v7, v8
	v_lshlrev_b32_e32 v8, 2, v59
	ds_bpermute_b32 v8, v8, v7
	v_mov_b32_e32 v7, 0
	s_and_saveexec_b64 s[14:15], s[2:3]
	s_cbranch_execz .LBB210_20
; %bb.17:
	v_mov_b32_e32 v7, 0x190
	v_lshl_add_u32 v9, v0, 2, v7
	v_mov_b32_e32 v7, 0
	s_mov_b64 s[28:29], 0
	v_mov_b32_e32 v10, v0
.LBB210_18:                             ; =>This Inner Loop Header: Depth=1
	ds_read_b32 v11, v9
	v_add_u32_e32 v10, 0x80, v10
	v_cmp_le_i32_e64 s[8:9], s30, v10
	s_or_b64 s[28:29], s[8:9], s[28:29]
	s_waitcnt lgkmcnt(0)
	v_sub_f32_e32 v11, v11, v8
	v_mul_f32_e32 v11, 0x3fb8aa3b, v11
	v_exp_f32_e32 v11, v11
	ds_write_b32 v9, v11
	v_add_f32_e32 v7, v7, v11
	v_add_u32_e32 v9, 0x200, v9
	s_andn2_b64 exec, exec, s[28:29]
	s_cbranch_execnz .LBB210_18
; %bb.19:
	s_or_b64 exec, exec, s[28:29]
.LBB210_20:
	s_or_b64 exec, exec, s[14:15]
	ds_bpermute_b32 v2, v2, v7
	s_waitcnt lgkmcnt(0)
	v_add_f32_e32 v2, v7, v2
	ds_bpermute_b32 v3, v3, v2
	s_waitcnt lgkmcnt(0)
	v_add_f32_e32 v2, v2, v3
	;; [unrolled: 3-line block ×6, first 2 shown]
	s_and_saveexec_b64 s[8:9], vcc
; %bb.21:
	ds_write_b32 v5, v2 offset:392
; %bb.22:
	s_or_b64 exec, exec, s[8:9]
	s_waitcnt lgkmcnt(0)
	s_barrier
	s_and_saveexec_b64 s[8:9], s[0:1]
; %bb.23:
	ds_read_b32 v2, v6 offset:392
; %bb.24:
	s_or_b64 exec, exec, s[8:9]
	s_waitcnt lgkmcnt(0)
	ds_bpermute_b32 v3, v73, v2
	v_lshlrev_b32_e32 v4, 2, v58
	s_waitcnt lgkmcnt(0)
	v_add_f32_e32 v2, v2, v3
	v_and_b32_e32 v3, 0xffffff00, v4
	ds_bpermute_b32 v2, v3, v2
	s_and_saveexec_b64 s[0:1], s[2:3]
	s_cbranch_execz .LBB210_37
; %bb.25:
	s_waitcnt lgkmcnt(0)
	v_add_f32_e32 v2, 0x358637bd, v2
	v_div_scale_f32 v3, s[2:3], v2, v2, 1.0
	v_rcp_f32_e32 v4, v3
	v_div_scale_f32 v5, vcc, 1.0, v2, 1.0
	s_movk_i32 s2, 0x7f
	v_fma_f32 v6, -v3, v4, 1.0
	v_fmac_f32_e32 v4, v6, v4
	v_mul_f32_e32 v6, v5, v4
	v_fma_f32 v7, -v3, v6, v5
	v_fmac_f32_e32 v6, v7, v4
	v_fma_f32 v3, -v3, v6, v5
	v_div_fmas_f32 v3, v3, v4, v6
	v_xad_u32 v4, v0, -1, s30
	v_div_fixup_f32 v2, v3, v2, 1.0
	v_cmp_lt_u32_e32 vcc, s2, v4
	s_mov_b64 s[8:9], -1
	v_mov_b32_e32 v3, v0
	s_and_saveexec_b64 s[2:3], vcc
	s_cbranch_execz .LBB210_34
; %bb.26:
	v_lshrrev_b32_e32 v4, 7, v4
	v_add_u32_e32 v6, -1, v4
	v_lshrrev_b32_e32 v5, 1, v6
	v_mov_b32_e32 v3, v2
	v_add_u32_e32 v5, 1, v5
	v_cmp_lt_u32_e32 vcc, 13, v6
	v_mov_b32_e32 v8, 0
	s_and_saveexec_b64 s[8:9], vcc
	s_cbranch_execz .LBB210_30
; %bb.27:
	v_mov_b32_e32 v7, 0x190
	v_and_b32_e32 v6, -8, v5
	v_lshl_add_u32 v7, v0, 2, v7
	s_mov_b32 s28, 0
	s_mov_b64 s[14:15], 0
.LBB210_28:                             ; =>This Inner Loop Header: Depth=1
	ds_read2st64_b32 v[8:9], v7 offset1:2
	ds_read2st64_b32 v[10:11], v7 offset0:4 offset1:6
	ds_read2st64_b32 v[12:13], v7 offset0:8 offset1:10
	;; [unrolled: 1-line block ×3, first 2 shown]
	v_add_u32_e32 v6, -8, v6
	s_waitcnt lgkmcnt(3)
	v_pk_mul_f32 v[8:9], v[2:3], v[8:9]
	s_waitcnt lgkmcnt(2)
	v_pk_mul_f32 v[10:11], v[2:3], v[10:11]
	ds_write2st64_b32 v7, v8, v9 offset1:2
	ds_write2st64_b32 v7, v10, v11 offset0:4 offset1:6
	ds_read2st64_b32 v[10:11], v7 offset0:16 offset1:18
	s_waitcnt lgkmcnt(4)
	v_pk_mul_f32 v[8:9], v[2:3], v[12:13]
	ds_write2st64_b32 v7, v8, v9 offset0:8 offset1:10
	s_waitcnt lgkmcnt(4)
	v_pk_mul_f32 v[8:9], v[2:3], v[14:15]
	ds_write2st64_b32 v7, v8, v9 offset0:12 offset1:14
	ds_read2st64_b32 v[8:9], v7 offset0:20 offset1:22
	s_waitcnt lgkmcnt(3)
	v_pk_mul_f32 v[10:11], v[2:3], v[10:11]
	ds_read2st64_b32 v[12:13], v7 offset0:24 offset1:26
	ds_write2st64_b32 v7, v10, v11 offset0:16 offset1:18
	ds_read2st64_b32 v[10:11], v7 offset0:28 offset1:30
	s_waitcnt lgkmcnt(3)
	v_pk_mul_f32 v[8:9], v[2:3], v[8:9]
	ds_write2st64_b32 v7, v8, v9 offset0:20 offset1:22
	s_waitcnt lgkmcnt(3)
	v_pk_mul_f32 v[8:9], v[2:3], v[12:13]
	ds_write2st64_b32 v7, v8, v9 offset0:24 offset1:26
	s_waitcnt lgkmcnt(2)
	v_pk_mul_f32 v[8:9], v[2:3], v[10:11]
	s_add_i32 s28, s28, 16
	v_cmp_eq_u32_e32 vcc, 0, v6
	ds_write2st64_b32 v7, v8, v9 offset0:28 offset1:30
	v_add_u32_e32 v7, 0x2000, v7
	s_or_b64 s[14:15], vcc, s[14:15]
	v_mov_b32_e32 v8, s28
	s_andn2_b64 exec, exec, s[14:15]
	s_cbranch_execnz .LBB210_28
; %bb.29:
	s_or_b64 exec, exec, s[14:15]
.LBB210_30:
	s_or_b64 exec, exec, s[8:9]
	v_and_b32_e32 v5, 7, v5
	v_cmp_ne_u32_e32 vcc, 0, v5
	s_and_saveexec_b64 s[8:9], vcc
	s_cbranch_execz .LBB210_33
; %bb.31:
	v_lshlrev_b32_e32 v6, 9, v8
	s_movk_i32 s14, 0x190
	v_add3_u32 v6, v6, v56, s14
	s_mov_b64 s[14:15], 0
.LBB210_32:                             ; =>This Inner Loop Header: Depth=1
	ds_read2st64_b32 v[8:9], v6 offset1:2
	v_add_u32_e32 v5, -1, v5
	v_cmp_eq_u32_e32 vcc, 0, v5
	s_or_b64 s[14:15], vcc, s[14:15]
	s_waitcnt lgkmcnt(0)
	v_pk_mul_f32 v[8:9], v[2:3], v[8:9]
	ds_write2st64_b32 v6, v8, v9 offset1:2
	v_add_u32_e32 v6, 0x400, v6
	s_andn2_b64 exec, exec, s[14:15]
	s_cbranch_execnz .LBB210_32
.LBB210_33:
	s_or_b64 exec, exec, s[8:9]
	v_add_u32_e32 v4, 1, v4
	v_and_b32_e32 v5, 0x3fffffe, v4
	v_cmp_ne_u32_e32 vcc, v4, v5
	v_lshl_add_u32 v3, v5, 7, v0
	s_orn2_b64 s[8:9], vcc, exec
.LBB210_34:
	s_or_b64 exec, exec, s[2:3]
	s_and_b64 exec, exec, s[8:9]
	s_cbranch_execz .LBB210_37
; %bb.35:
	v_mov_b32_e32 v4, 0x190
	v_lshl_add_u32 v4, v3, 2, v4
	s_mov_b64 s[2:3], 0
.LBB210_36:                             ; =>This Inner Loop Header: Depth=1
	ds_read_b32 v5, v4
	v_add_u32_e32 v3, 0x80, v3
	v_cmp_le_i32_e32 vcc, s30, v3
	s_or_b64 s[2:3], vcc, s[2:3]
	s_waitcnt lgkmcnt(0)
	v_mul_f32_e32 v5, v2, v5
	ds_write_b32 v4, v5
	v_add_u32_e32 v4, 0x200, v4
	s_andn2_b64 exec, exec, s[2:3]
	s_cbranch_execnz .LBB210_36
.LBB210_37:
	s_or_b64 exec, exec, s[0:1]
	v_mov_b32_e32 v7, 0
	v_and_b32_e32 v74, 7, v0
	v_mov_b32_e32 v6, 0
	v_mov_b32_e32 v9, 0
	;; [unrolled: 1-line block ×11, first 2 shown]
	s_waitcnt lgkmcnt(0)
	s_barrier
	s_and_saveexec_b64 s[2:3], s[6:7]
	s_cbranch_execz .LBB210_65
; %bb.38:
	s_ashr_i32 s1, s33, 31
	s_load_dword s6, s[10:11], 0x0
	s_add_u32 s0, s26, s33
	s_addc_u32 s1, s27, s1
	v_and_b32_e32 v6, 0xfc, v56
	v_mov_b32_e32 v7, 0
	v_and_b32_e32 v2, 28, v56
	s_add_i32 s14, s19, -1
	v_lshl_add_u64 v[18:19], s[0:1], 0, v[6:7]
	s_lshl_b64 s[0:1], s[24:25], 2
	v_lshl_or_b32 v75, v1, 5, v2
	v_lshlrev_b32_e32 v2, 4, v74
	s_add_u32 s0, s22, s0
	v_lshl_or_b32 v2, v1, 7, v2
	v_and_b32_e32 v6, 60, v57
	s_addc_u32 s1, s23, s1
	s_waitcnt lgkmcnt(0)
	s_mov_b32 s7, s6
	s_mov_b32 s15, s17
	v_add_u32_e32 v76, 0x190, v2
	v_lshl_add_u64 v[20:21], s[0:1], 0, v[6:7]
	s_mov_b64 s[8:9], 0
	v_mov_b32_e32 v6, v7
	v_mov_b32_e32 v9, v7
	;; [unrolled: 1-line block ×11, first 2 shown]
	s_branch .LBB210_40
.LBB210_39:                             ;   in Loop: Header=BB210_40 Depth=1
	s_or_b64 exec, exec, s[0:1]
	s_waitcnt lgkmcnt(0)
	v_mul_f32_e32 v68, v2, v68
	v_mul_f32_e32 v62, v2, v62
	;; [unrolled: 1-line block ×11, first 2 shown]
	v_fmac_f32_e32 v68, v3, v69
	v_fmac_f32_e32 v62, v3, v63
	;; [unrolled: 1-line block ×22, first 2 shown]
	v_pk_mul_f32 v[2:3], v[2:3], v[64:65]
	v_fmac_f32_e32 v68, v5, v67
	v_fmac_f32_e32 v62, v5, v61
	;; [unrolled: 1-line block ×11, first 2 shown]
	v_pk_mul_f32 v[4:5], v[4:5], v[34:35]
	v_add_f32_e32 v2, v3, v2
	v_add_f32_e32 v2, v4, v2
	v_add_u32_e32 v1, 2, v1
	v_add_f32_e32 v2, v5, v2
	v_cmp_le_i32_e32 vcc, s19, v1
	v_add_f32_e32 v6, v6, v68
	v_add_f32_e32 v9, v9, v62
	v_add_f32_e32 v8, v8, v58
	v_add_f32_e32 v11, v11, v54
	v_add_f32_e32 v10, v10, v50
	v_add_f32_e32 v13, v13, v46
	v_add_f32_e32 v12, v12, v42
	v_add_f32_e32 v15, v15, v38
	v_add_f32_e32 v14, v14, v32
	v_add_f32_e32 v17, v17, v28
	v_add_f32_e32 v16, v16, v24
	v_add_f32_e32 v7, v7, v2
	v_add_u32_e32 v75, 64, v75
	v_add_u32_e32 v76, 0x100, v76
	s_or_b64 s[8:9], vcc, s[8:9]
	v_lshl_add_u64 v[20:21], v[20:21], 0, 8
	s_andn2_b64 exec, exec, s[8:9]
	s_cbranch_execz .LBB210_64
.LBB210_40:                             ; =>This Inner Loop Header: Depth=1
	global_load_dword v2, v[20:21], off
	v_cmp_eq_u32_e32 vcc, s14, v1
	v_add_u32_e32 v77, 1, v75
	v_add_u32_e32 v64, 2, v75
	;; [unrolled: 1-line block ×3, first 2 shown]
	s_waitcnt vmcnt(0)
	v_mad_i64_i32 v[34:35], s[0:1], v2, s13, v[18:19]
	global_load_dword v22, v[34:35], off
	ds_read_b128 v[2:5], v76
	s_waitcnt vmcnt(0)
	v_and_b32_e32 v23, 0xffff, v22
	v_lshrrev_b32_e32 v24, 16, v22
	v_cvt_pk_f32_fp8_e32 v[22:23], v23
	v_cvt_pk_f32_fp8_e32 v[26:27], v24
	v_pk_mul_f32 v[24:25], s[6:7], v[22:23]
	v_pk_mul_f32 v[22:23], s[6:7], v[26:27]
	s_and_saveexec_b64 s[10:11], vcc
; %bb.41:                               ;   in Loop: Header=BB210_40 Depth=1
	v_cmp_gt_i32_e64 s[0:1], s17, v75
	s_nop 1
	v_cndmask_b32_e64 v24, 0, v24, s[0:1]
	v_cmp_gt_i32_e64 s[0:1], s17, v77
	s_nop 1
	v_cndmask_b32_e64 v25, 0, v25, s[0:1]
	v_cmp_gt_i32_e64 s[0:1], s17, v64
	s_nop 1
	v_cndmask_b32_e64 v22, 0, v22, s[0:1]
	v_cmp_gt_i32_e64 s[0:1], s17, v65
	s_nop 1
	v_cndmask_b32_e64 v23, 0, v23, s[0:1]
; %bb.42:                               ;   in Loop: Header=BB210_40 Depth=1
	s_or_b64 exec, exec, s[10:11]
	global_load_dword v26, v[34:35], off offset:256
	s_waitcnt vmcnt(0)
	v_and_b32_e32 v27, 0xffff, v26
	v_lshrrev_b32_e32 v28, 16, v26
	v_cvt_pk_f32_fp8_e32 v[26:27], v27
	v_cvt_pk_f32_fp8_e32 v[30:31], v28
	v_pk_mul_f32 v[28:29], s[6:7], v[26:27]
	v_pk_mul_f32 v[26:27], s[6:7], v[30:31]
	s_and_saveexec_b64 s[10:11], vcc
; %bb.43:                               ;   in Loop: Header=BB210_40 Depth=1
	v_cmp_gt_i32_e64 s[0:1], s17, v75
	s_nop 1
	v_cndmask_b32_e64 v28, 0, v28, s[0:1]
	v_cmp_gt_i32_e64 s[0:1], s17, v77
	s_nop 1
	v_cndmask_b32_e64 v29, 0, v29, s[0:1]
	v_cmp_gt_i32_e64 s[0:1], s17, v64
	s_nop 1
	v_cndmask_b32_e64 v26, 0, v26, s[0:1]
	v_cmp_gt_i32_e64 s[0:1], s17, v65
	s_nop 1
	v_cndmask_b32_e64 v27, 0, v27, s[0:1]
; %bb.44:                               ;   in Loop: Header=BB210_40 Depth=1
	s_or_b64 exec, exec, s[10:11]
	global_load_dword v30, v[34:35], off offset:512
	;; [unrolled: 24-line block ×11, first 2 shown]
	s_waitcnt vmcnt(0)
	v_and_b32_e32 v35, 0xffff, v34
	v_lshrrev_b32_e32 v64, 16, v34
	v_cvt_pk_f32_fp8_e32 v[34:35], v35
	v_cvt_pk_f32_fp8_e32 v[78:79], v64
	v_pk_mul_f32 v[64:65], s[6:7], v[34:35]
	v_pk_mul_f32 v[34:35], s[6:7], v[78:79]
	s_and_saveexec_b64 s[0:1], vcc
	s_cbranch_execz .LBB210_39
; %bb.63:                               ;   in Loop: Header=BB210_40 Depth=1
	v_cmp_gt_i32_e32 vcc, s15, v77
	v_or_b32_e32 v77, 3, v75
	v_or_b32_e32 v78, 2, v75
	v_cndmask_b32_e32 v65, 0, v65, vcc
	v_cmp_gt_i32_e32 vcc, s17, v75
	s_nop 1
	v_cndmask_b32_e32 v64, 0, v64, vcc
	v_cmp_gt_i32_e32 vcc, s15, v77
	s_nop 1
	;; [unrolled: 3-line block ×3, first 2 shown]
	v_cndmask_b32_e32 v34, 0, v34, vcc
	s_branch .LBB210_39
.LBB210_64:
	s_or_b64 exec, exec, s[8:9]
.LBB210_65:
	s_or_b64 exec, exec, s[2:3]
	ds_bpermute_b32 v2, v71, v16
	ds_bpermute_b32 v3, v71, v17
	;; [unrolled: 1-line block ×6, first 2 shown]
	s_waitcnt lgkmcnt(4)
	v_pk_add_f32 v[2:3], v[16:17], v[2:3]
	ds_bpermute_b32 v16, v72, v2
	ds_bpermute_b32 v17, v72, v3
	s_waitcnt lgkmcnt(4)
	v_pk_add_f32 v[12:13], v[12:13], v[18:19]
	ds_bpermute_b32 v20, v71, v8
	ds_bpermute_b32 v21, v71, v9
	s_waitcnt lgkmcnt(4)
	v_pk_add_f32 v[4:5], v[14:15], v[4:5]
	s_waitcnt lgkmcnt(2)
	v_pk_add_f32 v[2:3], v[2:3], v[16:17]
	ds_bpermute_b32 v16, v73, v2
	ds_bpermute_b32 v17, v73, v3
	;; [unrolled: 1-line block ×6, first 2 shown]
	s_waitcnt lgkmcnt(4)
	v_pk_add_f32 v[2:3], v[2:3], v[16:17]
	ds_bpermute_b32 v16, v71, v10
	ds_bpermute_b32 v17, v71, v11
	;; [unrolled: 1-line block ×4, first 2 shown]
	v_pk_add_f32 v[8:9], v[8:9], v[20:21]
	s_waitcnt lgkmcnt(6)
	v_pk_add_f32 v[12:13], v[12:13], v[18:19]
	s_waitcnt lgkmcnt(2)
	v_pk_add_f32 v[10:11], v[10:11], v[16:17]
	ds_bpermute_b32 v16, v72, v10
	ds_bpermute_b32 v17, v72, v11
	v_pk_add_f32 v[22:23], v[6:7], v[22:23]
	s_waitcnt lgkmcnt(2)
	v_pk_add_f32 v[4:5], v[4:5], v[14:15]
	ds_bpermute_b32 v18, v73, v12
	ds_bpermute_b32 v19, v73, v13
	s_waitcnt lgkmcnt(2)
	v_pk_add_f32 v[16:17], v[10:11], v[16:17]
	ds_bpermute_b32 v10, v72, v8
	ds_bpermute_b32 v11, v72, v9
	;; [unrolled: 1-line block ×6, first 2 shown]
	s_waitcnt lgkmcnt(4)
	v_pk_add_f32 v[24:25], v[8:9], v[10:11]
	ds_bpermute_b32 v20, v73, v16
	ds_bpermute_b32 v21, v73, v17
	;; [unrolled: 1-line block ×4, first 2 shown]
	v_pk_add_f32 v[8:9], v[12:13], v[18:19]
	s_waitcnt lgkmcnt(6)
	v_pk_add_f32 v[12:13], v[22:23], v[28:29]
	s_waitcnt lgkmcnt(4)
	v_pk_add_f32 v[10:11], v[4:5], v[14:15]
	ds_bpermute_b32 v14, v73, v12
	ds_bpermute_b32 v15, v73, v13
	v_and_b32_e32 v1, 0x3c7, v0
	s_waitcnt lgkmcnt(4)
	v_pk_add_f32 v[6:7], v[16:17], v[20:21]
	s_waitcnt lgkmcnt(2)
	v_pk_add_f32 v[4:5], v[24:25], v[26:27]
	v_cmp_ne_u32_e32 vcc, 64, v1
	s_waitcnt lgkmcnt(0)
	s_barrier
	s_and_saveexec_b64 s[0:1], vcc
	s_xor_b64 s[0:1], exec, s[0:1]
; %bb.66:
                                        ; implicit-def: $vgpr70
; %bb.67:
	s_or_saveexec_b64 s[0:1], s[0:1]
	v_pk_add_f32 v[12:13], v[12:13], v[14:15]
	s_xor_b64 exec, exec, s[0:1]
	s_cbranch_execz .LBB210_69
; %bb.68:
	v_lshrrev_b32_e32 v14, 1, v70
	v_add_u32_e32 v14, 0x190, v14
	ds_write2_b32 v14, v2, v3 offset1:8
	ds_write2_b32 v14, v10, v11 offset0:16 offset1:24
	ds_write2_b32 v14, v8, v9 offset0:32 offset1:40
	;; [unrolled: 1-line block ×5, first 2 shown]
.LBB210_69:
	s_or_b64 exec, exec, s[0:1]
	v_cmp_gt_u32_e32 vcc, 64, v0
	v_lshrrev_b32_e32 v0, 3, v0
	s_waitcnt lgkmcnt(0)
	s_barrier
	s_and_saveexec_b64 s[0:1], vcc
	s_cbranch_execz .LBB210_84
; %bb.70:
	v_mov_b32_e32 v14, 0x190
	v_cmp_eq_u32_e32 vcc, 0, v74
	v_lshl_add_u32 v14, v0, 2, v14
	s_and_saveexec_b64 s[2:3], vcc
	s_cbranch_execnz .LBB210_87
; %bb.71:
	s_or_b64 exec, exec, s[2:3]
	s_and_saveexec_b64 s[2:3], vcc
	s_cbranch_execnz .LBB210_88
.LBB210_72:
	s_or_b64 exec, exec, s[2:3]
	s_and_saveexec_b64 s[2:3], vcc
	s_cbranch_execnz .LBB210_89
.LBB210_73:
	s_or_b64 exec, exec, s[2:3]
	s_and_saveexec_b64 s[2:3], vcc
	s_cbranch_execnz .LBB210_90
.LBB210_74:
	s_or_b64 exec, exec, s[2:3]
	s_and_saveexec_b64 s[2:3], vcc
	s_cbranch_execnz .LBB210_91
.LBB210_75:
	s_or_b64 exec, exec, s[2:3]
	s_and_saveexec_b64 s[2:3], vcc
	s_cbranch_execnz .LBB210_92
.LBB210_76:
	s_or_b64 exec, exec, s[2:3]
	s_and_saveexec_b64 s[2:3], vcc
	s_cbranch_execnz .LBB210_93
.LBB210_77:
	s_or_b64 exec, exec, s[2:3]
	s_and_saveexec_b64 s[2:3], vcc
	s_cbranch_execnz .LBB210_94
.LBB210_78:
	s_or_b64 exec, exec, s[2:3]
	s_and_saveexec_b64 s[2:3], vcc
	s_cbranch_execnz .LBB210_95
.LBB210_79:
	s_or_b64 exec, exec, s[2:3]
	s_and_saveexec_b64 s[2:3], vcc
	s_cbranch_execnz .LBB210_96
.LBB210_80:
	s_or_b64 exec, exec, s[2:3]
	s_and_saveexec_b64 s[2:3], vcc
	s_cbranch_execnz .LBB210_97
.LBB210_81:
	s_or_b64 exec, exec, s[2:3]
	s_and_saveexec_b64 s[2:3], vcc
	s_cbranch_execz .LBB210_83
.LBB210_82:
	ds_read_b32 v14, v14 offset:352
	s_waitcnt lgkmcnt(0)
	v_add_f32_e32 v13, v13, v14
.LBB210_83:
	s_or_b64 exec, exec, s[2:3]
.LBB210_84:
	s_or_b64 exec, exec, s[0:1]
	v_cmp_eq_u32_e32 vcc, 0, v1
	s_barrier
	s_and_saveexec_b64 s[0:1], vcc
	s_cbranch_execz .LBB210_86
; %bb.85:
	s_mul_i32 s0, s16, s12
	s_mul_i32 s0, s0, s5
	s_mulk_i32 s0, 0x60
	s_ashr_i32 s1, s0, 31
	s_lshl_b64 s[0:1], s[0:1], 2
	s_add_u32 s2, s20, s0
	s_mul_i32 s0, s12, s18
	s_addc_u32 s3, s21, s1
	s_ashr_i32 s1, s0, 31
	s_lshl_b64 s[0:1], s[0:1], 2
	s_add_u32 s2, s2, s0
	s_mul_i32 s0, s4, 0x60
	s_addc_u32 s3, s3, s1
	s_ashr_i32 s1, s0, 31
	s_lshl_b64 s[0:1], s[0:1], 2
	s_add_u32 s0, s2, s0
	s_addc_u32 s1, s3, s1
	v_lshlrev_b32_e32 v0, 2, v0
	global_store_dword v0, v2, s[0:1]
	global_store_dword v0, v3, s[0:1] offset:32
	global_store_dword v0, v10, s[0:1] offset:64
	;; [unrolled: 1-line block ×11, first 2 shown]
.LBB210_86:
	s_endpgm
.LBB210_87:
	ds_read_b32 v15, v14
	s_waitcnt lgkmcnt(0)
	v_add_f32_e32 v2, v2, v15
	s_or_b64 exec, exec, s[2:3]
	s_and_saveexec_b64 s[2:3], vcc
	s_cbranch_execz .LBB210_72
.LBB210_88:
	ds_read_b32 v15, v14 offset:32
	s_waitcnt lgkmcnt(0)
	v_add_f32_e32 v3, v3, v15
	s_or_b64 exec, exec, s[2:3]
	s_and_saveexec_b64 s[2:3], vcc
	s_cbranch_execz .LBB210_73
.LBB210_89:
	ds_read_b32 v15, v14 offset:64
	s_waitcnt lgkmcnt(0)
	v_add_f32_e32 v10, v10, v15
	s_or_b64 exec, exec, s[2:3]
	s_and_saveexec_b64 s[2:3], vcc
	s_cbranch_execz .LBB210_74
.LBB210_90:
	ds_read_b32 v15, v14 offset:96
	s_waitcnt lgkmcnt(0)
	v_add_f32_e32 v11, v11, v15
	s_or_b64 exec, exec, s[2:3]
	s_and_saveexec_b64 s[2:3], vcc
	s_cbranch_execz .LBB210_75
.LBB210_91:
	ds_read_b32 v15, v14 offset:128
	s_waitcnt lgkmcnt(0)
	v_add_f32_e32 v8, v8, v15
	s_or_b64 exec, exec, s[2:3]
	s_and_saveexec_b64 s[2:3], vcc
	s_cbranch_execz .LBB210_76
.LBB210_92:
	ds_read_b32 v15, v14 offset:160
	s_waitcnt lgkmcnt(0)
	v_add_f32_e32 v9, v9, v15
	s_or_b64 exec, exec, s[2:3]
	s_and_saveexec_b64 s[2:3], vcc
	s_cbranch_execz .LBB210_77
.LBB210_93:
	ds_read_b32 v15, v14 offset:192
	s_waitcnt lgkmcnt(0)
	v_add_f32_e32 v6, v6, v15
	s_or_b64 exec, exec, s[2:3]
	s_and_saveexec_b64 s[2:3], vcc
	s_cbranch_execz .LBB210_78
.LBB210_94:
	ds_read_b32 v15, v14 offset:224
	s_waitcnt lgkmcnt(0)
	v_add_f32_e32 v7, v7, v15
	s_or_b64 exec, exec, s[2:3]
	s_and_saveexec_b64 s[2:3], vcc
	s_cbranch_execz .LBB210_79
.LBB210_95:
	ds_read_b32 v15, v14 offset:256
	s_waitcnt lgkmcnt(0)
	v_add_f32_e32 v4, v4, v15
	s_or_b64 exec, exec, s[2:3]
	s_and_saveexec_b64 s[2:3], vcc
	s_cbranch_execz .LBB210_80
.LBB210_96:
	ds_read_b32 v15, v14 offset:288
	s_waitcnt lgkmcnt(0)
	v_add_f32_e32 v5, v5, v15
	s_or_b64 exec, exec, s[2:3]
	s_and_saveexec_b64 s[2:3], vcc
	s_cbranch_execz .LBB210_81
.LBB210_97:
	ds_read_b32 v15, v14 offset:320
	s_waitcnt lgkmcnt(0)
	v_add_f32_e32 v12, v12, v15
	s_or_b64 exec, exec, s[2:3]
	s_and_saveexec_b64 s[2:3], vcc
	s_cbranch_execnz .LBB210_82
	s_branch .LBB210_83
	.section	.rodata,"a",@progbits
	.p2align	6, 0x0
	.amdhsa_kernel _ZN4vllm25paged_attention_v1_kernelIfhLi96ELi32ELi128ELNS_18Fp8KVCacheDataTypeE1ELb0EEEvPT_PKS2_PKT0_S8_ifPKiSA_iPKfiiiSC_SC_iiiii
		.amdhsa_group_segment_fixed_size 400
		.amdhsa_private_segment_fixed_size 0
		.amdhsa_kernarg_size 384
		.amdhsa_user_sgpr_count 2
		.amdhsa_user_sgpr_dispatch_ptr 0
		.amdhsa_user_sgpr_queue_ptr 0
		.amdhsa_user_sgpr_kernarg_segment_ptr 1
		.amdhsa_user_sgpr_dispatch_id 0
		.amdhsa_user_sgpr_kernarg_preload_length 0
		.amdhsa_user_sgpr_kernarg_preload_offset 0
		.amdhsa_user_sgpr_private_segment_size 0
		.amdhsa_uses_dynamic_stack 0
		.amdhsa_enable_private_segment 0
		.amdhsa_system_sgpr_workgroup_id_x 1
		.amdhsa_system_sgpr_workgroup_id_y 1
		.amdhsa_system_sgpr_workgroup_id_z 1
		.amdhsa_system_sgpr_workgroup_info 0
		.amdhsa_system_vgpr_workitem_id 0
		.amdhsa_next_free_vgpr 104
		.amdhsa_next_free_sgpr 38
		.amdhsa_accum_offset 104
		.amdhsa_reserve_vcc 1
		.amdhsa_float_round_mode_32 0
		.amdhsa_float_round_mode_16_64 0
		.amdhsa_float_denorm_mode_32 3
		.amdhsa_float_denorm_mode_16_64 3
		.amdhsa_dx10_clamp 1
		.amdhsa_ieee_mode 1
		.amdhsa_fp16_overflow 0
		.amdhsa_tg_split 0
		.amdhsa_exception_fp_ieee_invalid_op 0
		.amdhsa_exception_fp_denorm_src 0
		.amdhsa_exception_fp_ieee_div_zero 0
		.amdhsa_exception_fp_ieee_overflow 0
		.amdhsa_exception_fp_ieee_underflow 0
		.amdhsa_exception_fp_ieee_inexact 0
		.amdhsa_exception_int_div_zero 0
	.end_amdhsa_kernel
	.section	.text._ZN4vllm25paged_attention_v1_kernelIfhLi96ELi32ELi128ELNS_18Fp8KVCacheDataTypeE1ELb0EEEvPT_PKS2_PKT0_S8_ifPKiSA_iPKfiiiSC_SC_iiiii,"axG",@progbits,_ZN4vllm25paged_attention_v1_kernelIfhLi96ELi32ELi128ELNS_18Fp8KVCacheDataTypeE1ELb0EEEvPT_PKS2_PKT0_S8_ifPKiSA_iPKfiiiSC_SC_iiiii,comdat
.Lfunc_end210:
	.size	_ZN4vllm25paged_attention_v1_kernelIfhLi96ELi32ELi128ELNS_18Fp8KVCacheDataTypeE1ELb0EEEvPT_PKS2_PKT0_S8_ifPKiSA_iPKfiiiSC_SC_iiiii, .Lfunc_end210-_ZN4vllm25paged_attention_v1_kernelIfhLi96ELi32ELi128ELNS_18Fp8KVCacheDataTypeE1ELb0EEEvPT_PKS2_PKT0_S8_ifPKiSA_iPKfiiiSC_SC_iiiii
                                        ; -- End function
	.set _ZN4vllm25paged_attention_v1_kernelIfhLi96ELi32ELi128ELNS_18Fp8KVCacheDataTypeE1ELb0EEEvPT_PKS2_PKT0_S8_ifPKiSA_iPKfiiiSC_SC_iiiii.num_vgpr, 104
	.set _ZN4vllm25paged_attention_v1_kernelIfhLi96ELi32ELi128ELNS_18Fp8KVCacheDataTypeE1ELb0EEEvPT_PKS2_PKT0_S8_ifPKiSA_iPKfiiiSC_SC_iiiii.num_agpr, 0
	.set _ZN4vllm25paged_attention_v1_kernelIfhLi96ELi32ELi128ELNS_18Fp8KVCacheDataTypeE1ELb0EEEvPT_PKS2_PKT0_S8_ifPKiSA_iPKfiiiSC_SC_iiiii.numbered_sgpr, 38
	.set _ZN4vllm25paged_attention_v1_kernelIfhLi96ELi32ELi128ELNS_18Fp8KVCacheDataTypeE1ELb0EEEvPT_PKS2_PKT0_S8_ifPKiSA_iPKfiiiSC_SC_iiiii.num_named_barrier, 0
	.set _ZN4vllm25paged_attention_v1_kernelIfhLi96ELi32ELi128ELNS_18Fp8KVCacheDataTypeE1ELb0EEEvPT_PKS2_PKT0_S8_ifPKiSA_iPKfiiiSC_SC_iiiii.private_seg_size, 0
	.set _ZN4vllm25paged_attention_v1_kernelIfhLi96ELi32ELi128ELNS_18Fp8KVCacheDataTypeE1ELb0EEEvPT_PKS2_PKT0_S8_ifPKiSA_iPKfiiiSC_SC_iiiii.uses_vcc, 1
	.set _ZN4vllm25paged_attention_v1_kernelIfhLi96ELi32ELi128ELNS_18Fp8KVCacheDataTypeE1ELb0EEEvPT_PKS2_PKT0_S8_ifPKiSA_iPKfiiiSC_SC_iiiii.uses_flat_scratch, 0
	.set _ZN4vllm25paged_attention_v1_kernelIfhLi96ELi32ELi128ELNS_18Fp8KVCacheDataTypeE1ELb0EEEvPT_PKS2_PKT0_S8_ifPKiSA_iPKfiiiSC_SC_iiiii.has_dyn_sized_stack, 0
	.set _ZN4vllm25paged_attention_v1_kernelIfhLi96ELi32ELi128ELNS_18Fp8KVCacheDataTypeE1ELb0EEEvPT_PKS2_PKT0_S8_ifPKiSA_iPKfiiiSC_SC_iiiii.has_recursion, 0
	.set _ZN4vllm25paged_attention_v1_kernelIfhLi96ELi32ELi128ELNS_18Fp8KVCacheDataTypeE1ELb0EEEvPT_PKS2_PKT0_S8_ifPKiSA_iPKfiiiSC_SC_iiiii.has_indirect_call, 0
	.section	.AMDGPU.csdata,"",@progbits
; Kernel info:
; codeLenInByte = 6684
; TotalNumSgprs: 44
; NumVgprs: 104
; NumAgprs: 0
; TotalNumVgprs: 104
; ScratchSize: 0
; MemoryBound: 0
; FloatMode: 240
; IeeeMode: 1
; LDSByteSize: 400 bytes/workgroup (compile time only)
; SGPRBlocks: 5
; VGPRBlocks: 12
; NumSGPRsForWavesPerEU: 44
; NumVGPRsForWavesPerEU: 104
; AccumOffset: 104
; Occupancy: 4
; WaveLimiterHint : 1
; COMPUTE_PGM_RSRC2:SCRATCH_EN: 0
; COMPUTE_PGM_RSRC2:USER_SGPR: 2
; COMPUTE_PGM_RSRC2:TRAP_HANDLER: 0
; COMPUTE_PGM_RSRC2:TGID_X_EN: 1
; COMPUTE_PGM_RSRC2:TGID_Y_EN: 1
; COMPUTE_PGM_RSRC2:TGID_Z_EN: 1
; COMPUTE_PGM_RSRC2:TIDIG_COMP_CNT: 0
; COMPUTE_PGM_RSRC3_GFX90A:ACCUM_OFFSET: 25
; COMPUTE_PGM_RSRC3_GFX90A:TG_SPLIT: 0
	.section	.text._ZN4vllm25paged_attention_v1_kernelIfhLi112ELi32ELi128ELNS_18Fp8KVCacheDataTypeE1ELb0EEEvPT_PKS2_PKT0_S8_ifPKiSA_iPKfiiiSC_SC_iiiii,"axG",@progbits,_ZN4vllm25paged_attention_v1_kernelIfhLi112ELi32ELi128ELNS_18Fp8KVCacheDataTypeE1ELb0EEEvPT_PKS2_PKT0_S8_ifPKiSA_iPKfiiiSC_SC_iiiii,comdat
	.protected	_ZN4vllm25paged_attention_v1_kernelIfhLi112ELi32ELi128ELNS_18Fp8KVCacheDataTypeE1ELb0EEEvPT_PKS2_PKT0_S8_ifPKiSA_iPKfiiiSC_SC_iiiii ; -- Begin function _ZN4vllm25paged_attention_v1_kernelIfhLi112ELi32ELi128ELNS_18Fp8KVCacheDataTypeE1ELb0EEEvPT_PKS2_PKT0_S8_ifPKiSA_iPKfiiiSC_SC_iiiii
	.globl	_ZN4vllm25paged_attention_v1_kernelIfhLi112ELi32ELi128ELNS_18Fp8KVCacheDataTypeE1ELb0EEEvPT_PKS2_PKT0_S8_ifPKiSA_iPKfiiiSC_SC_iiiii
	.p2align	8
	.type	_ZN4vllm25paged_attention_v1_kernelIfhLi112ELi32ELi128ELNS_18Fp8KVCacheDataTypeE1ELb0EEEvPT_PKS2_PKT0_S8_ifPKiSA_iPKfiiiSC_SC_iiiii,@function
_ZN4vllm25paged_attention_v1_kernelIfhLi112ELi32ELi128ELNS_18Fp8KVCacheDataTypeE1ELb0EEEvPT_PKS2_PKT0_S8_ifPKiSA_iPKfiiiSC_SC_iiiii: ; @_ZN4vllm25paged_attention_v1_kernelIfhLi112ELi32ELi128ELNS_18Fp8KVCacheDataTypeE1ELb0EEEvPT_PKS2_PKT0_S8_ifPKiSA_iPKfiiiSC_SC_iiiii
; %bb.0:
	s_load_dword s5, s[0:1], 0x80
	s_load_dwordx2 s[6:7], s[0:1], 0x30
	s_load_dwordx2 s[28:29], s[0:1], 0x20
	s_mov_b32 s16, s3
	s_ashr_i32 s17, s3, 31
	s_lshl_b64 s[8:9], s[16:17], 2
	s_waitcnt lgkmcnt(0)
	s_add_u32 s6, s6, s8
	s_addc_u32 s7, s7, s9
	s_abs_i32 s3, s28
	v_cvt_f32_u32_e32 v1, s3
	s_sub_i32 s10, 0, s3
	s_abs_i32 s9, s5
	s_xor_b32 s8, s5, s28
	v_rcp_iflag_f32_e32 v1, v1
	s_ashr_i32 s8, s8, 31
	s_mov_b32 s28, 0
	v_mul_f32_e32 v1, 0x4f7ffffe, v1
	v_cvt_u32_f32_e32 v1, v1
	s_nop 0
	v_readfirstlane_b32 s11, v1
	s_mul_i32 s10, s10, s11
	s_mul_hi_u32 s10, s11, s10
	s_add_i32 s11, s11, s10
	s_mul_hi_u32 s10, s9, s11
	s_mul_i32 s11, s10, s3
	s_sub_i32 s9, s9, s11
	s_add_i32 s11, s10, 1
	s_sub_i32 s12, s9, s3
	s_cmp_ge_u32 s9, s3
	s_cselect_b32 s10, s11, s10
	s_cselect_b32 s9, s12, s9
	s_add_i32 s11, s10, 1
	s_cmp_ge_u32 s9, s3
	s_cselect_b32 s3, s11, s10
	s_xor_b32 s3, s3, s8
	s_sub_i32 s12, s3, s8
	s_abs_i32 s10, s12
	v_cvt_f32_u32_e32 v1, s10
	s_load_dwordx2 s[8:9], s[0:1], 0x40
	s_sub_i32 s3, 0, s10
	s_abs_i32 s11, s2
	v_rcp_iflag_f32_e32 v1, v1
	s_nop 0
	v_mul_f32_e32 v1, 0x4f7ffffe, v1
	v_cvt_u32_f32_e32 v1, v1
	s_nop 0
	v_readfirstlane_b32 s13, v1
	s_mul_i32 s3, s3, s13
	s_mul_hi_u32 s3, s13, s3
	s_add_i32 s13, s13, s3
	s_waitcnt lgkmcnt(0)
	s_cmp_eq_u64 s[8:9], 0
	s_mul_hi_u32 s20, s11, s13
	s_cbranch_scc1 .LBB211_2
; %bb.1:
	s_ashr_i32 s3, s2, 31
	s_lshl_b64 s[14:15], s[2:3], 2
	s_add_u32 s8, s8, s14
	s_addc_u32 s9, s9, s15
	s_load_dword s28, s[8:9], 0x0
.LBB211_2:
	s_load_dword s17, s[6:7], 0x0
	s_ashr_i32 s7, s12, 31
	s_load_dwordx4 s[12:15], s[0:1], 0x48
	s_ashr_i32 s6, s2, 31
	v_and_b32_e32 v42, 1, v0
	s_mul_i32 s18, s2, 0x70
	v_cmp_gt_u32_e32 vcc, 56, v0
	v_lshlrev_b32_e32 v64, 2, v0
	s_and_saveexec_b64 s[2:3], vcc
	s_cbranch_execz .LBB211_4
; %bb.3:
	s_load_dwordx2 s[8:9], s[0:1], 0x8
	s_waitcnt lgkmcnt(0)
	s_mul_i32 s22, s12, s16
	s_ashr_i32 s23, s22, 31
	s_lshl_b64 s[22:23], s[22:23], 2
	v_lshlrev_b32_e32 v1, 3, v0
	s_add_u32 s12, s8, s22
	s_addc_u32 s15, s9, s23
	s_ashr_i32 s19, s18, 31
	s_lshl_b64 s[8:9], s[18:19], 2
	s_add_u32 s8, s12, s8
	s_addc_u32 s9, s15, s9
	global_load_dwordx2 v[2:3], v1, s[8:9]
	v_and_b32_e32 v1, 0xff8, v64
	s_movk_i32 s8, 0xe0
	v_mad_u32_u24 v1, v42, s8, v1
	s_waitcnt vmcnt(0)
	ds_write_b64 v1, v[2:3]
.LBB211_4:
	s_or_b64 exec, exec, s[2:3]
	s_waitcnt lgkmcnt(0)
	s_add_i32 s3, s17, 31
	s_ashr_i32 s8, s3, 31
	s_lshr_b32 s8, s8, 27
	s_add_i32 s3, s3, s8
	s_ashr_i32 s19, s3, 5
	s_xor_b32 s3, s6, s7
	s_mul_i32 s6, s20, s10
	s_sub_i32 s6, s11, s6
	s_add_i32 s7, s20, 1
	s_sub_i32 s8, s6, s10
	s_load_dwordx2 s[22:23], s[0:1], 0x28
	s_load_dword s2, s[0:1], 0x38
	s_cmp_ge_u32 s6, s10
	s_cselect_b32 s7, s7, s20
	s_cselect_b32 s6, s8, s6
	s_add_i32 s8, s7, 1
	s_cmp_ge_u32 s6, s10
	s_cselect_b32 s6, s8, s7
	v_lshrrev_b32_e32 v1, 6, v0
	s_xor_b32 s6, s6, s3
	s_waitcnt lgkmcnt(0)
	s_mul_i32 s24, s2, s16
	s_sub_i32 s33, s6, s3
	s_ashr_i32 s25, s24, 31
	v_cmp_gt_i32_e64 s[6:7], s19, v1
	v_cmp_le_i32_e32 vcc, s19, v1
	v_mbcnt_lo_u32_b32 v43, -1, 0
	s_barrier
                                        ; implicit-def: $vgpr66
                                        ; implicit-def: $vgpr67
                                        ; implicit-def: $vgpr68
	s_and_saveexec_b64 s[2:3], vcc
	s_xor_b64 s[2:3], exec, s[2:3]
; %bb.5:
	v_mbcnt_hi_u32_b32 v66, -1, v43
	v_and_b32_e32 v67, 64, v66
	v_add_u32_e32 v68, 64, v67
                                        ; implicit-def: $vgpr42
                                        ; implicit-def: $vgpr43
; %bb.6:
	s_or_saveexec_b64 s[30:31], s[2:3]
	s_load_dwordx2 s[20:21], s[0:1], 0x0
	s_load_dwordx2 s[26:27], s[0:1], 0x18
	s_load_dword s12, s[0:1], 0x88
	s_load_dwordx4 s[8:11], s[0:1], 0x58
	v_mov_b32_e32 v69, 0xff7fffff
	s_mul_i32 s33, s33, s14
	v_lshrrev_b32_e32 v65, 4, v0
	s_xor_b64 exec, exec, s[30:31]
	s_cbranch_execz .LBB211_12
; %bb.7:
	s_load_dwordx2 s[0:1], s[0:1], 0x10
	v_mul_u32_u24_e32 v54, 0xe0, v42
	ds_read_b128 v[2:5], v54
	ds_read_b128 v[6:9], v54 offset:16
	ds_read_b128 v[10:13], v54 offset:32
	;; [unrolled: 1-line block ×9, first 2 shown]
	v_mbcnt_hi_u32_b32 v66, -1, v43
	s_ashr_i32 s2, s33, 31
	v_and_b32_e32 v67, 64, v66
	v_bfe_u32 v46, v0, 1, 5
	s_waitcnt lgkmcnt(0)
	s_add_u32 s0, s0, s33
	v_xor_b32_e32 v43, 1, v66
	v_add_u32_e32 v68, 64, v67
	v_lshlrev_b32_e32 v60, 4, v46
	s_addc_u32 s1, s1, s2
	v_mov_b32_e32 v61, 0
	v_cmp_lt_i32_e32 vcc, v43, v68
	v_lshl_add_u64 v[44:45], s[0:1], 0, v[60:61]
	v_lshlrev_b32_e32 v60, 1, v42
	v_cndmask_b32_e32 v43, v66, v43, vcc
	v_cmp_eq_u32_e32 vcc, 0, v42
	v_lshlrev_b32_e32 v42, 2, v46
	v_lshl_or_b32 v42, v1, 7, v42
	s_load_dword s8, s[8:9], 0x0
	v_lshlrev_b32_e32 v70, 2, v43
	v_lshl_add_u64 v[58:59], v[44:45], 0, v[60:61]
	v_lshl_or_b32 v71, v1, 5, v46
	v_add_u32_e32 v72, 0x1d0, v42
	ds_read_b128 v[42:45], v54 offset:160
	ds_read_b128 v[46:49], v54 offset:176
	;; [unrolled: 1-line block ×4, first 2 shown]
	s_sub_i32 s37, 1, s17
	s_lshl_b64 s[0:1], s[24:25], 2
	s_add_u32 s0, s22, s0
	v_and_b32_e32 v60, 60, v65
	s_addc_u32 s1, s23, s1
	s_mov_b32 s36, s13
	v_cmp_neq_f32_e64 s[2:3], s28, 0
	s_waitcnt lgkmcnt(0)
	s_mov_b32 s9, s8
	v_lshl_add_u64 v[60:61], s[0:1], 0, v[60:61]
	v_mov_b32_e32 v69, 0xff7fffff
	s_mov_b64 s[14:15], 0
	v_mov_b32_e32 v73, v1
	s_branch .LBB211_9
.LBB211_8:                              ;   in Loop: Header=BB211_9 Depth=1
	s_or_b64 exec, exec, s[34:35]
	v_add_u32_e32 v73, 2, v73
	v_cmp_le_i32_e64 s[0:1], s19, v73
	v_add_u32_e32 v71, 64, v71
	v_add_u32_e32 v72, 0x100, v72
	s_or_b64 s[14:15], s[0:1], s[14:15]
	v_lshl_add_u64 v[60:61], v[60:61], 0, 8
	s_andn2_b64 exec, exec, s[14:15]
	s_cbranch_execz .LBB211_11
.LBB211_9:                              ; =>This Inner Loop Header: Depth=1
	global_load_dword v62, v[60:61], off
	s_waitcnt vmcnt(0) lgkmcnt(0)
	v_mad_i64_i32 v[62:63], s[0:1], v62, s36, v[58:59]
	global_load_ushort v79, v[62:63], off offset:4
	global_load_ushort v82, v[62:63], off offset:8
	global_load_ushort v77, v[62:63], off offset:12
	global_load_ushort v78, v[62:63], off offset:512
	global_load_ushort v75, v[62:63], off offset:516
	global_load_ushort v76, v[62:63], off offset:520
	global_load_ushort v74, v[62:63], off offset:524
	global_load_ushort v80, v[62:63], off
	global_load_ushort v83, v[62:63], off offset:1024
	global_load_ushort v84, v[62:63], off offset:1028
	;; [unrolled: 1-line block ×20, first 2 shown]
	s_waitcnt vmcnt(27)
	v_cvt_pk_f32_fp8_e32 v[62:63], v79
	s_waitcnt vmcnt(24)
	v_cvt_pk_f32_fp8_e32 v[78:79], v78
	v_pk_mul_f32 v[62:63], s[8:9], v[62:63]
	s_waitcnt vmcnt(20)
	v_cvt_pk_f32_fp8_e32 v[80:81], v80
	v_mul_f32_e32 v103, v4, v62
	v_mul_f32_e32 v104, v5, v63
	v_cvt_pk_f32_fp8_e32 v[62:63], v82
	v_pk_mul_f32 v[80:81], v[80:81], s[8:9]
	v_pk_mul_f32 v[78:79], s[8:9], v[78:79]
	v_fmac_f32_e32 v103, v2, v80
	v_fmac_f32_e32 v104, v3, v81
	v_cvt_pk_f32_fp8_e32 v[80:81], v77
	v_pk_mul_f32 v[62:63], s[8:9], v[62:63]
	v_cvt_pk_f32_fp8_e32 v[76:77], v76
	v_fmac_f32_e32 v103, v6, v62
	v_fmac_f32_e32 v104, v7, v63
	v_cvt_pk_f32_fp8_e32 v[62:63], v75
	v_pk_mul_f32 v[80:81], s[8:9], v[80:81]
	v_cvt_pk_f32_fp8_e32 v[74:75], v74
	v_fmac_f32_e32 v103, v8, v80
	v_fmac_f32_e32 v104, v9, v81
	s_waitcnt vmcnt(19)
	v_cvt_pk_f32_fp8_e32 v[80:81], v83
	v_fmac_f32_e32 v103, v10, v78
	v_fmac_f32_e32 v104, v11, v79
	s_waitcnt vmcnt(18)
	v_cvt_pk_f32_fp8_e32 v[78:79], v84
	v_pk_mul_f32 v[62:63], s[8:9], v[62:63]
	s_waitcnt vmcnt(17)
	v_cvt_pk_f32_fp8_e32 v[82:83], v85
	v_fmac_f32_e32 v103, v12, v62
	v_fmac_f32_e32 v104, v13, v63
	v_pk_mul_f32 v[76:77], s[8:9], v[76:77]
	s_waitcnt vmcnt(16)
	v_cvt_pk_f32_fp8_e32 v[62:63], v86
	v_fmac_f32_e32 v103, v14, v76
	v_fmac_f32_e32 v104, v15, v77
	;; [unrolled: 5-line block ×9, first 2 shown]
	v_pk_mul_f32 v[86:87], s[8:9], v[86:87]
	s_waitcnt vmcnt(8)
	v_cvt_pk_f32_fp8_e32 v[78:79], v94
	v_pk_mul_f32 v[74:75], s[8:9], v[74:75]
	v_fmac_f32_e32 v103, v30, v86
	v_fmac_f32_e32 v104, v31, v87
	s_waitcnt vmcnt(7)
	v_cvt_pk_f32_fp8_e32 v[92:93], v95
	v_pk_mul_f32 v[88:89], s[8:9], v[88:89]
	v_fmac_f32_e32 v103, v32, v74
	v_fmac_f32_e32 v104, v33, v75
	;; [unrolled: 5-line block ×9, first 2 shown]
	v_pk_mul_f32 v[96:97], s[8:9], v[96:97]
	v_fmac_f32_e32 v103, v48, v62
	v_fmac_f32_e32 v104, v49, v63
	v_pk_mul_f32 v[84:85], s[8:9], v[84:85]
	v_fmac_f32_e32 v103, v50, v96
	v_fmac_f32_e32 v104, v51, v97
	;; [unrolled: 3-line block ×4, first 2 shown]
	v_fmac_f32_e32 v103, v56, v76
	v_fmac_f32_e32 v104, v57, v77
	v_add_f32_e32 v62, v103, v104
	ds_bpermute_b32 v63, v70, v62
	s_and_saveexec_b64 s[34:35], vcc
	s_cbranch_execz .LBB211_8
; %bb.10:                               ;   in Loop: Header=BB211_9 Depth=1
	v_add_u32_e32 v74, s37, v71
	v_cvt_f32_i32_e32 v74, v74
	s_waitcnt lgkmcnt(0)
	v_add_f32_e32 v62, v62, v63
	v_cmp_gt_i32_e64 s[0:1], s17, v71
	v_max_f32_e32 v63, v69, v69
	v_mul_f32_e32 v74, s28, v74
	v_cndmask_b32_e64 v74, 0, v74, s[2:3]
	v_fmac_f32_e32 v74, s29, v62
	v_cndmask_b32_e64 v62, 0, v74, s[0:1]
	ds_write_b32 v72, v62
	v_max_f32_e32 v62, v63, v74
	v_cndmask_b32_e64 v69, v69, v62, s[0:1]
	s_branch .LBB211_8
.LBB211_11:
	s_or_b64 exec, exec, s[14:15]
.LBB211_12:
	s_or_b64 exec, exec, s[30:31]
	v_xor_b32_e32 v2, 32, v66
	v_cmp_lt_i32_e32 vcc, v2, v68
	v_xor_b32_e32 v5, 16, v66
	v_max_f32_e32 v4, v69, v69
	v_cndmask_b32_e32 v2, v66, v2, vcc
	v_lshlrev_b32_e32 v2, 2, v2
	ds_bpermute_b32 v3, v2, v69
	v_cmp_lt_i32_e32 vcc, v5, v68
	v_xor_b32_e32 v6, 8, v66
	v_xor_b32_e32 v7, 4, v66
	v_and_b32_e32 v80, 63, v0
	s_waitcnt lgkmcnt(0)
	v_max_f32_e32 v3, v3, v3
	v_max_f32_e32 v4, v4, v3
	v_cndmask_b32_e32 v3, v66, v5, vcc
	v_lshlrev_b32_e32 v3, 2, v3
	ds_bpermute_b32 v5, v3, v4
	v_cmp_lt_i32_e32 vcc, v6, v68
	s_waitcnt lgkmcnt(0)
	v_max_f32_e32 v5, v5, v5
	v_max_f32_e32 v5, v4, v5
	v_cndmask_b32_e32 v4, v66, v6, vcc
	v_lshlrev_b32_e32 v4, 2, v4
	ds_bpermute_b32 v6, v4, v5
	v_cmp_lt_i32_e32 vcc, v7, v68
	s_waitcnt lgkmcnt(0)
	v_max_f32_e32 v6, v6, v6
	v_max_f32_e32 v5, v5, v6
	v_cndmask_b32_e32 v6, v66, v7, vcc
	v_lshlrev_b32_e32 v81, 2, v6
	ds_bpermute_b32 v6, v81, v5
	v_xor_b32_e32 v7, 2, v66
	v_cmp_lt_i32_e32 vcc, v7, v68
	s_waitcnt lgkmcnt(0)
	v_max_f32_e32 v6, v6, v6
	v_max_f32_e32 v6, v5, v6
	v_cndmask_b32_e32 v5, v66, v7, vcc
	v_lshlrev_b32_e32 v82, 2, v5
	ds_bpermute_b32 v7, v82, v6
	v_cmp_eq_u32_e32 vcc, 0, v80
	v_lshlrev_b32_e32 v5, 2, v1
	s_and_saveexec_b64 s[0:1], vcc
	s_cbranch_execz .LBB211_14
; %bb.13:
	s_waitcnt lgkmcnt(0)
	v_max_f32_e32 v7, v7, v7
	v_max_f32_e32 v6, v6, v6
	;; [unrolled: 1-line block ×3, first 2 shown]
	ds_write_b32 v5, v6 offset:448
.LBB211_14:
	s_or_b64 exec, exec, s[0:1]
	v_cmp_gt_u32_e64 s[0:1], 2, v80
	s_waitcnt lgkmcnt(0)
	v_mov_b32_e32 v7, 0xff7fffff
	v_lshlrev_b32_e32 v6, 2, v80
	s_barrier
	s_and_saveexec_b64 s[2:3], s[0:1]
; %bb.15:
	ds_read_b32 v7, v6 offset:448
; %bb.16:
	s_or_b64 exec, exec, s[2:3]
	v_xor_b32_e32 v8, 1, v66
	v_cmp_lt_i32_e64 s[2:3], v8, v68
	s_nop 1
	v_cndmask_b32_e64 v8, v66, v8, s[2:3]
	v_lshlrev_b32_e32 v83, 2, v8
	s_waitcnt lgkmcnt(0)
	ds_bpermute_b32 v8, v83, v7
	v_max_f32_e32 v7, v7, v7
	s_lshl_b32 s2, s19, 5
	s_min_i32 s30, s2, s17
	v_cmp_gt_i32_e64 s[2:3], s30, v0
	s_waitcnt lgkmcnt(0)
	v_max_f32_e32 v8, v8, v8
	v_max_f32_e32 v7, v7, v8
	v_lshlrev_b32_e32 v8, 2, v67
	ds_bpermute_b32 v8, v8, v7
	v_mov_b32_e32 v7, 0
	s_and_saveexec_b64 s[14:15], s[2:3]
	s_cbranch_execz .LBB211_20
; %bb.17:
	v_mov_b32_e32 v7, 0x1d0
	v_lshl_add_u32 v9, v0, 2, v7
	v_mov_b32_e32 v7, 0
	s_mov_b64 s[28:29], 0
	v_mov_b32_e32 v10, v0
.LBB211_18:                             ; =>This Inner Loop Header: Depth=1
	ds_read_b32 v11, v9
	v_add_u32_e32 v10, 0x80, v10
	v_cmp_le_i32_e64 s[8:9], s30, v10
	s_or_b64 s[28:29], s[8:9], s[28:29]
	s_waitcnt lgkmcnt(0)
	v_sub_f32_e32 v11, v11, v8
	v_mul_f32_e32 v11, 0x3fb8aa3b, v11
	v_exp_f32_e32 v11, v11
	ds_write_b32 v9, v11
	v_add_f32_e32 v7, v7, v11
	v_add_u32_e32 v9, 0x200, v9
	s_andn2_b64 exec, exec, s[28:29]
	s_cbranch_execnz .LBB211_18
; %bb.19:
	s_or_b64 exec, exec, s[28:29]
.LBB211_20:
	s_or_b64 exec, exec, s[14:15]
	ds_bpermute_b32 v2, v2, v7
	s_waitcnt lgkmcnt(0)
	v_add_f32_e32 v2, v7, v2
	ds_bpermute_b32 v3, v3, v2
	s_waitcnt lgkmcnt(0)
	v_add_f32_e32 v2, v2, v3
	;; [unrolled: 3-line block ×6, first 2 shown]
	s_and_saveexec_b64 s[8:9], vcc
; %bb.21:
	ds_write_b32 v5, v2 offset:456
; %bb.22:
	s_or_b64 exec, exec, s[8:9]
	s_waitcnt lgkmcnt(0)
	s_barrier
	s_and_saveexec_b64 s[8:9], s[0:1]
; %bb.23:
	ds_read_b32 v2, v6 offset:456
; %bb.24:
	s_or_b64 exec, exec, s[8:9]
	s_waitcnt lgkmcnt(0)
	ds_bpermute_b32 v3, v83, v2
	v_lshlrev_b32_e32 v4, 2, v66
	s_waitcnt lgkmcnt(0)
	v_add_f32_e32 v2, v2, v3
	v_and_b32_e32 v3, 0xffffff00, v4
	ds_bpermute_b32 v2, v3, v2
	s_and_saveexec_b64 s[0:1], s[2:3]
	s_cbranch_execz .LBB211_37
; %bb.25:
	s_waitcnt lgkmcnt(0)
	v_add_f32_e32 v2, 0x358637bd, v2
	v_div_scale_f32 v3, s[2:3], v2, v2, 1.0
	v_rcp_f32_e32 v4, v3
	v_div_scale_f32 v5, vcc, 1.0, v2, 1.0
	s_movk_i32 s2, 0x7f
	v_fma_f32 v6, -v3, v4, 1.0
	v_fmac_f32_e32 v4, v6, v4
	v_mul_f32_e32 v6, v5, v4
	v_fma_f32 v7, -v3, v6, v5
	v_fmac_f32_e32 v6, v7, v4
	v_fma_f32 v3, -v3, v6, v5
	v_div_fmas_f32 v3, v3, v4, v6
	v_xad_u32 v4, v0, -1, s30
	v_div_fixup_f32 v2, v3, v2, 1.0
	v_cmp_lt_u32_e32 vcc, s2, v4
	s_mov_b64 s[8:9], -1
	v_mov_b32_e32 v3, v0
	s_and_saveexec_b64 s[2:3], vcc
	s_cbranch_execz .LBB211_34
; %bb.26:
	v_lshrrev_b32_e32 v4, 7, v4
	v_add_u32_e32 v6, -1, v4
	v_lshrrev_b32_e32 v5, 1, v6
	v_mov_b32_e32 v3, v2
	v_add_u32_e32 v5, 1, v5
	v_cmp_lt_u32_e32 vcc, 13, v6
	v_mov_b32_e32 v8, 0
	s_and_saveexec_b64 s[8:9], vcc
	s_cbranch_execz .LBB211_30
; %bb.27:
	v_mov_b32_e32 v7, 0x1d0
	v_and_b32_e32 v6, -8, v5
	v_lshl_add_u32 v7, v0, 2, v7
	s_mov_b32 s28, 0
	s_mov_b64 s[14:15], 0
.LBB211_28:                             ; =>This Inner Loop Header: Depth=1
	ds_read2st64_b32 v[8:9], v7 offset1:2
	ds_read2st64_b32 v[10:11], v7 offset0:4 offset1:6
	ds_read2st64_b32 v[12:13], v7 offset0:8 offset1:10
	;; [unrolled: 1-line block ×3, first 2 shown]
	v_add_u32_e32 v6, -8, v6
	s_waitcnt lgkmcnt(3)
	v_pk_mul_f32 v[8:9], v[2:3], v[8:9]
	s_waitcnt lgkmcnt(2)
	v_pk_mul_f32 v[10:11], v[2:3], v[10:11]
	ds_write2st64_b32 v7, v8, v9 offset1:2
	ds_write2st64_b32 v7, v10, v11 offset0:4 offset1:6
	ds_read2st64_b32 v[10:11], v7 offset0:16 offset1:18
	s_waitcnt lgkmcnt(4)
	v_pk_mul_f32 v[8:9], v[2:3], v[12:13]
	ds_write2st64_b32 v7, v8, v9 offset0:8 offset1:10
	s_waitcnt lgkmcnt(4)
	v_pk_mul_f32 v[8:9], v[2:3], v[14:15]
	ds_write2st64_b32 v7, v8, v9 offset0:12 offset1:14
	ds_read2st64_b32 v[8:9], v7 offset0:20 offset1:22
	s_waitcnt lgkmcnt(3)
	v_pk_mul_f32 v[10:11], v[2:3], v[10:11]
	ds_read2st64_b32 v[12:13], v7 offset0:24 offset1:26
	ds_write2st64_b32 v7, v10, v11 offset0:16 offset1:18
	ds_read2st64_b32 v[10:11], v7 offset0:28 offset1:30
	s_waitcnt lgkmcnt(3)
	v_pk_mul_f32 v[8:9], v[2:3], v[8:9]
	ds_write2st64_b32 v7, v8, v9 offset0:20 offset1:22
	s_waitcnt lgkmcnt(3)
	v_pk_mul_f32 v[8:9], v[2:3], v[12:13]
	ds_write2st64_b32 v7, v8, v9 offset0:24 offset1:26
	s_waitcnt lgkmcnt(2)
	v_pk_mul_f32 v[8:9], v[2:3], v[10:11]
	s_add_i32 s28, s28, 16
	v_cmp_eq_u32_e32 vcc, 0, v6
	ds_write2st64_b32 v7, v8, v9 offset0:28 offset1:30
	v_add_u32_e32 v7, 0x2000, v7
	s_or_b64 s[14:15], vcc, s[14:15]
	v_mov_b32_e32 v8, s28
	s_andn2_b64 exec, exec, s[14:15]
	s_cbranch_execnz .LBB211_28
; %bb.29:
	s_or_b64 exec, exec, s[14:15]
.LBB211_30:
	s_or_b64 exec, exec, s[8:9]
	v_and_b32_e32 v5, 7, v5
	v_cmp_ne_u32_e32 vcc, 0, v5
	s_and_saveexec_b64 s[8:9], vcc
	s_cbranch_execz .LBB211_33
; %bb.31:
	v_lshlrev_b32_e32 v6, 9, v8
	s_movk_i32 s14, 0x1d0
	v_add3_u32 v6, v6, v64, s14
	s_mov_b64 s[14:15], 0
.LBB211_32:                             ; =>This Inner Loop Header: Depth=1
	ds_read2st64_b32 v[8:9], v6 offset1:2
	v_add_u32_e32 v5, -1, v5
	v_cmp_eq_u32_e32 vcc, 0, v5
	s_or_b64 s[14:15], vcc, s[14:15]
	s_waitcnt lgkmcnt(0)
	v_pk_mul_f32 v[8:9], v[2:3], v[8:9]
	ds_write2st64_b32 v6, v8, v9 offset1:2
	v_add_u32_e32 v6, 0x400, v6
	s_andn2_b64 exec, exec, s[14:15]
	s_cbranch_execnz .LBB211_32
.LBB211_33:
	s_or_b64 exec, exec, s[8:9]
	v_add_u32_e32 v4, 1, v4
	v_and_b32_e32 v5, 0x3fffffe, v4
	v_cmp_ne_u32_e32 vcc, v4, v5
	v_lshl_add_u32 v3, v5, 7, v0
	s_orn2_b64 s[8:9], vcc, exec
.LBB211_34:
	s_or_b64 exec, exec, s[2:3]
	s_and_b64 exec, exec, s[8:9]
	s_cbranch_execz .LBB211_37
; %bb.35:
	v_mov_b32_e32 v4, 0x1d0
	v_lshl_add_u32 v4, v3, 2, v4
	s_mov_b64 s[2:3], 0
.LBB211_36:                             ; =>This Inner Loop Header: Depth=1
	ds_read_b32 v5, v4
	v_add_u32_e32 v3, 0x80, v3
	v_cmp_le_i32_e32 vcc, s30, v3
	s_or_b64 s[2:3], vcc, s[2:3]
	s_waitcnt lgkmcnt(0)
	v_mul_f32_e32 v5, v2, v5
	ds_write_b32 v4, v5
	v_add_u32_e32 v4, 0x200, v4
	s_andn2_b64 exec, exec, s[2:3]
	s_cbranch_execnz .LBB211_36
.LBB211_37:
	s_or_b64 exec, exec, s[0:1]
	v_mov_b32_e32 v7, 0
	v_and_b32_e32 v84, 7, v0
	v_mov_b32_e32 v6, 0
	v_mov_b32_e32 v9, 0
	;; [unrolled: 1-line block ×13, first 2 shown]
	s_waitcnt lgkmcnt(0)
	s_barrier
	s_and_saveexec_b64 s[2:3], s[6:7]
	s_cbranch_execz .LBB211_69
; %bb.38:
	s_ashr_i32 s1, s33, 31
	s_load_dword s6, s[10:11], 0x0
	s_add_u32 s0, s26, s33
	s_addc_u32 s1, s27, s1
	v_and_b32_e32 v6, 0xfc, v64
	v_mov_b32_e32 v7, 0
	v_and_b32_e32 v2, 28, v64
	s_add_i32 s14, s19, -1
	v_lshl_add_u64 v[20:21], s[0:1], 0, v[6:7]
	s_lshl_b64 s[0:1], s[24:25], 2
	v_lshl_or_b32 v85, v1, 5, v2
	v_lshlrev_b32_e32 v2, 4, v84
	s_add_u32 s0, s22, s0
	v_lshl_or_b32 v2, v1, 7, v2
	v_and_b32_e32 v6, 60, v65
	s_addc_u32 s1, s23, s1
	s_waitcnt lgkmcnt(0)
	s_mov_b32 s7, s6
	s_mov_b32 s15, s17
	v_add_u32_e32 v86, 0x1d0, v2
	v_lshl_add_u64 v[22:23], s[0:1], 0, v[6:7]
	s_mov_b64 s[8:9], 0
	v_mov_b32_e32 v6, v7
	v_mov_b32_e32 v9, v7
	;; [unrolled: 1-line block ×13, first 2 shown]
	s_branch .LBB211_40
.LBB211_39:                             ;   in Loop: Header=BB211_40 Depth=1
	s_or_b64 exec, exec, s[0:1]
	s_waitcnt lgkmcnt(0)
	v_mul_f32_e32 v78, v2, v78
	v_mul_f32_e32 v74, v2, v74
	;; [unrolled: 1-line block ×13, first 2 shown]
	v_fmac_f32_e32 v78, v3, v79
	v_fmac_f32_e32 v74, v3, v75
	;; [unrolled: 1-line block ×26, first 2 shown]
	v_pk_mul_f32 v[2:3], v[2:3], v[70:71]
	v_fmac_f32_e32 v78, v5, v77
	v_fmac_f32_e32 v74, v5, v73
	;; [unrolled: 1-line block ×13, first 2 shown]
	v_pk_mul_f32 v[4:5], v[4:5], v[36:37]
	v_add_f32_e32 v2, v3, v2
	v_add_f32_e32 v2, v4, v2
	v_add_u32_e32 v1, 2, v1
	v_add_f32_e32 v2, v5, v2
	v_cmp_le_i32_e32 vcc, s19, v1
	v_add_f32_e32 v6, v6, v78
	v_add_f32_e32 v9, v9, v74
	;; [unrolled: 1-line block ×14, first 2 shown]
	v_add_u32_e32 v85, 64, v85
	v_add_u32_e32 v86, 0x100, v86
	s_or_b64 s[8:9], vcc, s[8:9]
	v_lshl_add_u64 v[22:23], v[22:23], 0, 8
	s_andn2_b64 exec, exec, s[8:9]
	s_cbranch_execz .LBB211_68
.LBB211_40:                             ; =>This Inner Loop Header: Depth=1
	global_load_dword v2, v[22:23], off
	v_cmp_eq_u32_e32 vcc, s14, v1
	v_add_u32_e32 v87, 1, v85
	v_add_u32_e32 v70, 2, v85
	v_add_u32_e32 v71, 3, v85
	s_waitcnt vmcnt(0)
	v_mad_i64_i32 v[36:37], s[0:1], v2, s13, v[20:21]
	global_load_dword v24, v[36:37], off
	ds_read_b128 v[2:5], v86
	s_waitcnt vmcnt(0)
	v_and_b32_e32 v25, 0xffff, v24
	v_lshrrev_b32_e32 v26, 16, v24
	v_cvt_pk_f32_fp8_e32 v[24:25], v25
	v_cvt_pk_f32_fp8_e32 v[28:29], v26
	v_pk_mul_f32 v[26:27], s[6:7], v[24:25]
	v_pk_mul_f32 v[24:25], s[6:7], v[28:29]
	s_and_saveexec_b64 s[10:11], vcc
; %bb.41:                               ;   in Loop: Header=BB211_40 Depth=1
	v_cmp_gt_i32_e64 s[0:1], s17, v85
	s_nop 1
	v_cndmask_b32_e64 v26, 0, v26, s[0:1]
	v_cmp_gt_i32_e64 s[0:1], s17, v87
	s_nop 1
	v_cndmask_b32_e64 v27, 0, v27, s[0:1]
	v_cmp_gt_i32_e64 s[0:1], s17, v70
	s_nop 1
	v_cndmask_b32_e64 v24, 0, v24, s[0:1]
	v_cmp_gt_i32_e64 s[0:1], s17, v71
	s_nop 1
	v_cndmask_b32_e64 v25, 0, v25, s[0:1]
; %bb.42:                               ;   in Loop: Header=BB211_40 Depth=1
	s_or_b64 exec, exec, s[10:11]
	global_load_dword v28, v[36:37], off offset:256
	s_waitcnt vmcnt(0)
	v_and_b32_e32 v29, 0xffff, v28
	v_lshrrev_b32_e32 v30, 16, v28
	v_cvt_pk_f32_fp8_e32 v[28:29], v29
	v_cvt_pk_f32_fp8_e32 v[32:33], v30
	v_pk_mul_f32 v[30:31], s[6:7], v[28:29]
	v_pk_mul_f32 v[28:29], s[6:7], v[32:33]
	s_and_saveexec_b64 s[10:11], vcc
; %bb.43:                               ;   in Loop: Header=BB211_40 Depth=1
	v_cmp_gt_i32_e64 s[0:1], s17, v85
	s_nop 1
	v_cndmask_b32_e64 v30, 0, v30, s[0:1]
	v_cmp_gt_i32_e64 s[0:1], s17, v87
	s_nop 1
	v_cndmask_b32_e64 v31, 0, v31, s[0:1]
	v_cmp_gt_i32_e64 s[0:1], s17, v70
	s_nop 1
	v_cndmask_b32_e64 v28, 0, v28, s[0:1]
	v_cmp_gt_i32_e64 s[0:1], s17, v71
	s_nop 1
	v_cndmask_b32_e64 v29, 0, v29, s[0:1]
; %bb.44:                               ;   in Loop: Header=BB211_40 Depth=1
	s_or_b64 exec, exec, s[10:11]
	global_load_dword v32, v[36:37], off offset:512
	;; [unrolled: 24-line block ×13, first 2 shown]
	s_waitcnt vmcnt(0)
	v_and_b32_e32 v37, 0xffff, v36
	v_lshrrev_b32_e32 v70, 16, v36
	v_cvt_pk_f32_fp8_e32 v[36:37], v37
	v_cvt_pk_f32_fp8_e32 v[88:89], v70
	v_pk_mul_f32 v[70:71], s[6:7], v[36:37]
	v_pk_mul_f32 v[36:37], s[6:7], v[88:89]
	s_and_saveexec_b64 s[0:1], vcc
	s_cbranch_execz .LBB211_39
; %bb.67:                               ;   in Loop: Header=BB211_40 Depth=1
	v_cmp_gt_i32_e32 vcc, s15, v87
	v_or_b32_e32 v87, 3, v85
	v_or_b32_e32 v88, 2, v85
	v_cndmask_b32_e32 v71, 0, v71, vcc
	v_cmp_gt_i32_e32 vcc, s17, v85
	s_nop 1
	v_cndmask_b32_e32 v70, 0, v70, vcc
	v_cmp_gt_i32_e32 vcc, s15, v87
	s_nop 1
	;; [unrolled: 3-line block ×3, first 2 shown]
	v_cndmask_b32_e32 v36, 0, v36, vcc
	s_branch .LBB211_39
.LBB211_68:
	s_or_b64 exec, exec, s[8:9]
.LBB211_69:
	s_or_b64 exec, exec, s[2:3]
	ds_bpermute_b32 v2, v81, v18
	ds_bpermute_b32 v3, v81, v19
	ds_bpermute_b32 v4, v81, v16
	ds_bpermute_b32 v5, v81, v17
	ds_bpermute_b32 v20, v81, v14
	ds_bpermute_b32 v21, v81, v15
	s_waitcnt lgkmcnt(4)
	v_pk_add_f32 v[2:3], v[18:19], v[2:3]
	ds_bpermute_b32 v18, v82, v2
	s_waitcnt lgkmcnt(3)
	v_pk_add_f32 v[4:5], v[16:17], v[4:5]
	ds_bpermute_b32 v19, v82, v3
	ds_bpermute_b32 v16, v82, v4
	;; [unrolled: 1-line block ×3, first 2 shown]
	s_waitcnt lgkmcnt(4)
	v_pk_add_f32 v[14:15], v[14:15], v[20:21]
	ds_bpermute_b32 v20, v82, v14
	s_waitcnt lgkmcnt(3)
	v_pk_add_f32 v[2:3], v[2:3], v[18:19]
	ds_bpermute_b32 v18, v83, v2
	;; [unrolled: 3-line block ×3, first 2 shown]
	ds_bpermute_b32 v22, v83, v16
	ds_bpermute_b32 v23, v83, v17
	;; [unrolled: 1-line block ×3, first 2 shown]
	v_and_b32_e32 v1, 0x3c7, v0
	s_waitcnt lgkmcnt(3)
	v_pk_add_f32 v[4:5], v[2:3], v[18:19]
	v_cmp_ne_u32_e32 vcc, 64, v1
	s_waitcnt lgkmcnt(1)
	v_pk_add_f32 v[2:3], v[16:17], v[22:23]
	ds_bpermute_b32 v16, v81, v12
	ds_bpermute_b32 v17, v81, v13
	s_waitcnt lgkmcnt(2)
	v_pk_add_f32 v[14:15], v[14:15], v[20:21]
	ds_bpermute_b32 v20, v81, v10
	ds_bpermute_b32 v21, v81, v11
	;; [unrolled: 1-line block ×3, first 2 shown]
	s_waitcnt lgkmcnt(3)
	v_pk_add_f32 v[12:13], v[12:13], v[16:17]
	ds_bpermute_b32 v16, v82, v12
	ds_bpermute_b32 v17, v82, v13
	s_waitcnt lgkmcnt(3)
	v_pk_add_f32 v[10:11], v[10:11], v[20:21]
	ds_bpermute_b32 v23, v81, v9
	ds_bpermute_b32 v20, v82, v10
	;; [unrolled: 1-line block ×3, first 2 shown]
	s_waitcnt lgkmcnt(3)
	v_pk_add_f32 v[16:17], v[12:13], v[16:17]
	ds_bpermute_b32 v12, v81, v6
	ds_bpermute_b32 v13, v81, v7
	s_waitcnt lgkmcnt(4)
	v_pk_add_f32 v[8:9], v[8:9], v[22:23]
	s_waitcnt lgkmcnt(2)
	v_pk_add_f32 v[20:21], v[10:11], v[20:21]
	ds_bpermute_b32 v10, v82, v8
	ds_bpermute_b32 v11, v82, v9
	s_waitcnt lgkmcnt(2)
	v_pk_add_f32 v[30:31], v[6:7], v[12:13]
	ds_bpermute_b32 v18, v83, v14
	ds_bpermute_b32 v19, v83, v15
	ds_bpermute_b32 v32, v82, v30
	ds_bpermute_b32 v33, v82, v31
	ds_bpermute_b32 v24, v83, v16
	ds_bpermute_b32 v25, v83, v17
	s_waitcnt lgkmcnt(6)
	v_pk_add_f32 v[26:27], v[8:9], v[10:11]
	ds_bpermute_b32 v22, v83, v20
	ds_bpermute_b32 v23, v83, v21
	;; [unrolled: 1-line block ×4, first 2 shown]
	s_waitcnt lgkmcnt(8)
	v_pk_add_f32 v[12:13], v[14:15], v[18:19]
	s_waitcnt lgkmcnt(6)
	v_pk_add_f32 v[14:15], v[30:31], v[32:33]
	;; [unrolled: 2-line block ×3, first 2 shown]
	ds_bpermute_b32 v16, v83, v14
	ds_bpermute_b32 v17, v83, v15
	s_waitcnt lgkmcnt(4)
	v_pk_add_f32 v[8:9], v[20:21], v[22:23]
	s_waitcnt lgkmcnt(2)
	v_pk_add_f32 v[6:7], v[26:27], v[28:29]
	s_waitcnt lgkmcnt(0)
	s_barrier
	s_and_saveexec_b64 s[0:1], vcc
	s_xor_b64 s[0:1], exec, s[0:1]
; %bb.70:
                                        ; implicit-def: $vgpr80
; %bb.71:
	s_or_saveexec_b64 s[0:1], s[0:1]
	v_pk_add_f32 v[14:15], v[14:15], v[16:17]
	s_xor_b64 exec, exec, s[0:1]
	s_cbranch_execz .LBB211_73
; %bb.72:
	v_lshrrev_b32_e32 v16, 1, v80
	v_add_u32_e32 v16, 0x1d0, v16
	ds_write2_b32 v16, v4, v5 offset1:8
	ds_write2_b32 v16, v2, v3 offset0:16 offset1:24
	ds_write2_b32 v16, v12, v13 offset0:32 offset1:40
	;; [unrolled: 1-line block ×6, first 2 shown]
.LBB211_73:
	s_or_b64 exec, exec, s[0:1]
	v_cmp_gt_u32_e32 vcc, 64, v0
	v_lshrrev_b32_e32 v0, 3, v0
	s_waitcnt lgkmcnt(0)
	s_barrier
	s_and_saveexec_b64 s[0:1], vcc
	s_cbranch_execz .LBB211_90
; %bb.74:
	v_mov_b32_e32 v16, 0x1d0
	v_cmp_eq_u32_e32 vcc, 0, v84
	v_lshl_add_u32 v16, v0, 2, v16
	s_and_saveexec_b64 s[2:3], vcc
	s_cbranch_execnz .LBB211_93
; %bb.75:
	s_or_b64 exec, exec, s[2:3]
	s_and_saveexec_b64 s[2:3], vcc
	s_cbranch_execnz .LBB211_94
.LBB211_76:
	s_or_b64 exec, exec, s[2:3]
	s_and_saveexec_b64 s[2:3], vcc
	s_cbranch_execnz .LBB211_95
.LBB211_77:
	s_or_b64 exec, exec, s[2:3]
	s_and_saveexec_b64 s[2:3], vcc
	s_cbranch_execnz .LBB211_96
.LBB211_78:
	s_or_b64 exec, exec, s[2:3]
	s_and_saveexec_b64 s[2:3], vcc
	s_cbranch_execnz .LBB211_97
.LBB211_79:
	s_or_b64 exec, exec, s[2:3]
	s_and_saveexec_b64 s[2:3], vcc
	s_cbranch_execnz .LBB211_98
.LBB211_80:
	s_or_b64 exec, exec, s[2:3]
	s_and_saveexec_b64 s[2:3], vcc
	s_cbranch_execnz .LBB211_99
.LBB211_81:
	s_or_b64 exec, exec, s[2:3]
	s_and_saveexec_b64 s[2:3], vcc
	s_cbranch_execnz .LBB211_100
.LBB211_82:
	s_or_b64 exec, exec, s[2:3]
	s_and_saveexec_b64 s[2:3], vcc
	s_cbranch_execnz .LBB211_101
.LBB211_83:
	s_or_b64 exec, exec, s[2:3]
	s_and_saveexec_b64 s[2:3], vcc
	s_cbranch_execnz .LBB211_102
.LBB211_84:
	s_or_b64 exec, exec, s[2:3]
	s_and_saveexec_b64 s[2:3], vcc
	s_cbranch_execnz .LBB211_103
.LBB211_85:
	s_or_b64 exec, exec, s[2:3]
	s_and_saveexec_b64 s[2:3], vcc
	s_cbranch_execnz .LBB211_104
.LBB211_86:
	s_or_b64 exec, exec, s[2:3]
	s_and_saveexec_b64 s[2:3], vcc
	s_cbranch_execnz .LBB211_105
.LBB211_87:
	s_or_b64 exec, exec, s[2:3]
	s_and_saveexec_b64 s[2:3], vcc
	s_cbranch_execz .LBB211_89
.LBB211_88:
	ds_read_b32 v16, v16 offset:416
	s_waitcnt lgkmcnt(0)
	v_add_f32_e32 v15, v15, v16
.LBB211_89:
	s_or_b64 exec, exec, s[2:3]
.LBB211_90:
	s_or_b64 exec, exec, s[0:1]
	v_cmp_eq_u32_e32 vcc, 0, v1
	s_barrier
	s_and_saveexec_b64 s[0:1], vcc
	s_cbranch_execz .LBB211_92
; %bb.91:
	s_mul_i32 s0, s16, s12
	s_mul_i32 s0, s0, s5
	s_mulk_i32 s0, 0x70
	s_ashr_i32 s1, s0, 31
	s_lshl_b64 s[0:1], s[0:1], 2
	s_add_u32 s2, s20, s0
	s_mul_i32 s0, s12, s18
	s_addc_u32 s3, s21, s1
	s_ashr_i32 s1, s0, 31
	s_lshl_b64 s[0:1], s[0:1], 2
	s_add_u32 s2, s2, s0
	s_mul_i32 s0, s4, 0x70
	s_addc_u32 s3, s3, s1
	s_ashr_i32 s1, s0, 31
	s_lshl_b64 s[0:1], s[0:1], 2
	s_add_u32 s0, s2, s0
	s_addc_u32 s1, s3, s1
	v_lshlrev_b32_e32 v0, 2, v0
	global_store_dword v0, v4, s[0:1]
	global_store_dword v0, v5, s[0:1] offset:32
	global_store_dword v0, v2, s[0:1] offset:64
	;; [unrolled: 1-line block ×13, first 2 shown]
.LBB211_92:
	s_endpgm
.LBB211_93:
	ds_read_b32 v17, v16
	s_waitcnt lgkmcnt(0)
	v_add_f32_e32 v4, v4, v17
	s_or_b64 exec, exec, s[2:3]
	s_and_saveexec_b64 s[2:3], vcc
	s_cbranch_execz .LBB211_76
.LBB211_94:
	ds_read_b32 v17, v16 offset:32
	s_waitcnt lgkmcnt(0)
	v_add_f32_e32 v5, v5, v17
	s_or_b64 exec, exec, s[2:3]
	s_and_saveexec_b64 s[2:3], vcc
	s_cbranch_execz .LBB211_77
.LBB211_95:
	ds_read_b32 v17, v16 offset:64
	s_waitcnt lgkmcnt(0)
	v_add_f32_e32 v2, v2, v17
	s_or_b64 exec, exec, s[2:3]
	s_and_saveexec_b64 s[2:3], vcc
	s_cbranch_execz .LBB211_78
.LBB211_96:
	ds_read_b32 v17, v16 offset:96
	s_waitcnt lgkmcnt(0)
	v_add_f32_e32 v3, v3, v17
	s_or_b64 exec, exec, s[2:3]
	s_and_saveexec_b64 s[2:3], vcc
	s_cbranch_execz .LBB211_79
.LBB211_97:
	ds_read_b32 v17, v16 offset:128
	s_waitcnt lgkmcnt(0)
	v_add_f32_e32 v12, v12, v17
	s_or_b64 exec, exec, s[2:3]
	s_and_saveexec_b64 s[2:3], vcc
	s_cbranch_execz .LBB211_80
.LBB211_98:
	ds_read_b32 v17, v16 offset:160
	s_waitcnt lgkmcnt(0)
	v_add_f32_e32 v13, v13, v17
	s_or_b64 exec, exec, s[2:3]
	s_and_saveexec_b64 s[2:3], vcc
	s_cbranch_execz .LBB211_81
.LBB211_99:
	ds_read_b32 v17, v16 offset:192
	s_waitcnt lgkmcnt(0)
	v_add_f32_e32 v10, v10, v17
	s_or_b64 exec, exec, s[2:3]
	s_and_saveexec_b64 s[2:3], vcc
	s_cbranch_execz .LBB211_82
.LBB211_100:
	ds_read_b32 v17, v16 offset:224
	s_waitcnt lgkmcnt(0)
	v_add_f32_e32 v11, v11, v17
	s_or_b64 exec, exec, s[2:3]
	s_and_saveexec_b64 s[2:3], vcc
	s_cbranch_execz .LBB211_83
.LBB211_101:
	ds_read_b32 v17, v16 offset:256
	s_waitcnt lgkmcnt(0)
	v_add_f32_e32 v8, v8, v17
	s_or_b64 exec, exec, s[2:3]
	s_and_saveexec_b64 s[2:3], vcc
	s_cbranch_execz .LBB211_84
.LBB211_102:
	ds_read_b32 v17, v16 offset:288
	s_waitcnt lgkmcnt(0)
	v_add_f32_e32 v9, v9, v17
	s_or_b64 exec, exec, s[2:3]
	s_and_saveexec_b64 s[2:3], vcc
	s_cbranch_execz .LBB211_85
.LBB211_103:
	ds_read_b32 v17, v16 offset:320
	s_waitcnt lgkmcnt(0)
	v_add_f32_e32 v6, v6, v17
	s_or_b64 exec, exec, s[2:3]
	s_and_saveexec_b64 s[2:3], vcc
	s_cbranch_execz .LBB211_86
.LBB211_104:
	ds_read_b32 v17, v16 offset:352
	s_waitcnt lgkmcnt(0)
	v_add_f32_e32 v7, v7, v17
	s_or_b64 exec, exec, s[2:3]
	s_and_saveexec_b64 s[2:3], vcc
	s_cbranch_execz .LBB211_87
.LBB211_105:
	ds_read_b32 v17, v16 offset:384
	s_waitcnt lgkmcnt(0)
	v_add_f32_e32 v14, v14, v17
	s_or_b64 exec, exec, s[2:3]
	s_and_saveexec_b64 s[2:3], vcc
	s_cbranch_execnz .LBB211_88
	s_branch .LBB211_89
	.section	.rodata,"a",@progbits
	.p2align	6, 0x0
	.amdhsa_kernel _ZN4vllm25paged_attention_v1_kernelIfhLi112ELi32ELi128ELNS_18Fp8KVCacheDataTypeE1ELb0EEEvPT_PKS2_PKT0_S8_ifPKiSA_iPKfiiiSC_SC_iiiii
		.amdhsa_group_segment_fixed_size 464
		.amdhsa_private_segment_fixed_size 0
		.amdhsa_kernarg_size 384
		.amdhsa_user_sgpr_count 2
		.amdhsa_user_sgpr_dispatch_ptr 0
		.amdhsa_user_sgpr_queue_ptr 0
		.amdhsa_user_sgpr_kernarg_segment_ptr 1
		.amdhsa_user_sgpr_dispatch_id 0
		.amdhsa_user_sgpr_kernarg_preload_length 0
		.amdhsa_user_sgpr_kernarg_preload_offset 0
		.amdhsa_user_sgpr_private_segment_size 0
		.amdhsa_uses_dynamic_stack 0
		.amdhsa_enable_private_segment 0
		.amdhsa_system_sgpr_workgroup_id_x 1
		.amdhsa_system_sgpr_workgroup_id_y 1
		.amdhsa_system_sgpr_workgroup_id_z 1
		.amdhsa_system_sgpr_workgroup_info 0
		.amdhsa_system_vgpr_workitem_id 0
		.amdhsa_next_free_vgpr 105
		.amdhsa_next_free_sgpr 38
		.amdhsa_accum_offset 108
		.amdhsa_reserve_vcc 1
		.amdhsa_float_round_mode_32 0
		.amdhsa_float_round_mode_16_64 0
		.amdhsa_float_denorm_mode_32 3
		.amdhsa_float_denorm_mode_16_64 3
		.amdhsa_dx10_clamp 1
		.amdhsa_ieee_mode 1
		.amdhsa_fp16_overflow 0
		.amdhsa_tg_split 0
		.amdhsa_exception_fp_ieee_invalid_op 0
		.amdhsa_exception_fp_denorm_src 0
		.amdhsa_exception_fp_ieee_div_zero 0
		.amdhsa_exception_fp_ieee_overflow 0
		.amdhsa_exception_fp_ieee_underflow 0
		.amdhsa_exception_fp_ieee_inexact 0
		.amdhsa_exception_int_div_zero 0
	.end_amdhsa_kernel
	.section	.text._ZN4vllm25paged_attention_v1_kernelIfhLi112ELi32ELi128ELNS_18Fp8KVCacheDataTypeE1ELb0EEEvPT_PKS2_PKT0_S8_ifPKiSA_iPKfiiiSC_SC_iiiii,"axG",@progbits,_ZN4vllm25paged_attention_v1_kernelIfhLi112ELi32ELi128ELNS_18Fp8KVCacheDataTypeE1ELb0EEEvPT_PKS2_PKT0_S8_ifPKiSA_iPKfiiiSC_SC_iiiii,comdat
.Lfunc_end211:
	.size	_ZN4vllm25paged_attention_v1_kernelIfhLi112ELi32ELi128ELNS_18Fp8KVCacheDataTypeE1ELb0EEEvPT_PKS2_PKT0_S8_ifPKiSA_iPKfiiiSC_SC_iiiii, .Lfunc_end211-_ZN4vllm25paged_attention_v1_kernelIfhLi112ELi32ELi128ELNS_18Fp8KVCacheDataTypeE1ELb0EEEvPT_PKS2_PKT0_S8_ifPKiSA_iPKfiiiSC_SC_iiiii
                                        ; -- End function
	.set _ZN4vllm25paged_attention_v1_kernelIfhLi112ELi32ELi128ELNS_18Fp8KVCacheDataTypeE1ELb0EEEvPT_PKS2_PKT0_S8_ifPKiSA_iPKfiiiSC_SC_iiiii.num_vgpr, 105
	.set _ZN4vllm25paged_attention_v1_kernelIfhLi112ELi32ELi128ELNS_18Fp8KVCacheDataTypeE1ELb0EEEvPT_PKS2_PKT0_S8_ifPKiSA_iPKfiiiSC_SC_iiiii.num_agpr, 0
	.set _ZN4vllm25paged_attention_v1_kernelIfhLi112ELi32ELi128ELNS_18Fp8KVCacheDataTypeE1ELb0EEEvPT_PKS2_PKT0_S8_ifPKiSA_iPKfiiiSC_SC_iiiii.numbered_sgpr, 38
	.set _ZN4vllm25paged_attention_v1_kernelIfhLi112ELi32ELi128ELNS_18Fp8KVCacheDataTypeE1ELb0EEEvPT_PKS2_PKT0_S8_ifPKiSA_iPKfiiiSC_SC_iiiii.num_named_barrier, 0
	.set _ZN4vllm25paged_attention_v1_kernelIfhLi112ELi32ELi128ELNS_18Fp8KVCacheDataTypeE1ELb0EEEvPT_PKS2_PKT0_S8_ifPKiSA_iPKfiiiSC_SC_iiiii.private_seg_size, 0
	.set _ZN4vllm25paged_attention_v1_kernelIfhLi112ELi32ELi128ELNS_18Fp8KVCacheDataTypeE1ELb0EEEvPT_PKS2_PKT0_S8_ifPKiSA_iPKfiiiSC_SC_iiiii.uses_vcc, 1
	.set _ZN4vllm25paged_attention_v1_kernelIfhLi112ELi32ELi128ELNS_18Fp8KVCacheDataTypeE1ELb0EEEvPT_PKS2_PKT0_S8_ifPKiSA_iPKfiiiSC_SC_iiiii.uses_flat_scratch, 0
	.set _ZN4vllm25paged_attention_v1_kernelIfhLi112ELi32ELi128ELNS_18Fp8KVCacheDataTypeE1ELb0EEEvPT_PKS2_PKT0_S8_ifPKiSA_iPKfiiiSC_SC_iiiii.has_dyn_sized_stack, 0
	.set _ZN4vllm25paged_attention_v1_kernelIfhLi112ELi32ELi128ELNS_18Fp8KVCacheDataTypeE1ELb0EEEvPT_PKS2_PKT0_S8_ifPKiSA_iPKfiiiSC_SC_iiiii.has_recursion, 0
	.set _ZN4vllm25paged_attention_v1_kernelIfhLi112ELi32ELi128ELNS_18Fp8KVCacheDataTypeE1ELb0EEEvPT_PKS2_PKT0_S8_ifPKiSA_iPKfiiiSC_SC_iiiii.has_indirect_call, 0
	.section	.AMDGPU.csdata,"",@progbits
; Kernel info:
; codeLenInByte = 7344
; TotalNumSgprs: 44
; NumVgprs: 105
; NumAgprs: 0
; TotalNumVgprs: 105
; ScratchSize: 0
; MemoryBound: 0
; FloatMode: 240
; IeeeMode: 1
; LDSByteSize: 464 bytes/workgroup (compile time only)
; SGPRBlocks: 5
; VGPRBlocks: 13
; NumSGPRsForWavesPerEU: 44
; NumVGPRsForWavesPerEU: 105
; AccumOffset: 108
; Occupancy: 4
; WaveLimiterHint : 1
; COMPUTE_PGM_RSRC2:SCRATCH_EN: 0
; COMPUTE_PGM_RSRC2:USER_SGPR: 2
; COMPUTE_PGM_RSRC2:TRAP_HANDLER: 0
; COMPUTE_PGM_RSRC2:TGID_X_EN: 1
; COMPUTE_PGM_RSRC2:TGID_Y_EN: 1
; COMPUTE_PGM_RSRC2:TGID_Z_EN: 1
; COMPUTE_PGM_RSRC2:TIDIG_COMP_CNT: 0
; COMPUTE_PGM_RSRC3_GFX90A:ACCUM_OFFSET: 26
; COMPUTE_PGM_RSRC3_GFX90A:TG_SPLIT: 0
	.section	.text._ZN4vllm25paged_attention_v1_kernelIfhLi120ELi32ELi128ELNS_18Fp8KVCacheDataTypeE1ELb0EEEvPT_PKS2_PKT0_S8_ifPKiSA_iPKfiiiSC_SC_iiiii,"axG",@progbits,_ZN4vllm25paged_attention_v1_kernelIfhLi120ELi32ELi128ELNS_18Fp8KVCacheDataTypeE1ELb0EEEvPT_PKS2_PKT0_S8_ifPKiSA_iPKfiiiSC_SC_iiiii,comdat
	.protected	_ZN4vllm25paged_attention_v1_kernelIfhLi120ELi32ELi128ELNS_18Fp8KVCacheDataTypeE1ELb0EEEvPT_PKS2_PKT0_S8_ifPKiSA_iPKfiiiSC_SC_iiiii ; -- Begin function _ZN4vllm25paged_attention_v1_kernelIfhLi120ELi32ELi128ELNS_18Fp8KVCacheDataTypeE1ELb0EEEvPT_PKS2_PKT0_S8_ifPKiSA_iPKfiiiSC_SC_iiiii
	.globl	_ZN4vllm25paged_attention_v1_kernelIfhLi120ELi32ELi128ELNS_18Fp8KVCacheDataTypeE1ELb0EEEvPT_PKS2_PKT0_S8_ifPKiSA_iPKfiiiSC_SC_iiiii
	.p2align	8
	.type	_ZN4vllm25paged_attention_v1_kernelIfhLi120ELi32ELi128ELNS_18Fp8KVCacheDataTypeE1ELb0EEEvPT_PKS2_PKT0_S8_ifPKiSA_iPKfiiiSC_SC_iiiii,@function
_ZN4vllm25paged_attention_v1_kernelIfhLi120ELi32ELi128ELNS_18Fp8KVCacheDataTypeE1ELb0EEEvPT_PKS2_PKT0_S8_ifPKiSA_iPKfiiiSC_SC_iiiii: ; @_ZN4vllm25paged_attention_v1_kernelIfhLi120ELi32ELi128ELNS_18Fp8KVCacheDataTypeE1ELb0EEEvPT_PKS2_PKT0_S8_ifPKiSA_iPKfiiiSC_SC_iiiii
; %bb.0:
	s_load_dword s5, s[0:1], 0x80
	s_load_dwordx2 s[6:7], s[0:1], 0x30
	s_load_dwordx2 s[28:29], s[0:1], 0x20
	s_mov_b32 s16, s3
	s_ashr_i32 s17, s3, 31
	s_lshl_b64 s[8:9], s[16:17], 2
	s_waitcnt lgkmcnt(0)
	s_add_u32 s6, s6, s8
	s_addc_u32 s7, s7, s9
	s_abs_i32 s3, s28
	v_cvt_f32_u32_e32 v1, s3
	s_sub_i32 s10, 0, s3
	s_abs_i32 s9, s5
	s_xor_b32 s8, s5, s28
	v_rcp_iflag_f32_e32 v1, v1
	s_ashr_i32 s8, s8, 31
	s_mov_b32 s28, 0
	v_mul_f32_e32 v1, 0x4f7ffffe, v1
	v_cvt_u32_f32_e32 v1, v1
	s_nop 0
	v_readfirstlane_b32 s11, v1
	s_mul_i32 s10, s10, s11
	s_mul_hi_u32 s10, s11, s10
	s_add_i32 s11, s11, s10
	s_mul_hi_u32 s10, s9, s11
	s_mul_i32 s11, s10, s3
	s_sub_i32 s9, s9, s11
	s_add_i32 s11, s10, 1
	s_sub_i32 s12, s9, s3
	s_cmp_ge_u32 s9, s3
	s_cselect_b32 s10, s11, s10
	s_cselect_b32 s9, s12, s9
	s_add_i32 s11, s10, 1
	s_cmp_ge_u32 s9, s3
	s_cselect_b32 s3, s11, s10
	s_xor_b32 s3, s3, s8
	s_sub_i32 s12, s3, s8
	s_abs_i32 s10, s12
	v_cvt_f32_u32_e32 v1, s10
	s_load_dwordx2 s[8:9], s[0:1], 0x40
	s_sub_i32 s3, 0, s10
	s_abs_i32 s11, s2
	v_rcp_iflag_f32_e32 v1, v1
	s_nop 0
	v_mul_f32_e32 v1, 0x4f7ffffe, v1
	v_cvt_u32_f32_e32 v1, v1
	s_nop 0
	v_readfirstlane_b32 s13, v1
	s_mul_i32 s3, s3, s13
	s_mul_hi_u32 s3, s13, s3
	s_add_i32 s13, s13, s3
	s_waitcnt lgkmcnt(0)
	s_cmp_eq_u64 s[8:9], 0
	s_mul_hi_u32 s20, s11, s13
	s_cbranch_scc1 .LBB212_2
; %bb.1:
	s_ashr_i32 s3, s2, 31
	s_lshl_b64 s[14:15], s[2:3], 2
	s_add_u32 s8, s8, s14
	s_addc_u32 s9, s9, s15
	s_load_dword s28, s[8:9], 0x0
.LBB212_2:
	s_load_dword s17, s[6:7], 0x0
	s_ashr_i32 s7, s12, 31
	s_load_dwordx4 s[12:15], s[0:1], 0x48
	s_ashr_i32 s6, s2, 31
	v_and_b32_e32 v42, 1, v0
	s_mul_i32 s18, s2, 0x78
	v_cmp_gt_u32_e32 vcc, 60, v0
	v_lshlrev_b32_e32 v68, 2, v0
	s_and_saveexec_b64 s[2:3], vcc
	s_cbranch_execz .LBB212_4
; %bb.3:
	s_load_dwordx2 s[8:9], s[0:1], 0x8
	s_waitcnt lgkmcnt(0)
	s_mul_i32 s22, s12, s16
	s_ashr_i32 s23, s22, 31
	s_lshl_b64 s[22:23], s[22:23], 2
	v_lshlrev_b32_e32 v1, 3, v0
	s_add_u32 s12, s8, s22
	s_addc_u32 s15, s9, s23
	s_ashr_i32 s19, s18, 31
	s_lshl_b64 s[8:9], s[18:19], 2
	s_add_u32 s8, s12, s8
	s_addc_u32 s9, s15, s9
	global_load_dwordx2 v[2:3], v1, s[8:9]
	v_and_b32_e32 v1, 0xff8, v68
	s_movk_i32 s8, 0xf0
	v_mad_u32_u24 v1, v42, s8, v1
	s_waitcnt vmcnt(0)
	ds_write_b64 v1, v[2:3]
.LBB212_4:
	s_or_b64 exec, exec, s[2:3]
	s_waitcnt lgkmcnt(0)
	s_add_i32 s3, s17, 31
	s_ashr_i32 s8, s3, 31
	s_lshr_b32 s8, s8, 27
	s_add_i32 s3, s3, s8
	s_ashr_i32 s19, s3, 5
	s_xor_b32 s3, s6, s7
	s_mul_i32 s6, s20, s10
	s_sub_i32 s6, s11, s6
	s_add_i32 s7, s20, 1
	s_sub_i32 s8, s6, s10
	s_load_dwordx2 s[22:23], s[0:1], 0x28
	s_load_dword s2, s[0:1], 0x38
	s_cmp_ge_u32 s6, s10
	s_cselect_b32 s7, s7, s20
	s_cselect_b32 s6, s8, s6
	s_add_i32 s8, s7, 1
	s_cmp_ge_u32 s6, s10
	s_cselect_b32 s6, s8, s7
	v_lshrrev_b32_e32 v1, 6, v0
	s_xor_b32 s6, s6, s3
	s_waitcnt lgkmcnt(0)
	s_mul_i32 s24, s2, s16
	s_sub_i32 s33, s6, s3
	s_ashr_i32 s25, s24, 31
	v_cmp_gt_i32_e64 s[6:7], s19, v1
	v_cmp_le_i32_e32 vcc, s19, v1
	v_mbcnt_lo_u32_b32 v43, -1, 0
	s_barrier
                                        ; implicit-def: $vgpr70
                                        ; implicit-def: $vgpr71
                                        ; implicit-def: $vgpr72
	s_and_saveexec_b64 s[2:3], vcc
	s_xor_b64 s[2:3], exec, s[2:3]
; %bb.5:
	v_mbcnt_hi_u32_b32 v70, -1, v43
	v_and_b32_e32 v71, 64, v70
	v_add_u32_e32 v72, 64, v71
                                        ; implicit-def: $vgpr42
                                        ; implicit-def: $vgpr43
; %bb.6:
	s_or_saveexec_b64 s[30:31], s[2:3]
	s_load_dwordx2 s[20:21], s[0:1], 0x0
	s_load_dwordx2 s[26:27], s[0:1], 0x18
	s_load_dword s12, s[0:1], 0x88
	s_load_dwordx4 s[8:11], s[0:1], 0x58
	v_mov_b32_e32 v73, 0xff7fffff
	s_mul_i32 s33, s33, s14
	v_lshrrev_b32_e32 v69, 4, v0
	s_xor_b64 exec, exec, s[30:31]
	s_cbranch_execz .LBB212_12
; %bb.7:
	s_load_dwordx2 s[0:1], s[0:1], 0x10
	v_mul_u32_u24_e32 v58, 0xf0, v42
	v_mbcnt_hi_u32_b32 v70, -1, v43
	s_ashr_i32 s2, s33, 31
	ds_read_b128 v[2:5], v58
	ds_read_b128 v[6:9], v58 offset:16
	ds_read_b128 v[10:13], v58 offset:32
	ds_read_b128 v[14:17], v58 offset:48
	ds_read_b128 v[18:21], v58 offset:64
	ds_read_b128 v[22:25], v58 offset:80
	ds_read_b128 v[26:29], v58 offset:96
	ds_read_b128 v[30:33], v58 offset:112
	ds_read_b128 v[34:37], v58 offset:128
	ds_read_b128 v[38:41], v58 offset:144
	v_and_b32_e32 v71, 64, v70
	v_bfe_u32 v46, v0, 1, 5
	s_waitcnt lgkmcnt(0)
	s_add_u32 s0, s0, s33
	v_xor_b32_e32 v43, 1, v70
	v_add_u32_e32 v72, 64, v71
	v_lshlrev_b32_e32 v64, 4, v46
	s_addc_u32 s1, s1, s2
	v_mov_b32_e32 v65, 0
	v_cmp_lt_i32_e32 vcc, v43, v72
	v_lshl_add_u64 v[44:45], s[0:1], 0, v[64:65]
	v_lshlrev_b32_e32 v64, 1, v42
	v_cndmask_b32_e32 v43, v70, v43, vcc
	v_cmp_eq_u32_e32 vcc, 0, v42
	v_lshlrev_b32_e32 v42, 2, v46
	v_lshl_or_b32 v42, v1, 7, v42
	s_load_dword s8, s[8:9], 0x0
	v_lshlrev_b32_e32 v74, 2, v43
	v_lshl_add_u64 v[62:63], v[44:45], 0, v[64:65]
	v_lshl_or_b32 v75, v1, 5, v46
	v_add_u32_e32 v76, 0x1f0, v42
	ds_read_b128 v[42:45], v58 offset:160
	ds_read_b128 v[46:49], v58 offset:176
	;; [unrolled: 1-line block ×5, first 2 shown]
	s_sub_i32 s37, 1, s17
	s_lshl_b64 s[0:1], s[24:25], 2
	s_add_u32 s0, s22, s0
	v_and_b32_e32 v64, 60, v69
	s_addc_u32 s1, s23, s1
	s_mov_b32 s36, s13
	v_cmp_neq_f32_e64 s[2:3], s28, 0
	s_waitcnt lgkmcnt(0)
	s_mov_b32 s9, s8
	v_lshl_add_u64 v[64:65], s[0:1], 0, v[64:65]
	v_mov_b32_e32 v73, 0xff7fffff
	s_mov_b64 s[14:15], 0
	v_mov_b32_e32 v77, v1
	s_branch .LBB212_9
.LBB212_8:                              ;   in Loop: Header=BB212_9 Depth=1
	s_or_b64 exec, exec, s[34:35]
	v_add_u32_e32 v77, 2, v77
	v_cmp_le_i32_e64 s[0:1], s19, v77
	v_add_u32_e32 v75, 64, v75
	v_add_u32_e32 v76, 0x100, v76
	s_or_b64 s[14:15], s[0:1], s[14:15]
	v_lshl_add_u64 v[64:65], v[64:65], 0, 8
	s_andn2_b64 exec, exec, s[14:15]
	s_cbranch_execz .LBB212_11
.LBB212_9:                              ; =>This Inner Loop Header: Depth=1
	global_load_dword v66, v[64:65], off
	s_waitcnt vmcnt(0) lgkmcnt(0)
	v_mad_i64_i32 v[66:67], s[0:1], v66, s36, v[62:63]
	global_load_ushort v81, v[66:67], off offset:4
	global_load_ushort v86, v[66:67], off offset:8
	global_load_ushort v88, v[66:67], off offset:12
	global_load_ushort v89, v[66:67], off offset:512
	global_load_ushort v80, v[66:67], off offset:516
	global_load_ushort v79, v[66:67], off offset:520
	global_load_ushort v78, v[66:67], off offset:524
	global_load_ushort v84, v[66:67], off
	global_load_ushort v90, v[66:67], off offset:1024
	global_load_ushort v91, v[66:67], off offset:1028
	;; [unrolled: 1-line block ×22, first 2 shown]
	s_waitcnt vmcnt(29)
	v_cvt_pk_f32_fp8_e32 v[82:83], v81
	s_waitcnt vmcnt(28)
	v_cvt_pk_f32_fp8_e32 v[86:87], v86
	v_pk_mul_f32 v[82:83], s[8:9], v[82:83]
	s_nop 0
	v_mul_f32_e32 v103, v4, v82
	v_mul_f32_e32 v104, v5, v83
	s_waitcnt vmcnt(22)
	v_cvt_pk_f32_fp8_e32 v[84:85], v84
	v_cvt_pk_f32_fp8_e32 v[82:83], v88
	;; [unrolled: 1-line block ×3, first 2 shown]
	v_pk_mul_f32 v[86:87], s[8:9], v[86:87]
	v_pk_mul_f32 v[84:85], v[84:85], s[8:9]
	v_cvt_pk_f32_fp8_e32 v[66:67], v79
	v_fmac_f32_e32 v103, v2, v84
	v_fmac_f32_e32 v104, v3, v85
	v_cvt_pk_f32_fp8_e32 v[84:85], v89
	v_fmac_f32_e32 v103, v6, v86
	v_fmac_f32_e32 v104, v7, v87
	v_pk_mul_f32 v[82:83], s[8:9], v[82:83]
	v_pk_mul_f32 v[80:81], s[8:9], v[80:81]
	v_fmac_f32_e32 v103, v8, v82
	v_fmac_f32_e32 v104, v9, v83
	v_pk_mul_f32 v[82:83], s[8:9], v[84:85]
	v_pk_mul_f32 v[66:67], s[8:9], v[66:67]
	v_fmac_f32_e32 v103, v10, v82
	v_fmac_f32_e32 v104, v11, v83
	;; [unrolled: 1-line block ×6, first 2 shown]
	v_cvt_pk_f32_fp8_e32 v[66:67], v78
	s_waitcnt vmcnt(21)
	v_cvt_pk_f32_fp8_e32 v[78:79], v90
	s_waitcnt vmcnt(19)
	;; [unrolled: 2-line block ×3, first 2 shown]
	v_cvt_pk_f32_fp8_e32 v[82:83], v94
	v_pk_mul_f32 v[66:67], s[8:9], v[66:67]
	v_pk_mul_f32 v[78:79], s[8:9], v[78:79]
	v_fmac_f32_e32 v103, v16, v66
	v_fmac_f32_e32 v104, v17, v67
	v_cvt_pk_f32_fp8_e32 v[66:67], v91
	v_fmac_f32_e32 v103, v18, v78
	v_fmac_f32_e32 v104, v19, v79
	v_cvt_pk_f32_fp8_e32 v[78:79], v93
	v_pk_mul_f32 v[66:67], s[8:9], v[66:67]
	s_waitcnt vmcnt(15)
	v_cvt_pk_f32_fp8_e32 v[84:85], v96
	v_fmac_f32_e32 v103, v20, v66
	v_fmac_f32_e32 v104, v21, v67
	v_cvt_pk_f32_fp8_e32 v[66:67], v95
	v_pk_mul_f32 v[80:81], s[8:9], v[80:81]
	v_pk_mul_f32 v[78:79], s[8:9], v[78:79]
	v_fmac_f32_e32 v103, v22, v80
	v_fmac_f32_e32 v104, v23, v81
	s_waitcnt vmcnt(14)
	v_cvt_pk_f32_fp8_e32 v[80:81], v97
	s_waitcnt vmcnt(13)
	v_cvt_pk_f32_fp8_e32 v[86:87], v98
	v_fmac_f32_e32 v103, v24, v78
	v_fmac_f32_e32 v104, v25, v79
	v_pk_mul_f32 v[82:83], s[8:9], v[82:83]
	s_waitcnt vmcnt(12)
	v_cvt_pk_f32_fp8_e32 v[78:79], v99
	v_fmac_f32_e32 v103, v26, v82
	v_fmac_f32_e32 v104, v27, v83
	v_pk_mul_f32 v[66:67], s[8:9], v[66:67]
	;; [unrolled: 5-line block ×7, first 2 shown]
	s_waitcnt vmcnt(6)
	v_cvt_pk_f32_fp8_e32 v[84:85], v107
	v_pk_mul_f32 v[82:83], s[8:9], v[82:83]
	v_fmac_f32_e32 v103, v38, v88
	v_fmac_f32_e32 v104, v39, v89
	s_waitcnt vmcnt(5)
	v_cvt_pk_f32_fp8_e32 v[94:95], v108
	v_pk_mul_f32 v[90:91], s[8:9], v[90:91]
	v_fmac_f32_e32 v103, v40, v82
	v_fmac_f32_e32 v104, v41, v83
	;; [unrolled: 5-line block ×7, first 2 shown]
	v_pk_mul_f32 v[96:97], s[8:9], v[96:97]
	v_fmac_f32_e32 v103, v52, v80
	v_fmac_f32_e32 v104, v53, v81
	v_pk_mul_f32 v[86:87], s[8:9], v[86:87]
	v_fmac_f32_e32 v103, v54, v96
	v_fmac_f32_e32 v104, v55, v97
	;; [unrolled: 3-line block ×4, first 2 shown]
	v_fmac_f32_e32 v103, v60, v78
	v_fmac_f32_e32 v104, v61, v79
	v_add_f32_e32 v66, v103, v104
	ds_bpermute_b32 v67, v74, v66
	s_and_saveexec_b64 s[34:35], vcc
	s_cbranch_execz .LBB212_8
; %bb.10:                               ;   in Loop: Header=BB212_9 Depth=1
	v_add_u32_e32 v78, s37, v75
	v_cvt_f32_i32_e32 v78, v78
	s_waitcnt lgkmcnt(0)
	v_add_f32_e32 v66, v66, v67
	v_cmp_gt_i32_e64 s[0:1], s17, v75
	v_max_f32_e32 v67, v73, v73
	v_mul_f32_e32 v78, s28, v78
	v_cndmask_b32_e64 v78, 0, v78, s[2:3]
	v_fmac_f32_e32 v78, s29, v66
	v_cndmask_b32_e64 v66, 0, v78, s[0:1]
	ds_write_b32 v76, v66
	v_max_f32_e32 v66, v67, v78
	v_cndmask_b32_e64 v73, v73, v66, s[0:1]
	s_branch .LBB212_8
.LBB212_11:
	s_or_b64 exec, exec, s[14:15]
.LBB212_12:
	s_or_b64 exec, exec, s[30:31]
	v_xor_b32_e32 v2, 32, v70
	v_cmp_lt_i32_e32 vcc, v2, v72
	v_xor_b32_e32 v5, 16, v70
	v_max_f32_e32 v4, v73, v73
	v_cndmask_b32_e32 v2, v70, v2, vcc
	v_lshlrev_b32_e32 v2, 2, v2
	ds_bpermute_b32 v3, v2, v73
	v_cmp_lt_i32_e32 vcc, v5, v72
	v_xor_b32_e32 v6, 8, v70
	v_xor_b32_e32 v7, 4, v70
	v_and_b32_e32 v86, 63, v0
	s_waitcnt lgkmcnt(0)
	v_max_f32_e32 v3, v3, v3
	v_max_f32_e32 v4, v4, v3
	v_cndmask_b32_e32 v3, v70, v5, vcc
	v_lshlrev_b32_e32 v3, 2, v3
	ds_bpermute_b32 v5, v3, v4
	v_cmp_lt_i32_e32 vcc, v6, v72
	s_waitcnt lgkmcnt(0)
	v_max_f32_e32 v5, v5, v5
	v_max_f32_e32 v5, v4, v5
	v_cndmask_b32_e32 v4, v70, v6, vcc
	v_lshlrev_b32_e32 v4, 2, v4
	ds_bpermute_b32 v6, v4, v5
	v_cmp_lt_i32_e32 vcc, v7, v72
	s_waitcnt lgkmcnt(0)
	v_max_f32_e32 v6, v6, v6
	v_max_f32_e32 v5, v5, v6
	v_cndmask_b32_e32 v6, v70, v7, vcc
	v_lshlrev_b32_e32 v87, 2, v6
	ds_bpermute_b32 v6, v87, v5
	v_xor_b32_e32 v7, 2, v70
	v_cmp_lt_i32_e32 vcc, v7, v72
	s_waitcnt lgkmcnt(0)
	v_max_f32_e32 v6, v6, v6
	v_max_f32_e32 v6, v5, v6
	v_cndmask_b32_e32 v5, v70, v7, vcc
	v_lshlrev_b32_e32 v88, 2, v5
	ds_bpermute_b32 v7, v88, v6
	v_cmp_eq_u32_e32 vcc, 0, v86
	v_lshlrev_b32_e32 v5, 2, v1
	s_and_saveexec_b64 s[0:1], vcc
	s_cbranch_execz .LBB212_14
; %bb.13:
	s_waitcnt lgkmcnt(0)
	v_max_f32_e32 v7, v7, v7
	v_max_f32_e32 v6, v6, v6
	v_max_f32_e32 v6, v6, v7
	ds_write_b32 v5, v6 offset:480
.LBB212_14:
	s_or_b64 exec, exec, s[0:1]
	v_cmp_gt_u32_e64 s[0:1], 2, v86
	s_waitcnt lgkmcnt(0)
	v_mov_b32_e32 v7, 0xff7fffff
	v_lshlrev_b32_e32 v6, 2, v86
	s_barrier
	s_and_saveexec_b64 s[2:3], s[0:1]
; %bb.15:
	ds_read_b32 v7, v6 offset:480
; %bb.16:
	s_or_b64 exec, exec, s[2:3]
	v_xor_b32_e32 v8, 1, v70
	v_cmp_lt_i32_e64 s[2:3], v8, v72
	s_nop 1
	v_cndmask_b32_e64 v8, v70, v8, s[2:3]
	v_lshlrev_b32_e32 v89, 2, v8
	s_waitcnt lgkmcnt(0)
	ds_bpermute_b32 v8, v89, v7
	v_max_f32_e32 v7, v7, v7
	s_lshl_b32 s2, s19, 5
	s_min_i32 s30, s2, s17
	v_cmp_gt_i32_e64 s[2:3], s30, v0
	s_waitcnt lgkmcnt(0)
	v_max_f32_e32 v8, v8, v8
	v_max_f32_e32 v7, v7, v8
	v_lshlrev_b32_e32 v8, 2, v71
	ds_bpermute_b32 v8, v8, v7
	v_mov_b32_e32 v7, 0
	s_and_saveexec_b64 s[14:15], s[2:3]
	s_cbranch_execz .LBB212_20
; %bb.17:
	v_mov_b32_e32 v7, 0x1f0
	v_lshl_add_u32 v9, v0, 2, v7
	v_mov_b32_e32 v7, 0
	s_mov_b64 s[28:29], 0
	v_mov_b32_e32 v10, v0
.LBB212_18:                             ; =>This Inner Loop Header: Depth=1
	ds_read_b32 v11, v9
	v_add_u32_e32 v10, 0x80, v10
	v_cmp_le_i32_e64 s[8:9], s30, v10
	s_or_b64 s[28:29], s[8:9], s[28:29]
	s_waitcnt lgkmcnt(0)
	v_sub_f32_e32 v11, v11, v8
	v_mul_f32_e32 v11, 0x3fb8aa3b, v11
	v_exp_f32_e32 v11, v11
	ds_write_b32 v9, v11
	v_add_f32_e32 v7, v7, v11
	v_add_u32_e32 v9, 0x200, v9
	s_andn2_b64 exec, exec, s[28:29]
	s_cbranch_execnz .LBB212_18
; %bb.19:
	s_or_b64 exec, exec, s[28:29]
.LBB212_20:
	s_or_b64 exec, exec, s[14:15]
	ds_bpermute_b32 v2, v2, v7
	s_waitcnt lgkmcnt(0)
	v_add_f32_e32 v2, v7, v2
	ds_bpermute_b32 v3, v3, v2
	s_waitcnt lgkmcnt(0)
	v_add_f32_e32 v2, v2, v3
	;; [unrolled: 3-line block ×6, first 2 shown]
	s_and_saveexec_b64 s[8:9], vcc
; %bb.21:
	ds_write_b32 v5, v2 offset:488
; %bb.22:
	s_or_b64 exec, exec, s[8:9]
	s_waitcnt lgkmcnt(0)
	s_barrier
	s_and_saveexec_b64 s[8:9], s[0:1]
; %bb.23:
	ds_read_b32 v2, v6 offset:488
; %bb.24:
	s_or_b64 exec, exec, s[8:9]
	s_waitcnt lgkmcnt(0)
	ds_bpermute_b32 v3, v89, v2
	v_lshlrev_b32_e32 v4, 2, v70
	s_waitcnt lgkmcnt(0)
	v_add_f32_e32 v2, v2, v3
	v_and_b32_e32 v3, 0xffffff00, v4
	ds_bpermute_b32 v2, v3, v2
	s_and_saveexec_b64 s[0:1], s[2:3]
	s_cbranch_execz .LBB212_37
; %bb.25:
	s_waitcnt lgkmcnt(0)
	v_add_f32_e32 v2, 0x358637bd, v2
	v_div_scale_f32 v3, s[2:3], v2, v2, 1.0
	v_rcp_f32_e32 v4, v3
	v_div_scale_f32 v5, vcc, 1.0, v2, 1.0
	s_movk_i32 s2, 0x7f
	v_fma_f32 v6, -v3, v4, 1.0
	v_fmac_f32_e32 v4, v6, v4
	v_mul_f32_e32 v6, v5, v4
	v_fma_f32 v7, -v3, v6, v5
	v_fmac_f32_e32 v6, v7, v4
	v_fma_f32 v3, -v3, v6, v5
	v_div_fmas_f32 v3, v3, v4, v6
	v_xad_u32 v4, v0, -1, s30
	v_div_fixup_f32 v2, v3, v2, 1.0
	v_cmp_lt_u32_e32 vcc, s2, v4
	s_mov_b64 s[8:9], -1
	v_mov_b32_e32 v3, v0
	s_and_saveexec_b64 s[2:3], vcc
	s_cbranch_execz .LBB212_34
; %bb.26:
	v_lshrrev_b32_e32 v4, 7, v4
	v_add_u32_e32 v6, -1, v4
	v_lshrrev_b32_e32 v5, 1, v6
	v_mov_b32_e32 v3, v2
	v_add_u32_e32 v5, 1, v5
	v_cmp_lt_u32_e32 vcc, 13, v6
	v_mov_b32_e32 v8, 0
	s_and_saveexec_b64 s[8:9], vcc
	s_cbranch_execz .LBB212_30
; %bb.27:
	v_mov_b32_e32 v7, 0x1f0
	v_and_b32_e32 v6, -8, v5
	v_lshl_add_u32 v7, v0, 2, v7
	s_mov_b32 s28, 0
	s_mov_b64 s[14:15], 0
.LBB212_28:                             ; =>This Inner Loop Header: Depth=1
	ds_read2st64_b32 v[8:9], v7 offset1:2
	ds_read2st64_b32 v[10:11], v7 offset0:4 offset1:6
	ds_read2st64_b32 v[12:13], v7 offset0:8 offset1:10
	;; [unrolled: 1-line block ×3, first 2 shown]
	v_add_u32_e32 v6, -8, v6
	s_waitcnt lgkmcnt(3)
	v_pk_mul_f32 v[8:9], v[2:3], v[8:9]
	s_waitcnt lgkmcnt(2)
	v_pk_mul_f32 v[10:11], v[2:3], v[10:11]
	ds_write2st64_b32 v7, v8, v9 offset1:2
	ds_write2st64_b32 v7, v10, v11 offset0:4 offset1:6
	ds_read2st64_b32 v[10:11], v7 offset0:16 offset1:18
	s_waitcnt lgkmcnt(4)
	v_pk_mul_f32 v[8:9], v[2:3], v[12:13]
	ds_write2st64_b32 v7, v8, v9 offset0:8 offset1:10
	s_waitcnt lgkmcnt(4)
	v_pk_mul_f32 v[8:9], v[2:3], v[14:15]
	ds_write2st64_b32 v7, v8, v9 offset0:12 offset1:14
	ds_read2st64_b32 v[8:9], v7 offset0:20 offset1:22
	s_waitcnt lgkmcnt(3)
	v_pk_mul_f32 v[10:11], v[2:3], v[10:11]
	ds_read2st64_b32 v[12:13], v7 offset0:24 offset1:26
	ds_write2st64_b32 v7, v10, v11 offset0:16 offset1:18
	ds_read2st64_b32 v[10:11], v7 offset0:28 offset1:30
	s_waitcnt lgkmcnt(3)
	v_pk_mul_f32 v[8:9], v[2:3], v[8:9]
	ds_write2st64_b32 v7, v8, v9 offset0:20 offset1:22
	s_waitcnt lgkmcnt(3)
	v_pk_mul_f32 v[8:9], v[2:3], v[12:13]
	ds_write2st64_b32 v7, v8, v9 offset0:24 offset1:26
	s_waitcnt lgkmcnt(2)
	v_pk_mul_f32 v[8:9], v[2:3], v[10:11]
	s_add_i32 s28, s28, 16
	v_cmp_eq_u32_e32 vcc, 0, v6
	ds_write2st64_b32 v7, v8, v9 offset0:28 offset1:30
	v_add_u32_e32 v7, 0x2000, v7
	s_or_b64 s[14:15], vcc, s[14:15]
	v_mov_b32_e32 v8, s28
	s_andn2_b64 exec, exec, s[14:15]
	s_cbranch_execnz .LBB212_28
; %bb.29:
	s_or_b64 exec, exec, s[14:15]
.LBB212_30:
	s_or_b64 exec, exec, s[8:9]
	v_and_b32_e32 v5, 7, v5
	v_cmp_ne_u32_e32 vcc, 0, v5
	s_and_saveexec_b64 s[8:9], vcc
	s_cbranch_execz .LBB212_33
; %bb.31:
	v_lshlrev_b32_e32 v6, 9, v8
	s_movk_i32 s14, 0x1f0
	v_add3_u32 v6, v6, v68, s14
	s_mov_b64 s[14:15], 0
.LBB212_32:                             ; =>This Inner Loop Header: Depth=1
	ds_read2st64_b32 v[8:9], v6 offset1:2
	v_add_u32_e32 v5, -1, v5
	v_cmp_eq_u32_e32 vcc, 0, v5
	s_or_b64 s[14:15], vcc, s[14:15]
	s_waitcnt lgkmcnt(0)
	v_pk_mul_f32 v[8:9], v[2:3], v[8:9]
	ds_write2st64_b32 v6, v8, v9 offset1:2
	v_add_u32_e32 v6, 0x400, v6
	s_andn2_b64 exec, exec, s[14:15]
	s_cbranch_execnz .LBB212_32
.LBB212_33:
	s_or_b64 exec, exec, s[8:9]
	v_add_u32_e32 v4, 1, v4
	v_and_b32_e32 v5, 0x3fffffe, v4
	v_cmp_ne_u32_e32 vcc, v4, v5
	v_lshl_add_u32 v3, v5, 7, v0
	s_orn2_b64 s[8:9], vcc, exec
.LBB212_34:
	s_or_b64 exec, exec, s[2:3]
	s_and_b64 exec, exec, s[8:9]
	s_cbranch_execz .LBB212_37
; %bb.35:
	v_mov_b32_e32 v4, 0x1f0
	v_lshl_add_u32 v4, v3, 2, v4
	s_mov_b64 s[2:3], 0
.LBB212_36:                             ; =>This Inner Loop Header: Depth=1
	ds_read_b32 v5, v4
	v_add_u32_e32 v3, 0x80, v3
	v_cmp_le_i32_e32 vcc, s30, v3
	s_or_b64 s[2:3], vcc, s[2:3]
	s_waitcnt lgkmcnt(0)
	v_mul_f32_e32 v5, v2, v5
	ds_write_b32 v4, v5
	v_add_u32_e32 v4, 0x200, v4
	s_andn2_b64 exec, exec, s[2:3]
	s_cbranch_execnz .LBB212_36
.LBB212_37:
	s_or_b64 exec, exec, s[0:1]
	v_mov_b32_e32 v9, 0
	v_and_b32_e32 v90, 7, v0
	v_mov_b32_e32 v8, 0
	v_mov_b32_e32 v11, 0
	;; [unrolled: 1-line block ×14, first 2 shown]
	s_waitcnt lgkmcnt(0)
	s_barrier
	s_and_saveexec_b64 s[2:3], s[6:7]
	s_cbranch_execz .LBB212_71
; %bb.38:
	s_ashr_i32 s1, s33, 31
	s_load_dword s6, s[10:11], 0x0
	s_add_u32 s0, s26, s33
	s_addc_u32 s1, s27, s1
	v_and_b32_e32 v6, 0xfc, v68
	v_mov_b32_e32 v7, 0
	v_and_b32_e32 v2, 28, v68
	s_add_i32 s14, s19, -1
	v_lshl_add_u64 v[22:23], s[0:1], 0, v[6:7]
	s_lshl_b64 s[0:1], s[24:25], 2
	v_lshl_or_b32 v91, v1, 5, v2
	v_lshlrev_b32_e32 v2, 4, v90
	s_add_u32 s0, s22, s0
	v_lshl_or_b32 v2, v1, 7, v2
	v_and_b32_e32 v6, 60, v69
	s_addc_u32 s1, s23, s1
	s_waitcnt lgkmcnt(0)
	s_mov_b32 s7, s6
	s_mov_b32 s15, s17
	v_add_u32_e32 v92, 0x1f0, v2
	v_lshl_add_u64 v[24:25], s[0:1], 0, v[6:7]
	s_mov_b64 s[8:9], 0
	v_mov_b32_e32 v9, v7
	v_mov_b32_e32 v8, v7
	;; [unrolled: 1-line block ×14, first 2 shown]
	s_branch .LBB212_40
.LBB212_39:                             ;   in Loop: Header=BB212_40 Depth=1
	s_or_b64 exec, exec, s[0:1]
	s_waitcnt lgkmcnt(0)
	v_mul_f32_e32 v6, v2, v84
	v_fmac_f32_e32 v6, v3, v85
	v_fmac_f32_e32 v6, v4, v82
	v_fmac_f32_e32 v6, v5, v83
	v_add_f32_e32 v9, v9, v6
	v_mul_f32_e32 v6, v2, v80
	v_fmac_f32_e32 v6, v3, v81
	v_fmac_f32_e32 v6, v4, v78
	v_fmac_f32_e32 v6, v5, v79
	v_add_f32_e32 v8, v8, v6
	;; [unrolled: 5-line block ×13, first 2 shown]
	v_mul_f32_e32 v6, v2, v28
	v_fmac_f32_e32 v6, v3, v29
	v_fmac_f32_e32 v6, v4, v26
	v_pk_mul_f32 v[2:3], v[2:3], v[76:77]
	v_fmac_f32_e32 v6, v5, v27
	v_pk_mul_f32 v[4:5], v[4:5], v[38:39]
	v_add_f32_e32 v2, v3, v2
	v_add_f32_e32 v2, v4, v2
	v_add_u32_e32 v1, 2, v1
	v_add_f32_e32 v2, v5, v2
	v_cmp_le_i32_e32 vcc, s19, v1
	v_add_f32_e32 v20, v20, v6
	v_add_f32_e32 v7, v7, v2
	v_add_u32_e32 v91, 64, v91
	v_add_u32_e32 v92, 0x100, v92
	s_or_b64 s[8:9], vcc, s[8:9]
	v_lshl_add_u64 v[24:25], v[24:25], 0, 8
	s_andn2_b64 exec, exec, s[8:9]
	s_cbranch_execz .LBB212_70
.LBB212_40:                             ; =>This Inner Loop Header: Depth=1
	global_load_dword v2, v[24:25], off
	v_cmp_eq_u32_e32 vcc, s14, v1
	v_add_u32_e32 v76, 2, v91
	v_add_u32_e32 v77, 3, v91
	s_waitcnt vmcnt(0)
	v_mad_i64_i32 v[38:39], s[0:1], v2, s13, v[22:23]
	global_load_dword v6, v[38:39], off
	ds_read_b128 v[2:5], v92
	s_waitcnt vmcnt(0)
	v_and_b32_e32 v26, 0xffff, v6
	v_lshrrev_b32_e32 v6, 16, v6
	v_cvt_pk_f32_fp8_e32 v[26:27], v26
	v_cvt_pk_f32_fp8_e32 v[30:31], v6
	v_add_u32_e32 v6, 1, v91
	v_pk_mul_f32 v[28:29], s[6:7], v[26:27]
	v_pk_mul_f32 v[26:27], s[6:7], v[30:31]
	s_and_saveexec_b64 s[10:11], vcc
; %bb.41:                               ;   in Loop: Header=BB212_40 Depth=1
	v_cmp_gt_i32_e64 s[0:1], s17, v91
	s_nop 1
	v_cndmask_b32_e64 v28, 0, v28, s[0:1]
	v_cmp_gt_i32_e64 s[0:1], s17, v6
	s_nop 1
	v_cndmask_b32_e64 v29, 0, v29, s[0:1]
	v_cmp_gt_i32_e64 s[0:1], s17, v76
	s_nop 1
	v_cndmask_b32_e64 v26, 0, v26, s[0:1]
	v_cmp_gt_i32_e64 s[0:1], s17, v77
	s_nop 1
	v_cndmask_b32_e64 v27, 0, v27, s[0:1]
; %bb.42:                               ;   in Loop: Header=BB212_40 Depth=1
	s_or_b64 exec, exec, s[10:11]
	global_load_dword v30, v[38:39], off offset:256
	s_waitcnt vmcnt(0)
	v_and_b32_e32 v31, 0xffff, v30
	v_lshrrev_b32_e32 v32, 16, v30
	v_cvt_pk_f32_fp8_e32 v[30:31], v31
	v_cvt_pk_f32_fp8_e32 v[34:35], v32
	v_pk_mul_f32 v[32:33], s[6:7], v[30:31]
	v_pk_mul_f32 v[30:31], s[6:7], v[34:35]
	s_and_saveexec_b64 s[10:11], vcc
; %bb.43:                               ;   in Loop: Header=BB212_40 Depth=1
	v_cmp_gt_i32_e64 s[0:1], s17, v91
	s_nop 1
	v_cndmask_b32_e64 v32, 0, v32, s[0:1]
	v_cmp_gt_i32_e64 s[0:1], s17, v6
	s_nop 1
	v_cndmask_b32_e64 v33, 0, v33, s[0:1]
	v_cmp_gt_i32_e64 s[0:1], s17, v76
	s_nop 1
	v_cndmask_b32_e64 v30, 0, v30, s[0:1]
	v_cmp_gt_i32_e64 s[0:1], s17, v77
	s_nop 1
	v_cndmask_b32_e64 v31, 0, v31, s[0:1]
; %bb.44:                               ;   in Loop: Header=BB212_40 Depth=1
	s_or_b64 exec, exec, s[10:11]
	global_load_dword v34, v[38:39], off offset:512
	s_waitcnt vmcnt(0)
	v_and_b32_e32 v35, 0xffff, v34
	v_lshrrev_b32_e32 v36, 16, v34
	v_cvt_pk_f32_fp8_e32 v[34:35], v35
	v_cvt_pk_f32_fp8_e32 v[40:41], v36
	;; [unrolled: 24-line block ×14, first 2 shown]
	v_pk_mul_f32 v[76:77], s[6:7], v[38:39]
	v_pk_mul_f32 v[38:39], s[6:7], v[94:95]
	s_and_saveexec_b64 s[0:1], vcc
	s_cbranch_execz .LBB212_39
; %bb.69:                               ;   in Loop: Header=BB212_40 Depth=1
	v_cmp_gt_i32_e32 vcc, s15, v6
	v_or_b32_e32 v6, 3, v91
	v_or_b32_e32 v93, 2, v91
	v_cndmask_b32_e32 v77, 0, v77, vcc
	v_cmp_gt_i32_e32 vcc, s17, v91
	s_nop 1
	v_cndmask_b32_e32 v76, 0, v76, vcc
	v_cmp_gt_i32_e32 vcc, s15, v6
	s_nop 1
	;; [unrolled: 3-line block ×3, first 2 shown]
	v_cndmask_b32_e32 v38, 0, v38, vcc
	s_branch .LBB212_39
.LBB212_70:
	s_or_b64 exec, exec, s[8:9]
.LBB212_71:
	s_or_b64 exec, exec, s[2:3]
	ds_bpermute_b32 v4, v87, v18
	ds_bpermute_b32 v5, v87, v19
	;; [unrolled: 1-line block ×6, first 2 shown]
	s_waitcnt lgkmcnt(4)
	v_pk_add_f32 v[4:5], v[18:19], v[4:5]
	ds_bpermute_b32 v18, v88, v4
	ds_bpermute_b32 v19, v88, v5
	s_waitcnt lgkmcnt(4)
	v_pk_add_f32 v[2:3], v[20:21], v[2:3]
	s_waitcnt lgkmcnt(2)
	v_pk_add_f32 v[16:17], v[16:17], v[22:23]
	ds_bpermute_b32 v20, v88, v2
	ds_bpermute_b32 v21, v88, v3
	s_waitcnt lgkmcnt(2)
	v_pk_add_f32 v[4:5], v[4:5], v[18:19]
	ds_bpermute_b32 v18, v88, v16
	ds_bpermute_b32 v19, v88, v17
	;; [unrolled: 1-line block ×3, first 2 shown]
	s_waitcnt lgkmcnt(3)
	v_pk_add_f32 v[2:3], v[2:3], v[20:21]
	ds_bpermute_b32 v29, v87, v13
	ds_bpermute_b32 v20, v89, v2
	s_waitcnt lgkmcnt(3)
	v_pk_add_f32 v[16:17], v[16:17], v[18:19]
	ds_bpermute_b32 v21, v89, v3
	ds_bpermute_b32 v24, v87, v14
	;; [unrolled: 1-line block ×5, first 2 shown]
	s_waitcnt lgkmcnt(6)
	v_pk_add_f32 v[12:13], v[12:13], v[28:29]
	ds_bpermute_b32 v22, v89, v4
	ds_bpermute_b32 v23, v89, v5
	s_waitcnt lgkmcnt(4)
	v_pk_add_f32 v[24:25], v[14:15], v[24:25]
	v_pk_add_f32 v[14:15], v[2:3], v[20:21]
	s_waitcnt lgkmcnt(2)
	v_pk_add_f32 v[2:3], v[16:17], v[18:19]
	ds_bpermute_b32 v18, v88, v12
	ds_bpermute_b32 v19, v88, v13
	s_waitcnt lgkmcnt(2)
	v_pk_add_f32 v[4:5], v[4:5], v[22:23]
	ds_bpermute_b32 v22, v87, v10
	ds_bpermute_b32 v23, v87, v11
	;; [unrolled: 1-line block ×3, first 2 shown]
	s_waitcnt lgkmcnt(3)
	v_pk_add_f32 v[18:19], v[12:13], v[18:19]
	ds_bpermute_b32 v12, v87, v8
	ds_bpermute_b32 v13, v87, v9
	;; [unrolled: 1-line block ×4, first 2 shown]
	s_waitcnt lgkmcnt(5)
	v_pk_add_f32 v[10:11], v[10:11], v[22:23]
	ds_bpermute_b32 v22, v88, v10
	s_waitcnt lgkmcnt(3)
	v_pk_add_f32 v[8:9], v[8:9], v[12:13]
	s_waitcnt lgkmcnt(2)
	v_pk_add_f32 v[16:17], v[24:25], v[26:27]
	ds_bpermute_b32 v23, v88, v11
	ds_bpermute_b32 v12, v88, v8
	;; [unrolled: 1-line block ×3, first 2 shown]
	s_waitcnt lgkmcnt(4)
	v_add_f32_e32 v1, v7, v1
	ds_bpermute_b32 v20, v89, v16
	ds_bpermute_b32 v21, v89, v17
	ds_bpermute_b32 v32, v88, v1
	s_waitcnt lgkmcnt(5)
	v_pk_add_f32 v[22:23], v[10:11], v[22:23]
	s_waitcnt lgkmcnt(3)
	v_pk_add_f32 v[28:29], v[8:9], v[12:13]
	ds_bpermute_b32 v24, v89, v18
	ds_bpermute_b32 v25, v89, v19
	ds_bpermute_b32 v26, v89, v22
	ds_bpermute_b32 v27, v89, v23
	ds_bpermute_b32 v30, v89, v28
	ds_bpermute_b32 v31, v89, v29
	s_waitcnt lgkmcnt(7)
	v_pk_add_f32 v[12:13], v[16:17], v[20:21]
	s_waitcnt lgkmcnt(6)
	v_add_f32_e32 v16, v1, v32
	ds_bpermute_b32 v17, v89, v16
	v_and_b32_e32 v1, 0x3c7, v0
	s_waitcnt lgkmcnt(5)
	v_pk_add_f32 v[10:11], v[18:19], v[24:25]
	s_waitcnt lgkmcnt(3)
	v_pk_add_f32 v[8:9], v[22:23], v[26:27]
	;; [unrolled: 2-line block ×3, first 2 shown]
	v_cmp_ne_u32_e32 vcc, 64, v1
	s_waitcnt lgkmcnt(0)
	s_barrier
	s_and_saveexec_b64 s[0:1], vcc
	s_xor_b64 s[0:1], exec, s[0:1]
; %bb.72:
                                        ; implicit-def: $vgpr86
; %bb.73:
	s_or_saveexec_b64 s[0:1], s[0:1]
	v_add_f32_e32 v16, v16, v17
	s_xor_b64 exec, exec, s[0:1]
	s_cbranch_execz .LBB212_75
; %bb.74:
	v_lshrrev_b32_e32 v17, 1, v86
	v_add_u32_e32 v17, 0x1f0, v17
	ds_write2_b32 v17, v14, v15 offset1:8
	ds_write2_b32 v17, v4, v5 offset0:16 offset1:24
	ds_write2_b32 v17, v2, v3 offset0:32 offset1:40
	;; [unrolled: 1-line block ×6, first 2 shown]
	ds_write_b32 v17, v16 offset:448
.LBB212_75:
	s_or_b64 exec, exec, s[0:1]
	v_cmp_gt_u32_e32 vcc, 64, v0
	v_lshrrev_b32_e32 v0, 3, v0
	s_waitcnt lgkmcnt(0)
	s_barrier
	s_and_saveexec_b64 s[0:1], vcc
	s_cbranch_execz .LBB212_93
; %bb.76:
	v_mov_b32_e32 v17, 0x1f0
	v_cmp_eq_u32_e32 vcc, 0, v90
	v_lshl_add_u32 v17, v0, 2, v17
	s_and_saveexec_b64 s[2:3], vcc
	s_cbranch_execnz .LBB212_96
; %bb.77:
	s_or_b64 exec, exec, s[2:3]
	s_and_saveexec_b64 s[2:3], vcc
	s_cbranch_execnz .LBB212_97
.LBB212_78:
	s_or_b64 exec, exec, s[2:3]
	s_and_saveexec_b64 s[2:3], vcc
	s_cbranch_execnz .LBB212_98
.LBB212_79:
	s_or_b64 exec, exec, s[2:3]
	s_and_saveexec_b64 s[2:3], vcc
	s_cbranch_execnz .LBB212_99
.LBB212_80:
	s_or_b64 exec, exec, s[2:3]
	s_and_saveexec_b64 s[2:3], vcc
	s_cbranch_execnz .LBB212_100
.LBB212_81:
	s_or_b64 exec, exec, s[2:3]
	s_and_saveexec_b64 s[2:3], vcc
	s_cbranch_execnz .LBB212_101
.LBB212_82:
	s_or_b64 exec, exec, s[2:3]
	s_and_saveexec_b64 s[2:3], vcc
	s_cbranch_execnz .LBB212_102
.LBB212_83:
	s_or_b64 exec, exec, s[2:3]
	s_and_saveexec_b64 s[2:3], vcc
	s_cbranch_execnz .LBB212_103
.LBB212_84:
	s_or_b64 exec, exec, s[2:3]
	s_and_saveexec_b64 s[2:3], vcc
	s_cbranch_execnz .LBB212_104
.LBB212_85:
	s_or_b64 exec, exec, s[2:3]
	s_and_saveexec_b64 s[2:3], vcc
	s_cbranch_execnz .LBB212_105
.LBB212_86:
	s_or_b64 exec, exec, s[2:3]
	s_and_saveexec_b64 s[2:3], vcc
	s_cbranch_execnz .LBB212_106
.LBB212_87:
	s_or_b64 exec, exec, s[2:3]
	s_and_saveexec_b64 s[2:3], vcc
	s_cbranch_execnz .LBB212_107
.LBB212_88:
	s_or_b64 exec, exec, s[2:3]
	s_and_saveexec_b64 s[2:3], vcc
	s_cbranch_execnz .LBB212_108
.LBB212_89:
	s_or_b64 exec, exec, s[2:3]
	s_and_saveexec_b64 s[2:3], vcc
	s_cbranch_execnz .LBB212_109
.LBB212_90:
	s_or_b64 exec, exec, s[2:3]
	s_and_saveexec_b64 s[2:3], vcc
	s_cbranch_execz .LBB212_92
.LBB212_91:
	ds_read_b32 v17, v17 offset:448
	s_waitcnt lgkmcnt(0)
	v_add_f32_e32 v16, v16, v17
.LBB212_92:
	s_or_b64 exec, exec, s[2:3]
.LBB212_93:
	s_or_b64 exec, exec, s[0:1]
	v_cmp_eq_u32_e32 vcc, 0, v1
	s_barrier
	s_and_saveexec_b64 s[0:1], vcc
	s_cbranch_execz .LBB212_95
; %bb.94:
	s_mul_i32 s0, s16, s12
	s_mul_i32 s0, s0, s5
	s_mulk_i32 s0, 0x78
	s_ashr_i32 s1, s0, 31
	s_lshl_b64 s[0:1], s[0:1], 2
	s_add_u32 s2, s20, s0
	s_mul_i32 s0, s12, s18
	s_addc_u32 s3, s21, s1
	s_ashr_i32 s1, s0, 31
	s_lshl_b64 s[0:1], s[0:1], 2
	s_add_u32 s2, s2, s0
	s_mul_i32 s0, s4, 0x78
	s_addc_u32 s3, s3, s1
	s_ashr_i32 s1, s0, 31
	s_lshl_b64 s[0:1], s[0:1], 2
	s_add_u32 s0, s2, s0
	s_addc_u32 s1, s3, s1
	v_lshlrev_b32_e32 v0, 2, v0
	global_store_dword v0, v14, s[0:1]
	global_store_dword v0, v15, s[0:1] offset:32
	global_store_dword v0, v4, s[0:1] offset:64
	;; [unrolled: 1-line block ×14, first 2 shown]
.LBB212_95:
	s_endpgm
.LBB212_96:
	ds_read_b32 v18, v17
	s_waitcnt lgkmcnt(0)
	v_add_f32_e32 v14, v14, v18
	s_or_b64 exec, exec, s[2:3]
	s_and_saveexec_b64 s[2:3], vcc
	s_cbranch_execz .LBB212_78
.LBB212_97:
	ds_read_b32 v18, v17 offset:32
	s_waitcnt lgkmcnt(0)
	v_add_f32_e32 v15, v15, v18
	s_or_b64 exec, exec, s[2:3]
	s_and_saveexec_b64 s[2:3], vcc
	s_cbranch_execz .LBB212_79
.LBB212_98:
	ds_read_b32 v18, v17 offset:64
	s_waitcnt lgkmcnt(0)
	v_add_f32_e32 v4, v4, v18
	s_or_b64 exec, exec, s[2:3]
	s_and_saveexec_b64 s[2:3], vcc
	s_cbranch_execz .LBB212_80
.LBB212_99:
	ds_read_b32 v18, v17 offset:96
	s_waitcnt lgkmcnt(0)
	v_add_f32_e32 v5, v5, v18
	s_or_b64 exec, exec, s[2:3]
	s_and_saveexec_b64 s[2:3], vcc
	s_cbranch_execz .LBB212_81
.LBB212_100:
	ds_read_b32 v18, v17 offset:128
	s_waitcnt lgkmcnt(0)
	v_add_f32_e32 v2, v2, v18
	s_or_b64 exec, exec, s[2:3]
	s_and_saveexec_b64 s[2:3], vcc
	s_cbranch_execz .LBB212_82
.LBB212_101:
	ds_read_b32 v18, v17 offset:160
	s_waitcnt lgkmcnt(0)
	v_add_f32_e32 v3, v3, v18
	s_or_b64 exec, exec, s[2:3]
	s_and_saveexec_b64 s[2:3], vcc
	s_cbranch_execz .LBB212_83
.LBB212_102:
	ds_read_b32 v18, v17 offset:192
	s_waitcnt lgkmcnt(0)
	v_add_f32_e32 v12, v12, v18
	s_or_b64 exec, exec, s[2:3]
	s_and_saveexec_b64 s[2:3], vcc
	s_cbranch_execz .LBB212_84
.LBB212_103:
	ds_read_b32 v18, v17 offset:224
	s_waitcnt lgkmcnt(0)
	v_add_f32_e32 v13, v13, v18
	s_or_b64 exec, exec, s[2:3]
	s_and_saveexec_b64 s[2:3], vcc
	s_cbranch_execz .LBB212_85
.LBB212_104:
	ds_read_b32 v18, v17 offset:256
	s_waitcnt lgkmcnt(0)
	v_add_f32_e32 v10, v10, v18
	s_or_b64 exec, exec, s[2:3]
	s_and_saveexec_b64 s[2:3], vcc
	s_cbranch_execz .LBB212_86
.LBB212_105:
	ds_read_b32 v18, v17 offset:288
	s_waitcnt lgkmcnt(0)
	v_add_f32_e32 v11, v11, v18
	s_or_b64 exec, exec, s[2:3]
	s_and_saveexec_b64 s[2:3], vcc
	s_cbranch_execz .LBB212_87
.LBB212_106:
	ds_read_b32 v18, v17 offset:320
	s_waitcnt lgkmcnt(0)
	v_add_f32_e32 v8, v8, v18
	s_or_b64 exec, exec, s[2:3]
	s_and_saveexec_b64 s[2:3], vcc
	s_cbranch_execz .LBB212_88
.LBB212_107:
	ds_read_b32 v18, v17 offset:352
	s_waitcnt lgkmcnt(0)
	v_add_f32_e32 v9, v9, v18
	s_or_b64 exec, exec, s[2:3]
	s_and_saveexec_b64 s[2:3], vcc
	s_cbranch_execz .LBB212_89
.LBB212_108:
	ds_read_b32 v18, v17 offset:384
	s_waitcnt lgkmcnt(0)
	v_add_f32_e32 v6, v6, v18
	s_or_b64 exec, exec, s[2:3]
	s_and_saveexec_b64 s[2:3], vcc
	s_cbranch_execz .LBB212_90
.LBB212_109:
	ds_read_b32 v18, v17 offset:416
	s_waitcnt lgkmcnt(0)
	v_add_f32_e32 v7, v7, v18
	s_or_b64 exec, exec, s[2:3]
	s_and_saveexec_b64 s[2:3], vcc
	s_cbranch_execnz .LBB212_91
	s_branch .LBB212_92
	.section	.rodata,"a",@progbits
	.p2align	6, 0x0
	.amdhsa_kernel _ZN4vllm25paged_attention_v1_kernelIfhLi120ELi32ELi128ELNS_18Fp8KVCacheDataTypeE1ELb0EEEvPT_PKS2_PKT0_S8_ifPKiSA_iPKfiiiSC_SC_iiiii
		.amdhsa_group_segment_fixed_size 496
		.amdhsa_private_segment_fixed_size 0
		.amdhsa_kernarg_size 384
		.amdhsa_user_sgpr_count 2
		.amdhsa_user_sgpr_dispatch_ptr 0
		.amdhsa_user_sgpr_queue_ptr 0
		.amdhsa_user_sgpr_kernarg_segment_ptr 1
		.amdhsa_user_sgpr_dispatch_id 0
		.amdhsa_user_sgpr_kernarg_preload_length 0
		.amdhsa_user_sgpr_kernarg_preload_offset 0
		.amdhsa_user_sgpr_private_segment_size 0
		.amdhsa_uses_dynamic_stack 0
		.amdhsa_enable_private_segment 0
		.amdhsa_system_sgpr_workgroup_id_x 1
		.amdhsa_system_sgpr_workgroup_id_y 1
		.amdhsa_system_sgpr_workgroup_id_z 1
		.amdhsa_system_sgpr_workgroup_info 0
		.amdhsa_system_vgpr_workitem_id 0
		.amdhsa_next_free_vgpr 114
		.amdhsa_next_free_sgpr 38
		.amdhsa_accum_offset 116
		.amdhsa_reserve_vcc 1
		.amdhsa_float_round_mode_32 0
		.amdhsa_float_round_mode_16_64 0
		.amdhsa_float_denorm_mode_32 3
		.amdhsa_float_denorm_mode_16_64 3
		.amdhsa_dx10_clamp 1
		.amdhsa_ieee_mode 1
		.amdhsa_fp16_overflow 0
		.amdhsa_tg_split 0
		.amdhsa_exception_fp_ieee_invalid_op 0
		.amdhsa_exception_fp_denorm_src 0
		.amdhsa_exception_fp_ieee_div_zero 0
		.amdhsa_exception_fp_ieee_overflow 0
		.amdhsa_exception_fp_ieee_underflow 0
		.amdhsa_exception_fp_ieee_inexact 0
		.amdhsa_exception_int_div_zero 0
	.end_amdhsa_kernel
	.section	.text._ZN4vllm25paged_attention_v1_kernelIfhLi120ELi32ELi128ELNS_18Fp8KVCacheDataTypeE1ELb0EEEvPT_PKS2_PKT0_S8_ifPKiSA_iPKfiiiSC_SC_iiiii,"axG",@progbits,_ZN4vllm25paged_attention_v1_kernelIfhLi120ELi32ELi128ELNS_18Fp8KVCacheDataTypeE1ELb0EEEvPT_PKS2_PKT0_S8_ifPKiSA_iPKfiiiSC_SC_iiiii,comdat
.Lfunc_end212:
	.size	_ZN4vllm25paged_attention_v1_kernelIfhLi120ELi32ELi128ELNS_18Fp8KVCacheDataTypeE1ELb0EEEvPT_PKS2_PKT0_S8_ifPKiSA_iPKfiiiSC_SC_iiiii, .Lfunc_end212-_ZN4vllm25paged_attention_v1_kernelIfhLi120ELi32ELi128ELNS_18Fp8KVCacheDataTypeE1ELb0EEEvPT_PKS2_PKT0_S8_ifPKiSA_iPKfiiiSC_SC_iiiii
                                        ; -- End function
	.set _ZN4vllm25paged_attention_v1_kernelIfhLi120ELi32ELi128ELNS_18Fp8KVCacheDataTypeE1ELb0EEEvPT_PKS2_PKT0_S8_ifPKiSA_iPKfiiiSC_SC_iiiii.num_vgpr, 114
	.set _ZN4vllm25paged_attention_v1_kernelIfhLi120ELi32ELi128ELNS_18Fp8KVCacheDataTypeE1ELb0EEEvPT_PKS2_PKT0_S8_ifPKiSA_iPKfiiiSC_SC_iiiii.num_agpr, 0
	.set _ZN4vllm25paged_attention_v1_kernelIfhLi120ELi32ELi128ELNS_18Fp8KVCacheDataTypeE1ELb0EEEvPT_PKS2_PKT0_S8_ifPKiSA_iPKfiiiSC_SC_iiiii.numbered_sgpr, 38
	.set _ZN4vllm25paged_attention_v1_kernelIfhLi120ELi32ELi128ELNS_18Fp8KVCacheDataTypeE1ELb0EEEvPT_PKS2_PKT0_S8_ifPKiSA_iPKfiiiSC_SC_iiiii.num_named_barrier, 0
	.set _ZN4vllm25paged_attention_v1_kernelIfhLi120ELi32ELi128ELNS_18Fp8KVCacheDataTypeE1ELb0EEEvPT_PKS2_PKT0_S8_ifPKiSA_iPKfiiiSC_SC_iiiii.private_seg_size, 0
	.set _ZN4vllm25paged_attention_v1_kernelIfhLi120ELi32ELi128ELNS_18Fp8KVCacheDataTypeE1ELb0EEEvPT_PKS2_PKT0_S8_ifPKiSA_iPKfiiiSC_SC_iiiii.uses_vcc, 1
	.set _ZN4vllm25paged_attention_v1_kernelIfhLi120ELi32ELi128ELNS_18Fp8KVCacheDataTypeE1ELb0EEEvPT_PKS2_PKT0_S8_ifPKiSA_iPKfiiiSC_SC_iiiii.uses_flat_scratch, 0
	.set _ZN4vllm25paged_attention_v1_kernelIfhLi120ELi32ELi128ELNS_18Fp8KVCacheDataTypeE1ELb0EEEvPT_PKS2_PKT0_S8_ifPKiSA_iPKfiiiSC_SC_iiiii.has_dyn_sized_stack, 0
	.set _ZN4vllm25paged_attention_v1_kernelIfhLi120ELi32ELi128ELNS_18Fp8KVCacheDataTypeE1ELb0EEEvPT_PKS2_PKT0_S8_ifPKiSA_iPKfiiiSC_SC_iiiii.has_recursion, 0
	.set _ZN4vllm25paged_attention_v1_kernelIfhLi120ELi32ELi128ELNS_18Fp8KVCacheDataTypeE1ELb0EEEvPT_PKS2_PKT0_S8_ifPKiSA_iPKfiiiSC_SC_iiiii.has_indirect_call, 0
	.section	.AMDGPU.csdata,"",@progbits
; Kernel info:
; codeLenInByte = 7672
; TotalNumSgprs: 44
; NumVgprs: 114
; NumAgprs: 0
; TotalNumVgprs: 114
; ScratchSize: 0
; MemoryBound: 0
; FloatMode: 240
; IeeeMode: 1
; LDSByteSize: 496 bytes/workgroup (compile time only)
; SGPRBlocks: 5
; VGPRBlocks: 14
; NumSGPRsForWavesPerEU: 44
; NumVGPRsForWavesPerEU: 114
; AccumOffset: 116
; Occupancy: 4
; WaveLimiterHint : 1
; COMPUTE_PGM_RSRC2:SCRATCH_EN: 0
; COMPUTE_PGM_RSRC2:USER_SGPR: 2
; COMPUTE_PGM_RSRC2:TRAP_HANDLER: 0
; COMPUTE_PGM_RSRC2:TGID_X_EN: 1
; COMPUTE_PGM_RSRC2:TGID_Y_EN: 1
; COMPUTE_PGM_RSRC2:TGID_Z_EN: 1
; COMPUTE_PGM_RSRC2:TIDIG_COMP_CNT: 0
; COMPUTE_PGM_RSRC3_GFX90A:ACCUM_OFFSET: 28
; COMPUTE_PGM_RSRC3_GFX90A:TG_SPLIT: 0
	.section	.text._ZN4vllm25paged_attention_v1_kernelIfhLi128ELi32ELi128ELNS_18Fp8KVCacheDataTypeE1ELb0EEEvPT_PKS2_PKT0_S8_ifPKiSA_iPKfiiiSC_SC_iiiii,"axG",@progbits,_ZN4vllm25paged_attention_v1_kernelIfhLi128ELi32ELi128ELNS_18Fp8KVCacheDataTypeE1ELb0EEEvPT_PKS2_PKT0_S8_ifPKiSA_iPKfiiiSC_SC_iiiii,comdat
	.protected	_ZN4vllm25paged_attention_v1_kernelIfhLi128ELi32ELi128ELNS_18Fp8KVCacheDataTypeE1ELb0EEEvPT_PKS2_PKT0_S8_ifPKiSA_iPKfiiiSC_SC_iiiii ; -- Begin function _ZN4vllm25paged_attention_v1_kernelIfhLi128ELi32ELi128ELNS_18Fp8KVCacheDataTypeE1ELb0EEEvPT_PKS2_PKT0_S8_ifPKiSA_iPKfiiiSC_SC_iiiii
	.globl	_ZN4vllm25paged_attention_v1_kernelIfhLi128ELi32ELi128ELNS_18Fp8KVCacheDataTypeE1ELb0EEEvPT_PKS2_PKT0_S8_ifPKiSA_iPKfiiiSC_SC_iiiii
	.p2align	8
	.type	_ZN4vllm25paged_attention_v1_kernelIfhLi128ELi32ELi128ELNS_18Fp8KVCacheDataTypeE1ELb0EEEvPT_PKS2_PKT0_S8_ifPKiSA_iPKfiiiSC_SC_iiiii,@function
_ZN4vllm25paged_attention_v1_kernelIfhLi128ELi32ELi128ELNS_18Fp8KVCacheDataTypeE1ELb0EEEvPT_PKS2_PKT0_S8_ifPKiSA_iPKfiiiSC_SC_iiiii: ; @_ZN4vllm25paged_attention_v1_kernelIfhLi128ELi32ELi128ELNS_18Fp8KVCacheDataTypeE1ELb0EEEvPT_PKS2_PKT0_S8_ifPKiSA_iPKfiiiSC_SC_iiiii
; %bb.0:
	s_load_dword s5, s[0:1], 0x80
	s_load_dwordx2 s[6:7], s[0:1], 0x30
	s_load_dwordx2 s[10:11], s[0:1], 0x20
	s_mov_b32 s20, s3
	s_ashr_i32 s21, s3, 31
	s_lshl_b64 s[8:9], s[20:21], 2
	s_waitcnt lgkmcnt(0)
	s_add_u32 s6, s6, s8
	s_addc_u32 s7, s7, s9
	s_abs_i32 s3, s10
	v_cvt_f32_u32_e32 v1, s3
	s_xor_b32 s8, s5, s10
	s_sub_i32 s10, 0, s3
	s_abs_i32 s9, s5
	v_rcp_iflag_f32_e32 v1, v1
	s_ashr_i32 s8, s8, 31
	v_mul_f32_e32 v1, 0x4f7ffffe, v1
	v_cvt_u32_f32_e32 v1, v1
	s_nop 0
	v_readfirstlane_b32 s12, v1
	s_mul_i32 s10, s10, s12
	s_mul_hi_u32 s10, s12, s10
	s_add_i32 s12, s12, s10
	s_mul_hi_u32 s10, s9, s12
	s_mul_i32 s12, s10, s3
	s_sub_i32 s9, s9, s12
	s_add_i32 s12, s10, 1
	s_sub_i32 s13, s9, s3
	s_cmp_ge_u32 s9, s3
	s_cselect_b32 s10, s12, s10
	s_cselect_b32 s9, s13, s9
	s_add_i32 s12, s10, 1
	s_cmp_ge_u32 s9, s3
	s_cselect_b32 s3, s12, s10
	s_xor_b32 s3, s3, s8
	s_sub_i32 s12, s3, s8
	s_abs_i32 s16, s12
	v_cvt_f32_u32_e32 v1, s16
	s_load_dwordx2 s[8:9], s[0:1], 0x40
	s_sub_i32 s3, 0, s16
	s_abs_i32 s17, s2
	v_rcp_iflag_f32_e32 v1, v1
	s_mov_b32 s10, 0
	v_mul_f32_e32 v1, 0x4f7ffffe, v1
	v_cvt_u32_f32_e32 v1, v1
	s_nop 0
	v_readfirstlane_b32 s13, v1
	s_mul_i32 s3, s3, s13
	s_mul_hi_u32 s3, s13, s3
	s_add_i32 s13, s13, s3
	s_waitcnt lgkmcnt(0)
	s_cmp_eq_u64 s[8:9], 0
	s_mul_hi_u32 s18, s17, s13
	s_cbranch_scc1 .LBB213_2
; %bb.1:
	s_ashr_i32 s3, s2, 31
	s_lshl_b64 s[14:15], s[2:3], 2
	s_add_u32 s8, s8, s14
	s_addc_u32 s9, s9, s15
	s_load_dword s10, s[8:9], 0x0
.LBB213_2:
	s_load_dword s33, s[6:7], 0x0
	s_ashr_i32 s9, s12, 31
	s_load_dwordx4 s[12:15], s[0:1], 0x48
	s_ashr_i32 s8, s2, 31
	v_and_b32_e32 v42, 1, v0
	s_lshl_b32 s22, s2, 7
	v_cmp_gt_u32_e64 s[6:7], 64, v0
	v_lshlrev_b32_e32 v72, 2, v0
	s_and_saveexec_b64 s[2:3], s[6:7]
	s_cbranch_execz .LBB213_4
; %bb.3:
	s_load_dwordx2 s[24:25], s[0:1], 0x8
	s_waitcnt lgkmcnt(0)
	s_mul_i32 s26, s12, s20
	s_ashr_i32 s27, s26, 31
	s_lshl_b64 s[26:27], s[26:27], 2
	v_lshlrev_b32_e32 v1, 3, v0
	s_add_u32 s12, s24, s26
	s_addc_u32 s15, s25, s27
	s_ashr_i32 s23, s22, 31
	s_lshl_b64 s[24:25], s[22:23], 2
	s_add_u32 s24, s12, s24
	s_addc_u32 s25, s15, s25
	global_load_dwordx2 v[2:3], v1, s[24:25]
	v_and_b32_e32 v1, 0xff8, v72
	v_lshl_add_u32 v1, v42, 8, v1
	s_waitcnt vmcnt(0)
	ds_write_b64 v1, v[2:3]
.LBB213_4:
	s_or_b64 exec, exec, s[2:3]
	s_waitcnt lgkmcnt(0)
	s_add_i32 s3, s33, 31
	s_ashr_i32 s12, s3, 31
	s_lshr_b32 s12, s12, 27
	s_add_i32 s3, s3, s12
	s_ashr_i32 s23, s3, 5
	s_xor_b32 s3, s8, s9
	s_mul_i32 s8, s18, s16
	s_sub_i32 s8, s17, s8
	s_add_i32 s9, s18, 1
	s_sub_i32 s12, s8, s16
	s_load_dwordx2 s[26:27], s[0:1], 0x28
	s_load_dword s2, s[0:1], 0x38
	s_cmp_ge_u32 s8, s16
	s_cselect_b32 s9, s9, s18
	s_cselect_b32 s8, s12, s8
	s_add_i32 s12, s9, 1
	s_cmp_ge_u32 s8, s16
	s_cselect_b32 s8, s12, s9
	v_lshrrev_b32_e32 v1, 6, v0
	s_xor_b32 s8, s8, s3
	s_waitcnt lgkmcnt(0)
	s_mul_i32 s28, s2, s20
	s_sub_i32 s12, s8, s3
	s_ashr_i32 s29, s28, 31
	v_cmp_gt_i32_e64 s[2:3], s23, v1
	v_cmp_le_i32_e32 vcc, s23, v1
	v_mbcnt_lo_u32_b32 v43, -1, 0
	s_barrier
                                        ; implicit-def: $vgpr74
                                        ; implicit-def: $vgpr75
                                        ; implicit-def: $vgpr76
	s_and_saveexec_b64 s[8:9], vcc
	s_xor_b64 s[8:9], exec, s[8:9]
; %bb.5:
	v_mbcnt_hi_u32_b32 v74, -1, v43
	v_and_b32_e32 v75, 64, v74
	v_add_u32_e32 v76, 64, v75
                                        ; implicit-def: $vgpr42
                                        ; implicit-def: $vgpr43
; %bb.6:
	s_or_saveexec_b64 s[34:35], s[8:9]
	s_load_dwordx2 s[24:25], s[0:1], 0x0
	s_load_dwordx2 s[30:31], s[0:1], 0x18
	s_load_dword s21, s[0:1], 0x88
	s_load_dwordx4 s[16:19], s[0:1], 0x58
	v_mov_b32_e32 v78, 0xff7fffff
	s_mul_i32 s12, s12, s14
	v_lshrrev_b32_e32 v73, 4, v0
	s_xor_b64 exec, exec, s[34:35]
	s_cbranch_execz .LBB213_12
; %bb.7:
	s_load_dwordx2 s[0:1], s[0:1], 0x10
	v_mbcnt_hi_u32_b32 v74, -1, v43
	s_ashr_i32 s8, s12, 31
	v_lshlrev_b32_e32 v62, 8, v42
	v_and_b32_e32 v75, 64, v74
	v_bfe_u32 v46, v0, 1, 5
	s_waitcnt lgkmcnt(0)
	s_add_u32 s0, s0, s12
	ds_read_b128 v[2:5], v62
	ds_read_b128 v[6:9], v62 offset:16
	ds_read_b128 v[10:13], v62 offset:32
	;; [unrolled: 1-line block ×9, first 2 shown]
	v_xor_b32_e32 v43, 1, v74
	v_add_u32_e32 v76, 64, v75
	v_lshlrev_b32_e32 v68, 4, v46
	s_addc_u32 s1, s1, s8
	v_mov_b32_e32 v69, 0
	v_cmp_lt_i32_e32 vcc, v43, v76
	v_lshl_add_u64 v[44:45], s[0:1], 0, v[68:69]
	v_lshlrev_b32_e32 v68, 1, v42
	v_cndmask_b32_e32 v43, v74, v43, vcc
	v_cmp_eq_u32_e32 vcc, 0, v42
	v_lshlrev_b32_e32 v42, 2, v46
	v_lshl_or_b32 v42, v1, 7, v42
	s_load_dword s14, s[16:17], 0x0
	v_lshlrev_b32_e32 v77, 2, v43
	v_lshl_add_u64 v[66:67], v[44:45], 0, v[68:69]
	v_lshl_or_b32 v79, v1, 5, v46
	v_add_u32_e32 v80, 0x210, v42
	ds_read_b128 v[42:45], v62 offset:160
	ds_read_b128 v[46:49], v62 offset:176
	ds_read_b128 v[50:53], v62 offset:192
	ds_read_b128 v[54:57], v62 offset:208
	ds_read_b128 v[58:61], v62 offset:224
	ds_read_b128 v[62:65], v62 offset:240
	s_sub_i32 s39, 1, s33
	s_lshl_b64 s[8:9], s[28:29], 2
	s_add_u32 s8, s26, s8
	v_and_b32_e32 v68, 60, v73
	s_addc_u32 s9, s27, s9
	s_mov_b32 s38, s13
	v_cmp_neq_f32_e64 s[0:1], s10, 0
	s_waitcnt lgkmcnt(0)
	s_mov_b32 s15, s14
	v_lshl_add_u64 v[68:69], s[8:9], 0, v[68:69]
	v_mov_b32_e32 v78, 0xff7fffff
	s_mov_b64 s[16:17], 0
	v_mov_b32_e32 v81, v1
	s_branch .LBB213_9
.LBB213_8:                              ;   in Loop: Header=BB213_9 Depth=1
	s_or_b64 exec, exec, s[36:37]
	v_add_u32_e32 v81, 2, v81
	v_cmp_le_i32_e64 s[8:9], s23, v81
	v_add_u32_e32 v79, 64, v79
	v_add_u32_e32 v80, 0x100, v80
	s_or_b64 s[16:17], s[8:9], s[16:17]
	v_lshl_add_u64 v[68:69], v[68:69], 0, 8
	s_andn2_b64 exec, exec, s[16:17]
	s_cbranch_execz .LBB213_11
.LBB213_9:                              ; =>This Inner Loop Header: Depth=1
	global_load_dword v70, v[68:69], off
	s_waitcnt vmcnt(0) lgkmcnt(0)
	v_mad_i64_i32 v[70:71], s[8:9], v70, s38, v[66:67]
	global_load_ushort v82, v[70:71], off offset:4
	global_load_ushort v84, v[70:71], off
	global_load_ushort v86, v[70:71], off offset:8
	global_load_ushort v88, v[70:71], off offset:12
	;; [unrolled: 1-line block ×10, first 2 shown]
	s_waitcnt vmcnt(11)
	v_cvt_pk_f32_fp8_e32 v[82:83], v82
	s_waitcnt vmcnt(10)
	v_cvt_pk_f32_fp8_e32 v[84:85], v84
	;; [unrolled: 2-line block ×3, first 2 shown]
	v_pk_mul_f32 v[82:83], s[14:15], v[82:83]
	s_nop 0
	v_mul_f32_e32 v82, v4, v82
	v_mul_f32_e32 v83, v5, v83
	v_pk_mul_f32 v[84:85], v[84:85], s[14:15]
	v_pk_mul_f32 v[86:87], s[14:15], v[86:87]
	v_fmac_f32_e32 v82, v2, v84
	v_fmac_f32_e32 v83, v3, v85
	s_waitcnt vmcnt(8)
	v_cvt_pk_f32_fp8_e32 v[84:85], v88
	v_fmac_f32_e32 v82, v6, v86
	v_fmac_f32_e32 v83, v7, v87
	global_load_ushort v88, v[70:71], off offset:1536
	s_waitcnt vmcnt(8)
	v_cvt_pk_f32_fp8_e32 v[86:87], v89
	v_pk_mul_f32 v[84:85], s[14:15], v[84:85]
	global_load_ushort v89, v[70:71], off offset:1540
	v_fmac_f32_e32 v82, v8, v84
	v_fmac_f32_e32 v83, v9, v85
	s_waitcnt vmcnt(8)
	v_cvt_pk_f32_fp8_e32 v[84:85], v90
	v_pk_mul_f32 v[86:87], s[14:15], v[86:87]
	global_load_ushort v90, v[70:71], off offset:1544
	global_load_ushort v97, v[70:71], off offset:1548
	v_fmac_f32_e32 v82, v10, v86
	v_fmac_f32_e32 v83, v11, v87
	v_pk_mul_f32 v[84:85], s[14:15], v[84:85]
	global_load_ushort v98, v[70:71], off offset:2056
	v_fmac_f32_e32 v82, v12, v84
	v_fmac_f32_e32 v83, v13, v85
	s_waitcnt vmcnt(10)
	v_cvt_pk_f32_fp8_e32 v[84:85], v91
	global_load_ushort v91, v[70:71], off offset:2048
	s_waitcnt vmcnt(7)
	v_cvt_pk_f32_fp8_e32 v[86:87], v95
	global_load_ushort v95, v[70:71], off offset:3072
	v_pk_mul_f32 v[84:85], s[14:15], v[84:85]
	v_pk_mul_f32 v[86:87], s[14:15], v[86:87]
	v_fmac_f32_e32 v82, v14, v84
	v_fmac_f32_e32 v83, v15, v85
	v_cvt_pk_f32_fp8_e32 v[84:85], v92
	global_load_ushort v92, v[70:71], off offset:2052
	v_pk_mul_f32 v[84:85], s[14:15], v[84:85]
	s_nop 0
	v_fmac_f32_e32 v82, v16, v84
	v_fmac_f32_e32 v83, v17, v85
	v_cvt_pk_f32_fp8_e32 v[84:85], v93
	global_load_ushort v93, v[70:71], off offset:2060
	v_pk_mul_f32 v[84:85], s[14:15], v[84:85]
	s_nop 0
	;; [unrolled: 6-line block ×3, first 2 shown]
	v_fmac_f32_e32 v82, v20, v84
	v_fmac_f32_e32 v83, v21, v85
	s_waitcnt vmcnt(10)
	v_cvt_pk_f32_fp8_e32 v[84:85], v96
	v_fmac_f32_e32 v82, v22, v86
	v_fmac_f32_e32 v83, v23, v87
	v_pk_mul_f32 v[84:85], s[14:15], v[84:85]
	s_nop 0
	v_fmac_f32_e32 v82, v24, v84
	v_fmac_f32_e32 v83, v25, v85
	s_waitcnt vmcnt(9)
	v_cvt_pk_f32_fp8_e32 v[86:87], v88
	global_load_ushort v88, v[70:71], off offset:2564
	s_waitcnt vmcnt(9)
	v_cvt_pk_f32_fp8_e32 v[84:85], v89
	v_pk_mul_f32 v[86:87], s[14:15], v[86:87]
	global_load_ushort v89, v[70:71], off offset:2568
	v_fmac_f32_e32 v82, v26, v86
	v_fmac_f32_e32 v83, v27, v87
	s_waitcnt vmcnt(9)
	v_cvt_pk_f32_fp8_e32 v[86:87], v90
	v_pk_mul_f32 v[84:85], s[14:15], v[84:85]
	global_load_ushort v90, v[70:71], off offset:2572
	v_fmac_f32_e32 v82, v28, v84
	v_fmac_f32_e32 v83, v29, v85
	s_waitcnt vmcnt(9)
	v_cvt_pk_f32_fp8_e32 v[84:85], v97
	v_pk_mul_f32 v[86:87], s[14:15], v[86:87]
	v_pk_mul_f32 v[84:85], s[14:15], v[84:85]
	v_fmac_f32_e32 v82, v30, v86
	v_fmac_f32_e32 v83, v31, v87
	s_waitcnt vmcnt(7)
	v_cvt_pk_f32_fp8_e32 v[86:87], v91
	global_load_ushort v91, v[70:71], off offset:3076
	v_fmac_f32_e32 v82, v32, v84
	v_fmac_f32_e32 v83, v33, v85
	v_pk_mul_f32 v[86:87], s[14:15], v[86:87]
	s_waitcnt vmcnt(6)
	v_cvt_pk_f32_fp8_e32 v[84:85], v92
	global_load_ushort v92, v[70:71], off offset:3080
	global_load_ushort v96, v[70:71], off offset:3084
	;; [unrolled: 1-line block ×3, first 2 shown]
	v_fmac_f32_e32 v82, v34, v86
	v_fmac_f32_e32 v83, v35, v87
	v_cvt_pk_f32_fp8_e32 v[86:87], v98
	global_load_ushort v98, v[70:71], off offset:3588
	global_load_ushort v99, v[70:71], off offset:3592
	;; [unrolled: 1-line block ×3, first 2 shown]
	s_waitcnt vmcnt(11)
	v_cvt_pk_f32_fp8_e32 v[70:71], v93
	v_pk_mul_f32 v[84:85], s[14:15], v[84:85]
	v_pk_mul_f32 v[70:71], s[14:15], v[70:71]
	v_fmac_f32_e32 v82, v36, v84
	v_fmac_f32_e32 v83, v37, v85
	v_pk_mul_f32 v[84:85], s[14:15], v[86:87]
	s_waitcnt vmcnt(7)
	v_cvt_pk_f32_fp8_e32 v[86:87], v90
	v_fmac_f32_e32 v82, v38, v84
	v_fmac_f32_e32 v83, v39, v85
	;; [unrolled: 1-line block ×4, first 2 shown]
	v_cvt_pk_f32_fp8_e32 v[70:71], v94
	v_cvt_pk_f32_fp8_e32 v[84:85], v88
	v_pk_mul_f32 v[86:87], s[14:15], v[86:87]
	v_pk_mul_f32 v[70:71], s[14:15], v[70:71]
	s_nop 0
	v_fmac_f32_e32 v82, v42, v70
	v_fmac_f32_e32 v83, v43, v71
	v_cvt_pk_f32_fp8_e32 v[70:71], v89
	v_pk_mul_f32 v[84:85], s[14:15], v[84:85]
	s_waitcnt vmcnt(6)
	v_cvt_pk_f32_fp8_e32 v[88:89], v91
	v_fmac_f32_e32 v82, v44, v84
	v_fmac_f32_e32 v83, v45, v85
	v_cvt_pk_f32_fp8_e32 v[84:85], v95
	v_pk_mul_f32 v[70:71], s[14:15], v[70:71]
	s_waitcnt vmcnt(4)
	v_cvt_pk_f32_fp8_e32 v[90:91], v96
	v_fmac_f32_e32 v82, v46, v70
	v_fmac_f32_e32 v83, v47, v71
	v_cvt_pk_f32_fp8_e32 v[70:71], v92
	v_fmac_f32_e32 v82, v48, v86
	v_fmac_f32_e32 v83, v49, v87
	s_waitcnt vmcnt(3)
	v_cvt_pk_f32_fp8_e32 v[86:87], v97
	v_pk_mul_f32 v[84:85], s[14:15], v[84:85]
	s_waitcnt vmcnt(2)
	v_cvt_pk_f32_fp8_e32 v[92:93], v98
	v_fmac_f32_e32 v82, v50, v84
	v_fmac_f32_e32 v83, v51, v85
	v_pk_mul_f32 v[88:89], s[14:15], v[88:89]
	s_waitcnt vmcnt(1)
	v_cvt_pk_f32_fp8_e32 v[84:85], v99
	v_pk_mul_f32 v[70:71], s[14:15], v[70:71]
	v_fmac_f32_e32 v82, v52, v88
	v_fmac_f32_e32 v83, v53, v89
	s_waitcnt vmcnt(0)
	v_cvt_pk_f32_fp8_e32 v[94:95], v100
	v_pk_mul_f32 v[90:91], s[14:15], v[90:91]
	v_fmac_f32_e32 v82, v54, v70
	v_fmac_f32_e32 v83, v55, v71
	v_pk_mul_f32 v[86:87], s[14:15], v[86:87]
	v_fmac_f32_e32 v82, v56, v90
	v_fmac_f32_e32 v83, v57, v91
	;; [unrolled: 3-line block ×5, first 2 shown]
	v_fmac_f32_e32 v82, v64, v94
	v_fmac_f32_e32 v83, v65, v95
	v_add_f32_e32 v70, v82, v83
	ds_bpermute_b32 v71, v77, v70
	s_and_saveexec_b64 s[36:37], vcc
	s_cbranch_execz .LBB213_8
; %bb.10:                               ;   in Loop: Header=BB213_9 Depth=1
	v_add_u32_e32 v82, s39, v79
	v_cvt_f32_i32_e32 v82, v82
	s_waitcnt lgkmcnt(0)
	v_add_f32_e32 v70, v70, v71
	v_cmp_gt_i32_e64 s[8:9], s33, v79
	v_max_f32_e32 v71, v78, v78
	v_mul_f32_e32 v82, s10, v82
	v_cndmask_b32_e64 v82, 0, v82, s[0:1]
	v_fmac_f32_e32 v82, s11, v70
	v_cndmask_b32_e64 v70, 0, v82, s[8:9]
	ds_write_b32 v80, v70
	v_max_f32_e32 v70, v71, v82
	v_cndmask_b32_e64 v78, v78, v70, s[8:9]
	s_branch .LBB213_8
.LBB213_11:
	s_or_b64 exec, exec, s[16:17]
.LBB213_12:
	s_or_b64 exec, exec, s[34:35]
	v_xor_b32_e32 v2, 32, v74
	v_cmp_lt_i32_e32 vcc, v2, v76
	v_xor_b32_e32 v5, 16, v74
	v_max_f32_e32 v4, v78, v78
	v_cndmask_b32_e32 v2, v74, v2, vcc
	v_lshlrev_b32_e32 v2, 2, v2
	ds_bpermute_b32 v3, v2, v78
	v_cmp_lt_i32_e32 vcc, v5, v76
	v_xor_b32_e32 v6, 8, v74
	v_xor_b32_e32 v7, 4, v74
	v_and_b32_e32 v94, 63, v0
	s_waitcnt lgkmcnt(0)
	v_max_f32_e32 v3, v3, v3
	v_max_f32_e32 v4, v4, v3
	v_cndmask_b32_e32 v3, v74, v5, vcc
	v_lshlrev_b32_e32 v3, 2, v3
	ds_bpermute_b32 v5, v3, v4
	v_cmp_lt_i32_e32 vcc, v6, v76
	s_waitcnt lgkmcnt(0)
	v_max_f32_e32 v5, v5, v5
	v_max_f32_e32 v5, v4, v5
	v_cndmask_b32_e32 v4, v74, v6, vcc
	v_lshlrev_b32_e32 v4, 2, v4
	ds_bpermute_b32 v6, v4, v5
	v_cmp_lt_i32_e32 vcc, v7, v76
	s_waitcnt lgkmcnt(0)
	v_max_f32_e32 v6, v6, v6
	v_max_f32_e32 v5, v5, v6
	v_cndmask_b32_e32 v6, v74, v7, vcc
	v_lshlrev_b32_e32 v95, 2, v6
	ds_bpermute_b32 v6, v95, v5
	v_xor_b32_e32 v7, 2, v74
	v_cmp_lt_i32_e32 vcc, v7, v76
	s_waitcnt lgkmcnt(0)
	v_max_f32_e32 v6, v6, v6
	v_max_f32_e32 v6, v5, v6
	v_cndmask_b32_e32 v5, v74, v7, vcc
	v_lshlrev_b32_e32 v96, 2, v5
	ds_bpermute_b32 v7, v96, v6
	v_cmp_eq_u32_e32 vcc, 0, v94
	v_lshlrev_b32_e32 v5, 2, v1
	s_and_saveexec_b64 s[0:1], vcc
	s_cbranch_execz .LBB213_14
; %bb.13:
	s_waitcnt lgkmcnt(0)
	v_max_f32_e32 v7, v7, v7
	v_max_f32_e32 v6, v6, v6
	;; [unrolled: 1-line block ×3, first 2 shown]
	ds_write_b32 v5, v6 offset:512
.LBB213_14:
	s_or_b64 exec, exec, s[0:1]
	v_cmp_gt_u32_e64 s[0:1], 2, v94
	s_waitcnt lgkmcnt(0)
	v_mov_b32_e32 v7, 0xff7fffff
	v_lshlrev_b32_e32 v6, 2, v94
	s_barrier
	s_and_saveexec_b64 s[8:9], s[0:1]
; %bb.15:
	ds_read_b32 v7, v6 offset:512
; %bb.16:
	s_or_b64 exec, exec, s[8:9]
	v_xor_b32_e32 v8, 1, v74
	v_cmp_lt_i32_e64 s[8:9], v8, v76
	s_nop 1
	v_cndmask_b32_e64 v8, v74, v8, s[8:9]
	v_lshlrev_b32_e32 v97, 2, v8
	s_waitcnt lgkmcnt(0)
	ds_bpermute_b32 v8, v97, v7
	v_max_f32_e32 v7, v7, v7
	s_lshl_b32 s8, s23, 5
	s_min_i32 s34, s8, s33
	v_cmp_gt_i32_e64 s[8:9], s34, v0
	s_waitcnt lgkmcnt(0)
	v_max_f32_e32 v8, v8, v8
	v_max_f32_e32 v7, v7, v8
	v_lshlrev_b32_e32 v8, 2, v75
	ds_bpermute_b32 v8, v8, v7
	v_mov_b32_e32 v7, 0
	s_and_saveexec_b64 s[14:15], s[8:9]
	s_cbranch_execz .LBB213_20
; %bb.17:
	v_mov_b32_e32 v7, 0x210
	v_lshl_add_u32 v9, v0, 2, v7
	v_mov_b32_e32 v7, 0
	s_mov_b64 s[16:17], 0
	v_mov_b32_e32 v10, v0
.LBB213_18:                             ; =>This Inner Loop Header: Depth=1
	ds_read_b32 v11, v9
	v_add_u32_e32 v10, 0x80, v10
	v_cmp_le_i32_e64 s[10:11], s34, v10
	s_or_b64 s[16:17], s[10:11], s[16:17]
	s_waitcnt lgkmcnt(0)
	v_sub_f32_e32 v11, v11, v8
	v_mul_f32_e32 v11, 0x3fb8aa3b, v11
	v_exp_f32_e32 v11, v11
	ds_write_b32 v9, v11
	v_add_f32_e32 v7, v7, v11
	v_add_u32_e32 v9, 0x200, v9
	s_andn2_b64 exec, exec, s[16:17]
	s_cbranch_execnz .LBB213_18
; %bb.19:
	s_or_b64 exec, exec, s[16:17]
.LBB213_20:
	s_or_b64 exec, exec, s[14:15]
	ds_bpermute_b32 v2, v2, v7
	s_waitcnt lgkmcnt(0)
	v_add_f32_e32 v2, v7, v2
	ds_bpermute_b32 v3, v3, v2
	s_waitcnt lgkmcnt(0)
	v_add_f32_e32 v2, v2, v3
	;; [unrolled: 3-line block ×6, first 2 shown]
	s_and_saveexec_b64 s[10:11], vcc
; %bb.21:
	ds_write_b32 v5, v2 offset:520
; %bb.22:
	s_or_b64 exec, exec, s[10:11]
	s_waitcnt lgkmcnt(0)
	s_barrier
	s_and_saveexec_b64 s[10:11], s[0:1]
; %bb.23:
	ds_read_b32 v2, v6 offset:520
; %bb.24:
	s_or_b64 exec, exec, s[10:11]
	s_waitcnt lgkmcnt(0)
	ds_bpermute_b32 v3, v97, v2
	v_lshlrev_b32_e32 v4, 2, v74
	s_waitcnt lgkmcnt(0)
	v_add_f32_e32 v2, v2, v3
	v_and_b32_e32 v3, 0xffffff00, v4
	ds_bpermute_b32 v2, v3, v2
	s_and_saveexec_b64 s[0:1], s[8:9]
	s_cbranch_execz .LBB213_37
; %bb.25:
	s_waitcnt lgkmcnt(0)
	v_add_f32_e32 v2, 0x358637bd, v2
	v_div_scale_f32 v3, s[8:9], v2, v2, 1.0
	v_rcp_f32_e32 v4, v3
	v_div_scale_f32 v5, vcc, 1.0, v2, 1.0
	s_movk_i32 s8, 0x7f
	v_fma_f32 v6, -v3, v4, 1.0
	v_fmac_f32_e32 v4, v6, v4
	v_mul_f32_e32 v6, v5, v4
	v_fma_f32 v7, -v3, v6, v5
	v_fmac_f32_e32 v6, v7, v4
	v_fma_f32 v3, -v3, v6, v5
	v_div_fmas_f32 v3, v3, v4, v6
	v_xad_u32 v4, v0, -1, s34
	v_div_fixup_f32 v2, v3, v2, 1.0
	v_cmp_lt_u32_e32 vcc, s8, v4
	s_mov_b64 s[10:11], -1
	v_mov_b32_e32 v3, v0
	s_and_saveexec_b64 s[8:9], vcc
	s_cbranch_execz .LBB213_34
; %bb.26:
	v_lshrrev_b32_e32 v4, 7, v4
	v_add_u32_e32 v6, -1, v4
	v_lshrrev_b32_e32 v5, 1, v6
	v_mov_b32_e32 v3, v2
	v_add_u32_e32 v5, 1, v5
	v_cmp_lt_u32_e32 vcc, 13, v6
	v_mov_b32_e32 v8, 0
	s_and_saveexec_b64 s[10:11], vcc
	s_cbranch_execz .LBB213_30
; %bb.27:
	v_mov_b32_e32 v7, 0x210
	v_and_b32_e32 v6, -8, v5
	v_lshl_add_u32 v7, v0, 2, v7
	s_mov_b32 s16, 0
	s_mov_b64 s[14:15], 0
.LBB213_28:                             ; =>This Inner Loop Header: Depth=1
	ds_read2st64_b32 v[8:9], v7 offset1:2
	ds_read2st64_b32 v[10:11], v7 offset0:4 offset1:6
	ds_read2st64_b32 v[12:13], v7 offset0:8 offset1:10
	;; [unrolled: 1-line block ×3, first 2 shown]
	v_add_u32_e32 v6, -8, v6
	s_waitcnt lgkmcnt(3)
	v_pk_mul_f32 v[8:9], v[2:3], v[8:9]
	s_waitcnt lgkmcnt(2)
	v_pk_mul_f32 v[10:11], v[2:3], v[10:11]
	ds_write2st64_b32 v7, v8, v9 offset1:2
	ds_write2st64_b32 v7, v10, v11 offset0:4 offset1:6
	ds_read2st64_b32 v[10:11], v7 offset0:16 offset1:18
	s_waitcnt lgkmcnt(4)
	v_pk_mul_f32 v[8:9], v[2:3], v[12:13]
	ds_write2st64_b32 v7, v8, v9 offset0:8 offset1:10
	s_waitcnt lgkmcnt(4)
	v_pk_mul_f32 v[8:9], v[2:3], v[14:15]
	ds_write2st64_b32 v7, v8, v9 offset0:12 offset1:14
	ds_read2st64_b32 v[8:9], v7 offset0:20 offset1:22
	s_waitcnt lgkmcnt(3)
	v_pk_mul_f32 v[10:11], v[2:3], v[10:11]
	ds_read2st64_b32 v[12:13], v7 offset0:24 offset1:26
	ds_write2st64_b32 v7, v10, v11 offset0:16 offset1:18
	ds_read2st64_b32 v[10:11], v7 offset0:28 offset1:30
	s_waitcnt lgkmcnt(3)
	v_pk_mul_f32 v[8:9], v[2:3], v[8:9]
	ds_write2st64_b32 v7, v8, v9 offset0:20 offset1:22
	s_waitcnt lgkmcnt(3)
	v_pk_mul_f32 v[8:9], v[2:3], v[12:13]
	ds_write2st64_b32 v7, v8, v9 offset0:24 offset1:26
	s_waitcnt lgkmcnt(2)
	v_pk_mul_f32 v[8:9], v[2:3], v[10:11]
	s_add_i32 s16, s16, 16
	v_cmp_eq_u32_e32 vcc, 0, v6
	ds_write2st64_b32 v7, v8, v9 offset0:28 offset1:30
	v_add_u32_e32 v7, 0x2000, v7
	s_or_b64 s[14:15], vcc, s[14:15]
	v_mov_b32_e32 v8, s16
	s_andn2_b64 exec, exec, s[14:15]
	s_cbranch_execnz .LBB213_28
; %bb.29:
	s_or_b64 exec, exec, s[14:15]
.LBB213_30:
	s_or_b64 exec, exec, s[10:11]
	v_and_b32_e32 v5, 7, v5
	v_cmp_ne_u32_e32 vcc, 0, v5
	s_and_saveexec_b64 s[10:11], vcc
	s_cbranch_execz .LBB213_33
; %bb.31:
	v_lshlrev_b32_e32 v6, 9, v8
	s_movk_i32 s14, 0x210
	v_add3_u32 v6, v6, v72, s14
	s_mov_b64 s[14:15], 0
.LBB213_32:                             ; =>This Inner Loop Header: Depth=1
	ds_read2st64_b32 v[8:9], v6 offset1:2
	v_add_u32_e32 v5, -1, v5
	v_cmp_eq_u32_e32 vcc, 0, v5
	s_or_b64 s[14:15], vcc, s[14:15]
	s_waitcnt lgkmcnt(0)
	v_pk_mul_f32 v[8:9], v[2:3], v[8:9]
	ds_write2st64_b32 v6, v8, v9 offset1:2
	v_add_u32_e32 v6, 0x400, v6
	s_andn2_b64 exec, exec, s[14:15]
	s_cbranch_execnz .LBB213_32
.LBB213_33:
	s_or_b64 exec, exec, s[10:11]
	v_add_u32_e32 v4, 1, v4
	v_and_b32_e32 v5, 0x3fffffe, v4
	v_cmp_ne_u32_e32 vcc, v4, v5
	v_lshl_add_u32 v3, v5, 7, v0
	s_orn2_b64 s[10:11], vcc, exec
.LBB213_34:
	s_or_b64 exec, exec, s[8:9]
	s_and_b64 exec, exec, s[10:11]
	s_cbranch_execz .LBB213_37
; %bb.35:
	v_mov_b32_e32 v4, 0x210
	v_lshl_add_u32 v4, v3, 2, v4
	s_mov_b64 s[8:9], 0
.LBB213_36:                             ; =>This Inner Loop Header: Depth=1
	ds_read_b32 v5, v4
	v_add_u32_e32 v3, 0x80, v3
	v_cmp_le_i32_e32 vcc, s34, v3
	s_or_b64 s[8:9], vcc, s[8:9]
	s_waitcnt lgkmcnt(0)
	v_mul_f32_e32 v5, v2, v5
	ds_write_b32 v4, v5
	v_add_u32_e32 v4, 0x200, v4
	s_andn2_b64 exec, exec, s[8:9]
	s_cbranch_execnz .LBB213_36
.LBB213_37:
	s_or_b64 exec, exec, s[0:1]
	v_mov_b32_e32 v7, 0
	v_and_b32_e32 v98, 7, v0
	v_mov_b32_e32 v6, 0
	v_mov_b32_e32 v9, 0
	;; [unrolled: 1-line block ×15, first 2 shown]
	s_waitcnt lgkmcnt(0)
	s_barrier
	s_and_saveexec_b64 s[8:9], s[2:3]
	s_cbranch_execz .LBB213_73
; %bb.38:
	s_load_dword s2, s[18:19], 0x0
	s_ashr_i32 s1, s12, 31
	v_and_b32_e32 v2, 28, v72
	s_add_u32 s0, s30, s12
	s_addc_u32 s1, s31, s1
	s_add_i32 s15, s23, -1
	v_lshl_or_b32 v99, v1, 5, v2
	v_lshlrev_b32_e32 v2, 4, v98
	s_lshl_b64 s[10:11], s[28:29], 2
	v_mov_b32_e32 v23, 0
	v_lshl_or_b32 v2, v1, 7, v2
	s_add_u32 s10, s26, s10
	v_add_u32_e32 v100, 0x210, v2
	v_and_b32_e32 v2, 60, v73
	v_mov_b32_e32 v3, v23
	s_addc_u32 s11, s27, s11
	s_mov_b32 s14, s13
	v_and_b32_e32 v22, 0xfc, v72
	s_waitcnt lgkmcnt(0)
	s_mov_b32 s3, s2
	v_or_b32_e32 v24, 0xf00, v72
	v_mov_b32_e32 v25, v23
	s_mov_b32 s16, s33
	v_lshl_add_u64 v[26:27], s[10:11], 0, v[2:3]
	s_mov_b64 s[10:11], 0
	v_mov_b64_e32 v[28:29], s[0:1]
	v_mov_b32_e32 v7, v23
	v_mov_b32_e32 v6, v23
	;; [unrolled: 1-line block ×16, first 2 shown]
	s_branch .LBB213_40
.LBB213_39:                             ;   in Loop: Header=BB213_40 Depth=1
	s_or_b64 exec, exec, s[0:1]
	s_waitcnt lgkmcnt(0)
	v_mul_f32_e32 v92, v2, v92
	v_mul_f32_e32 v88, v2, v88
	;; [unrolled: 1-line block ×15, first 2 shown]
	v_fmac_f32_e32 v92, v3, v93
	v_fmac_f32_e32 v88, v3, v89
	;; [unrolled: 1-line block ×30, first 2 shown]
	v_pk_mul_f32 v[2:3], v[2:3], v[48:49]
	v_fmac_f32_e32 v92, v5, v91
	v_fmac_f32_e32 v88, v5, v87
	;; [unrolled: 1-line block ×15, first 2 shown]
	v_pk_mul_f32 v[4:5], v[4:5], v[42:43]
	v_add_f32_e32 v2, v3, v2
	v_add_f32_e32 v2, v4, v2
	v_add_u32_e32 v1, 2, v1
	v_add_f32_e32 v2, v5, v2
	v_cmp_le_i32_e32 vcc, s23, v1
	v_add_f32_e32 v6, v6, v92
	v_add_f32_e32 v9, v9, v88
	;; [unrolled: 1-line block ×16, first 2 shown]
	v_add_u32_e32 v99, 64, v99
	v_add_u32_e32 v100, 0x100, v100
	s_or_b64 s[10:11], vcc, s[10:11]
	v_lshl_add_u64 v[26:27], v[26:27], 0, 8
	s_andn2_b64 exec, exec, s[10:11]
	s_cbranch_execz .LBB213_72
.LBB213_40:                             ; =>This Inner Loop Header: Depth=1
	global_load_dword v2, v[26:27], off
	v_cmp_eq_u32_e32 vcc, s15, v1
	v_add_u32_e32 v101, 1, v99
	v_add_u32_e32 v102, 2, v99
	;; [unrolled: 1-line block ×3, first 2 shown]
	s_waitcnt vmcnt(0)
	v_mad_i64_i32 v[42:43], s[0:1], v2, s14, v[28:29]
	v_lshl_add_u64 v[48:49], v[42:43], 0, v[22:23]
	global_load_dword v30, v[48:49], off
	ds_read_b128 v[2:5], v100
	s_waitcnt vmcnt(0)
	v_and_b32_e32 v31, 0xffff, v30
	v_lshrrev_b32_e32 v32, 16, v30
	v_cvt_pk_f32_fp8_e32 v[30:31], v31
	v_cvt_pk_f32_fp8_e32 v[34:35], v32
	v_pk_mul_f32 v[32:33], s[2:3], v[30:31]
	v_pk_mul_f32 v[30:31], s[2:3], v[34:35]
	s_and_saveexec_b64 s[12:13], vcc
; %bb.41:                               ;   in Loop: Header=BB213_40 Depth=1
	v_cmp_gt_i32_e64 s[0:1], s33, v99
	s_nop 1
	v_cndmask_b32_e64 v32, 0, v32, s[0:1]
	v_cmp_gt_i32_e64 s[0:1], s33, v101
	s_nop 1
	v_cndmask_b32_e64 v33, 0, v33, s[0:1]
	v_cmp_gt_i32_e64 s[0:1], s33, v102
	s_nop 1
	v_cndmask_b32_e64 v30, 0, v30, s[0:1]
	v_cmp_gt_i32_e64 s[0:1], s33, v103
	s_nop 1
	v_cndmask_b32_e64 v31, 0, v31, s[0:1]
; %bb.42:                               ;   in Loop: Header=BB213_40 Depth=1
	s_or_b64 exec, exec, s[12:13]
	global_load_dword v34, v[48:49], off offset:256
	s_waitcnt vmcnt(0)
	v_and_b32_e32 v35, 0xffff, v34
	v_lshrrev_b32_e32 v36, 16, v34
	v_cvt_pk_f32_fp8_e32 v[34:35], v35
	v_cvt_pk_f32_fp8_e32 v[38:39], v36
	v_pk_mul_f32 v[36:37], s[2:3], v[34:35]
	v_pk_mul_f32 v[34:35], s[2:3], v[38:39]
	s_and_saveexec_b64 s[12:13], vcc
; %bb.43:                               ;   in Loop: Header=BB213_40 Depth=1
	v_cmp_gt_i32_e64 s[0:1], s33, v99
	s_nop 1
	v_cndmask_b32_e64 v36, 0, v36, s[0:1]
	v_cmp_gt_i32_e64 s[0:1], s33, v101
	s_nop 1
	v_cndmask_b32_e64 v37, 0, v37, s[0:1]
	v_cmp_gt_i32_e64 s[0:1], s33, v102
	s_nop 1
	v_cndmask_b32_e64 v34, 0, v34, s[0:1]
	v_cmp_gt_i32_e64 s[0:1], s33, v103
	s_nop 1
	v_cndmask_b32_e64 v35, 0, v35, s[0:1]
; %bb.44:                               ;   in Loop: Header=BB213_40 Depth=1
	s_or_b64 exec, exec, s[12:13]
	global_load_dword v38, v[48:49], off offset:512
	;; [unrolled: 24-line block ×14, first 2 shown]
	s_waitcnt vmcnt(0)
	v_and_b32_e32 v49, 0xffff, v48
	v_lshrrev_b32_e32 v90, 16, v48
	v_cvt_pk_f32_fp8_e32 v[48:49], v49
	v_cvt_pk_f32_fp8_e32 v[90:91], v90
	v_pk_mul_f32 v[92:93], s[2:3], v[48:49]
	v_pk_mul_f32 v[90:91], s[2:3], v[90:91]
	s_and_saveexec_b64 s[12:13], vcc
; %bb.69:                               ;   in Loop: Header=BB213_40 Depth=1
	v_cmp_gt_i32_e64 s[0:1], s33, v99
	s_nop 1
	v_cndmask_b32_e64 v92, 0, v92, s[0:1]
	v_cmp_gt_i32_e64 s[0:1], s33, v101
	s_nop 1
	v_cndmask_b32_e64 v93, 0, v93, s[0:1]
	;; [unrolled: 3-line block ×4, first 2 shown]
; %bb.70:                               ;   in Loop: Header=BB213_40 Depth=1
	s_or_b64 exec, exec, s[12:13]
	v_lshl_add_u64 v[42:43], v[42:43], 0, v[24:25]
	global_load_dword v42, v[42:43], off
	s_waitcnt vmcnt(0)
	v_and_b32_e32 v43, 0xffff, v42
	v_lshrrev_b32_e32 v48, 16, v42
	v_cvt_pk_f32_fp8_e32 v[42:43], v43
	v_cvt_pk_f32_fp8_e32 v[102:103], v48
	v_pk_mul_f32 v[48:49], s[2:3], v[42:43]
	v_pk_mul_f32 v[42:43], s[2:3], v[102:103]
	s_and_saveexec_b64 s[0:1], vcc
	s_cbranch_execz .LBB213_39
; %bb.71:                               ;   in Loop: Header=BB213_40 Depth=1
	v_cmp_gt_i32_e32 vcc, s16, v101
	v_or_b32_e32 v101, 3, v99
	v_or_b32_e32 v102, 2, v99
	v_cndmask_b32_e32 v49, 0, v49, vcc
	v_cmp_gt_i32_e32 vcc, s33, v99
	s_nop 1
	v_cndmask_b32_e32 v48, 0, v48, vcc
	v_cmp_gt_i32_e32 vcc, s16, v101
	s_nop 1
	;; [unrolled: 3-line block ×3, first 2 shown]
	v_cndmask_b32_e32 v42, 0, v42, vcc
	s_branch .LBB213_39
.LBB213_72:
	s_or_b64 exec, exec, s[10:11]
.LBB213_73:
	s_or_b64 exec, exec, s[8:9]
	ds_bpermute_b32 v4, v95, v18
	ds_bpermute_b32 v5, v95, v19
	;; [unrolled: 1-line block ×6, first 2 shown]
	s_waitcnt lgkmcnt(4)
	v_pk_add_f32 v[4:5], v[18:19], v[4:5]
	ds_bpermute_b32 v18, v96, v4
	ds_bpermute_b32 v19, v96, v5
	s_waitcnt lgkmcnt(4)
	v_pk_add_f32 v[2:3], v[20:21], v[2:3]
	s_waitcnt lgkmcnt(2)
	v_pk_add_f32 v[16:17], v[16:17], v[22:23]
	ds_bpermute_b32 v20, v96, v2
	ds_bpermute_b32 v21, v96, v3
	s_waitcnt lgkmcnt(2)
	v_pk_add_f32 v[4:5], v[4:5], v[18:19]
	ds_bpermute_b32 v18, v96, v16
	ds_bpermute_b32 v19, v96, v17
	;; [unrolled: 1-line block ×3, first 2 shown]
	s_waitcnt lgkmcnt(3)
	v_pk_add_f32 v[2:3], v[2:3], v[20:21]
	ds_bpermute_b32 v20, v97, v2
	ds_bpermute_b32 v21, v97, v3
	s_waitcnt lgkmcnt(3)
	v_pk_add_f32 v[16:17], v[16:17], v[18:19]
	ds_bpermute_b32 v25, v95, v15
	ds_bpermute_b32 v18, v97, v16
	;; [unrolled: 1-line block ×5, first 2 shown]
	s_waitcnt lgkmcnt(4)
	v_pk_add_f32 v[24:25], v[14:15], v[24:25]
	v_pk_add_f32 v[14:15], v[2:3], v[20:21]
	s_waitcnt lgkmcnt(2)
	v_pk_add_f32 v[2:3], v[16:17], v[18:19]
	ds_bpermute_b32 v18, v95, v12
	ds_bpermute_b32 v19, v95, v13
	;; [unrolled: 1-line block ×4, first 2 shown]
	s_waitcnt lgkmcnt(4)
	v_pk_add_f32 v[4:5], v[4:5], v[22:23]
	ds_bpermute_b32 v22, v95, v10
	ds_bpermute_b32 v23, v95, v11
	s_waitcnt lgkmcnt(4)
	v_pk_add_f32 v[12:13], v[12:13], v[18:19]
	ds_bpermute_b32 v18, v96, v12
	ds_bpermute_b32 v19, v96, v13
	s_waitcnt lgkmcnt(4)
	v_pk_add_f32 v[16:17], v[24:25], v[26:27]
	s_waitcnt lgkmcnt(2)
	v_pk_add_f32 v[10:11], v[10:11], v[22:23]
	ds_bpermute_b32 v24, v95, v8
	ds_bpermute_b32 v25, v95, v9
	ds_bpermute_b32 v22, v96, v10
	ds_bpermute_b32 v23, v96, v11
	s_waitcnt lgkmcnt(4)
	v_pk_add_f32 v[18:19], v[12:13], v[18:19]
	ds_bpermute_b32 v12, v95, v6
	ds_bpermute_b32 v13, v95, v7
	s_waitcnt lgkmcnt(4)
	v_pk_add_f32 v[8:9], v[8:9], v[24:25]
	s_waitcnt lgkmcnt(2)
	v_pk_add_f32 v[22:23], v[10:11], v[22:23]
	ds_bpermute_b32 v10, v96, v8
	ds_bpermute_b32 v11, v96, v9
	s_waitcnt lgkmcnt(2)
	v_pk_add_f32 v[32:33], v[6:7], v[12:13]
	ds_bpermute_b32 v20, v97, v16
	ds_bpermute_b32 v21, v97, v17
	;; [unrolled: 1-line block ×6, first 2 shown]
	s_waitcnt lgkmcnt(6)
	v_pk_add_f32 v[28:29], v[8:9], v[10:11]
	ds_bpermute_b32 v24, v97, v22
	ds_bpermute_b32 v25, v97, v23
	ds_bpermute_b32 v30, v97, v28
	ds_bpermute_b32 v31, v97, v29
	s_waitcnt lgkmcnt(8)
	v_pk_add_f32 v[12:13], v[16:17], v[20:21]
	s_waitcnt lgkmcnt(6)
	v_pk_add_f32 v[16:17], v[32:33], v[34:35]
	;; [unrolled: 2-line block ×3, first 2 shown]
	ds_bpermute_b32 v18, v97, v16
	ds_bpermute_b32 v19, v97, v17
	v_and_b32_e32 v1, 0x3c7, v0
	s_waitcnt lgkmcnt(4)
	v_pk_add_f32 v[8:9], v[22:23], v[24:25]
	s_waitcnt lgkmcnt(2)
	v_pk_add_f32 v[6:7], v[28:29], v[30:31]
	v_cmp_ne_u32_e32 vcc, 64, v1
	s_waitcnt lgkmcnt(0)
	s_barrier
	s_and_saveexec_b64 s[0:1], vcc
	s_xor_b64 s[0:1], exec, s[0:1]
; %bb.74:
                                        ; implicit-def: $vgpr94
; %bb.75:
	s_or_saveexec_b64 s[0:1], s[0:1]
	v_pk_add_f32 v[16:17], v[16:17], v[18:19]
	s_xor_b64 exec, exec, s[0:1]
	s_cbranch_execz .LBB213_77
; %bb.76:
	v_lshrrev_b32_e32 v18, 1, v94
	v_add_u32_e32 v18, 0x210, v18
	ds_write2_b32 v18, v14, v15 offset1:8
	ds_write2_b32 v18, v4, v5 offset0:16 offset1:24
	ds_write2_b32 v18, v2, v3 offset0:32 offset1:40
	;; [unrolled: 1-line block ×7, first 2 shown]
.LBB213_77:
	s_or_b64 exec, exec, s[0:1]
	v_lshrrev_b32_e32 v0, 3, v0
	s_waitcnt lgkmcnt(0)
	s_barrier
	s_and_saveexec_b64 s[0:1], s[6:7]
	s_cbranch_execz .LBB213_96
; %bb.78:
	v_mov_b32_e32 v18, 0x210
	v_cmp_eq_u32_e32 vcc, 0, v98
	v_lshl_add_u32 v18, v0, 2, v18
	s_and_saveexec_b64 s[2:3], vcc
	s_cbranch_execnz .LBB213_99
; %bb.79:
	s_or_b64 exec, exec, s[2:3]
	s_and_saveexec_b64 s[2:3], vcc
	s_cbranch_execnz .LBB213_100
.LBB213_80:
	s_or_b64 exec, exec, s[2:3]
	s_and_saveexec_b64 s[2:3], vcc
	s_cbranch_execnz .LBB213_101
.LBB213_81:
	s_or_b64 exec, exec, s[2:3]
	s_and_saveexec_b64 s[2:3], vcc
	s_cbranch_execnz .LBB213_102
.LBB213_82:
	s_or_b64 exec, exec, s[2:3]
	s_and_saveexec_b64 s[2:3], vcc
	s_cbranch_execnz .LBB213_103
.LBB213_83:
	s_or_b64 exec, exec, s[2:3]
	s_and_saveexec_b64 s[2:3], vcc
	s_cbranch_execnz .LBB213_104
.LBB213_84:
	s_or_b64 exec, exec, s[2:3]
	s_and_saveexec_b64 s[2:3], vcc
	s_cbranch_execnz .LBB213_105
.LBB213_85:
	s_or_b64 exec, exec, s[2:3]
	s_and_saveexec_b64 s[2:3], vcc
	s_cbranch_execnz .LBB213_106
.LBB213_86:
	s_or_b64 exec, exec, s[2:3]
	s_and_saveexec_b64 s[2:3], vcc
	s_cbranch_execnz .LBB213_107
.LBB213_87:
	s_or_b64 exec, exec, s[2:3]
	s_and_saveexec_b64 s[2:3], vcc
	s_cbranch_execnz .LBB213_108
.LBB213_88:
	s_or_b64 exec, exec, s[2:3]
	s_and_saveexec_b64 s[2:3], vcc
	s_cbranch_execnz .LBB213_109
.LBB213_89:
	s_or_b64 exec, exec, s[2:3]
	s_and_saveexec_b64 s[2:3], vcc
	s_cbranch_execnz .LBB213_110
.LBB213_90:
	s_or_b64 exec, exec, s[2:3]
	s_and_saveexec_b64 s[2:3], vcc
	s_cbranch_execnz .LBB213_111
.LBB213_91:
	s_or_b64 exec, exec, s[2:3]
	s_and_saveexec_b64 s[2:3], vcc
	s_cbranch_execnz .LBB213_112
.LBB213_92:
	s_or_b64 exec, exec, s[2:3]
	s_and_saveexec_b64 s[2:3], vcc
	s_cbranch_execnz .LBB213_113
.LBB213_93:
	s_or_b64 exec, exec, s[2:3]
	s_and_saveexec_b64 s[2:3], vcc
	s_cbranch_execz .LBB213_95
.LBB213_94:
	ds_read_b32 v18, v18 offset:480
	s_waitcnt lgkmcnt(0)
	v_add_f32_e32 v17, v17, v18
.LBB213_95:
	s_or_b64 exec, exec, s[2:3]
.LBB213_96:
	s_or_b64 exec, exec, s[0:1]
	v_cmp_eq_u32_e32 vcc, 0, v1
	s_barrier
	s_and_saveexec_b64 s[0:1], vcc
	s_cbranch_execz .LBB213_98
; %bb.97:
	s_mul_i32 s0, s20, s21
	s_mul_i32 s0, s0, s5
	s_lshl_b32 s0, s0, 7
	s_ashr_i32 s1, s0, 31
	s_lshl_b64 s[0:1], s[0:1], 2
	s_add_u32 s2, s24, s0
	s_mul_i32 s0, s21, s22
	s_addc_u32 s3, s25, s1
	s_ashr_i32 s1, s0, 31
	s_lshl_b64 s[0:1], s[0:1], 2
	s_add_u32 s2, s2, s0
	s_addc_u32 s3, s3, s1
	s_lshl_b32 s0, s4, 7
	s_ashr_i32 s1, s0, 31
	s_lshl_b64 s[0:1], s[0:1], 2
	s_add_u32 s0, s2, s0
	s_addc_u32 s1, s3, s1
	v_lshlrev_b32_e32 v0, 2, v0
	global_store_dword v0, v14, s[0:1]
	global_store_dword v0, v15, s[0:1] offset:32
	global_store_dword v0, v4, s[0:1] offset:64
	;; [unrolled: 1-line block ×15, first 2 shown]
.LBB213_98:
	s_endpgm
.LBB213_99:
	ds_read_b32 v19, v18
	s_waitcnt lgkmcnt(0)
	v_add_f32_e32 v14, v14, v19
	s_or_b64 exec, exec, s[2:3]
	s_and_saveexec_b64 s[2:3], vcc
	s_cbranch_execz .LBB213_80
.LBB213_100:
	ds_read_b32 v19, v18 offset:32
	s_waitcnt lgkmcnt(0)
	v_add_f32_e32 v15, v15, v19
	s_or_b64 exec, exec, s[2:3]
	s_and_saveexec_b64 s[2:3], vcc
	s_cbranch_execz .LBB213_81
.LBB213_101:
	ds_read_b32 v19, v18 offset:64
	s_waitcnt lgkmcnt(0)
	v_add_f32_e32 v4, v4, v19
	s_or_b64 exec, exec, s[2:3]
	s_and_saveexec_b64 s[2:3], vcc
	s_cbranch_execz .LBB213_82
.LBB213_102:
	ds_read_b32 v19, v18 offset:96
	s_waitcnt lgkmcnt(0)
	v_add_f32_e32 v5, v5, v19
	s_or_b64 exec, exec, s[2:3]
	s_and_saveexec_b64 s[2:3], vcc
	s_cbranch_execz .LBB213_83
.LBB213_103:
	ds_read_b32 v19, v18 offset:128
	s_waitcnt lgkmcnt(0)
	v_add_f32_e32 v2, v2, v19
	s_or_b64 exec, exec, s[2:3]
	s_and_saveexec_b64 s[2:3], vcc
	s_cbranch_execz .LBB213_84
.LBB213_104:
	ds_read_b32 v19, v18 offset:160
	s_waitcnt lgkmcnt(0)
	v_add_f32_e32 v3, v3, v19
	s_or_b64 exec, exec, s[2:3]
	s_and_saveexec_b64 s[2:3], vcc
	s_cbranch_execz .LBB213_85
.LBB213_105:
	ds_read_b32 v19, v18 offset:192
	s_waitcnt lgkmcnt(0)
	v_add_f32_e32 v12, v12, v19
	s_or_b64 exec, exec, s[2:3]
	s_and_saveexec_b64 s[2:3], vcc
	s_cbranch_execz .LBB213_86
.LBB213_106:
	ds_read_b32 v19, v18 offset:224
	s_waitcnt lgkmcnt(0)
	v_add_f32_e32 v13, v13, v19
	s_or_b64 exec, exec, s[2:3]
	s_and_saveexec_b64 s[2:3], vcc
	s_cbranch_execz .LBB213_87
.LBB213_107:
	ds_read_b32 v19, v18 offset:256
	s_waitcnt lgkmcnt(0)
	v_add_f32_e32 v10, v10, v19
	s_or_b64 exec, exec, s[2:3]
	s_and_saveexec_b64 s[2:3], vcc
	s_cbranch_execz .LBB213_88
.LBB213_108:
	ds_read_b32 v19, v18 offset:288
	s_waitcnt lgkmcnt(0)
	v_add_f32_e32 v11, v11, v19
	s_or_b64 exec, exec, s[2:3]
	s_and_saveexec_b64 s[2:3], vcc
	s_cbranch_execz .LBB213_89
.LBB213_109:
	ds_read_b32 v19, v18 offset:320
	s_waitcnt lgkmcnt(0)
	v_add_f32_e32 v8, v8, v19
	s_or_b64 exec, exec, s[2:3]
	s_and_saveexec_b64 s[2:3], vcc
	s_cbranch_execz .LBB213_90
.LBB213_110:
	ds_read_b32 v19, v18 offset:352
	s_waitcnt lgkmcnt(0)
	v_add_f32_e32 v9, v9, v19
	s_or_b64 exec, exec, s[2:3]
	s_and_saveexec_b64 s[2:3], vcc
	s_cbranch_execz .LBB213_91
.LBB213_111:
	ds_read_b32 v19, v18 offset:384
	s_waitcnt lgkmcnt(0)
	v_add_f32_e32 v6, v6, v19
	s_or_b64 exec, exec, s[2:3]
	s_and_saveexec_b64 s[2:3], vcc
	s_cbranch_execz .LBB213_92
.LBB213_112:
	ds_read_b32 v19, v18 offset:416
	s_waitcnt lgkmcnt(0)
	v_add_f32_e32 v7, v7, v19
	s_or_b64 exec, exec, s[2:3]
	s_and_saveexec_b64 s[2:3], vcc
	s_cbranch_execz .LBB213_93
.LBB213_113:
	ds_read_b32 v19, v18 offset:448
	s_waitcnt lgkmcnt(0)
	v_add_f32_e32 v16, v16, v19
	s_or_b64 exec, exec, s[2:3]
	s_and_saveexec_b64 s[2:3], vcc
	s_cbranch_execnz .LBB213_94
	s_branch .LBB213_95
	.section	.rodata,"a",@progbits
	.p2align	6, 0x0
	.amdhsa_kernel _ZN4vllm25paged_attention_v1_kernelIfhLi128ELi32ELi128ELNS_18Fp8KVCacheDataTypeE1ELb0EEEvPT_PKS2_PKT0_S8_ifPKiSA_iPKfiiiSC_SC_iiiii
		.amdhsa_group_segment_fixed_size 528
		.amdhsa_private_segment_fixed_size 0
		.amdhsa_kernarg_size 384
		.amdhsa_user_sgpr_count 2
		.amdhsa_user_sgpr_dispatch_ptr 0
		.amdhsa_user_sgpr_queue_ptr 0
		.amdhsa_user_sgpr_kernarg_segment_ptr 1
		.amdhsa_user_sgpr_dispatch_id 0
		.amdhsa_user_sgpr_kernarg_preload_length 0
		.amdhsa_user_sgpr_kernarg_preload_offset 0
		.amdhsa_user_sgpr_private_segment_size 0
		.amdhsa_uses_dynamic_stack 0
		.amdhsa_enable_private_segment 0
		.amdhsa_system_sgpr_workgroup_id_x 1
		.amdhsa_system_sgpr_workgroup_id_y 1
		.amdhsa_system_sgpr_workgroup_id_z 1
		.amdhsa_system_sgpr_workgroup_info 0
		.amdhsa_system_vgpr_workitem_id 0
		.amdhsa_next_free_vgpr 104
		.amdhsa_next_free_sgpr 40
		.amdhsa_accum_offset 104
		.amdhsa_reserve_vcc 1
		.amdhsa_float_round_mode_32 0
		.amdhsa_float_round_mode_16_64 0
		.amdhsa_float_denorm_mode_32 3
		.amdhsa_float_denorm_mode_16_64 3
		.amdhsa_dx10_clamp 1
		.amdhsa_ieee_mode 1
		.amdhsa_fp16_overflow 0
		.amdhsa_tg_split 0
		.amdhsa_exception_fp_ieee_invalid_op 0
		.amdhsa_exception_fp_denorm_src 0
		.amdhsa_exception_fp_ieee_div_zero 0
		.amdhsa_exception_fp_ieee_overflow 0
		.amdhsa_exception_fp_ieee_underflow 0
		.amdhsa_exception_fp_ieee_inexact 0
		.amdhsa_exception_int_div_zero 0
	.end_amdhsa_kernel
	.section	.text._ZN4vllm25paged_attention_v1_kernelIfhLi128ELi32ELi128ELNS_18Fp8KVCacheDataTypeE1ELb0EEEvPT_PKS2_PKT0_S8_ifPKiSA_iPKfiiiSC_SC_iiiii,"axG",@progbits,_ZN4vllm25paged_attention_v1_kernelIfhLi128ELi32ELi128ELNS_18Fp8KVCacheDataTypeE1ELb0EEEvPT_PKS2_PKT0_S8_ifPKiSA_iPKfiiiSC_SC_iiiii,comdat
.Lfunc_end213:
	.size	_ZN4vllm25paged_attention_v1_kernelIfhLi128ELi32ELi128ELNS_18Fp8KVCacheDataTypeE1ELb0EEEvPT_PKS2_PKT0_S8_ifPKiSA_iPKfiiiSC_SC_iiiii, .Lfunc_end213-_ZN4vllm25paged_attention_v1_kernelIfhLi128ELi32ELi128ELNS_18Fp8KVCacheDataTypeE1ELb0EEEvPT_PKS2_PKT0_S8_ifPKiSA_iPKfiiiSC_SC_iiiii
                                        ; -- End function
	.set _ZN4vllm25paged_attention_v1_kernelIfhLi128ELi32ELi128ELNS_18Fp8KVCacheDataTypeE1ELb0EEEvPT_PKS2_PKT0_S8_ifPKiSA_iPKfiiiSC_SC_iiiii.num_vgpr, 104
	.set _ZN4vllm25paged_attention_v1_kernelIfhLi128ELi32ELi128ELNS_18Fp8KVCacheDataTypeE1ELb0EEEvPT_PKS2_PKT0_S8_ifPKiSA_iPKfiiiSC_SC_iiiii.num_agpr, 0
	.set _ZN4vllm25paged_attention_v1_kernelIfhLi128ELi32ELi128ELNS_18Fp8KVCacheDataTypeE1ELb0EEEvPT_PKS2_PKT0_S8_ifPKiSA_iPKfiiiSC_SC_iiiii.numbered_sgpr, 40
	.set _ZN4vllm25paged_attention_v1_kernelIfhLi128ELi32ELi128ELNS_18Fp8KVCacheDataTypeE1ELb0EEEvPT_PKS2_PKT0_S8_ifPKiSA_iPKfiiiSC_SC_iiiii.num_named_barrier, 0
	.set _ZN4vllm25paged_attention_v1_kernelIfhLi128ELi32ELi128ELNS_18Fp8KVCacheDataTypeE1ELb0EEEvPT_PKS2_PKT0_S8_ifPKiSA_iPKfiiiSC_SC_iiiii.private_seg_size, 0
	.set _ZN4vllm25paged_attention_v1_kernelIfhLi128ELi32ELi128ELNS_18Fp8KVCacheDataTypeE1ELb0EEEvPT_PKS2_PKT0_S8_ifPKiSA_iPKfiiiSC_SC_iiiii.uses_vcc, 1
	.set _ZN4vllm25paged_attention_v1_kernelIfhLi128ELi32ELi128ELNS_18Fp8KVCacheDataTypeE1ELb0EEEvPT_PKS2_PKT0_S8_ifPKiSA_iPKfiiiSC_SC_iiiii.uses_flat_scratch, 0
	.set _ZN4vllm25paged_attention_v1_kernelIfhLi128ELi32ELi128ELNS_18Fp8KVCacheDataTypeE1ELb0EEEvPT_PKS2_PKT0_S8_ifPKiSA_iPKfiiiSC_SC_iiiii.has_dyn_sized_stack, 0
	.set _ZN4vllm25paged_attention_v1_kernelIfhLi128ELi32ELi128ELNS_18Fp8KVCacheDataTypeE1ELb0EEEvPT_PKS2_PKT0_S8_ifPKiSA_iPKfiiiSC_SC_iiiii.has_recursion, 0
	.set _ZN4vllm25paged_attention_v1_kernelIfhLi128ELi32ELi128ELNS_18Fp8KVCacheDataTypeE1ELb0EEEvPT_PKS2_PKT0_S8_ifPKiSA_iPKfiiiSC_SC_iiiii.has_indirect_call, 0
	.section	.AMDGPU.csdata,"",@progbits
; Kernel info:
; codeLenInByte = 8024
; TotalNumSgprs: 46
; NumVgprs: 104
; NumAgprs: 0
; TotalNumVgprs: 104
; ScratchSize: 0
; MemoryBound: 0
; FloatMode: 240
; IeeeMode: 1
; LDSByteSize: 528 bytes/workgroup (compile time only)
; SGPRBlocks: 5
; VGPRBlocks: 12
; NumSGPRsForWavesPerEU: 46
; NumVGPRsForWavesPerEU: 104
; AccumOffset: 104
; Occupancy: 4
; WaveLimiterHint : 1
; COMPUTE_PGM_RSRC2:SCRATCH_EN: 0
; COMPUTE_PGM_RSRC2:USER_SGPR: 2
; COMPUTE_PGM_RSRC2:TRAP_HANDLER: 0
; COMPUTE_PGM_RSRC2:TGID_X_EN: 1
; COMPUTE_PGM_RSRC2:TGID_Y_EN: 1
; COMPUTE_PGM_RSRC2:TGID_Z_EN: 1
; COMPUTE_PGM_RSRC2:TIDIG_COMP_CNT: 0
; COMPUTE_PGM_RSRC3_GFX90A:ACCUM_OFFSET: 25
; COMPUTE_PGM_RSRC3_GFX90A:TG_SPLIT: 0
	.section	.text._ZN4vllm25paged_attention_v1_kernelIfhLi192ELi32ELi128ELNS_18Fp8KVCacheDataTypeE1ELb0EEEvPT_PKS2_PKT0_S8_ifPKiSA_iPKfiiiSC_SC_iiiii,"axG",@progbits,_ZN4vllm25paged_attention_v1_kernelIfhLi192ELi32ELi128ELNS_18Fp8KVCacheDataTypeE1ELb0EEEvPT_PKS2_PKT0_S8_ifPKiSA_iPKfiiiSC_SC_iiiii,comdat
	.protected	_ZN4vllm25paged_attention_v1_kernelIfhLi192ELi32ELi128ELNS_18Fp8KVCacheDataTypeE1ELb0EEEvPT_PKS2_PKT0_S8_ifPKiSA_iPKfiiiSC_SC_iiiii ; -- Begin function _ZN4vllm25paged_attention_v1_kernelIfhLi192ELi32ELi128ELNS_18Fp8KVCacheDataTypeE1ELb0EEEvPT_PKS2_PKT0_S8_ifPKiSA_iPKfiiiSC_SC_iiiii
	.globl	_ZN4vllm25paged_attention_v1_kernelIfhLi192ELi32ELi128ELNS_18Fp8KVCacheDataTypeE1ELb0EEEvPT_PKS2_PKT0_S8_ifPKiSA_iPKfiiiSC_SC_iiiii
	.p2align	8
	.type	_ZN4vllm25paged_attention_v1_kernelIfhLi192ELi32ELi128ELNS_18Fp8KVCacheDataTypeE1ELb0EEEvPT_PKS2_PKT0_S8_ifPKiSA_iPKfiiiSC_SC_iiiii,@function
_ZN4vllm25paged_attention_v1_kernelIfhLi192ELi32ELi128ELNS_18Fp8KVCacheDataTypeE1ELb0EEEvPT_PKS2_PKT0_S8_ifPKiSA_iPKfiiiSC_SC_iiiii: ; @_ZN4vllm25paged_attention_v1_kernelIfhLi192ELi32ELi128ELNS_18Fp8KVCacheDataTypeE1ELb0EEEvPT_PKS2_PKT0_S8_ifPKiSA_iPKfiiiSC_SC_iiiii
; %bb.0:
	s_load_dword s5, s[0:1], 0x80
	s_load_dwordx2 s[6:7], s[0:1], 0x30
	s_load_dwordx2 s[28:29], s[0:1], 0x20
	s_mov_b32 s16, s3
	s_ashr_i32 s17, s3, 31
	s_lshl_b64 s[8:9], s[16:17], 2
	s_waitcnt lgkmcnt(0)
	s_add_u32 s6, s6, s8
	s_addc_u32 s7, s7, s9
	s_abs_i32 s3, s28
	v_cvt_f32_u32_e32 v1, s3
	s_sub_i32 s10, 0, s3
	s_abs_i32 s9, s5
	s_xor_b32 s8, s5, s28
	v_rcp_iflag_f32_e32 v1, v1
	s_ashr_i32 s8, s8, 31
	s_mov_b32 s28, 0
	v_mul_f32_e32 v1, 0x4f7ffffe, v1
	v_cvt_u32_f32_e32 v1, v1
	s_nop 0
	v_readfirstlane_b32 s11, v1
	s_mul_i32 s10, s10, s11
	s_mul_hi_u32 s10, s11, s10
	s_add_i32 s11, s11, s10
	s_mul_hi_u32 s10, s9, s11
	s_mul_i32 s11, s10, s3
	s_sub_i32 s9, s9, s11
	s_add_i32 s11, s10, 1
	s_sub_i32 s12, s9, s3
	s_cmp_ge_u32 s9, s3
	s_cselect_b32 s10, s11, s10
	s_cselect_b32 s9, s12, s9
	s_add_i32 s11, s10, 1
	s_cmp_ge_u32 s9, s3
	s_cselect_b32 s3, s11, s10
	s_xor_b32 s3, s3, s8
	s_sub_i32 s12, s3, s8
	s_abs_i32 s10, s12
	v_cvt_f32_u32_e32 v1, s10
	s_load_dwordx2 s[8:9], s[0:1], 0x40
	s_sub_i32 s3, 0, s10
	s_abs_i32 s11, s2
	v_rcp_iflag_f32_e32 v1, v1
	s_nop 0
	v_mul_f32_e32 v1, 0x4f7ffffe, v1
	v_cvt_u32_f32_e32 v1, v1
	s_nop 0
	v_readfirstlane_b32 s13, v1
	s_mul_i32 s3, s3, s13
	s_mul_hi_u32 s3, s13, s3
	s_add_i32 s13, s13, s3
	s_waitcnt lgkmcnt(0)
	s_cmp_eq_u64 s[8:9], 0
	s_mul_hi_u32 s20, s11, s13
	s_cbranch_scc1 .LBB214_2
; %bb.1:
	s_ashr_i32 s3, s2, 31
	s_lshl_b64 s[14:15], s[2:3], 2
	s_add_u32 s8, s8, s14
	s_addc_u32 s9, s9, s15
	s_load_dword s28, s[8:9], 0x0
.LBB214_2:
	s_load_dword s17, s[6:7], 0x0
	s_ashr_i32 s7, s12, 31
	s_load_dwordx4 s[12:15], s[0:1], 0x48
	s_ashr_i32 s6, s2, 31
	s_mul_i32 s18, s2, 0xc0
	s_movk_i32 s2, 0x60
	v_and_b32_e32 v34, 1, v0
	v_cmp_gt_u32_e32 vcc, s2, v0
	v_lshlrev_b32_e32 v32, 2, v0
	s_and_saveexec_b64 s[2:3], vcc
	s_cbranch_execz .LBB214_4
; %bb.3:
	s_load_dwordx2 s[8:9], s[0:1], 0x8
	s_waitcnt lgkmcnt(0)
	s_mul_i32 s22, s12, s16
	s_ashr_i32 s23, s22, 31
	s_lshl_b64 s[22:23], s[22:23], 2
	v_lshlrev_b32_e32 v1, 3, v0
	s_add_u32 s12, s8, s22
	s_addc_u32 s15, s9, s23
	s_ashr_i32 s19, s18, 31
	s_lshl_b64 s[8:9], s[18:19], 2
	s_add_u32 s8, s12, s8
	s_addc_u32 s9, s15, s9
	global_load_dwordx2 v[2:3], v1, s[8:9]
	v_and_b32_e32 v1, 0xff8, v32
	s_movk_i32 s8, 0x180
	v_mad_u32_u24 v1, v34, s8, v1
	s_waitcnt vmcnt(0)
	ds_write_b64 v1, v[2:3]
.LBB214_4:
	s_or_b64 exec, exec, s[2:3]
	s_waitcnt lgkmcnt(0)
	s_add_i32 s3, s17, 31
	s_ashr_i32 s8, s3, 31
	s_lshr_b32 s8, s8, 27
	s_add_i32 s3, s3, s8
	s_ashr_i32 s19, s3, 5
	s_xor_b32 s3, s6, s7
	s_mul_i32 s6, s20, s10
	s_sub_i32 s6, s11, s6
	s_add_i32 s7, s20, 1
	s_sub_i32 s8, s6, s10
	s_load_dwordx2 s[22:23], s[0:1], 0x28
	s_load_dword s2, s[0:1], 0x38
	s_cmp_ge_u32 s6, s10
	s_cselect_b32 s7, s7, s20
	s_cselect_b32 s6, s8, s6
	s_add_i32 s8, s7, 1
	s_cmp_ge_u32 s6, s10
	s_cselect_b32 s6, s8, s7
	v_lshrrev_b32_e32 v121, 6, v0
	s_xor_b32 s6, s6, s3
	s_waitcnt lgkmcnt(0)
	s_mul_i32 s24, s2, s16
	s_sub_i32 s33, s6, s3
	s_ashr_i32 s25, s24, 31
	v_cmp_gt_i32_e64 s[6:7], s19, v121
	v_cmp_le_i32_e32 vcc, s19, v121
	v_mbcnt_lo_u32_b32 v35, -1, 0
	s_barrier
                                        ; implicit-def: $vgpr114
                                        ; implicit-def: $vgpr115
                                        ; implicit-def: $vgpr116
	s_and_saveexec_b64 s[2:3], vcc
	s_xor_b64 s[2:3], exec, s[2:3]
; %bb.5:
	v_mbcnt_hi_u32_b32 v114, -1, v35
	v_and_b32_e32 v115, 64, v114
	v_add_u32_e32 v116, 64, v115
                                        ; implicit-def: $vgpr34
                                        ; implicit-def: $vgpr35
; %bb.6:
	s_or_saveexec_b64 s[30:31], s[2:3]
	s_load_dwordx2 s[20:21], s[0:1], 0x0
	s_load_dwordx2 s[26:27], s[0:1], 0x18
	s_load_dword s12, s[0:1], 0x88
	s_load_dwordx4 s[8:11], s[0:1], 0x58
	v_mov_b32_e32 v118, 0xff7fffff
	s_mul_i32 s33, s33, s14
	v_lshrrev_b32_e32 v37, 4, v0
	scratch_store_dword off, v0, off offset:44 ; 4-byte Folded Spill
	s_xor_b64 exec, exec, s[30:31]
	s_cbranch_execz .LBB214_12
; %bb.7:
	s_load_dwordx2 s[0:1], s[0:1], 0x10
	v_mbcnt_hi_u32_b32 v114, -1, v35
	s_ashr_i32 s2, s33, 31
	v_and_b32_e32 v115, 64, v114
	v_bfe_u32 v36, v0, 1, 5
	s_waitcnt lgkmcnt(0)
	s_add_u32 s0, s0, s33
	v_xor_b32_e32 v35, 1, v114
	v_add_u32_e32 v116, 64, v115
	v_lshlrev_b32_e32 v98, 4, v36
	s_addc_u32 s1, s1, s2
	v_mov_b32_e32 v99, 0
	v_cmp_lt_i32_e32 vcc, v35, v116
	v_lshl_add_u64 v[100:101], s[0:1], 0, v[98:99]
	v_lshlrev_b32_e32 v98, 1, v34
	v_mul_u32_u24_e32 v94, 0x180, v34
	v_cndmask_b32_e32 v35, v114, v35, vcc
	v_cmp_eq_u32_e32 vcc, 0, v34
	s_sub_i32 s45, 1, s17
	v_lshlrev_b32_e32 v34, 2, v36
	s_lshl_b64 s[0:1], s[24:25], 2
	scratch_store_dword off, v32, off       ; 4-byte Folded Spill
	v_lshl_or_b32 v34, v121, 7, v34
	s_add_u32 s0, s22, s0
	ds_read_b128 v[2:5], v94
	ds_read_b128 v[6:9], v94 offset:16
	ds_read_b128 v[10:13], v94 offset:32
	;; [unrolled: 1-line block ×7, first 2 shown]
	v_lshlrev_b32_e32 v117, 2, v35
	v_add_u32_e32 v120, 0x310, v34
	scratch_store_dword off, v37, off offset:8 ; 4-byte Folded Spill
	v_and_b32_e32 v34, 60, v37
	v_mov_b32_e32 v35, v99
	s_addc_u32 s1, s23, s1
	s_load_dword s8, s[8:9], 0x0
	v_lshl_or_b32 v119, v121, 5, v36
	v_lshl_add_u64 v[108:109], s[0:1], 0, v[34:35]
	ds_read_b128 v[34:37], v94 offset:128
	ds_read_b128 v[38:41], v94 offset:144
	;; [unrolled: 1-line block ×16, first 2 shown]
	s_mov_b32 s44, s13
	v_cmp_neq_f32_e64 s[2:3], s28, 0
	v_or_b32_e32 v102, 4, v98
	v_mov_b32_e32 v103, v99
	v_or_b32_e32 v104, 8, v98
	v_mov_b32_e32 v105, v99
	v_or_b32_e32 v106, 12, v98
	v_mov_b32_e32 v107, v99
	s_waitcnt lgkmcnt(0)
	s_mov_b32 s9, s8
	v_mov_b32_e32 v118, 0xff7fffff
	s_mov_b64 s[14:15], 0
	s_mov_b64 s[34:35], 0x1000
	;; [unrolled: 1-line block ×5, first 2 shown]
	scratch_store_dword off, v121, off offset:16 ; 4-byte Folded Spill
	s_branch .LBB214_9
.LBB214_8:                              ;   in Loop: Header=BB214_9 Depth=1
	s_or_b64 exec, exec, s[42:43]
	v_add_u32_e32 v121, 2, v121
	v_cmp_le_i32_e64 s[0:1], s19, v121
	v_add_u32_e32 v119, 64, v119
	v_add_u32_e32 v120, 0x100, v120
	s_or_b64 s[14:15], s[0:1], s[14:15]
	v_lshl_add_u64 v[108:109], v[108:109], 0, 8
	s_andn2_b64 exec, exec, s[14:15]
	s_cbranch_execz .LBB214_11
.LBB214_9:                              ; =>This Inner Loop Header: Depth=1
	global_load_dword v110, v[108:109], off
	s_waitcnt vmcnt(0) lgkmcnt(0)
	v_mad_i64_i32 v[110:111], s[0:1], v110, s44, v[100:101]
	v_lshl_add_u64 v[112:113], v[110:111], 0, v[98:99]
	global_load_ushort v122, v[112:113], off offset:4
	global_load_ushort v124, v[112:113], off
	s_waitcnt vmcnt(1)
	v_cvt_pk_f32_fp8_e32 v[122:123], v122
	s_waitcnt vmcnt(0)
	v_cvt_pk_f32_fp8_e32 v[124:125], v124
	v_pk_mul_f32 v[122:123], s[8:9], v[122:123]
	s_nop 0
	v_mul_f32_e32 v122, v4, v122
	v_pk_mul_f32 v[124:125], v[124:125], s[8:9]
	v_mul_f32_e32 v123, v5, v123
	v_fmac_f32_e32 v122, v2, v124
	global_load_ushort v124, v[112:113], off offset:8
	v_fmac_f32_e32 v123, v3, v125
	s_waitcnt vmcnt(0)
	v_cvt_pk_f32_fp8_e32 v[124:125], v124
	v_pk_mul_f32 v[124:125], s[8:9], v[124:125]
	s_nop 0
	v_fmac_f32_e32 v122, v6, v124
	global_load_ushort v124, v[112:113], off offset:12
	v_fmac_f32_e32 v123, v7, v125
	s_waitcnt vmcnt(0)
	v_cvt_pk_f32_fp8_e32 v[124:125], v124
	v_pk_mul_f32 v[124:125], s[8:9], v[124:125]
	s_nop 0
	;; [unrolled: 7-line block ×27, first 2 shown]
	v_fmac_f32_e32 v122, v58, v124
	v_fmac_f32_e32 v123, v59, v125
	global_load_ushort v124, v[112:113], off offset:3588
	global_load_ushort v125, v[112:113], off offset:3592
	global_load_ushort v126, v[112:113], off offset:3596
	s_waitcnt vmcnt(2)
	v_cvt_pk_f32_fp8_e32 v[112:113], v124
	v_pk_mul_f32 v[112:113], s[8:9], v[112:113]
	s_nop 0
	v_fmac_f32_e32 v122, v60, v112
	v_fmac_f32_e32 v123, v61, v113
	s_waitcnt vmcnt(1)
	v_cvt_pk_f32_fp8_e32 v[112:113], v125
	s_waitcnt vmcnt(0)
	v_cvt_pk_f32_fp8_e32 v[124:125], v126
	v_pk_mul_f32 v[112:113], s[8:9], v[112:113]
	s_nop 0
	v_fmac_f32_e32 v122, v62, v112
	v_fmac_f32_e32 v123, v63, v113
	v_lshl_add_u64 v[112:113], v[110:111], 0, s[34:35]
	v_pk_mul_f32 v[124:125], s[8:9], v[124:125]
	s_nop 0
	v_fmac_f32_e32 v122, v64, v124
	v_fmac_f32_e32 v123, v65, v125
	v_lshl_add_u64 v[124:125], v[112:113], 0, v[98:99]
	global_load_ushort v124, v[124:125], off
	s_waitcnt vmcnt(0)
	v_cvt_pk_f32_fp8_e32 v[124:125], v124
	v_pk_mul_f32 v[124:125], s[8:9], v[124:125]
	s_nop 0
	v_fmac_f32_e32 v122, v66, v124
	v_fmac_f32_e32 v123, v67, v125
	v_lshl_add_u64 v[124:125], v[112:113], 0, v[102:103]
	global_load_ushort v126, v[124:125], off
	v_lshl_add_u64 v[124:125], v[112:113], 0, v[104:105]
	global_load_ushort v124, v[124:125], off
	;; [unrolled: 2-line block ×3, first 2 shown]
	s_waitcnt vmcnt(2)
	v_cvt_pk_f32_fp8_e32 v[112:113], v126
	v_pk_mul_f32 v[112:113], s[8:9], v[112:113]
	s_nop 0
	v_fmac_f32_e32 v122, v68, v112
	v_fmac_f32_e32 v123, v69, v113
	s_waitcnt vmcnt(1)
	v_cvt_pk_f32_fp8_e32 v[112:113], v124
	s_waitcnt vmcnt(0)
	v_cvt_pk_f32_fp8_e32 v[124:125], v125
	v_pk_mul_f32 v[112:113], s[8:9], v[112:113]
	s_nop 0
	v_fmac_f32_e32 v122, v70, v112
	v_fmac_f32_e32 v123, v71, v113
	v_lshl_add_u64 v[112:113], v[110:111], 0, s[36:37]
	v_pk_mul_f32 v[124:125], s[8:9], v[124:125]
	s_nop 0
	v_fmac_f32_e32 v122, v72, v124
	v_fmac_f32_e32 v123, v73, v125
	v_lshl_add_u64 v[124:125], v[112:113], 0, v[98:99]
	global_load_ushort v124, v[124:125], off
	s_waitcnt vmcnt(0)
	v_cvt_pk_f32_fp8_e32 v[124:125], v124
	v_pk_mul_f32 v[124:125], s[8:9], v[124:125]
	s_nop 0
	v_fmac_f32_e32 v122, v74, v124
	v_fmac_f32_e32 v123, v75, v125
	v_lshl_add_u64 v[124:125], v[112:113], 0, v[102:103]
	global_load_ushort v126, v[124:125], off
	v_lshl_add_u64 v[124:125], v[112:113], 0, v[104:105]
	global_load_ushort v124, v[124:125], off
	v_lshl_add_u64 v[112:113], v[112:113], 0, v[106:107]
	global_load_ushort v125, v[112:113], off
	s_waitcnt vmcnt(2)
	v_cvt_pk_f32_fp8_e32 v[112:113], v126
	v_pk_mul_f32 v[112:113], s[8:9], v[112:113]
	s_nop 0
	v_fmac_f32_e32 v122, v76, v112
	v_fmac_f32_e32 v123, v77, v113
	s_waitcnt vmcnt(1)
	v_cvt_pk_f32_fp8_e32 v[112:113], v124
	s_waitcnt vmcnt(0)
	v_cvt_pk_f32_fp8_e32 v[124:125], v125
	v_pk_mul_f32 v[112:113], s[8:9], v[112:113]
	s_nop 0
	v_fmac_f32_e32 v122, v78, v112
	v_fmac_f32_e32 v123, v79, v113
	v_lshl_add_u64 v[112:113], v[110:111], 0, s[38:39]
	v_pk_mul_f32 v[124:125], s[8:9], v[124:125]
	v_lshl_add_u64 v[110:111], v[110:111], 0, s[40:41]
	v_fmac_f32_e32 v122, v80, v124
	v_fmac_f32_e32 v123, v81, v125
	v_lshl_add_u64 v[124:125], v[112:113], 0, v[98:99]
	global_load_ushort v124, v[124:125], off
	s_waitcnt vmcnt(0)
	v_cvt_pk_f32_fp8_e32 v[124:125], v124
	v_pk_mul_f32 v[124:125], s[8:9], v[124:125]
	s_nop 0
	v_fmac_f32_e32 v122, v82, v124
	v_fmac_f32_e32 v123, v83, v125
	v_lshl_add_u64 v[124:125], v[112:113], 0, v[102:103]
	global_load_ushort v126, v[124:125], off
	v_lshl_add_u64 v[124:125], v[112:113], 0, v[104:105]
	global_load_ushort v124, v[124:125], off
	v_lshl_add_u64 v[112:113], v[112:113], 0, v[106:107]
	global_load_ushort v125, v[112:113], off
	s_waitcnt vmcnt(2)
	v_cvt_pk_f32_fp8_e32 v[112:113], v126
	v_pk_mul_f32 v[112:113], s[8:9], v[112:113]
	s_nop 0
	v_fmac_f32_e32 v122, v84, v112
	v_fmac_f32_e32 v123, v85, v113
	v_lshl_add_u64 v[112:113], v[110:111], 0, v[98:99]
	global_load_ushort v126, v[112:113], off
	s_waitcnt vmcnt(2)
	v_cvt_pk_f32_fp8_e32 v[112:113], v124
	v_pk_mul_f32 v[112:113], s[8:9], v[112:113]
	s_nop 0
	v_fmac_f32_e32 v122, v86, v112
	v_fmac_f32_e32 v123, v87, v113
	v_lshl_add_u64 v[112:113], v[110:111], 0, v[102:103]
	global_load_ushort v124, v[112:113], off
	v_lshl_add_u64 v[112:113], v[110:111], 0, v[104:105]
	global_load_ushort v127, v[112:113], off
	;; [unrolled: 2-line block ×3, first 2 shown]
	s_waitcnt vmcnt(4)
	v_cvt_pk_f32_fp8_e32 v[110:111], v125
	v_pk_mul_f32 v[110:111], s[8:9], v[110:111]
	s_nop 0
	v_fmac_f32_e32 v122, v88, v110
	v_fmac_f32_e32 v123, v89, v111
	s_waitcnt vmcnt(3)
	v_cvt_pk_f32_fp8_e32 v[110:111], v126
	v_pk_mul_f32 v[110:111], s[8:9], v[110:111]
	s_nop 0
	v_fmac_f32_e32 v122, v90, v110
	v_fmac_f32_e32 v123, v91, v111
	s_waitcnt vmcnt(2)
	v_cvt_pk_f32_fp8_e32 v[112:113], v124
	s_waitcnt vmcnt(1)
	v_cvt_pk_f32_fp8_e32 v[110:111], v127
	;; [unrolled: 2-line block ×3, first 2 shown]
	v_pk_mul_f32 v[112:113], s[8:9], v[112:113]
	v_pk_mul_f32 v[110:111], s[8:9], v[110:111]
	v_fmac_f32_e32 v122, v92, v112
	v_fmac_f32_e32 v123, v93, v113
	v_pk_mul_f32 v[124:125], s[8:9], v[124:125]
	v_fmac_f32_e32 v122, v94, v110
	v_fmac_f32_e32 v123, v95, v111
	v_fmac_f32_e32 v122, v96, v124
	v_fmac_f32_e32 v123, v97, v125
	v_add_f32_e32 v110, v122, v123
	ds_bpermute_b32 v111, v117, v110
	s_and_saveexec_b64 s[42:43], vcc
	s_cbranch_execz .LBB214_8
; %bb.10:                               ;   in Loop: Header=BB214_9 Depth=1
	v_add_u32_e32 v1, s45, v119
	v_cvt_f32_i32_e32 v1, v1
	s_waitcnt lgkmcnt(0)
	v_add_f32_e32 v110, v110, v111
	v_max_f32_e32 v111, v118, v118
	v_cmp_gt_i32_e64 s[0:1], s17, v119
	v_mul_f32_e32 v1, s28, v1
	v_cndmask_b32_e64 v1, 0, v1, s[2:3]
	v_fmac_f32_e32 v1, s29, v110
	v_cndmask_b32_e64 v110, 0, v1, s[0:1]
	v_max_f32_e32 v1, v111, v1
	v_cndmask_b32_e64 v118, v118, v1, s[0:1]
	ds_write_b32 v120, v110
	s_branch .LBB214_8
.LBB214_11:
	s_or_b64 exec, exec, s[14:15]
	scratch_load_dword v0, off, off offset:44 ; 4-byte Folded Reload
	scratch_load_dword v121, off, off offset:16 ; 4-byte Folded Reload
	scratch_load_dword v32, off, off        ; 4-byte Folded Reload
	scratch_load_dword v37, off, off offset:8 ; 4-byte Folded Reload
.LBB214_12:
	s_or_b64 exec, exec, s[30:31]
	v_xor_b32_e32 v2, 32, v114
	v_cmp_lt_i32_e32 vcc, v2, v116
	v_xor_b32_e32 v5, 16, v114
	v_max_f32_e32 v4, v118, v118
	v_cndmask_b32_e32 v2, v114, v2, vcc
	v_lshlrev_b32_e32 v2, 2, v2
	ds_bpermute_b32 v3, v2, v118
	v_cmp_lt_i32_e32 vcc, v5, v116
	v_xor_b32_e32 v6, 8, v114
	v_xor_b32_e32 v7, 4, v114
	s_waitcnt vmcnt(3)
	v_and_b32_e32 v16, 63, v0
	s_waitcnt lgkmcnt(0)
	v_max_f32_e32 v3, v3, v3
	v_max_f32_e32 v4, v4, v3
	v_cndmask_b32_e32 v3, v114, v5, vcc
	v_lshlrev_b32_e32 v3, 2, v3
	ds_bpermute_b32 v5, v3, v4
	v_cmp_lt_i32_e32 vcc, v6, v116
	s_waitcnt lgkmcnt(0)
	v_max_f32_e32 v5, v5, v5
	v_max_f32_e32 v5, v4, v5
	v_cndmask_b32_e32 v4, v114, v6, vcc
	v_lshlrev_b32_e32 v4, 2, v4
	ds_bpermute_b32 v6, v4, v5
	v_cmp_lt_i32_e32 vcc, v7, v116
	s_waitcnt lgkmcnt(0)
	v_max_f32_e32 v6, v6, v6
	v_max_f32_e32 v5, v5, v6
	v_cndmask_b32_e32 v6, v114, v7, vcc
	v_lshlrev_b32_e32 v30, 2, v6
	ds_bpermute_b32 v6, v30, v5
	v_xor_b32_e32 v7, 2, v114
	v_cmp_lt_i32_e32 vcc, v7, v116
	s_waitcnt lgkmcnt(0)
	v_max_f32_e32 v6, v6, v6
	v_max_f32_e32 v6, v5, v6
	v_cndmask_b32_e32 v5, v114, v7, vcc
	v_lshlrev_b32_e32 v31, 2, v5
	ds_bpermute_b32 v7, v31, v6
	v_cmp_eq_u32_e32 vcc, 0, v16
	s_waitcnt vmcnt(2)
	v_lshlrev_b32_e32 v5, 2, v121
	s_and_saveexec_b64 s[0:1], vcc
	s_cbranch_execz .LBB214_14
; %bb.13:
	s_waitcnt lgkmcnt(0)
	v_max_f32_e32 v1, v7, v7
	v_max_f32_e32 v6, v6, v6
	v_max_f32_e32 v1, v6, v1
	ds_write_b32 v5, v1 offset:768
.LBB214_14:
	s_or_b64 exec, exec, s[0:1]
	v_cmp_gt_u32_e64 s[0:1], 2, v16
	s_waitcnt lgkmcnt(0)
	v_mov_b32_e32 v7, 0xff7fffff
	v_lshlrev_b32_e32 v6, 2, v16
	s_barrier
	s_and_saveexec_b64 s[2:3], s[0:1]
; %bb.15:
	ds_read_b32 v7, v6 offset:768
; %bb.16:
	s_or_b64 exec, exec, s[2:3]
	v_xor_b32_e32 v1, 1, v114
	v_cmp_lt_i32_e64 s[2:3], v1, v116
	s_nop 1
	v_cndmask_b32_e64 v1, v114, v1, s[2:3]
	v_lshlrev_b32_e32 v34, 2, v1
	s_waitcnt lgkmcnt(0)
	ds_bpermute_b32 v1, v34, v7
	v_max_f32_e32 v7, v7, v7
	s_lshl_b32 s2, s19, 5
	s_min_i32 s30, s2, s17
	v_cmp_gt_i32_e64 s[2:3], s30, v0
	s_waitcnt lgkmcnt(0)
	v_max_f32_e32 v1, v1, v1
	v_max_f32_e32 v1, v7, v1
	v_lshlrev_b32_e32 v7, 2, v115
	ds_bpermute_b32 v8, v7, v1
	v_mov_b32_e32 v7, 0
	s_and_saveexec_b64 s[14:15], s[2:3]
	s_cbranch_execz .LBB214_20
; %bb.17:
	v_mov_b32_e32 v1, 0x310
	v_lshl_add_u32 v9, v0, 2, v1
	v_mov_b32_e32 v7, 0
	s_mov_b64 s[28:29], 0
	v_mov_b32_e32 v10, v0
.LBB214_18:                             ; =>This Inner Loop Header: Depth=1
	ds_read_b32 v1, v9
	v_add_u32_e32 v10, 0x80, v10
	v_cmp_le_i32_e64 s[8:9], s30, v10
	s_or_b64 s[28:29], s[8:9], s[28:29]
	s_waitcnt lgkmcnt(0)
	v_sub_f32_e32 v1, v1, v8
	v_mul_f32_e32 v1, 0x3fb8aa3b, v1
	v_exp_f32_e32 v1, v1
	ds_write_b32 v9, v1
	v_add_f32_e32 v7, v7, v1
	v_add_u32_e32 v9, 0x200, v9
	s_andn2_b64 exec, exec, s[28:29]
	s_cbranch_execnz .LBB214_18
; %bb.19:
	s_or_b64 exec, exec, s[28:29]
.LBB214_20:
	s_or_b64 exec, exec, s[14:15]
	ds_bpermute_b32 v1, v2, v7
	s_waitcnt lgkmcnt(0)
	v_add_f32_e32 v1, v7, v1
	ds_bpermute_b32 v2, v3, v1
	s_waitcnt lgkmcnt(0)
	v_add_f32_e32 v1, v1, v2
	;; [unrolled: 3-line block ×6, first 2 shown]
	s_and_saveexec_b64 s[8:9], vcc
; %bb.21:
	ds_write_b32 v5, v2 offset:776
; %bb.22:
	s_or_b64 exec, exec, s[8:9]
	s_waitcnt lgkmcnt(0)
	s_barrier
	s_and_saveexec_b64 s[8:9], s[0:1]
; %bb.23:
	ds_read_b32 v2, v6 offset:776
; %bb.24:
	s_or_b64 exec, exec, s[8:9]
	s_waitcnt lgkmcnt(0)
	ds_bpermute_b32 v1, v34, v2
	v_lshlrev_b32_e32 v3, 2, v114
	s_waitcnt lgkmcnt(0)
	v_add_f32_e32 v1, v2, v1
	v_and_b32_e32 v2, 0xffffff00, v3
	ds_bpermute_b32 v2, v2, v1
	s_and_saveexec_b64 s[0:1], s[2:3]
	s_cbranch_execz .LBB214_37
; %bb.25:
	s_waitcnt lgkmcnt(0)
	v_add_f32_e32 v1, 0x358637bd, v2
	v_div_scale_f32 v2, s[2:3], v1, v1, 1.0
	v_rcp_f32_e32 v3, v2
	v_div_scale_f32 v4, vcc, 1.0, v1, 1.0
	s_movk_i32 s2, 0x7f
	v_fma_f32 v5, -v2, v3, 1.0
	v_fmac_f32_e32 v3, v5, v3
	v_mul_f32_e32 v5, v4, v3
	v_fma_f32 v6, -v2, v5, v4
	v_fmac_f32_e32 v5, v6, v3
	v_fma_f32 v2, -v2, v5, v4
	v_div_fmas_f32 v2, v2, v3, v5
	v_xad_u32 v4, v0, -1, s30
	v_div_fixup_f32 v2, v2, v1, 1.0
	v_cmp_lt_u32_e32 vcc, s2, v4
	s_mov_b64 s[8:9], -1
	v_mov_b32_e32 v3, v0
	s_and_saveexec_b64 s[2:3], vcc
	s_cbranch_execz .LBB214_34
; %bb.26:
	v_lshrrev_b32_e32 v4, 7, v4
	v_add_u32_e32 v1, -1, v4
	v_lshrrev_b32_e32 v5, 1, v1
	v_mov_b32_e32 v3, v2
	v_add_u32_e32 v5, 1, v5
	v_cmp_lt_u32_e32 vcc, 13, v1
	v_mov_b32_e32 v8, 0
	s_and_saveexec_b64 s[8:9], vcc
	s_cbranch_execz .LBB214_30
; %bb.27:
	v_mov_b32_e32 v1, 0x310
	v_and_b32_e32 v6, -8, v5
	v_lshl_add_u32 v7, v0, 2, v1
	s_mov_b32 s28, 0
	s_mov_b64 s[14:15], 0
.LBB214_28:                             ; =>This Inner Loop Header: Depth=1
	ds_read2st64_b32 v[8:9], v7 offset1:2
	ds_read2st64_b32 v[10:11], v7 offset0:4 offset1:6
	ds_read2st64_b32 v[12:13], v7 offset0:8 offset1:10
	ds_read2st64_b32 v[14:15], v7 offset0:12 offset1:14
	v_add_u32_e32 v6, -8, v6
	s_waitcnt lgkmcnt(3)
	v_pk_mul_f32 v[8:9], v[2:3], v[8:9]
	s_waitcnt lgkmcnt(2)
	v_pk_mul_f32 v[10:11], v[2:3], v[10:11]
	ds_write2st64_b32 v7, v8, v9 offset1:2
	ds_write2st64_b32 v7, v10, v11 offset0:4 offset1:6
	ds_read2st64_b32 v[10:11], v7 offset0:16 offset1:18
	s_waitcnt lgkmcnt(4)
	v_pk_mul_f32 v[8:9], v[2:3], v[12:13]
	ds_write2st64_b32 v7, v8, v9 offset0:8 offset1:10
	s_waitcnt lgkmcnt(4)
	v_pk_mul_f32 v[8:9], v[2:3], v[14:15]
	ds_write2st64_b32 v7, v8, v9 offset0:12 offset1:14
	ds_read2st64_b32 v[8:9], v7 offset0:20 offset1:22
	s_waitcnt lgkmcnt(3)
	v_pk_mul_f32 v[10:11], v[2:3], v[10:11]
	ds_read2st64_b32 v[12:13], v7 offset0:24 offset1:26
	ds_write2st64_b32 v7, v10, v11 offset0:16 offset1:18
	ds_read2st64_b32 v[10:11], v7 offset0:28 offset1:30
	s_waitcnt lgkmcnt(3)
	v_pk_mul_f32 v[8:9], v[2:3], v[8:9]
	ds_write2st64_b32 v7, v8, v9 offset0:20 offset1:22
	s_waitcnt lgkmcnt(3)
	v_pk_mul_f32 v[8:9], v[2:3], v[12:13]
	ds_write2st64_b32 v7, v8, v9 offset0:24 offset1:26
	s_waitcnt lgkmcnt(2)
	v_pk_mul_f32 v[8:9], v[2:3], v[10:11]
	s_add_i32 s28, s28, 16
	v_cmp_eq_u32_e32 vcc, 0, v6
	ds_write2st64_b32 v7, v8, v9 offset0:28 offset1:30
	v_add_u32_e32 v7, 0x2000, v7
	s_or_b64 s[14:15], vcc, s[14:15]
	v_mov_b32_e32 v8, s28
	s_andn2_b64 exec, exec, s[14:15]
	s_cbranch_execnz .LBB214_28
; %bb.29:
	s_or_b64 exec, exec, s[14:15]
.LBB214_30:
	s_or_b64 exec, exec, s[8:9]
	v_and_b32_e32 v5, 7, v5
	v_cmp_ne_u32_e32 vcc, 0, v5
	s_and_saveexec_b64 s[8:9], vcc
	s_cbranch_execz .LBB214_33
; %bb.31:
	v_lshlrev_b32_e32 v1, 9, v8
	s_movk_i32 s14, 0x310
	s_waitcnt vmcnt(1)
	v_add3_u32 v6, v1, v32, s14
	s_mov_b64 s[14:15], 0
.LBB214_32:                             ; =>This Inner Loop Header: Depth=1
	ds_read2st64_b32 v[8:9], v6 offset1:2
	v_add_u32_e32 v5, -1, v5
	v_cmp_eq_u32_e32 vcc, 0, v5
	s_or_b64 s[14:15], vcc, s[14:15]
	s_waitcnt lgkmcnt(0)
	v_pk_mul_f32 v[8:9], v[2:3], v[8:9]
	ds_write2st64_b32 v6, v8, v9 offset1:2
	v_add_u32_e32 v6, 0x400, v6
	s_andn2_b64 exec, exec, s[14:15]
	s_cbranch_execnz .LBB214_32
.LBB214_33:
	s_or_b64 exec, exec, s[8:9]
	v_add_u32_e32 v1, 1, v4
	v_and_b32_e32 v4, 0x3fffffe, v1
	v_cmp_ne_u32_e32 vcc, v1, v4
	v_lshl_add_u32 v3, v4, 7, v0
	s_orn2_b64 s[8:9], vcc, exec
.LBB214_34:
	s_or_b64 exec, exec, s[2:3]
	s_and_b64 exec, exec, s[8:9]
	s_cbranch_execz .LBB214_37
; %bb.35:
	v_mov_b32_e32 v1, 0x310
	v_lshl_add_u32 v4, v3, 2, v1
	s_mov_b64 s[2:3], 0
.LBB214_36:                             ; =>This Inner Loop Header: Depth=1
	ds_read_b32 v1, v4
	v_add_u32_e32 v3, 0x80, v3
	v_cmp_le_i32_e32 vcc, s30, v3
	s_or_b64 s[2:3], vcc, s[2:3]
	s_waitcnt lgkmcnt(0)
	v_mul_f32_e32 v1, v2, v1
	ds_write_b32 v4, v1
	v_add_u32_e32 v4, 0x200, v4
	s_andn2_b64 exec, exec, s[2:3]
	s_cbranch_execnz .LBB214_36
.LBB214_37:
	s_or_b64 exec, exec, s[0:1]
	scratch_store_dword off, v16, off offset:48 ; 4-byte Folded Spill
	v_mov_b32_e32 v7, 0
	v_and_b32_e32 v0, 7, v0
	v_mov_b32_e32 v6, 0
	v_mov_b32_e32 v9, 0
	v_mov_b32_e32 v8, 0
	v_mov_b32_e32 v11, 0
	v_mov_b32_e32 v10, 0
	v_mov_b32_e32 v13, 0
	v_mov_b32_e32 v12, 0
	v_mov_b32_e32 v15, 0
	v_mov_b32_e32 v14, 0
	v_mov_b32_e32 v17, 0
	v_mov_b32_e32 v16, 0
	v_mov_b32_e32 v19, 0
	v_mov_b32_e32 v18, 0
	v_mov_b32_e32 v21, 0
	v_mov_b32_e32 v20, 0
	v_mov_b32_e32 v23, 0
	v_mov_b32_e32 v22, 0
	v_mov_b32_e32 v25, 0
	v_mov_b32_e32 v24, 0
	v_mov_b32_e32 v27, 0
	v_mov_b32_e32 v26, 0
	v_mov_b32_e32 v29, 0
	v_mov_b32_e32 v28, 0
	s_waitcnt lgkmcnt(0)
	s_barrier
	scratch_store_dword off, v0, off offset:52 ; 4-byte Folded Spill
	s_and_saveexec_b64 s[2:3], s[6:7]
	s_cbranch_execz .LBB214_89
; %bb.38:
	scratch_store_dword off, v34, off offset:64 ; 4-byte Folded Spill
	scratch_store_dword off, v31, off offset:60 ; 4-byte Folded Spill
	;; [unrolled: 1-line block ×3, first 2 shown]
	scratch_load_dword v0, off, off offset:52 ; 4-byte Folded Reload
	s_load_dword s6, s[10:11], 0x0
	s_ashr_i32 s1, s33, 31
	s_add_u32 s0, s26, s33
	s_addc_u32 s1, s27, s1
	s_add_i32 s14, s19, -1
	s_lshl_b64 s[8:9], s[24:25], 2
	s_waitcnt vmcnt(7)
	v_and_b32_e32 v1, 28, v32
	v_mov_b32_e32 v3, 0
	s_add_u32 s8, s22, s8
	v_lshl_or_b32 v30, v121, 5, v1
	v_mov_b32_e32 v1, v3
	s_addc_u32 s9, s23, s9
	v_and_b32_e32 v2, 0xfc, v32
	s_waitcnt lgkmcnt(0)
	s_mov_b32 s7, s6
	v_or_b32_e32 v4, 0xf00, v32
	v_mov_b32_e32 v5, v3
	s_mov_b32 s15, s17
	v_mov_b32_e32 v7, v3
	v_mov_b32_e32 v6, v3
	;; [unrolled: 1-line block ×24, first 2 shown]
	scratch_store_dwordx2 off, v[4:5], off offset:28 ; 8-byte Folded Spill
	scratch_store_dwordx2 off, v[2:3], off offset:20 ; 8-byte Folded Spill
	s_waitcnt vmcnt(2)
	v_lshlrev_b32_e32 v0, 4, v0
	v_lshl_or_b32 v0, v121, 7, v0
	v_add_u32_e32 v31, 0x310, v0
	v_and_b32_e32 v0, 60, v37
	v_lshl_add_u64 v[34:35], s[8:9], 0, v[0:1]
	s_mov_b64 s[8:9], 0
	v_mov_b64_e32 v[0:1], s[0:1]
	scratch_store_dwordx2 off, v[0:1], off offset:36 ; 8-byte Folded Spill
	s_branch .LBB214_40
.LBB214_39:                             ;   in Loop: Header=BB214_40 Depth=1
	s_or_b64 exec, exec, s[10:11]
	s_waitcnt lgkmcnt(0)
	v_mul_f32_e32 v32, v2, v32
	v_fmac_f32_e32 v32, v3, v33
	v_fmac_f32_e32 v32, v4, v0
	v_mul_f32_e32 v0, v2, v36
	v_fmac_f32_e32 v0, v3, v37
	v_fmac_f32_e32 v0, v4, v126
	v_fmac_f32_e32 v0, v5, v127
	v_add_f32_e32 v9, v9, v0
	v_mul_f32_e32 v0, v2, v124
	v_fmac_f32_e32 v0, v3, v125
	v_fmac_f32_e32 v0, v4, v122
	v_fmac_f32_e32 v0, v5, v123
	v_add_f32_e32 v8, v8, v0
	;; [unrolled: 5-line block ×20, first 2 shown]
	v_mul_f32_e32 v0, v2, v44
	v_fmac_f32_e32 v0, v3, v45
	v_fmac_f32_e32 v0, v4, v42
	;; [unrolled: 1-line block ×4, first 2 shown]
	v_add_f32_e32 v29, v29, v0
	scratch_load_dwordx2 v[0:1], off, off offset:8 ; 8-byte Folded Reload
	v_add_f32_e32 v6, v6, v32
	scratch_load_dwordx2 v[32:33], off, off ; 8-byte Folded Reload
	v_add_u32_e32 v30, 64, v30
	v_add_u32_e32 v31, 0x100, v31
	v_lshl_add_u64 v[34:35], v[34:35], 0, 8
	s_waitcnt vmcnt(1)
	v_mul_f32_e32 v0, v2, v0
	v_fmac_f32_e32 v0, v3, v1
	s_waitcnt vmcnt(0)
	v_fmac_f32_e32 v0, v4, v32
	v_fmac_f32_e32 v0, v5, v33
	v_add_f32_e32 v28, v28, v0
	v_pk_mul_f32 v[0:1], v[2:3], v[120:121]
	scratch_load_dword v121, off, off offset:16 ; 4-byte Folded Reload
	v_pk_mul_f32 v[2:3], v[4:5], v[58:59]
	v_add_f32_e32 v0, v1, v0
	v_add_f32_e32 v0, v2, v0
	v_add_f32_e32 v0, v3, v0
	v_add_f32_e32 v7, v7, v0
	s_waitcnt vmcnt(0)
	v_add_u32_e32 v121, 2, v121
	v_cmp_le_i32_e32 vcc, s19, v121
	s_or_b64 s[8:9], vcc, s[8:9]
	s_andn2_b64 exec, exec, s[8:9]
	s_cbranch_execz .LBB214_88
.LBB214_40:                             ; =>This Inner Loop Header: Depth=1
	global_load_dword v0, v[34:35], off
	scratch_load_dwordx2 v[2:3], off, off offset:36 ; 8-byte Folded Reload
	v_add_u32_e32 v38, 1, v30
	v_add_u32_e32 v39, 2, v30
	;; [unrolled: 1-line block ×3, first 2 shown]
	scratch_store_dword off, v121, off offset:16 ; 4-byte Folded Spill
	s_waitcnt vmcnt(1)
	v_mad_i64_i32 v[88:89], s[0:1], v0, s13, v[2:3]
	scratch_load_dwordx2 v[0:1], off, off offset:20 ; 8-byte Folded Reload
	ds_read_b128 v[2:5], v31
	v_cmp_eq_u32_e64 s[0:1], s14, v121
	s_waitcnt vmcnt(0)
	v_lshl_add_u64 v[58:59], v[88:89], 0, v[0:1]
	global_load_dword v0, v[58:59], off
	s_waitcnt vmcnt(0)
	v_and_b32_e32 v1, 0xffff, v0
	v_lshrrev_b32_e32 v32, 16, v0
	v_cvt_pk_f32_fp8_e32 v[0:1], v1
	v_cvt_pk_f32_fp8_e32 v[32:33], v32
	v_pk_mul_f32 v[0:1], s[6:7], v[0:1]
	scratch_store_dwordx2 off, v[0:1], off offset:8 ; 8-byte Folded Spill
	v_pk_mul_f32 v[0:1], s[6:7], v[32:33]
	scratch_store_dwordx2 off, v[0:1], off  ; 8-byte Folded Spill
	s_and_saveexec_b64 s[10:11], s[0:1]
	s_cbranch_execz .LBB214_42
; %bb.41:                               ;   in Loop: Header=BB214_40 Depth=1
	scratch_load_dwordx2 v[0:1], off, off offset:8 ; 8-byte Folded Reload
	v_cmp_gt_i32_e32 vcc, s17, v30
	s_waitcnt vmcnt(0)
	s_nop 0
	v_cndmask_b32_e32 v0, 0, v0, vcc
	v_cmp_gt_i32_e32 vcc, s17, v38
	s_nop 1
	v_cndmask_b32_e32 v1, 0, v1, vcc
	scratch_store_dwordx2 off, v[0:1], off offset:8 ; 8-byte Folded Spill
	scratch_load_dwordx2 v[0:1], off, off   ; 8-byte Folded Reload
	v_cmp_gt_i32_e32 vcc, s17, v39
	s_waitcnt vmcnt(0)
	s_nop 0
	v_cndmask_b32_e32 v0, 0, v0, vcc
	v_cmp_gt_i32_e32 vcc, s17, v120
	s_nop 1
	v_cndmask_b32_e32 v1, 0, v1, vcc
	scratch_store_dwordx2 off, v[0:1], off  ; 8-byte Folded Spill
.LBB214_42:                             ;   in Loop: Header=BB214_40 Depth=1
	s_or_b64 exec, exec, s[10:11]
	global_load_dword v0, v[58:59], off offset:256
	s_waitcnt vmcnt(0)
	v_and_b32_e32 v1, 0xffff, v0
	v_lshrrev_b32_e32 v32, 16, v0
	v_cvt_pk_f32_fp8_e32 v[0:1], v1
	v_cvt_pk_f32_fp8_e32 v[32:33], v32
	v_pk_mul_f32 v[44:45], s[6:7], v[0:1]
	v_pk_mul_f32 v[42:43], s[6:7], v[32:33]
	s_and_saveexec_b64 s[10:11], s[0:1]
; %bb.43:                               ;   in Loop: Header=BB214_40 Depth=1
	v_cmp_gt_i32_e32 vcc, s17, v30
	s_nop 1
	v_cndmask_b32_e32 v44, 0, v44, vcc
	v_cmp_gt_i32_e32 vcc, s17, v38
	s_nop 1
	v_cndmask_b32_e32 v45, 0, v45, vcc
	v_cmp_gt_i32_e32 vcc, s17, v39
	s_nop 1
	v_cndmask_b32_e32 v42, 0, v42, vcc
	v_cmp_gt_i32_e32 vcc, s17, v120
	s_nop 1
	v_cndmask_b32_e32 v43, 0, v43, vcc
; %bb.44:                               ;   in Loop: Header=BB214_40 Depth=1
	s_or_b64 exec, exec, s[10:11]
	global_load_dword v0, v[58:59], off offset:512
	s_waitcnt vmcnt(0)
	v_and_b32_e32 v1, 0xffff, v0
	v_lshrrev_b32_e32 v32, 16, v0
	v_cvt_pk_f32_fp8_e32 v[0:1], v1
	v_cvt_pk_f32_fp8_e32 v[32:33], v32
	v_pk_mul_f32 v[48:49], s[6:7], v[0:1]
	v_pk_mul_f32 v[46:47], s[6:7], v[32:33]
	s_and_saveexec_b64 s[10:11], s[0:1]
; %bb.45:                               ;   in Loop: Header=BB214_40 Depth=1
	v_cmp_gt_i32_e32 vcc, s17, v30
	s_nop 1
	v_cndmask_b32_e32 v48, 0, v48, vcc
	v_cmp_gt_i32_e32 vcc, s17, v38
	s_nop 1
	v_cndmask_b32_e32 v49, 0, v49, vcc
	v_cmp_gt_i32_e32 vcc, s17, v39
	s_nop 1
	v_cndmask_b32_e32 v46, 0, v46, vcc
	v_cmp_gt_i32_e32 vcc, s17, v120
	s_nop 1
	v_cndmask_b32_e32 v47, 0, v47, vcc
; %bb.46:                               ;   in Loop: Header=BB214_40 Depth=1
	;; [unrolled: 24-line block ×14, first 2 shown]
	s_or_b64 exec, exec, s[10:11]
	scratch_load_dwordx2 v[0:1], off, off offset:28 ; 8-byte Folded Reload
	s_waitcnt vmcnt(0)
	v_lshl_add_u64 v[0:1], v[88:89], 0, v[0:1]
	global_load_dword v0, v[0:1], off
	s_waitcnt vmcnt(0)
	v_and_b32_e32 v1, 0xffff, v0
	v_lshrrev_b32_e32 v32, 16, v0
	v_cvt_pk_f32_fp8_e32 v[0:1], v1
	v_cvt_pk_f32_fp8_e32 v[32:33], v32
	v_pk_mul_f32 v[102:103], s[6:7], v[0:1]
	v_pk_mul_f32 v[88:89], s[6:7], v[32:33]
	s_and_saveexec_b64 s[10:11], s[0:1]
; %bb.71:                               ;   in Loop: Header=BB214_40 Depth=1
	v_cmp_gt_i32_e32 vcc, s17, v30
	s_nop 1
	v_cndmask_b32_e32 v102, 0, v102, vcc
	v_cmp_gt_i32_e32 vcc, s17, v38
	s_nop 1
	v_cndmask_b32_e32 v103, 0, v103, vcc
	;; [unrolled: 3-line block ×4, first 2 shown]
; %bb.72:                               ;   in Loop: Header=BB214_40 Depth=1
	s_or_b64 exec, exec, s[10:11]
	v_add_co_u32_e32 v0, vcc, 0x1000, v58
	s_nop 1
	v_addc_co_u32_e32 v1, vcc, 0, v59, vcc
	global_load_dword v0, v[0:1], off
	s_waitcnt vmcnt(0)
	v_and_b32_e32 v1, 0xffff, v0
	v_lshrrev_b32_e32 v32, 16, v0
	v_cvt_pk_f32_fp8_e32 v[0:1], v1
	v_cvt_pk_f32_fp8_e32 v[32:33], v32
	v_pk_mul_f32 v[106:107], s[6:7], v[0:1]
	v_pk_mul_f32 v[104:105], s[6:7], v[32:33]
	s_and_saveexec_b64 s[10:11], s[0:1]
; %bb.73:                               ;   in Loop: Header=BB214_40 Depth=1
	v_cmp_gt_i32_e32 vcc, s17, v30
	s_nop 1
	v_cndmask_b32_e32 v106, 0, v106, vcc
	v_cmp_gt_i32_e32 vcc, s17, v38
	s_nop 1
	v_cndmask_b32_e32 v107, 0, v107, vcc
	v_cmp_gt_i32_e32 vcc, s17, v39
	s_nop 1
	v_cndmask_b32_e32 v104, 0, v104, vcc
	v_cmp_gt_i32_e32 vcc, s17, v120
	s_nop 1
	v_cndmask_b32_e32 v105, 0, v105, vcc
; %bb.74:                               ;   in Loop: Header=BB214_40 Depth=1
	s_or_b64 exec, exec, s[10:11]
	v_add_co_u32_e32 v0, vcc, 0x1000, v58
	s_nop 1
	v_addc_co_u32_e32 v1, vcc, 0, v59, vcc
	global_load_dword v0, v[0:1], off offset:256
	s_waitcnt vmcnt(0)
	v_and_b32_e32 v1, 0xffff, v0
	v_lshrrev_b32_e32 v32, 16, v0
	v_cvt_pk_f32_fp8_e32 v[0:1], v1
	v_cvt_pk_f32_fp8_e32 v[32:33], v32
	v_pk_mul_f32 v[110:111], s[6:7], v[0:1]
	v_pk_mul_f32 v[108:109], s[6:7], v[32:33]
	s_and_saveexec_b64 s[10:11], s[0:1]
; %bb.75:                               ;   in Loop: Header=BB214_40 Depth=1
	v_cmp_gt_i32_e32 vcc, s17, v30
	s_nop 1
	v_cndmask_b32_e32 v110, 0, v110, vcc
	v_cmp_gt_i32_e32 vcc, s17, v38
	s_nop 1
	v_cndmask_b32_e32 v111, 0, v111, vcc
	v_cmp_gt_i32_e32 vcc, s17, v39
	s_nop 1
	v_cndmask_b32_e32 v108, 0, v108, vcc
	v_cmp_gt_i32_e32 vcc, s17, v120
	s_nop 1
	v_cndmask_b32_e32 v109, 0, v109, vcc
; %bb.76:                               ;   in Loop: Header=BB214_40 Depth=1
	s_or_b64 exec, exec, s[10:11]
	v_add_co_u32_e32 v0, vcc, 0x1000, v58
	s_nop 1
	v_addc_co_u32_e32 v1, vcc, 0, v59, vcc
	global_load_dword v0, v[0:1], off offset:512
	s_waitcnt vmcnt(0)
	v_and_b32_e32 v1, 0xffff, v0
	v_lshrrev_b32_e32 v32, 16, v0
	v_cvt_pk_f32_fp8_e32 v[0:1], v1
	v_cvt_pk_f32_fp8_e32 v[32:33], v32
	v_pk_mul_f32 v[114:115], s[6:7], v[0:1]
	v_pk_mul_f32 v[112:113], s[6:7], v[32:33]
	s_and_saveexec_b64 s[10:11], s[0:1]
; %bb.77:                               ;   in Loop: Header=BB214_40 Depth=1
	v_cmp_gt_i32_e32 vcc, s17, v30
	s_nop 1
	v_cndmask_b32_e32 v114, 0, v114, vcc
	v_cmp_gt_i32_e32 vcc, s17, v38
	s_nop 1
	v_cndmask_b32_e32 v115, 0, v115, vcc
	v_cmp_gt_i32_e32 vcc, s17, v39
	s_nop 1
	v_cndmask_b32_e32 v112, 0, v112, vcc
	v_cmp_gt_i32_e32 vcc, s17, v120
	s_nop 1
	v_cndmask_b32_e32 v113, 0, v113, vcc
; %bb.78:                               ;   in Loop: Header=BB214_40 Depth=1
	s_or_b64 exec, exec, s[10:11]
	v_add_co_u32_e32 v0, vcc, 0x1000, v58
	s_nop 1
	v_addc_co_u32_e32 v1, vcc, 0, v59, vcc
	global_load_dword v0, v[0:1], off offset:768
	s_waitcnt vmcnt(0)
	v_and_b32_e32 v1, 0xffff, v0
	v_lshrrev_b32_e32 v32, 16, v0
	v_cvt_pk_f32_fp8_e32 v[0:1], v1
	v_cvt_pk_f32_fp8_e32 v[32:33], v32
	v_pk_mul_f32 v[118:119], s[6:7], v[0:1]
	v_pk_mul_f32 v[116:117], s[6:7], v[32:33]
	s_and_saveexec_b64 s[10:11], s[0:1]
; %bb.79:                               ;   in Loop: Header=BB214_40 Depth=1
	v_cmp_gt_i32_e32 vcc, s17, v30
	s_nop 1
	v_cndmask_b32_e32 v118, 0, v118, vcc
	v_cmp_gt_i32_e32 vcc, s17, v38
	s_nop 1
	v_cndmask_b32_e32 v119, 0, v119, vcc
	v_cmp_gt_i32_e32 vcc, s17, v39
	s_nop 1
	v_cndmask_b32_e32 v116, 0, v116, vcc
	v_cmp_gt_i32_e32 vcc, s17, v120
	s_nop 1
	v_cndmask_b32_e32 v117, 0, v117, vcc
; %bb.80:                               ;   in Loop: Header=BB214_40 Depth=1
	s_or_b64 exec, exec, s[10:11]
	v_add_co_u32_e32 v0, vcc, 0x1000, v58
	s_nop 1
	v_addc_co_u32_e32 v1, vcc, 0, v59, vcc
	global_load_dword v0, v[0:1], off offset:1024
	s_waitcnt vmcnt(0)
	v_and_b32_e32 v1, 0xffff, v0
	v_lshrrev_b32_e32 v32, 16, v0
	v_cvt_pk_f32_fp8_e32 v[0:1], v1
	v_cvt_pk_f32_fp8_e32 v[32:33], v32
	v_pk_mul_f32 v[124:125], s[6:7], v[0:1]
	v_pk_mul_f32 v[122:123], s[6:7], v[32:33]
	s_and_saveexec_b64 s[10:11], s[0:1]
; %bb.81:                               ;   in Loop: Header=BB214_40 Depth=1
	v_cmp_gt_i32_e32 vcc, s17, v30
	s_nop 1
	v_cndmask_b32_e32 v124, 0, v124, vcc
	v_cmp_gt_i32_e32 vcc, s17, v38
	s_nop 1
	v_cndmask_b32_e32 v125, 0, v125, vcc
	v_cmp_gt_i32_e32 vcc, s17, v39
	s_nop 1
	v_cndmask_b32_e32 v122, 0, v122, vcc
	v_cmp_gt_i32_e32 vcc, s17, v120
	s_nop 1
	v_cndmask_b32_e32 v123, 0, v123, vcc
; %bb.82:                               ;   in Loop: Header=BB214_40 Depth=1
	s_or_b64 exec, exec, s[10:11]
	v_add_co_u32_e32 v0, vcc, 0x1000, v58
	s_nop 1
	v_addc_co_u32_e32 v1, vcc, 0, v59, vcc
	global_load_dword v0, v[0:1], off offset:1280
	s_waitcnt vmcnt(0)
	v_and_b32_e32 v1, 0xffff, v0
	v_lshrrev_b32_e32 v32, 16, v0
	v_cvt_pk_f32_fp8_e32 v[0:1], v1
	v_cvt_pk_f32_fp8_e32 v[32:33], v32
	v_pk_mul_f32 v[36:37], s[6:7], v[0:1]
	v_pk_mul_f32 v[126:127], s[6:7], v[32:33]
	s_and_saveexec_b64 s[10:11], s[0:1]
; %bb.83:                               ;   in Loop: Header=BB214_40 Depth=1
	v_cmp_gt_i32_e32 vcc, s17, v30
	s_nop 1
	v_cndmask_b32_e32 v36, 0, v36, vcc
	v_cmp_gt_i32_e32 vcc, s17, v38
	s_nop 1
	v_cndmask_b32_e32 v37, 0, v37, vcc
	v_cmp_gt_i32_e32 vcc, s17, v39
	s_nop 1
	v_cndmask_b32_e32 v126, 0, v126, vcc
	v_cmp_gt_i32_e32 vcc, s17, v120
	s_nop 1
	v_cndmask_b32_e32 v127, 0, v127, vcc
; %bb.84:                               ;   in Loop: Header=BB214_40 Depth=1
	s_or_b64 exec, exec, s[10:11]
	v_add_co_u32_e32 v0, vcc, 0x1000, v58
	s_nop 1
	v_addc_co_u32_e32 v1, vcc, 0, v59, vcc
	global_load_dword v0, v[0:1], off offset:1536
	s_waitcnt vmcnt(0)
	v_and_b32_e32 v1, 0xffff, v0
	v_lshrrev_b32_e32 v32, 16, v0
	v_cvt_pk_f32_fp8_e32 v[0:1], v1
	v_cvt_pk_f32_fp8_e32 v[40:41], v32
	v_pk_mul_f32 v[32:33], s[6:7], v[0:1]
	v_pk_mul_f32 v[0:1], s[6:7], v[40:41]
	s_and_saveexec_b64 s[10:11], s[0:1]
; %bb.85:                               ;   in Loop: Header=BB214_40 Depth=1
	v_cmp_gt_i32_e32 vcc, s17, v30
	s_nop 1
	v_cndmask_b32_e32 v32, 0, v32, vcc
	v_cmp_gt_i32_e32 vcc, s17, v38
	s_nop 1
	v_cndmask_b32_e32 v33, 0, v33, vcc
	v_cmp_gt_i32_e32 vcc, s17, v39
	s_nop 1
	v_cndmask_b32_e32 v0, 0, v0, vcc
	v_cmp_gt_i32_e32 vcc, s17, v120
	s_nop 1
	v_cndmask_b32_e32 v1, 0, v1, vcc
; %bb.86:                               ;   in Loop: Header=BB214_40 Depth=1
	s_or_b64 exec, exec, s[10:11]
	v_add_co_u32_e32 v40, vcc, 0x1000, v58
	s_nop 1
	v_addc_co_u32_e32 v41, vcc, 0, v59, vcc
	global_load_dword v39, v[40:41], off offset:1792
	s_waitcnt vmcnt(0)
	v_and_b32_e32 v40, 0xffff, v39
	v_lshrrev_b32_e32 v39, 16, v39
	v_cvt_pk_f32_fp8_e32 v[40:41], v40
	v_cvt_pk_f32_fp8_e32 v[58:59], v39
	v_pk_mul_f32 v[120:121], s[6:7], v[40:41]
	v_pk_mul_f32 v[58:59], s[6:7], v[58:59]
	s_and_saveexec_b64 s[10:11], s[0:1]
	s_cbranch_execz .LBB214_39
; %bb.87:                               ;   in Loop: Header=BB214_40 Depth=1
	v_cmp_gt_i32_e32 vcc, s15, v38
	v_or_b32_e32 v38, 3, v30
	v_or_b32_e32 v39, 2, v30
	v_cndmask_b32_e32 v121, 0, v121, vcc
	v_cmp_gt_i32_e32 vcc, s17, v30
	s_nop 1
	v_cndmask_b32_e32 v120, 0, v120, vcc
	v_cmp_gt_i32_e32 vcc, s15, v38
	s_nop 1
	;; [unrolled: 3-line block ×3, first 2 shown]
	v_cndmask_b32_e32 v58, 0, v58, vcc
	s_branch .LBB214_39
.LBB214_88:
	s_or_b64 exec, exec, s[8:9]
	scratch_load_dword v30, off, off offset:56 ; 4-byte Folded Reload
	scratch_load_dword v31, off, off offset:60 ; 4-byte Folded Reload
	;; [unrolled: 1-line block ×3, first 2 shown]
.LBB214_89:
	s_or_b64 exec, exec, s[2:3]
	s_waitcnt vmcnt(2)
	ds_bpermute_b32 v0, v30, v28
	ds_bpermute_b32 v1, v30, v29
	;; [unrolled: 1-line block ×4, first 2 shown]
	v_mov_b32_e32 v42, v30
	s_waitcnt vmcnt(1)
	v_mov_b32_e32 v43, v31
	s_waitcnt lgkmcnt(2)
	v_pk_add_f32 v[0:1], v[28:29], v[0:1]
	ds_bpermute_b32 v28, v30, v24
	s_waitcnt lgkmcnt(1)
	v_pk_add_f32 v[2:3], v[26:27], v[2:3]
	ds_bpermute_b32 v29, v30, v25
	ds_bpermute_b32 v4, v31, v0
	;; [unrolled: 1-line block ×5, first 2 shown]
	s_waitcnt lgkmcnt(4)
	v_pk_add_f32 v[24:25], v[24:25], v[28:29]
	ds_bpermute_b32 v30, v30, v22
	s_waitcnt lgkmcnt(3)
	v_pk_add_f32 v[0:1], v[0:1], v[4:5]
	s_waitcnt vmcnt(0)
	ds_bpermute_b32 v4, v34, v0
	s_waitcnt lgkmcnt(2)
	v_pk_add_f32 v[2:3], v[2:3], v[26:27]
	ds_bpermute_b32 v26, v31, v24
	ds_bpermute_b32 v27, v31, v25
	;; [unrolled: 1-line block ×6, first 2 shown]
	s_waitcnt lgkmcnt(4)
	v_pk_add_f32 v[24:25], v[24:25], v[26:27]
	ds_bpermute_b32 v26, v34, v24
	ds_bpermute_b32 v27, v34, v25
	s_waitcnt lgkmcnt(3)
	v_pk_add_f32 v[30:31], v[22:23], v[30:31]
	v_pk_add_f32 v[22:23], v[0:1], v[4:5]
	s_waitcnt lgkmcnt(2)
	v_pk_add_f32 v[4:5], v[2:3], v[28:29]
	ds_bpermute_b32 v28, v42, v18
	ds_bpermute_b32 v29, v42, v19
	;; [unrolled: 1-line block ×4, first 2 shown]
	s_waitcnt lgkmcnt(4)
	v_pk_add_f32 v[2:3], v[24:25], v[26:27]
	ds_bpermute_b32 v24, v42, v20
	ds_bpermute_b32 v25, v42, v21
	s_waitcnt lgkmcnt(4)
	v_pk_add_f32 v[18:19], v[18:19], v[28:29]
	s_waitcnt lgkmcnt(2)
	v_pk_add_f32 v[0:1], v[30:31], v[32:33]
	ds_bpermute_b32 v28, v43, v18
	ds_bpermute_b32 v29, v43, v19
	;; [unrolled: 1-line block ×4, first 2 shown]
	s_waitcnt lgkmcnt(4)
	v_pk_add_f32 v[20:21], v[20:21], v[24:25]
	ds_bpermute_b32 v24, v43, v20
	ds_bpermute_b32 v25, v43, v21
	s_waitcnt lgkmcnt(4)
	v_pk_add_f32 v[28:29], v[18:19], v[28:29]
	s_waitcnt lgkmcnt(2)
	v_pk_add_f32 v[16:17], v[16:17], v[30:31]
	ds_bpermute_b32 v18, v43, v16
	ds_bpermute_b32 v19, v43, v17
	ds_bpermute_b32 v30, v34, v28
	ds_bpermute_b32 v31, v34, v29
	s_waitcnt lgkmcnt(4)
	v_pk_add_f32 v[24:25], v[20:21], v[24:25]
	ds_bpermute_b32 v26, v34, v0
	ds_bpermute_b32 v27, v34, v1
	ds_bpermute_b32 v32, v34, v24
	ds_bpermute_b32 v33, v34, v25
	v_mov_b32_e32 v44, v34
	s_waitcnt lgkmcnt(6)
	v_pk_add_f32 v[34:35], v[16:17], v[18:19]
	s_waitcnt lgkmcnt(4)
	v_pk_add_f32 v[16:17], v[28:29], v[30:31]
	ds_bpermute_b32 v28, v42, v10
	ds_bpermute_b32 v29, v42, v11
	;; [unrolled: 1-line block ×6, first 2 shown]
	s_waitcnt lgkmcnt(4)
	v_pk_add_f32 v[10:11], v[10:11], v[28:29]
	ds_bpermute_b32 v28, v43, v10
	ds_bpermute_b32 v29, v43, v11
	s_waitcnt lgkmcnt(4)
	v_pk_add_f32 v[8:9], v[8:9], v[30:31]
	ds_bpermute_b32 v36, v44, v34
	ds_bpermute_b32 v37, v44, v35
	s_waitcnt lgkmcnt(4)
	v_pk_add_f32 v[38:39], v[14:15], v[20:21]
	s_waitcnt lgkmcnt(2)
	v_pk_add_f32 v[28:29], v[10:11], v[28:29]
	ds_bpermute_b32 v10, v43, v8
	ds_bpermute_b32 v11, v43, v9
	;; [unrolled: 1-line block ×4, first 2 shown]
	s_waitcnt lgkmcnt(4)
	v_pk_add_f32 v[14:15], v[34:35], v[36:37]
	s_waitcnt lgkmcnt(0)
	v_pk_add_f32 v[34:35], v[8:9], v[10:11]
	s_barrier
	v_pk_add_f32 v[8:9], v[28:29], v[30:31]
	scratch_load_dword v28, off, off offset:44 ; 4-byte Folded Reload
	v_pk_add_f32 v[18:19], v[24:25], v[32:33]
	ds_bpermute_b32 v24, v42, v12
	ds_bpermute_b32 v25, v42, v13
	;; [unrolled: 1-line block ×4, first 2 shown]
	v_pk_add_f32 v[20:21], v[0:1], v[26:27]
	ds_bpermute_b32 v36, v44, v34
	s_waitcnt lgkmcnt(3)
	v_pk_add_f32 v[12:13], v[12:13], v[24:25]
	ds_bpermute_b32 v24, v43, v12
	ds_bpermute_b32 v25, v43, v13
	s_waitcnt lgkmcnt(3)
	v_pk_add_f32 v[0:1], v[38:39], v[40:41]
	ds_bpermute_b32 v26, v44, v0
	ds_bpermute_b32 v27, v44, v1
	;; [unrolled: 1-line block ×3, first 2 shown]
	s_waitcnt lgkmcnt(3)
	v_pk_add_f32 v[24:25], v[12:13], v[24:25]
	ds_bpermute_b32 v12, v42, v6
	ds_bpermute_b32 v13, v42, v7
	;; [unrolled: 1-line block ×4, first 2 shown]
	s_waitcnt lgkmcnt(2)
	v_pk_add_f32 v[38:39], v[6:7], v[12:13]
	ds_bpermute_b32 v40, v43, v38
	ds_bpermute_b32 v41, v43, v39
	s_waitcnt lgkmcnt(2)
	v_pk_add_f32 v[10:11], v[24:25], v[32:33]
	v_pk_add_f32 v[12:13], v[0:1], v[26:27]
	;; [unrolled: 1-line block ×3, first 2 shown]
	s_waitcnt lgkmcnt(0)
	v_pk_add_f32 v[24:25], v[38:39], v[40:41]
	ds_bpermute_b32 v26, v44, v24
	ds_bpermute_b32 v27, v44, v25
	s_waitcnt vmcnt(0)
	v_and_b32_e32 v0, 0x3c7, v28
	v_cmp_ne_u32_e32 vcc, 64, v0
	s_and_saveexec_b64 s[0:1], vcc
	s_xor_b64 s[0:1], exec, s[0:1]
; %bb.90:
                                        ; implicit-def: $vgpr1
                                        ; kill: killed $vgpr1
; %bb.91:
	s_or_saveexec_b64 s[0:1], s[0:1]
	scratch_load_dword v1, off, off offset:48 ; 4-byte Folded Reload
	s_waitcnt lgkmcnt(0)
	v_pk_add_f32 v[24:25], v[24:25], v[26:27]
	s_xor_b64 exec, exec, s[0:1]
	s_cbranch_execz .LBB214_93
; %bb.92:
	s_waitcnt vmcnt(0)
	v_lshrrev_b32_e32 v1, 1, v1
	v_add_u32_e32 v1, 0x310, v1
	ds_write2_b32 v1, v22, v23 offset1:8
	ds_write2_b32 v1, v4, v5 offset0:16 offset1:24
	ds_write2_b32 v1, v2, v3 offset0:32 offset1:40
	;; [unrolled: 1-line block ×11, first 2 shown]
.LBB214_93:
	s_or_b64 exec, exec, s[0:1]
	v_cmp_gt_u32_e32 vcc, 64, v28
	s_waitcnt vmcnt(0)
	v_lshrrev_b32_e32 v1, 3, v28
	s_waitcnt lgkmcnt(0)
	s_barrier
	s_and_saveexec_b64 s[0:1], vcc
	s_cbranch_execz .LBB214_120
; %bb.94:
	scratch_load_dword v26, off, off offset:52 ; 4-byte Folded Reload
	s_waitcnt vmcnt(0)
	v_cmp_eq_u32_e32 vcc, 0, v26
	v_mov_b32_e32 v26, 0x310
	v_lshl_add_u32 v26, v1, 2, v26
	s_and_saveexec_b64 s[2:3], vcc
	s_cbranch_execnz .LBB214_123
; %bb.95:
	s_or_b64 exec, exec, s[2:3]
	s_and_saveexec_b64 s[2:3], vcc
	s_cbranch_execnz .LBB214_124
.LBB214_96:
	s_or_b64 exec, exec, s[2:3]
	s_and_saveexec_b64 s[2:3], vcc
	s_cbranch_execnz .LBB214_125
.LBB214_97:
	s_or_b64 exec, exec, s[2:3]
	s_and_saveexec_b64 s[2:3], vcc
	s_cbranch_execnz .LBB214_126
.LBB214_98:
	s_or_b64 exec, exec, s[2:3]
	s_and_saveexec_b64 s[2:3], vcc
	s_cbranch_execnz .LBB214_127
.LBB214_99:
	s_or_b64 exec, exec, s[2:3]
	s_and_saveexec_b64 s[2:3], vcc
	s_cbranch_execnz .LBB214_128
.LBB214_100:
	s_or_b64 exec, exec, s[2:3]
	s_and_saveexec_b64 s[2:3], vcc
	s_cbranch_execnz .LBB214_129
.LBB214_101:
	s_or_b64 exec, exec, s[2:3]
	s_and_saveexec_b64 s[2:3], vcc
	s_cbranch_execnz .LBB214_130
.LBB214_102:
	s_or_b64 exec, exec, s[2:3]
	s_and_saveexec_b64 s[2:3], vcc
	s_cbranch_execnz .LBB214_131
.LBB214_103:
	s_or_b64 exec, exec, s[2:3]
	s_and_saveexec_b64 s[2:3], vcc
	s_cbranch_execnz .LBB214_132
.LBB214_104:
	s_or_b64 exec, exec, s[2:3]
	s_and_saveexec_b64 s[2:3], vcc
	s_cbranch_execnz .LBB214_133
.LBB214_105:
	s_or_b64 exec, exec, s[2:3]
	s_and_saveexec_b64 s[2:3], vcc
	s_cbranch_execnz .LBB214_134
.LBB214_106:
	s_or_b64 exec, exec, s[2:3]
	s_and_saveexec_b64 s[2:3], vcc
	s_cbranch_execnz .LBB214_135
.LBB214_107:
	s_or_b64 exec, exec, s[2:3]
	s_and_saveexec_b64 s[2:3], vcc
	s_cbranch_execnz .LBB214_136
.LBB214_108:
	s_or_b64 exec, exec, s[2:3]
	s_and_saveexec_b64 s[2:3], vcc
	s_cbranch_execnz .LBB214_137
.LBB214_109:
	s_or_b64 exec, exec, s[2:3]
	s_and_saveexec_b64 s[2:3], vcc
	s_cbranch_execnz .LBB214_138
.LBB214_110:
	s_or_b64 exec, exec, s[2:3]
	s_and_saveexec_b64 s[2:3], vcc
	s_cbranch_execnz .LBB214_139
.LBB214_111:
	s_or_b64 exec, exec, s[2:3]
	s_and_saveexec_b64 s[2:3], vcc
	s_cbranch_execnz .LBB214_140
.LBB214_112:
	s_or_b64 exec, exec, s[2:3]
	s_and_saveexec_b64 s[2:3], vcc
	s_cbranch_execnz .LBB214_141
.LBB214_113:
	s_or_b64 exec, exec, s[2:3]
	s_and_saveexec_b64 s[2:3], vcc
	s_cbranch_execnz .LBB214_142
.LBB214_114:
	s_or_b64 exec, exec, s[2:3]
	s_and_saveexec_b64 s[2:3], vcc
	s_cbranch_execnz .LBB214_143
.LBB214_115:
	s_or_b64 exec, exec, s[2:3]
	s_and_saveexec_b64 s[2:3], vcc
	s_cbranch_execnz .LBB214_144
.LBB214_116:
	s_or_b64 exec, exec, s[2:3]
	s_and_saveexec_b64 s[2:3], vcc
	s_cbranch_execnz .LBB214_145
.LBB214_117:
	s_or_b64 exec, exec, s[2:3]
	s_and_saveexec_b64 s[2:3], vcc
	s_cbranch_execz .LBB214_119
.LBB214_118:
	ds_read_b32 v26, v26 offset:736
	s_waitcnt lgkmcnt(0)
	v_add_f32_e32 v25, v25, v26
.LBB214_119:
	s_or_b64 exec, exec, s[2:3]
.LBB214_120:
	s_or_b64 exec, exec, s[0:1]
	v_cmp_eq_u32_e32 vcc, 0, v0
	s_barrier
	s_and_saveexec_b64 s[0:1], vcc
	s_cbranch_execz .LBB214_122
; %bb.121:
	s_mul_i32 s0, s16, s12
	s_mul_i32 s0, s0, s5
	s_mulk_i32 s0, 0xc0
	s_ashr_i32 s1, s0, 31
	s_lshl_b64 s[0:1], s[0:1], 2
	s_add_u32 s2, s20, s0
	s_mul_i32 s0, s12, s18
	s_addc_u32 s3, s21, s1
	s_ashr_i32 s1, s0, 31
	s_lshl_b64 s[0:1], s[0:1], 2
	s_add_u32 s2, s2, s0
	s_mul_i32 s0, s4, 0xc0
	s_addc_u32 s3, s3, s1
	s_ashr_i32 s1, s0, 31
	s_lshl_b64 s[0:1], s[0:1], 2
	s_add_u32 s0, s2, s0
	s_addc_u32 s1, s3, s1
	v_lshlrev_b32_e32 v0, 2, v1
	global_store_dword v0, v22, s[0:1]
	global_store_dword v0, v23, s[0:1] offset:32
	global_store_dword v0, v4, s[0:1] offset:64
	;; [unrolled: 1-line block ×23, first 2 shown]
.LBB214_122:
	s_endpgm
.LBB214_123:
	ds_read_b32 v27, v26
	s_waitcnt lgkmcnt(0)
	v_add_f32_e32 v22, v22, v27
	s_or_b64 exec, exec, s[2:3]
	s_and_saveexec_b64 s[2:3], vcc
	s_cbranch_execz .LBB214_96
.LBB214_124:
	ds_read_b32 v27, v26 offset:32
	s_waitcnt lgkmcnt(0)
	v_add_f32_e32 v23, v23, v27
	s_or_b64 exec, exec, s[2:3]
	s_and_saveexec_b64 s[2:3], vcc
	s_cbranch_execz .LBB214_97
.LBB214_125:
	ds_read_b32 v27, v26 offset:64
	s_waitcnt lgkmcnt(0)
	v_add_f32_e32 v4, v4, v27
	s_or_b64 exec, exec, s[2:3]
	s_and_saveexec_b64 s[2:3], vcc
	s_cbranch_execz .LBB214_98
.LBB214_126:
	ds_read_b32 v27, v26 offset:96
	s_waitcnt lgkmcnt(0)
	v_add_f32_e32 v5, v5, v27
	s_or_b64 exec, exec, s[2:3]
	s_and_saveexec_b64 s[2:3], vcc
	s_cbranch_execz .LBB214_99
.LBB214_127:
	ds_read_b32 v27, v26 offset:128
	s_waitcnt lgkmcnt(0)
	v_add_f32_e32 v2, v2, v27
	s_or_b64 exec, exec, s[2:3]
	s_and_saveexec_b64 s[2:3], vcc
	s_cbranch_execz .LBB214_100
.LBB214_128:
	ds_read_b32 v27, v26 offset:160
	s_waitcnt lgkmcnt(0)
	v_add_f32_e32 v3, v3, v27
	s_or_b64 exec, exec, s[2:3]
	s_and_saveexec_b64 s[2:3], vcc
	s_cbranch_execz .LBB214_101
.LBB214_129:
	ds_read_b32 v27, v26 offset:192
	s_waitcnt lgkmcnt(0)
	v_add_f32_e32 v20, v20, v27
	s_or_b64 exec, exec, s[2:3]
	s_and_saveexec_b64 s[2:3], vcc
	s_cbranch_execz .LBB214_102
.LBB214_130:
	ds_read_b32 v27, v26 offset:224
	s_waitcnt lgkmcnt(0)
	v_add_f32_e32 v21, v21, v27
	s_or_b64 exec, exec, s[2:3]
	s_and_saveexec_b64 s[2:3], vcc
	s_cbranch_execz .LBB214_103
.LBB214_131:
	ds_read_b32 v27, v26 offset:256
	s_waitcnt lgkmcnt(0)
	v_add_f32_e32 v18, v18, v27
	s_or_b64 exec, exec, s[2:3]
	s_and_saveexec_b64 s[2:3], vcc
	s_cbranch_execz .LBB214_104
.LBB214_132:
	ds_read_b32 v27, v26 offset:288
	s_waitcnt lgkmcnt(0)
	v_add_f32_e32 v19, v19, v27
	s_or_b64 exec, exec, s[2:3]
	s_and_saveexec_b64 s[2:3], vcc
	s_cbranch_execz .LBB214_105
.LBB214_133:
	ds_read_b32 v27, v26 offset:320
	s_waitcnt lgkmcnt(0)
	v_add_f32_e32 v16, v16, v27
	s_or_b64 exec, exec, s[2:3]
	s_and_saveexec_b64 s[2:3], vcc
	s_cbranch_execz .LBB214_106
.LBB214_134:
	ds_read_b32 v27, v26 offset:352
	s_waitcnt lgkmcnt(0)
	v_add_f32_e32 v17, v17, v27
	s_or_b64 exec, exec, s[2:3]
	s_and_saveexec_b64 s[2:3], vcc
	s_cbranch_execz .LBB214_107
.LBB214_135:
	ds_read_b32 v27, v26 offset:384
	s_waitcnt lgkmcnt(0)
	v_add_f32_e32 v14, v14, v27
	s_or_b64 exec, exec, s[2:3]
	s_and_saveexec_b64 s[2:3], vcc
	s_cbranch_execz .LBB214_108
.LBB214_136:
	ds_read_b32 v27, v26 offset:416
	s_waitcnt lgkmcnt(0)
	v_add_f32_e32 v15, v15, v27
	s_or_b64 exec, exec, s[2:3]
	s_and_saveexec_b64 s[2:3], vcc
	s_cbranch_execz .LBB214_109
.LBB214_137:
	ds_read_b32 v27, v26 offset:448
	s_waitcnt lgkmcnt(0)
	v_add_f32_e32 v12, v12, v27
	s_or_b64 exec, exec, s[2:3]
	s_and_saveexec_b64 s[2:3], vcc
	s_cbranch_execz .LBB214_110
.LBB214_138:
	ds_read_b32 v27, v26 offset:480
	s_waitcnt lgkmcnt(0)
	v_add_f32_e32 v13, v13, v27
	s_or_b64 exec, exec, s[2:3]
	s_and_saveexec_b64 s[2:3], vcc
	s_cbranch_execz .LBB214_111
.LBB214_139:
	ds_read_b32 v27, v26 offset:512
	s_waitcnt lgkmcnt(0)
	v_add_f32_e32 v10, v10, v27
	s_or_b64 exec, exec, s[2:3]
	s_and_saveexec_b64 s[2:3], vcc
	s_cbranch_execz .LBB214_112
.LBB214_140:
	ds_read_b32 v27, v26 offset:544
	s_waitcnt lgkmcnt(0)
	v_add_f32_e32 v11, v11, v27
	s_or_b64 exec, exec, s[2:3]
	s_and_saveexec_b64 s[2:3], vcc
	s_cbranch_execz .LBB214_113
.LBB214_141:
	ds_read_b32 v27, v26 offset:576
	s_waitcnt lgkmcnt(0)
	v_add_f32_e32 v8, v8, v27
	s_or_b64 exec, exec, s[2:3]
	s_and_saveexec_b64 s[2:3], vcc
	s_cbranch_execz .LBB214_114
.LBB214_142:
	ds_read_b32 v27, v26 offset:608
	s_waitcnt lgkmcnt(0)
	v_add_f32_e32 v9, v9, v27
	s_or_b64 exec, exec, s[2:3]
	s_and_saveexec_b64 s[2:3], vcc
	s_cbranch_execz .LBB214_115
.LBB214_143:
	ds_read_b32 v27, v26 offset:640
	s_waitcnt lgkmcnt(0)
	v_add_f32_e32 v6, v6, v27
	s_or_b64 exec, exec, s[2:3]
	s_and_saveexec_b64 s[2:3], vcc
	s_cbranch_execz .LBB214_116
.LBB214_144:
	ds_read_b32 v27, v26 offset:672
	s_waitcnt lgkmcnt(0)
	v_add_f32_e32 v7, v7, v27
	s_or_b64 exec, exec, s[2:3]
	s_and_saveexec_b64 s[2:3], vcc
	s_cbranch_execz .LBB214_117
.LBB214_145:
	ds_read_b32 v27, v26 offset:704
	s_waitcnt lgkmcnt(0)
	v_add_f32_e32 v24, v24, v27
	s_or_b64 exec, exec, s[2:3]
	s_and_saveexec_b64 s[2:3], vcc
	s_cbranch_execnz .LBB214_118
	s_branch .LBB214_119
	.section	.rodata,"a",@progbits
	.p2align	6, 0x0
	.amdhsa_kernel _ZN4vllm25paged_attention_v1_kernelIfhLi192ELi32ELi128ELNS_18Fp8KVCacheDataTypeE1ELb0EEEvPT_PKS2_PKT0_S8_ifPKiSA_iPKfiiiSC_SC_iiiii
		.amdhsa_group_segment_fixed_size 784
		.amdhsa_private_segment_fixed_size 72
		.amdhsa_kernarg_size 384
		.amdhsa_user_sgpr_count 2
		.amdhsa_user_sgpr_dispatch_ptr 0
		.amdhsa_user_sgpr_queue_ptr 0
		.amdhsa_user_sgpr_kernarg_segment_ptr 1
		.amdhsa_user_sgpr_dispatch_id 0
		.amdhsa_user_sgpr_kernarg_preload_length 0
		.amdhsa_user_sgpr_kernarg_preload_offset 0
		.amdhsa_user_sgpr_private_segment_size 0
		.amdhsa_uses_dynamic_stack 0
		.amdhsa_enable_private_segment 1
		.amdhsa_system_sgpr_workgroup_id_x 1
		.amdhsa_system_sgpr_workgroup_id_y 1
		.amdhsa_system_sgpr_workgroup_id_z 1
		.amdhsa_system_sgpr_workgroup_info 0
		.amdhsa_system_vgpr_workitem_id 0
		.amdhsa_next_free_vgpr 128
		.amdhsa_next_free_sgpr 46
		.amdhsa_accum_offset 128
		.amdhsa_reserve_vcc 1
		.amdhsa_float_round_mode_32 0
		.amdhsa_float_round_mode_16_64 0
		.amdhsa_float_denorm_mode_32 3
		.amdhsa_float_denorm_mode_16_64 3
		.amdhsa_dx10_clamp 1
		.amdhsa_ieee_mode 1
		.amdhsa_fp16_overflow 0
		.amdhsa_tg_split 0
		.amdhsa_exception_fp_ieee_invalid_op 0
		.amdhsa_exception_fp_denorm_src 0
		.amdhsa_exception_fp_ieee_div_zero 0
		.amdhsa_exception_fp_ieee_overflow 0
		.amdhsa_exception_fp_ieee_underflow 0
		.amdhsa_exception_fp_ieee_inexact 0
		.amdhsa_exception_int_div_zero 0
	.end_amdhsa_kernel
	.section	.text._ZN4vllm25paged_attention_v1_kernelIfhLi192ELi32ELi128ELNS_18Fp8KVCacheDataTypeE1ELb0EEEvPT_PKS2_PKT0_S8_ifPKiSA_iPKfiiiSC_SC_iiiii,"axG",@progbits,_ZN4vllm25paged_attention_v1_kernelIfhLi192ELi32ELi128ELNS_18Fp8KVCacheDataTypeE1ELb0EEEvPT_PKS2_PKT0_S8_ifPKiSA_iPKfiiiSC_SC_iiiii,comdat
.Lfunc_end214:
	.size	_ZN4vllm25paged_attention_v1_kernelIfhLi192ELi32ELi128ELNS_18Fp8KVCacheDataTypeE1ELb0EEEvPT_PKS2_PKT0_S8_ifPKiSA_iPKfiiiSC_SC_iiiii, .Lfunc_end214-_ZN4vllm25paged_attention_v1_kernelIfhLi192ELi32ELi128ELNS_18Fp8KVCacheDataTypeE1ELb0EEEvPT_PKS2_PKT0_S8_ifPKiSA_iPKfiiiSC_SC_iiiii
                                        ; -- End function
	.set _ZN4vllm25paged_attention_v1_kernelIfhLi192ELi32ELi128ELNS_18Fp8KVCacheDataTypeE1ELb0EEEvPT_PKS2_PKT0_S8_ifPKiSA_iPKfiiiSC_SC_iiiii.num_vgpr, 128
	.set _ZN4vllm25paged_attention_v1_kernelIfhLi192ELi32ELi128ELNS_18Fp8KVCacheDataTypeE1ELb0EEEvPT_PKS2_PKT0_S8_ifPKiSA_iPKfiiiSC_SC_iiiii.num_agpr, 0
	.set _ZN4vllm25paged_attention_v1_kernelIfhLi192ELi32ELi128ELNS_18Fp8KVCacheDataTypeE1ELb0EEEvPT_PKS2_PKT0_S8_ifPKiSA_iPKfiiiSC_SC_iiiii.numbered_sgpr, 46
	.set _ZN4vllm25paged_attention_v1_kernelIfhLi192ELi32ELi128ELNS_18Fp8KVCacheDataTypeE1ELb0EEEvPT_PKS2_PKT0_S8_ifPKiSA_iPKfiiiSC_SC_iiiii.num_named_barrier, 0
	.set _ZN4vllm25paged_attention_v1_kernelIfhLi192ELi32ELi128ELNS_18Fp8KVCacheDataTypeE1ELb0EEEvPT_PKS2_PKT0_S8_ifPKiSA_iPKfiiiSC_SC_iiiii.private_seg_size, 72
	.set _ZN4vllm25paged_attention_v1_kernelIfhLi192ELi32ELi128ELNS_18Fp8KVCacheDataTypeE1ELb0EEEvPT_PKS2_PKT0_S8_ifPKiSA_iPKfiiiSC_SC_iiiii.uses_vcc, 1
	.set _ZN4vllm25paged_attention_v1_kernelIfhLi192ELi32ELi128ELNS_18Fp8KVCacheDataTypeE1ELb0EEEvPT_PKS2_PKT0_S8_ifPKiSA_iPKfiiiSC_SC_iiiii.uses_flat_scratch, 0
	.set _ZN4vllm25paged_attention_v1_kernelIfhLi192ELi32ELi128ELNS_18Fp8KVCacheDataTypeE1ELb0EEEvPT_PKS2_PKT0_S8_ifPKiSA_iPKfiiiSC_SC_iiiii.has_dyn_sized_stack, 0
	.set _ZN4vllm25paged_attention_v1_kernelIfhLi192ELi32ELi128ELNS_18Fp8KVCacheDataTypeE1ELb0EEEvPT_PKS2_PKT0_S8_ifPKiSA_iPKfiiiSC_SC_iiiii.has_recursion, 0
	.set _ZN4vllm25paged_attention_v1_kernelIfhLi192ELi32ELi128ELNS_18Fp8KVCacheDataTypeE1ELb0EEEvPT_PKS2_PKT0_S8_ifPKiSA_iPKfiiiSC_SC_iiiii.has_indirect_call, 0
	.section	.AMDGPU.csdata,"",@progbits
; Kernel info:
; codeLenInByte = 10840
; TotalNumSgprs: 52
; NumVgprs: 128
; NumAgprs: 0
; TotalNumVgprs: 128
; ScratchSize: 72
; MemoryBound: 0
; FloatMode: 240
; IeeeMode: 1
; LDSByteSize: 784 bytes/workgroup (compile time only)
; SGPRBlocks: 6
; VGPRBlocks: 15
; NumSGPRsForWavesPerEU: 52
; NumVGPRsForWavesPerEU: 128
; AccumOffset: 128
; Occupancy: 4
; WaveLimiterHint : 1
; COMPUTE_PGM_RSRC2:SCRATCH_EN: 1
; COMPUTE_PGM_RSRC2:USER_SGPR: 2
; COMPUTE_PGM_RSRC2:TRAP_HANDLER: 0
; COMPUTE_PGM_RSRC2:TGID_X_EN: 1
; COMPUTE_PGM_RSRC2:TGID_Y_EN: 1
; COMPUTE_PGM_RSRC2:TGID_Z_EN: 1
; COMPUTE_PGM_RSRC2:TIDIG_COMP_CNT: 0
; COMPUTE_PGM_RSRC3_GFX90A:ACCUM_OFFSET: 31
; COMPUTE_PGM_RSRC3_GFX90A:TG_SPLIT: 0
	.section	.text._ZN4vllm25paged_attention_v1_kernelIfhLi256ELi32ELi128ELNS_18Fp8KVCacheDataTypeE1ELb0EEEvPT_PKS2_PKT0_S8_ifPKiSA_iPKfiiiSC_SC_iiiii,"axG",@progbits,_ZN4vllm25paged_attention_v1_kernelIfhLi256ELi32ELi128ELNS_18Fp8KVCacheDataTypeE1ELb0EEEvPT_PKS2_PKT0_S8_ifPKiSA_iPKfiiiSC_SC_iiiii,comdat
	.protected	_ZN4vllm25paged_attention_v1_kernelIfhLi256ELi32ELi128ELNS_18Fp8KVCacheDataTypeE1ELb0EEEvPT_PKS2_PKT0_S8_ifPKiSA_iPKfiiiSC_SC_iiiii ; -- Begin function _ZN4vllm25paged_attention_v1_kernelIfhLi256ELi32ELi128ELNS_18Fp8KVCacheDataTypeE1ELb0EEEvPT_PKS2_PKT0_S8_ifPKiSA_iPKfiiiSC_SC_iiiii
	.globl	_ZN4vllm25paged_attention_v1_kernelIfhLi256ELi32ELi128ELNS_18Fp8KVCacheDataTypeE1ELb0EEEvPT_PKS2_PKT0_S8_ifPKiSA_iPKfiiiSC_SC_iiiii
	.p2align	8
	.type	_ZN4vllm25paged_attention_v1_kernelIfhLi256ELi32ELi128ELNS_18Fp8KVCacheDataTypeE1ELb0EEEvPT_PKS2_PKT0_S8_ifPKiSA_iPKfiiiSC_SC_iiiii,@function
_ZN4vllm25paged_attention_v1_kernelIfhLi256ELi32ELi128ELNS_18Fp8KVCacheDataTypeE1ELb0EEEvPT_PKS2_PKT0_S8_ifPKiSA_iPKfiiiSC_SC_iiiii: ; @_ZN4vllm25paged_attention_v1_kernelIfhLi256ELi32ELi128ELNS_18Fp8KVCacheDataTypeE1ELb0EEEvPT_PKS2_PKT0_S8_ifPKiSA_iPKfiiiSC_SC_iiiii
; %bb.0:
	s_load_dword s5, s[0:1], 0x80
	s_load_dwordx2 s[6:7], s[0:1], 0x30
	s_load_dwordx2 s[28:29], s[0:1], 0x20
	s_mov_b32 s16, s3
	s_ashr_i32 s17, s3, 31
	s_lshl_b64 s[8:9], s[16:17], 2
	s_waitcnt lgkmcnt(0)
	s_add_u32 s6, s6, s8
	s_addc_u32 s7, s7, s9
	s_abs_i32 s3, s28
	v_mov_b32_e32 v50, v0
	v_cvt_f32_u32_e32 v0, s3
	s_sub_i32 s10, 0, s3
	s_abs_i32 s9, s5
	s_xor_b32 s8, s5, s28
	v_rcp_iflag_f32_e32 v0, v0
	s_ashr_i32 s8, s8, 31
	s_mov_b32 s28, 0
	v_mul_f32_e32 v0, 0x4f7ffffe, v0
	v_cvt_u32_f32_e32 v0, v0
	s_nop 0
	v_readfirstlane_b32 s11, v0
	s_mul_i32 s10, s10, s11
	s_mul_hi_u32 s10, s11, s10
	s_add_i32 s11, s11, s10
	s_mul_hi_u32 s10, s9, s11
	s_mul_i32 s11, s10, s3
	s_sub_i32 s9, s9, s11
	s_add_i32 s11, s10, 1
	s_sub_i32 s12, s9, s3
	s_cmp_ge_u32 s9, s3
	s_cselect_b32 s10, s11, s10
	s_cselect_b32 s9, s12, s9
	s_add_i32 s11, s10, 1
	s_cmp_ge_u32 s9, s3
	s_cselect_b32 s3, s11, s10
	s_xor_b32 s3, s3, s8
	s_sub_i32 s12, s3, s8
	s_abs_i32 s10, s12
	v_cvt_f32_u32_e32 v0, s10
	s_load_dwordx2 s[8:9], s[0:1], 0x40
	s_sub_i32 s3, 0, s10
	s_abs_i32 s11, s2
	v_rcp_iflag_f32_e32 v0, v0
	s_nop 0
	v_mul_f32_e32 v0, 0x4f7ffffe, v0
	v_cvt_u32_f32_e32 v0, v0
	s_nop 0
	v_readfirstlane_b32 s13, v0
	s_mul_i32 s3, s3, s13
	s_mul_hi_u32 s3, s13, s3
	s_add_i32 s13, s13, s3
	s_waitcnt lgkmcnt(0)
	s_cmp_eq_u64 s[8:9], 0
	s_mul_hi_u32 s20, s11, s13
	s_cbranch_scc1 .LBB215_2
; %bb.1:
	s_ashr_i32 s3, s2, 31
	s_lshl_b64 s[14:15], s[2:3], 2
	s_add_u32 s8, s8, s14
	s_addc_u32 s9, s9, s15
	s_load_dword s28, s[8:9], 0x0
.LBB215_2:
	s_load_dword s17, s[6:7], 0x0
	s_ashr_i32 s7, s12, 31
	s_load_dwordx4 s[12:15], s[0:1], 0x48
	s_ashr_i32 s6, s2, 31
	s_lshl_b32 s18, s2, 8
	s_movk_i32 s2, 0x80
	v_and_b32_e32 v0, 1, v50
	v_cmp_gt_u32_e32 vcc, s2, v50
	v_lshlrev_b32_e32 v38, 2, v50
	s_and_saveexec_b64 s[2:3], vcc
	s_cbranch_execz .LBB215_4
; %bb.3:
	s_load_dwordx2 s[8:9], s[0:1], 0x8
	s_waitcnt lgkmcnt(0)
	s_mul_i32 s22, s12, s16
	s_ashr_i32 s23, s22, 31
	s_lshl_b64 s[22:23], s[22:23], 2
	v_lshlrev_b32_e32 v1, 3, v50
	s_add_u32 s12, s8, s22
	s_addc_u32 s15, s9, s23
	s_ashr_i32 s19, s18, 31
	s_lshl_b64 s[8:9], s[18:19], 2
	s_add_u32 s8, s12, s8
	s_addc_u32 s9, s15, s9
	global_load_dwordx2 v[2:3], v1, s[8:9]
	v_and_b32_e32 v1, 0xff8, v38
	v_lshl_add_u32 v1, v0, 9, v1
	s_waitcnt vmcnt(0)
	ds_write_b64 v1, v[2:3]
.LBB215_4:
	s_or_b64 exec, exec, s[2:3]
	s_waitcnt lgkmcnt(0)
	s_add_i32 s3, s17, 31
	s_ashr_i32 s8, s3, 31
	s_lshr_b32 s8, s8, 27
	s_add_i32 s3, s3, s8
	s_ashr_i32 s19, s3, 5
	s_xor_b32 s3, s6, s7
	s_mul_i32 s6, s20, s10
	s_sub_i32 s6, s11, s6
	s_add_i32 s7, s20, 1
	s_sub_i32 s8, s6, s10
	s_load_dwordx2 s[22:23], s[0:1], 0x28
	s_load_dword s2, s[0:1], 0x38
	s_cmp_ge_u32 s6, s10
	s_cselect_b32 s7, s7, s20
	s_cselect_b32 s6, s8, s6
	s_add_i32 s8, s7, 1
	s_cmp_ge_u32 s6, s10
	s_cselect_b32 s6, s8, s7
	v_lshrrev_b32_e32 v88, 6, v50
	s_xor_b32 s6, s6, s3
	s_waitcnt lgkmcnt(0)
	s_mul_i32 s24, s2, s16
	s_sub_i32 s33, s6, s3
	s_ashr_i32 s25, s24, 31
	v_cmp_gt_i32_e64 s[6:7], s19, v88
	v_cmp_le_i32_e32 vcc, s19, v88
	v_mbcnt_lo_u32_b32 v1, -1, 0
	s_barrier
                                        ; implicit-def: $vgpr10
                                        ; implicit-def: $vgpr7
                                        ; implicit-def: $vgpr8
	s_and_saveexec_b64 s[2:3], vcc
	s_xor_b64 s[2:3], exec, s[2:3]
; %bb.5:
	v_mbcnt_hi_u32_b32 v10, -1, v1
	v_and_b32_e32 v7, 64, v10
	v_add_u32_e32 v8, 64, v7
                                        ; implicit-def: $vgpr0
                                        ; implicit-def: $vgpr1
; %bb.6:
	s_or_saveexec_b64 s[30:31], s[2:3]
	s_load_dwordx2 s[20:21], s[0:1], 0x0
	s_load_dwordx2 s[26:27], s[0:1], 0x18
	s_load_dword s12, s[0:1], 0x88
	s_load_dwordx4 s[8:11], s[0:1], 0x58
	v_mov_b32_e32 v28, 0xff7fffff
	s_mul_i32 s33, s33, s14
	v_lshrrev_b32_e32 v2, 4, v50
	scratch_store_dword off, v2, off offset:128 ; 4-byte Folded Spill
	scratch_store_dword off, v50, off offset:264 ; 4-byte Folded Spill
	s_xor_b64 exec, exec, s[30:31]
	s_cbranch_execz .LBB215_12
; %bb.7:
	s_load_dwordx2 s[0:1], s[0:1], 0x10
	s_ashr_i32 s2, s33, 31
	v_bfe_u32 v10, v50, 1, 5
	v_lshlrev_b32_e32 v126, 4, v10
	v_mov_b32_e32 v127, 0
	s_waitcnt lgkmcnt(0)
	s_add_u32 s0, s0, s33
	s_addc_u32 s1, s1, s2
	v_lshl_add_u64 v[2:3], s[0:1], 0, v[126:127]
	scratch_store_dwordx2 off, v[2:3], off  ; 8-byte Folded Spill
	v_lshlrev_b32_e32 v2, 9, v0
	ds_read_b128 v[4:7], v2
	v_mbcnt_hi_u32_b32 v3, -1, v1
	scratch_store_dword off, v38, off offset:136 ; 4-byte Folded Spill
	v_xor_b32_e32 v1, 1, v3
	v_mov_b32_e32 v18, v88
	s_waitcnt lgkmcnt(0)
	scratch_store_dwordx4 off, v[4:7], off offset:8 ; 16-byte Folded Spill
	ds_read_b128 v[4:7], v2 offset:16
	v_lshl_or_b32 v17, v18, 5, v10
	v_lshlrev_b32_e32 v10, 2, v10
	v_lshl_or_b32 v10, v18, 7, v10
	v_add_u32_e32 v16, 0x410, v10
	s_waitcnt lgkmcnt(0)
	scratch_store_dwordx4 off, v[4:7], off offset:24 ; 16-byte Folded Spill
	ds_read_b128 v[4:7], v2 offset:32
	s_sub_i32 s53, 1, s17
	s_lshl_b64 s[0:1], s[24:25], 2
	s_add_u32 s0, s22, s0
	v_lshlrev_b32_e32 v126, 1, v0
	s_waitcnt lgkmcnt(0)
	scratch_store_dwordx4 off, v[4:7], off offset:40 ; 16-byte Folded Spill
	ds_read_b128 v[4:7], v2 offset:48
	v_mov_b32_e32 v11, v127
	s_addc_u32 s1, s23, s1
	s_mov_b32 s52, s13
	v_cmp_neq_f32_e64 s[2:3], s28, 0
	s_waitcnt lgkmcnt(0)
	scratch_store_dwordx4 off, v[4:7], off offset:56 ; 16-byte Folded Spill
	ds_read_b128 v[4:7], v2 offset:64
	v_or_b32_e32 v8, 12, v126
	v_mov_b32_e32 v9, v127
	v_mov_b32_e32 v28, 0xff7fffff
	s_mov_b64 s[14:15], 0
	s_waitcnt lgkmcnt(0)
	scratch_store_dwordx4 off, v[4:7], off offset:72 ; 16-byte Folded Spill
	ds_read_b128 v[4:7], v2 offset:80
	s_mov_b64 s[34:35], 0x1000
	s_mov_b64 s[36:37], 0x1200
	;; [unrolled: 1-line block ×4, first 2 shown]
	s_waitcnt lgkmcnt(0)
	scratch_store_dwordx4 off, v[4:7], off offset:88 ; 16-byte Folded Spill
	ds_read_b128 v[4:7], v2 offset:96
	s_mov_b64 s[42:43], 0x1800
	s_mov_b64 s[44:45], 0x1a00
	;; [unrolled: 1-line block ×4, first 2 shown]
	s_waitcnt lgkmcnt(0)
	scratch_store_dwordx4 off, v[4:7], off offset:104 ; 16-byte Folded Spill
	ds_read_b128 v[30:33], v2 offset:112
	ds_read_b128 v[34:37], v2 offset:128
	;; [unrolled: 1-line block ×6, first 2 shown]
	v_and_b32_e32 v4, 64, v3
	scratch_store_dword off, v4, off offset:144 ; 4-byte Folded Spill
	v_add_u32_e32 v4, 64, v4
	v_cmp_lt_i32_e32 vcc, v1, v4
	scratch_store_dword off, v4, off offset:152 ; 4-byte Folded Spill
	scratch_store_dword off, v3, off offset:160 ; 4-byte Folded Spill
	v_cndmask_b32_e32 v1, v3, v1, vcc
	v_lshlrev_b32_e32 v1, 2, v1
	scratch_store_dword off, v1, off offset:120 ; 4-byte Folded Spill
	ds_read_b128 v[54:57], v2 offset:208
	ds_read_b128 v[58:61], v2 offset:224
	;; [unrolled: 1-line block ×19, first 2 shown]
	scratch_load_dword v10, off, off offset:128 ; 4-byte Folded Reload
	s_load_dword s8, s[8:9], 0x0
	v_cmp_eq_u32_e32 vcc, 0, v0
	v_or_b32_e32 v0, 4, v126
	v_mov_b32_e32 v1, v127
	v_or_b32_e32 v6, 8, v126
	v_mov_b32_e32 v7, v127
	s_waitcnt lgkmcnt(0)
	s_mov_b32 s9, s8
	v_mov_b32_e32 v29, v18
	s_waitcnt vmcnt(0)
	v_and_b32_e32 v10, 60, v10
	v_lshl_add_u64 v[10:11], s[0:1], 0, v[10:11]
	s_branch .LBB215_9
.LBB215_8:                              ;   in Loop: Header=BB215_9 Depth=1
	s_or_b64 exec, exec, s[50:51]
	v_add_u32_e32 v18, 2, v18
	v_cmp_le_i32_e64 s[0:1], s19, v18
	v_add_u32_e32 v17, 64, v17
	v_add_u32_e32 v16, 0x100, v16
	s_or_b64 s[14:15], s[0:1], s[14:15]
	v_lshl_add_u64 v[10:11], v[10:11], 0, 8
	s_andn2_b64 exec, exec, s[14:15]
	s_cbranch_execz .LBB215_11
.LBB215_9:                              ; =>This Inner Loop Header: Depth=1
	global_load_dword v12, v[10:11], off
	scratch_load_dwordx2 v[14:15], off, off ; 8-byte Folded Reload
	scratch_load_dwordx4 v[24:27], off, off offset:8 ; 16-byte Folded Reload
	s_waitcnt vmcnt(1) lgkmcnt(0)
	v_mad_i64_i32 v[12:13], s[0:1], v12, s52, v[14:15]
	v_lshl_add_u64 v[14:15], v[12:13], 0, v[126:127]
	global_load_ushort v19, v[14:15], off offset:4
	s_waitcnt vmcnt(0)
	v_cvt_pk_f32_fp8_e32 v[20:21], v19
	v_pk_mul_f32 v[20:21], s[8:9], v[20:21]
	s_nop 0
	v_mul_f32_e32 v19, v26, v20
	v_mul_f32_e32 v20, v27, v21
	global_load_ushort v21, v[14:15], off
	s_waitcnt vmcnt(0)
	v_cvt_pk_f32_fp8_e32 v[22:23], v21
	global_load_ushort v21, v[14:15], off offset:8
	v_pk_mul_f32 v[22:23], v[22:23], s[8:9]
	s_nop 0
	v_fmac_f32_e32 v19, v24, v22
	v_fmac_f32_e32 v20, v25, v23
	scratch_load_dwordx4 v[24:27], off, off offset:24 ; 16-byte Folded Reload
	s_waitcnt vmcnt(1)
	v_cvt_pk_f32_fp8_e32 v[22:23], v21
	global_load_ushort v21, v[14:15], off offset:12
	v_pk_mul_f32 v[22:23], s[8:9], v[22:23]
	s_waitcnt vmcnt(1)
	v_fmac_f32_e32 v19, v24, v22
	v_fmac_f32_e32 v20, v25, v23
	s_waitcnt vmcnt(0)
	v_cvt_pk_f32_fp8_e32 v[22:23], v21
	global_load_ushort v21, v[14:15], off offset:512
	v_pk_mul_f32 v[22:23], s[8:9], v[22:23]
	s_nop 0
	v_fmac_f32_e32 v19, v26, v22
	v_fmac_f32_e32 v20, v27, v23
	scratch_load_dwordx4 v[24:27], off, off offset:40 ; 16-byte Folded Reload
	s_waitcnt vmcnt(1)
	v_cvt_pk_f32_fp8_e32 v[22:23], v21
	global_load_ushort v21, v[14:15], off offset:516
	v_pk_mul_f32 v[22:23], s[8:9], v[22:23]
	s_waitcnt vmcnt(1)
	v_fmac_f32_e32 v19, v24, v22
	v_fmac_f32_e32 v20, v25, v23
	;; [unrolled: 15-line block ×6, first 2 shown]
	s_waitcnt vmcnt(0)
	v_cvt_pk_f32_fp8_e32 v[22:23], v21
	global_load_ushort v21, v[14:15], off offset:1544
	v_pk_mul_f32 v[22:23], s[8:9], v[22:23]
	s_nop 0
	v_fmac_f32_e32 v19, v26, v22
	v_fmac_f32_e32 v20, v27, v23
	s_waitcnt vmcnt(0)
	v_cvt_pk_f32_fp8_e32 v[22:23], v21
	global_load_ushort v21, v[14:15], off offset:1548
	v_pk_mul_f32 v[22:23], s[8:9], v[22:23]
	s_nop 0
	v_fmac_f32_e32 v19, v30, v22
	v_fmac_f32_e32 v20, v31, v23
	s_waitcnt vmcnt(0)
	v_cvt_pk_f32_fp8_e32 v[22:23], v21
	global_load_ushort v21, v[14:15], off offset:2048
	v_pk_mul_f32 v[22:23], s[8:9], v[22:23]
	s_nop 0
	v_fmac_f32_e32 v19, v32, v22
	v_fmac_f32_e32 v20, v33, v23
	s_waitcnt vmcnt(0)
	v_cvt_pk_f32_fp8_e32 v[22:23], v21
	global_load_ushort v21, v[14:15], off offset:2052
	v_pk_mul_f32 v[22:23], s[8:9], v[22:23]
	s_nop 0
	v_fmac_f32_e32 v19, v34, v22
	v_fmac_f32_e32 v20, v35, v23
	s_waitcnt vmcnt(0)
	v_cvt_pk_f32_fp8_e32 v[22:23], v21
	global_load_ushort v21, v[14:15], off offset:2056
	v_pk_mul_f32 v[22:23], s[8:9], v[22:23]
	s_nop 0
	v_fmac_f32_e32 v19, v36, v22
	v_fmac_f32_e32 v20, v37, v23
	s_waitcnt vmcnt(0)
	v_cvt_pk_f32_fp8_e32 v[22:23], v21
	global_load_ushort v21, v[14:15], off offset:2060
	v_pk_mul_f32 v[22:23], s[8:9], v[22:23]
	s_nop 0
	v_fmac_f32_e32 v19, v38, v22
	v_fmac_f32_e32 v20, v39, v23
	s_waitcnt vmcnt(0)
	v_cvt_pk_f32_fp8_e32 v[22:23], v21
	global_load_ushort v21, v[14:15], off offset:2560
	v_pk_mul_f32 v[22:23], s[8:9], v[22:23]
	s_nop 0
	v_fmac_f32_e32 v19, v40, v22
	v_fmac_f32_e32 v20, v41, v23
	s_waitcnt vmcnt(0)
	v_cvt_pk_f32_fp8_e32 v[22:23], v21
	global_load_ushort v21, v[14:15], off offset:2564
	v_pk_mul_f32 v[22:23], s[8:9], v[22:23]
	s_nop 0
	v_fmac_f32_e32 v19, v42, v22
	v_fmac_f32_e32 v20, v43, v23
	s_waitcnt vmcnt(0)
	v_cvt_pk_f32_fp8_e32 v[22:23], v21
	global_load_ushort v21, v[14:15], off offset:2568
	v_pk_mul_f32 v[22:23], s[8:9], v[22:23]
	s_nop 0
	v_fmac_f32_e32 v19, v44, v22
	v_fmac_f32_e32 v20, v45, v23
	s_waitcnt vmcnt(0)
	v_cvt_pk_f32_fp8_e32 v[22:23], v21
	global_load_ushort v21, v[14:15], off offset:2572
	v_pk_mul_f32 v[22:23], s[8:9], v[22:23]
	s_nop 0
	v_fmac_f32_e32 v19, v46, v22
	v_fmac_f32_e32 v20, v47, v23
	s_waitcnt vmcnt(0)
	v_cvt_pk_f32_fp8_e32 v[22:23], v21
	global_load_ushort v21, v[14:15], off offset:3072
	v_pk_mul_f32 v[22:23], s[8:9], v[22:23]
	s_nop 0
	v_fmac_f32_e32 v19, v48, v22
	v_fmac_f32_e32 v20, v49, v23
	s_waitcnt vmcnt(0)
	v_cvt_pk_f32_fp8_e32 v[22:23], v21
	global_load_ushort v21, v[14:15], off offset:3076
	v_pk_mul_f32 v[22:23], s[8:9], v[22:23]
	s_nop 0
	v_fmac_f32_e32 v19, v50, v22
	v_fmac_f32_e32 v20, v51, v23
	s_waitcnt vmcnt(0)
	v_cvt_pk_f32_fp8_e32 v[22:23], v21
	global_load_ushort v21, v[14:15], off offset:3080
	v_pk_mul_f32 v[22:23], s[8:9], v[22:23]
	s_nop 0
	v_fmac_f32_e32 v19, v52, v22
	v_fmac_f32_e32 v20, v53, v23
	s_waitcnt vmcnt(0)
	v_cvt_pk_f32_fp8_e32 v[22:23], v21
	global_load_ushort v21, v[14:15], off offset:3084
	v_pk_mul_f32 v[22:23], s[8:9], v[22:23]
	s_nop 0
	v_fmac_f32_e32 v19, v54, v22
	v_fmac_f32_e32 v20, v55, v23
	s_waitcnt vmcnt(0)
	v_cvt_pk_f32_fp8_e32 v[22:23], v21
	global_load_ushort v21, v[14:15], off offset:3584
	v_pk_mul_f32 v[22:23], s[8:9], v[22:23]
	s_nop 0
	v_fmac_f32_e32 v19, v56, v22
	v_fmac_f32_e32 v20, v57, v23
	s_waitcnt vmcnt(0)
	v_cvt_pk_f32_fp8_e32 v[22:23], v21
	global_load_ushort v21, v[14:15], off offset:3588
	v_pk_mul_f32 v[22:23], s[8:9], v[22:23]
	s_nop 0
	v_fmac_f32_e32 v19, v58, v22
	v_fmac_f32_e32 v20, v59, v23
	s_waitcnt vmcnt(0)
	v_cvt_pk_f32_fp8_e32 v[22:23], v21
	global_load_ushort v21, v[14:15], off offset:3592
	v_pk_mul_f32 v[22:23], s[8:9], v[22:23]
	global_load_ushort v14, v[14:15], off offset:3596
	v_fmac_f32_e32 v19, v60, v22
	v_fmac_f32_e32 v20, v61, v23
	s_waitcnt vmcnt(1)
	v_cvt_pk_f32_fp8_e32 v[22:23], v21
	s_waitcnt vmcnt(0)
	v_cvt_pk_f32_fp8_e32 v[14:15], v14
	v_pk_mul_f32 v[22:23], s[8:9], v[22:23]
	v_pk_mul_f32 v[14:15], s[8:9], v[14:15]
	v_fmac_f32_e32 v19, v62, v22
	v_fmac_f32_e32 v20, v63, v23
	;; [unrolled: 1-line block ×4, first 2 shown]
	v_lshl_add_u64 v[14:15], v[12:13], 0, s[34:35]
	v_lshl_add_u64 v[22:23], v[14:15], 0, v[126:127]
	global_load_ushort v21, v[22:23], off
	s_waitcnt vmcnt(0)
	v_cvt_pk_f32_fp8_e32 v[22:23], v21
	v_pk_mul_f32 v[22:23], s[8:9], v[22:23]
	s_nop 0
	v_fmac_f32_e32 v19, v66, v22
	v_fmac_f32_e32 v20, v67, v23
	v_lshl_add_u64 v[22:23], v[14:15], 0, v[0:1]
	global_load_ushort v21, v[22:23], off
	s_waitcnt vmcnt(0)
	v_cvt_pk_f32_fp8_e32 v[22:23], v21
	v_pk_mul_f32 v[22:23], s[8:9], v[22:23]
	s_nop 0
	v_fmac_f32_e32 v19, v68, v22
	v_fmac_f32_e32 v20, v69, v23
	v_lshl_add_u64 v[22:23], v[14:15], 0, v[6:7]
	global_load_ushort v21, v[22:23], off
	v_lshl_add_u64 v[14:15], v[14:15], 0, v[8:9]
	global_load_ushort v14, v[14:15], off
	s_waitcnt vmcnt(1)
	v_cvt_pk_f32_fp8_e32 v[22:23], v21
	s_waitcnt vmcnt(0)
	v_cvt_pk_f32_fp8_e32 v[14:15], v14
	v_pk_mul_f32 v[22:23], s[8:9], v[22:23]
	s_nop 0
	v_fmac_f32_e32 v19, v70, v22
	v_fmac_f32_e32 v20, v71, v23
	v_pk_mul_f32 v[14:15], s[8:9], v[14:15]
	s_nop 0
	v_fmac_f32_e32 v19, v72, v14
	v_fmac_f32_e32 v20, v73, v15
	v_lshl_add_u64 v[14:15], v[12:13], 0, s[36:37]
	v_lshl_add_u64 v[22:23], v[14:15], 0, v[126:127]
	global_load_ushort v21, v[22:23], off
	s_waitcnt vmcnt(0)
	v_cvt_pk_f32_fp8_e32 v[22:23], v21
	v_pk_mul_f32 v[22:23], s[8:9], v[22:23]
	s_nop 0
	v_fmac_f32_e32 v19, v74, v22
	v_fmac_f32_e32 v20, v75, v23
	v_lshl_add_u64 v[22:23], v[14:15], 0, v[0:1]
	global_load_ushort v21, v[22:23], off
	s_waitcnt vmcnt(0)
	v_cvt_pk_f32_fp8_e32 v[22:23], v21
	v_pk_mul_f32 v[22:23], s[8:9], v[22:23]
	s_nop 0
	v_fmac_f32_e32 v19, v76, v22
	v_fmac_f32_e32 v20, v77, v23
	v_lshl_add_u64 v[22:23], v[14:15], 0, v[6:7]
	global_load_ushort v21, v[22:23], off
	v_lshl_add_u64 v[14:15], v[14:15], 0, v[8:9]
	global_load_ushort v14, v[14:15], off
	s_waitcnt vmcnt(1)
	v_cvt_pk_f32_fp8_e32 v[22:23], v21
	s_waitcnt vmcnt(0)
	v_cvt_pk_f32_fp8_e32 v[14:15], v14
	v_pk_mul_f32 v[22:23], s[8:9], v[22:23]
	s_nop 0
	v_fmac_f32_e32 v19, v78, v22
	v_fmac_f32_e32 v20, v79, v23
	v_pk_mul_f32 v[14:15], s[8:9], v[14:15]
	s_nop 0
	v_fmac_f32_e32 v19, v80, v14
	v_fmac_f32_e32 v20, v81, v15
	v_lshl_add_u64 v[14:15], v[12:13], 0, s[38:39]
	v_lshl_add_u64 v[22:23], v[14:15], 0, v[126:127]
	global_load_ushort v21, v[22:23], off
	s_waitcnt vmcnt(0)
	v_cvt_pk_f32_fp8_e32 v[22:23], v21
	v_pk_mul_f32 v[22:23], s[8:9], v[22:23]
	s_nop 0
	v_fmac_f32_e32 v19, v82, v22
	v_fmac_f32_e32 v20, v83, v23
	v_lshl_add_u64 v[22:23], v[14:15], 0, v[0:1]
	global_load_ushort v21, v[22:23], off
	s_waitcnt vmcnt(0)
	v_cvt_pk_f32_fp8_e32 v[22:23], v21
	v_pk_mul_f32 v[22:23], s[8:9], v[22:23]
	s_nop 0
	v_fmac_f32_e32 v19, v84, v22
	v_fmac_f32_e32 v20, v85, v23
	v_lshl_add_u64 v[22:23], v[14:15], 0, v[6:7]
	global_load_ushort v21, v[22:23], off
	v_lshl_add_u64 v[14:15], v[14:15], 0, v[8:9]
	global_load_ushort v14, v[14:15], off
	s_waitcnt vmcnt(1)
	v_cvt_pk_f32_fp8_e32 v[22:23], v21
	s_waitcnt vmcnt(0)
	v_cvt_pk_f32_fp8_e32 v[14:15], v14
	v_pk_mul_f32 v[22:23], s[8:9], v[22:23]
	s_nop 0
	v_fmac_f32_e32 v19, v86, v22
	v_fmac_f32_e32 v20, v87, v23
	v_pk_mul_f32 v[14:15], s[8:9], v[14:15]
	s_nop 0
	v_fmac_f32_e32 v19, v88, v14
	v_fmac_f32_e32 v20, v89, v15
	v_lshl_add_u64 v[14:15], v[12:13], 0, s[40:41]
	v_lshl_add_u64 v[22:23], v[14:15], 0, v[126:127]
	global_load_ushort v21, v[22:23], off
	s_waitcnt vmcnt(0)
	v_cvt_pk_f32_fp8_e32 v[22:23], v21
	v_pk_mul_f32 v[22:23], s[8:9], v[22:23]
	s_nop 0
	v_fmac_f32_e32 v19, v90, v22
	v_fmac_f32_e32 v20, v91, v23
	v_lshl_add_u64 v[22:23], v[14:15], 0, v[0:1]
	global_load_ushort v21, v[22:23], off
	s_waitcnt vmcnt(0)
	v_cvt_pk_f32_fp8_e32 v[22:23], v21
	v_pk_mul_f32 v[22:23], s[8:9], v[22:23]
	s_nop 0
	v_fmac_f32_e32 v19, v92, v22
	v_fmac_f32_e32 v20, v93, v23
	v_lshl_add_u64 v[22:23], v[14:15], 0, v[6:7]
	global_load_ushort v21, v[22:23], off
	v_lshl_add_u64 v[14:15], v[14:15], 0, v[8:9]
	global_load_ushort v14, v[14:15], off
	s_waitcnt vmcnt(1)
	v_cvt_pk_f32_fp8_e32 v[22:23], v21
	s_waitcnt vmcnt(0)
	v_cvt_pk_f32_fp8_e32 v[14:15], v14
	v_pk_mul_f32 v[22:23], s[8:9], v[22:23]
	s_nop 0
	v_fmac_f32_e32 v19, v94, v22
	v_fmac_f32_e32 v20, v95, v23
	v_pk_mul_f32 v[14:15], s[8:9], v[14:15]
	s_nop 0
	v_fmac_f32_e32 v19, v96, v14
	v_fmac_f32_e32 v20, v97, v15
	v_lshl_add_u64 v[14:15], v[12:13], 0, s[42:43]
	v_lshl_add_u64 v[22:23], v[14:15], 0, v[126:127]
	global_load_ushort v21, v[22:23], off
	s_waitcnt vmcnt(0)
	v_cvt_pk_f32_fp8_e32 v[22:23], v21
	v_pk_mul_f32 v[22:23], s[8:9], v[22:23]
	s_nop 0
	v_fmac_f32_e32 v19, v98, v22
	v_fmac_f32_e32 v20, v99, v23
	v_lshl_add_u64 v[22:23], v[14:15], 0, v[0:1]
	global_load_ushort v21, v[22:23], off
	s_waitcnt vmcnt(0)
	v_cvt_pk_f32_fp8_e32 v[22:23], v21
	v_pk_mul_f32 v[22:23], s[8:9], v[22:23]
	s_nop 0
	v_fmac_f32_e32 v19, v100, v22
	v_fmac_f32_e32 v20, v101, v23
	v_lshl_add_u64 v[22:23], v[14:15], 0, v[6:7]
	global_load_ushort v21, v[22:23], off
	v_lshl_add_u64 v[14:15], v[14:15], 0, v[8:9]
	global_load_ushort v14, v[14:15], off
	s_waitcnt vmcnt(1)
	v_cvt_pk_f32_fp8_e32 v[22:23], v21
	s_waitcnt vmcnt(0)
	v_cvt_pk_f32_fp8_e32 v[14:15], v14
	v_pk_mul_f32 v[22:23], s[8:9], v[22:23]
	s_nop 0
	v_fmac_f32_e32 v19, v102, v22
	v_fmac_f32_e32 v20, v103, v23
	v_pk_mul_f32 v[14:15], s[8:9], v[14:15]
	s_nop 0
	v_fmac_f32_e32 v19, v104, v14
	v_fmac_f32_e32 v20, v105, v15
	v_lshl_add_u64 v[14:15], v[12:13], 0, s[44:45]
	v_lshl_add_u64 v[22:23], v[14:15], 0, v[126:127]
	global_load_ushort v21, v[22:23], off
	s_waitcnt vmcnt(0)
	v_cvt_pk_f32_fp8_e32 v[22:23], v21
	v_pk_mul_f32 v[22:23], s[8:9], v[22:23]
	s_nop 0
	v_fmac_f32_e32 v19, v106, v22
	v_fmac_f32_e32 v20, v107, v23
	v_lshl_add_u64 v[22:23], v[14:15], 0, v[0:1]
	global_load_ushort v21, v[22:23], off
	s_waitcnt vmcnt(0)
	v_cvt_pk_f32_fp8_e32 v[22:23], v21
	v_pk_mul_f32 v[22:23], s[8:9], v[22:23]
	s_nop 0
	v_fmac_f32_e32 v19, v108, v22
	v_fmac_f32_e32 v20, v109, v23
	v_lshl_add_u64 v[22:23], v[14:15], 0, v[6:7]
	global_load_ushort v21, v[22:23], off
	v_lshl_add_u64 v[14:15], v[14:15], 0, v[8:9]
	global_load_ushort v14, v[14:15], off
	s_waitcnt vmcnt(1)
	v_cvt_pk_f32_fp8_e32 v[22:23], v21
	s_waitcnt vmcnt(0)
	v_cvt_pk_f32_fp8_e32 v[14:15], v14
	v_pk_mul_f32 v[22:23], s[8:9], v[22:23]
	s_nop 0
	v_fmac_f32_e32 v19, v110, v22
	v_fmac_f32_e32 v20, v111, v23
	v_pk_mul_f32 v[14:15], s[8:9], v[14:15]
	s_nop 0
	v_fmac_f32_e32 v19, v112, v14
	v_fmac_f32_e32 v20, v113, v15
	v_lshl_add_u64 v[14:15], v[12:13], 0, s[46:47]
	v_lshl_add_u64 v[22:23], v[14:15], 0, v[126:127]
	global_load_ushort v21, v[22:23], off
	v_lshl_add_u64 v[12:13], v[12:13], 0, s[48:49]
	s_waitcnt vmcnt(0)
	v_cvt_pk_f32_fp8_e32 v[22:23], v21
	v_pk_mul_f32 v[22:23], s[8:9], v[22:23]
	s_nop 0
	v_fmac_f32_e32 v19, v114, v22
	v_fmac_f32_e32 v20, v115, v23
	v_lshl_add_u64 v[22:23], v[14:15], 0, v[0:1]
	global_load_ushort v21, v[22:23], off
	s_waitcnt vmcnt(0)
	v_cvt_pk_f32_fp8_e32 v[22:23], v21
	v_pk_mul_f32 v[22:23], s[8:9], v[22:23]
	s_nop 0
	v_fmac_f32_e32 v19, v116, v22
	v_fmac_f32_e32 v20, v117, v23
	v_lshl_add_u64 v[22:23], v[14:15], 0, v[6:7]
	global_load_ushort v21, v[22:23], off
	v_lshl_add_u64 v[14:15], v[14:15], 0, v[8:9]
	global_load_ushort v14, v[14:15], off
	s_waitcnt vmcnt(1)
	v_cvt_pk_f32_fp8_e32 v[22:23], v21
	s_waitcnt vmcnt(0)
	v_cvt_pk_f32_fp8_e32 v[14:15], v14
	v_pk_mul_f32 v[22:23], s[8:9], v[22:23]
	s_nop 0
	v_fmac_f32_e32 v19, v118, v22
	v_fmac_f32_e32 v20, v119, v23
	v_pk_mul_f32 v[14:15], s[8:9], v[14:15]
	s_nop 0
	v_fmac_f32_e32 v19, v120, v14
	v_fmac_f32_e32 v20, v121, v15
	v_lshl_add_u64 v[14:15], v[12:13], 0, v[126:127]
	global_load_ushort v14, v[14:15], off
	s_waitcnt vmcnt(0)
	v_cvt_pk_f32_fp8_e32 v[14:15], v14
	v_pk_mul_f32 v[14:15], s[8:9], v[14:15]
	s_nop 0
	v_fmac_f32_e32 v19, v122, v14
	v_fmac_f32_e32 v20, v123, v15
	v_lshl_add_u64 v[14:15], v[12:13], 0, v[0:1]
	global_load_ushort v14, v[14:15], off
	s_waitcnt vmcnt(0)
	v_cvt_pk_f32_fp8_e32 v[14:15], v14
	v_pk_mul_f32 v[14:15], s[8:9], v[14:15]
	s_nop 0
	v_fmac_f32_e32 v19, v124, v14
	v_fmac_f32_e32 v20, v125, v15
	v_lshl_add_u64 v[14:15], v[12:13], 0, v[6:7]
	global_load_ushort v14, v[14:15], off
	v_lshl_add_u64 v[12:13], v[12:13], 0, v[8:9]
	global_load_ushort v12, v[12:13], off
	s_waitcnt vmcnt(1)
	v_cvt_pk_f32_fp8_e32 v[14:15], v14
	s_waitcnt vmcnt(0)
	v_cvt_pk_f32_fp8_e32 v[12:13], v12
	v_pk_mul_f32 v[14:15], s[8:9], v[14:15]
	s_nop 0
	v_fmac_f32_e32 v20, v3, v15
	v_pk_mul_f32 v[12:13], s[8:9], v[12:13]
	v_fmac_f32_e32 v19, v2, v14
	v_fmac_f32_e32 v20, v5, v13
	scratch_load_dword v13, off, off offset:120 ; 4-byte Folded Reload
	v_fmac_f32_e32 v19, v4, v12
	v_add_f32_e32 v12, v19, v20
	s_waitcnt vmcnt(0)
	ds_bpermute_b32 v13, v13, v12
	s_and_saveexec_b64 s[50:51], vcc
	s_cbranch_execz .LBB215_8
; %bb.10:                               ;   in Loop: Header=BB215_9 Depth=1
	v_add_u32_e32 v14, s53, v17
	v_cvt_f32_i32_e32 v14, v14
	s_waitcnt lgkmcnt(0)
	v_add_f32_e32 v12, v12, v13
	v_cmp_gt_i32_e64 s[0:1], s17, v17
	v_max_f32_e32 v13, v28, v28
	v_mul_f32_e32 v14, s28, v14
	v_cndmask_b32_e64 v14, 0, v14, s[2:3]
	v_fmac_f32_e32 v14, s29, v12
	v_cndmask_b32_e64 v12, 0, v14, s[0:1]
	ds_write_b32 v16, v12
	v_max_f32_e32 v12, v13, v14
	v_cndmask_b32_e64 v28, v28, v12, s[0:1]
	s_branch .LBB215_8
.LBB215_11:
	s_or_b64 exec, exec, s[14:15]
	scratch_load_dword v50, off, off offset:264 ; 4-byte Folded Reload
	scratch_load_dword v38, off, off offset:136 ; 4-byte Folded Reload
	;; [unrolled: 1-line block ×5, first 2 shown]
	v_mov_b32_e32 v88, v29
.LBB215_12:
	s_or_b64 exec, exec, s[30:31]
	s_waitcnt vmcnt(2)
	v_xor_b32_e32 v0, 32, v10
	s_waitcnt vmcnt(0)
	v_cmp_lt_i32_e32 vcc, v0, v8
	v_xor_b32_e32 v3, 16, v10
	v_max_f32_e32 v2, v28, v28
	v_cndmask_b32_e32 v0, v10, v0, vcc
	v_lshlrev_b32_e32 v0, 2, v0
	ds_bpermute_b32 v1, v0, v28
	v_cmp_lt_i32_e32 vcc, v3, v8
	v_xor_b32_e32 v4, 8, v10
	v_xor_b32_e32 v5, 4, v10
	v_and_b32_e32 v51, 63, v50
	s_waitcnt lgkmcnt(0)
	v_max_f32_e32 v1, v1, v1
	v_max_f32_e32 v2, v2, v1
	v_cndmask_b32_e32 v1, v10, v3, vcc
	v_lshlrev_b32_e32 v1, 2, v1
	ds_bpermute_b32 v3, v1, v2
	v_cmp_lt_i32_e32 vcc, v4, v8
	s_waitcnt lgkmcnt(0)
	v_max_f32_e32 v3, v3, v3
	v_max_f32_e32 v3, v2, v3
	v_cndmask_b32_e32 v2, v10, v4, vcc
	v_lshlrev_b32_e32 v2, 2, v2
	ds_bpermute_b32 v4, v2, v3
	v_cmp_lt_i32_e32 vcc, v5, v8
	s_waitcnt lgkmcnt(0)
	v_max_f32_e32 v4, v4, v4
	v_max_f32_e32 v3, v3, v4
	v_cndmask_b32_e32 v4, v10, v5, vcc
	v_lshlrev_b32_e32 v52, 2, v4
	ds_bpermute_b32 v4, v52, v3
	v_xor_b32_e32 v5, 2, v10
	v_cmp_lt_i32_e32 vcc, v5, v8
	s_waitcnt lgkmcnt(0)
	v_max_f32_e32 v4, v4, v4
	v_max_f32_e32 v4, v3, v4
	v_cndmask_b32_e32 v3, v10, v5, vcc
	v_lshlrev_b32_e32 v53, 2, v3
	ds_bpermute_b32 v5, v53, v4
	v_cmp_eq_u32_e32 vcc, 0, v51
	v_lshlrev_b32_e32 v3, 2, v88
	s_and_saveexec_b64 s[0:1], vcc
	s_cbranch_execz .LBB215_14
; %bb.13:
	s_waitcnt lgkmcnt(0)
	v_max_f32_e32 v5, v5, v5
	v_max_f32_e32 v4, v4, v4
	;; [unrolled: 1-line block ×3, first 2 shown]
	ds_write_b32 v3, v4 offset:1024
.LBB215_14:
	s_or_b64 exec, exec, s[0:1]
	v_cmp_gt_u32_e64 s[0:1], 2, v51
	s_waitcnt lgkmcnt(0)
	v_mov_b32_e32 v5, 0xff7fffff
	v_lshlrev_b32_e32 v4, 2, v51
	s_barrier
	s_and_saveexec_b64 s[2:3], s[0:1]
; %bb.15:
	ds_read_b32 v5, v4 offset:1024
; %bb.16:
	s_or_b64 exec, exec, s[2:3]
	v_xor_b32_e32 v6, 1, v10
	v_cmp_lt_i32_e64 s[2:3], v6, v8
	s_nop 1
	v_cndmask_b32_e64 v6, v10, v6, s[2:3]
	v_lshlrev_b32_e32 v54, 2, v6
	s_waitcnt lgkmcnt(0)
	ds_bpermute_b32 v6, v54, v5
	v_max_f32_e32 v5, v5, v5
	s_lshl_b32 s2, s19, 5
	s_min_i32 s30, s2, s17
	v_cmp_gt_i32_e64 s[2:3], s30, v50
	s_waitcnt lgkmcnt(0)
	v_max_f32_e32 v6, v6, v6
	v_max_f32_e32 v5, v5, v6
	v_lshlrev_b32_e32 v6, 2, v7
	ds_bpermute_b32 v6, v6, v5
	v_mov_b32_e32 v5, 0
	s_and_saveexec_b64 s[14:15], s[2:3]
	s_cbranch_execz .LBB215_20
; %bb.17:
	v_mov_b32_e32 v5, 0x410
	v_lshl_add_u32 v7, v50, 2, v5
	v_mov_b32_e32 v5, 0
	s_mov_b64 s[28:29], 0
	v_mov_b32_e32 v8, v50
.LBB215_18:                             ; =>This Inner Loop Header: Depth=1
	ds_read_b32 v9, v7
	v_add_u32_e32 v8, 0x80, v8
	v_cmp_le_i32_e64 s[8:9], s30, v8
	s_or_b64 s[28:29], s[8:9], s[28:29]
	s_waitcnt lgkmcnt(0)
	v_sub_f32_e32 v9, v9, v6
	v_mul_f32_e32 v9, 0x3fb8aa3b, v9
	v_exp_f32_e32 v9, v9
	ds_write_b32 v7, v9
	v_add_f32_e32 v5, v5, v9
	v_add_u32_e32 v7, 0x200, v7
	s_andn2_b64 exec, exec, s[28:29]
	s_cbranch_execnz .LBB215_18
; %bb.19:
	s_or_b64 exec, exec, s[28:29]
.LBB215_20:
	s_or_b64 exec, exec, s[14:15]
	ds_bpermute_b32 v0, v0, v5
	s_waitcnt lgkmcnt(0)
	v_add_f32_e32 v0, v5, v0
	ds_bpermute_b32 v1, v1, v0
	s_waitcnt lgkmcnt(0)
	v_add_f32_e32 v0, v0, v1
	;; [unrolled: 3-line block ×6, first 2 shown]
	s_and_saveexec_b64 s[8:9], vcc
; %bb.21:
	ds_write_b32 v3, v0 offset:1032
; %bb.22:
	s_or_b64 exec, exec, s[8:9]
	s_waitcnt lgkmcnt(0)
	s_barrier
	s_and_saveexec_b64 s[8:9], s[0:1]
; %bb.23:
	ds_read_b32 v0, v4 offset:1032
; %bb.24:
	s_or_b64 exec, exec, s[8:9]
	s_waitcnt lgkmcnt(0)
	ds_bpermute_b32 v1, v54, v0
	v_lshlrev_b32_e32 v2, 2, v10
	s_waitcnt lgkmcnt(0)
	v_add_f32_e32 v0, v0, v1
	v_and_b32_e32 v1, 0xffffff00, v2
	ds_bpermute_b32 v0, v1, v0
	s_and_saveexec_b64 s[0:1], s[2:3]
	s_cbranch_execz .LBB215_37
; %bb.25:
	s_waitcnt lgkmcnt(0)
	v_add_f32_e32 v0, 0x358637bd, v0
	v_div_scale_f32 v1, s[2:3], v0, v0, 1.0
	v_rcp_f32_e32 v2, v1
	v_div_scale_f32 v3, vcc, 1.0, v0, 1.0
	s_movk_i32 s2, 0x7f
	v_fma_f32 v4, -v1, v2, 1.0
	v_fmac_f32_e32 v2, v4, v2
	v_mul_f32_e32 v4, v3, v2
	v_fma_f32 v5, -v1, v4, v3
	v_fmac_f32_e32 v4, v5, v2
	v_fma_f32 v1, -v1, v4, v3
	v_div_fmas_f32 v1, v1, v2, v4
	v_xad_u32 v2, v50, -1, s30
	v_div_fixup_f32 v0, v1, v0, 1.0
	v_cmp_lt_u32_e32 vcc, s2, v2
	s_mov_b64 s[8:9], -1
	v_mov_b32_e32 v1, v50
	s_and_saveexec_b64 s[2:3], vcc
	s_cbranch_execz .LBB215_34
; %bb.26:
	v_lshrrev_b32_e32 v2, 7, v2
	v_add_u32_e32 v4, -1, v2
	v_lshrrev_b32_e32 v3, 1, v4
	v_mov_b32_e32 v1, v0
	v_add_u32_e32 v3, 1, v3
	v_cmp_lt_u32_e32 vcc, 13, v4
	v_mov_b32_e32 v6, 0
	s_and_saveexec_b64 s[8:9], vcc
	s_cbranch_execz .LBB215_30
; %bb.27:
	v_mov_b32_e32 v5, 0x410
	v_and_b32_e32 v4, -8, v3
	v_lshl_add_u32 v5, v50, 2, v5
	s_mov_b32 s28, 0
	s_mov_b64 s[14:15], 0
.LBB215_28:                             ; =>This Inner Loop Header: Depth=1
	ds_read2st64_b32 v[6:7], v5 offset1:2
	ds_read2st64_b32 v[8:9], v5 offset0:4 offset1:6
	ds_read2st64_b32 v[10:11], v5 offset0:8 offset1:10
	;; [unrolled: 1-line block ×3, first 2 shown]
	v_add_u32_e32 v4, -8, v4
	s_waitcnt lgkmcnt(3)
	v_pk_mul_f32 v[6:7], v[0:1], v[6:7]
	s_waitcnt lgkmcnt(2)
	v_pk_mul_f32 v[8:9], v[0:1], v[8:9]
	ds_write2st64_b32 v5, v6, v7 offset1:2
	ds_write2st64_b32 v5, v8, v9 offset0:4 offset1:6
	ds_read2st64_b32 v[8:9], v5 offset0:16 offset1:18
	s_waitcnt lgkmcnt(4)
	v_pk_mul_f32 v[6:7], v[0:1], v[10:11]
	ds_write2st64_b32 v5, v6, v7 offset0:8 offset1:10
	s_waitcnt lgkmcnt(4)
	v_pk_mul_f32 v[6:7], v[0:1], v[12:13]
	ds_write2st64_b32 v5, v6, v7 offset0:12 offset1:14
	ds_read2st64_b32 v[6:7], v5 offset0:20 offset1:22
	s_waitcnt lgkmcnt(3)
	v_pk_mul_f32 v[8:9], v[0:1], v[8:9]
	ds_read2st64_b32 v[10:11], v5 offset0:24 offset1:26
	ds_write2st64_b32 v5, v8, v9 offset0:16 offset1:18
	ds_read2st64_b32 v[8:9], v5 offset0:28 offset1:30
	s_waitcnt lgkmcnt(3)
	v_pk_mul_f32 v[6:7], v[0:1], v[6:7]
	ds_write2st64_b32 v5, v6, v7 offset0:20 offset1:22
	s_waitcnt lgkmcnt(3)
	v_pk_mul_f32 v[6:7], v[0:1], v[10:11]
	ds_write2st64_b32 v5, v6, v7 offset0:24 offset1:26
	s_waitcnt lgkmcnt(2)
	v_pk_mul_f32 v[6:7], v[0:1], v[8:9]
	s_add_i32 s28, s28, 16
	v_cmp_eq_u32_e32 vcc, 0, v4
	ds_write2st64_b32 v5, v6, v7 offset0:28 offset1:30
	v_add_u32_e32 v5, 0x2000, v5
	s_or_b64 s[14:15], vcc, s[14:15]
	v_mov_b32_e32 v6, s28
	s_andn2_b64 exec, exec, s[14:15]
	s_cbranch_execnz .LBB215_28
; %bb.29:
	s_or_b64 exec, exec, s[14:15]
.LBB215_30:
	s_or_b64 exec, exec, s[8:9]
	v_and_b32_e32 v3, 7, v3
	v_cmp_ne_u32_e32 vcc, 0, v3
	s_and_saveexec_b64 s[8:9], vcc
	s_cbranch_execz .LBB215_33
; %bb.31:
	v_lshlrev_b32_e32 v4, 9, v6
	s_movk_i32 s14, 0x410
	v_add3_u32 v4, v4, v38, s14
	s_mov_b64 s[14:15], 0
.LBB215_32:                             ; =>This Inner Loop Header: Depth=1
	ds_read2st64_b32 v[6:7], v4 offset1:2
	v_add_u32_e32 v3, -1, v3
	v_cmp_eq_u32_e32 vcc, 0, v3
	s_or_b64 s[14:15], vcc, s[14:15]
	s_waitcnt lgkmcnt(0)
	v_pk_mul_f32 v[6:7], v[0:1], v[6:7]
	ds_write2st64_b32 v4, v6, v7 offset1:2
	v_add_u32_e32 v4, 0x400, v4
	s_andn2_b64 exec, exec, s[14:15]
	s_cbranch_execnz .LBB215_32
.LBB215_33:
	s_or_b64 exec, exec, s[8:9]
	v_add_u32_e32 v2, 1, v2
	v_and_b32_e32 v3, 0x3fffffe, v2
	v_cmp_ne_u32_e32 vcc, v2, v3
	v_lshl_add_u32 v1, v3, 7, v50
	s_orn2_b64 s[8:9], vcc, exec
.LBB215_34:
	s_or_b64 exec, exec, s[2:3]
	s_and_b64 exec, exec, s[8:9]
	s_cbranch_execz .LBB215_37
; %bb.35:
	v_mov_b32_e32 v2, 0x410
	v_lshl_add_u32 v2, v1, 2, v2
	s_mov_b64 s[2:3], 0
.LBB215_36:                             ; =>This Inner Loop Header: Depth=1
	ds_read_b32 v3, v2
	v_add_u32_e32 v1, 0x80, v1
	v_cmp_le_i32_e32 vcc, s30, v1
	s_or_b64 s[2:3], vcc, s[2:3]
	s_waitcnt lgkmcnt(0)
	v_mul_f32_e32 v3, v0, v3
	ds_write_b32 v2, v3
	v_add_u32_e32 v2, 0x200, v2
	s_andn2_b64 exec, exec, s[2:3]
	s_cbranch_execnz .LBB215_36
.LBB215_37:
	s_or_b64 exec, exec, s[0:1]
	v_mov_b32_e32 v7, 0
	s_waitcnt lgkmcnt(0)
	v_and_b32_e32 v0, 7, v50
	v_mov_b32_e32 v6, 0
	v_mov_b32_e32 v9, 0
	;; [unrolled: 1-line block ×31, first 2 shown]
	s_barrier
	scratch_store_dword off, v0, off offset:268 ; 4-byte Folded Spill
	s_and_saveexec_b64 s[2:3], s[6:7]
	s_cbranch_execz .LBB215_105
; %bb.38:
	scratch_store_dword off, v54, off offset:284 ; 4-byte Folded Spill
	scratch_store_dword off, v53, off offset:280 ; 4-byte Folded Spill
	;; [unrolled: 1-line block ×4, first 2 shown]
	v_and_b32_e32 v0, 28, v38
	v_lshl_or_b32 v86, v88, 5, v0
	scratch_load_dword v0, off, off offset:268 ; 4-byte Folded Reload
	s_load_dword s6, s[10:11], 0x0
	s_ashr_i32 s1, s33, 31
	s_add_u32 s0, s26, s33
	s_addc_u32 s1, s27, s1
	s_add_i32 s14, s19, -1
	s_lshl_b64 s[8:9], s[24:25], 2
	v_mov_b32_e32 v3, 0
	s_add_u32 s8, s22, s8
	v_or_b32_e32 v4, 0xf00, v38
	v_mov_b32_e32 v5, v3
	v_mov_b32_e32 v1, v3
	s_addc_u32 s9, s23, s9
	v_and_b32_e32 v2, 0xfc, v38
	s_waitcnt lgkmcnt(0)
	s_mov_b32 s7, s6
	scratch_store_dwordx2 off, v[4:5], off offset:248 ; 8-byte Folded Spill
	v_or_b32_e32 v4, 0x1f00, v38
	s_mov_b32 s15, s17
	v_mov_b64_e32 v[92:93], s[0:1]
	v_mov_b32_e32 v7, v3
	v_mov_b32_e32 v6, v3
	;; [unrolled: 1-line block ×32, first 2 shown]
	scratch_store_dwordx2 off, v[4:5], off offset:256 ; 8-byte Folded Spill
	scratch_store_dwordx2 off, v[2:3], off offset:240 ; 8-byte Folded Spill
	s_waitcnt vmcnt(3)
	v_lshlrev_b32_e32 v0, 4, v0
	v_lshl_or_b32 v0, v88, 7, v0
	v_add_u32_e32 v89, 0x410, v0
	scratch_load_dword v0, off, off offset:128 ; 4-byte Folded Reload
	s_waitcnt vmcnt(0)
	v_and_b32_e32 v0, 60, v0
	v_lshl_add_u64 v[90:91], s[8:9], 0, v[0:1]
	s_mov_b64 s[8:9], 0
	s_branch .LBB215_40
.LBB215_39:                             ;   in Loop: Header=BB215_40 Depth=1
	s_or_b64 exec, exec, s[10:11]
	s_waitcnt lgkmcnt(0)
	v_mul_f32_e32 v50, v2, v50
	v_fmac_f32_e32 v50, v3, v51
	v_fmac_f32_e32 v50, v4, v48
	v_mul_f32_e32 v48, v2, v74
	v_fmac_f32_e32 v48, v3, v75
	v_fmac_f32_e32 v48, v4, v38
	;; [unrolled: 3-line block ×3, first 2 shown]
	v_fmac_f32_e32 v38, v5, v41
	scratch_load_dwordx2 v[40:41], off, off offset:232 ; 8-byte Folded Reload
	v_fmac_f32_e32 v48, v5, v39
	v_mul_f32_e32 v39, v2, v46
	v_add_f32_e32 v16, v16, v38
	v_mul_f32_e32 v38, v2, v124
	v_fmac_f32_e32 v39, v3, v47
	v_fmac_f32_e32 v38, v3, v125
	;; [unrolled: 1-line block ×4, first 2 shown]
	v_add_f32_e32 v19, v19, v39
	v_mul_f32_e32 v44, v2, v44
	v_mul_f32_e32 v84, v2, v84
	v_fmac_f32_e32 v44, v3, v45
	v_mul_f32_e32 v45, v2, v76
	v_mul_f32_e32 v70, v2, v70
	;; [unrolled: 1-line block ×6, first 2 shown]
	v_pk_mul_f32 v[0:1], v[2:3], v[0:1]
	v_fmac_f32_e32 v84, v3, v85
	v_fmac_f32_e32 v45, v3, v77
	;; [unrolled: 1-line block ×7, first 2 shown]
	v_add_f32_e32 v0, v1, v0
	v_fmac_f32_e32 v84, v4, v82
	v_fmac_f32_e32 v44, v4, v78
	;; [unrolled: 1-line block ×8, first 2 shown]
	v_add_u32_e32 v88, 2, v88
	v_fmac_f32_e32 v84, v5, v83
	v_fmac_f32_e32 v44, v5, v79
	;; [unrolled: 1-line block ×9, first 2 shown]
	v_cmp_le_i32_e32 vcc, s19, v88
	v_add_f32_e32 v6, v6, v84
	v_add_f32_e32 v9, v9, v44
	;; [unrolled: 1-line block ×10, first 2 shown]
	v_add_u32_e32 v86, 64, v86
	v_add_u32_e32 v89, 0x100, v89
	s_or_b64 s[8:9], vcc, s[8:9]
	v_lshl_add_u64 v[90:91], v[90:91], 0, 8
	s_waitcnt vmcnt(0)
	v_fmac_f32_e32 v38, v4, v40
	v_fmac_f32_e32 v38, v5, v41
	v_add_f32_e32 v18, v18, v38
	scratch_load_dwordx2 v[38:39], off, off offset:224 ; 8-byte Folded Reload
	scratch_load_dwordx2 v[40:41], off, off offset:216 ; 8-byte Folded Reload
	s_waitcnt vmcnt(1)
	v_mul_f32_e32 v38, v2, v38
	v_fmac_f32_e32 v38, v3, v39
	s_waitcnt vmcnt(0)
	v_fmac_f32_e32 v38, v4, v40
	v_fmac_f32_e32 v38, v5, v41
	v_add_f32_e32 v21, v21, v38
	scratch_load_dwordx2 v[38:39], off, off offset:208 ; 8-byte Folded Reload
	scratch_load_dwordx2 v[40:41], off, off offset:200 ; 8-byte Folded Reload
	s_waitcnt vmcnt(1)
	v_mul_f32_e32 v38, v2, v38
	v_fmac_f32_e32 v38, v3, v39
	;; [unrolled: 9-line block ×10, first 2 shown]
	s_waitcnt vmcnt(0)
	v_fmac_f32_e32 v38, v4, v40
	v_fmac_f32_e32 v38, v5, v41
	v_add_f32_e32 v28, v28, v38
	scratch_load_dwordx2 v[38:39], off, off offset:8 ; 8-byte Folded Reload
	scratch_load_dwordx2 v[40:41], off, off ; 8-byte Folded Reload
	s_waitcnt vmcnt(1)
	v_mul_f32_e32 v38, v2, v38
	v_fmac_f32_e32 v38, v3, v39
	s_waitcnt vmcnt(0)
	v_fmac_f32_e32 v38, v4, v40
	v_fmac_f32_e32 v38, v5, v41
	v_add_f32_e32 v31, v31, v38
	v_mul_f32_e32 v38, v2, v120
	v_fmac_f32_e32 v38, v3, v121
	v_fmac_f32_e32 v38, v4, v118
	v_fmac_f32_e32 v38, v5, v119
	v_add_f32_e32 v30, v30, v38
	v_mul_f32_e32 v38, v2, v116
	v_fmac_f32_e32 v38, v3, v117
	;; [unrolled: 5-line block ×7, first 2 shown]
	v_pk_mul_f32 v[2:3], v[4:5], v[80:81]
	v_fmac_f32_e32 v38, v4, v94
	v_add_f32_e32 v0, v2, v0
	v_fmac_f32_e32 v38, v5, v95
	v_add_f32_e32 v0, v3, v0
	v_add_f32_e32 v36, v36, v38
	;; [unrolled: 1-line block ×3, first 2 shown]
	s_andn2_b64 exec, exec, s[8:9]
	s_cbranch_execz .LBB215_104
.LBB215_40:                             ; =>This Inner Loop Header: Depth=1
	global_load_dword v0, v[90:91], off
	ds_read_b128 v[2:5], v89
	v_add_u32_e32 v87, 1, v86
	s_waitcnt vmcnt(0)
	v_mad_i64_i32 v[122:123], s[0:1], v0, s13, v[92:93]
	scratch_load_dwordx2 v[0:1], off, off offset:240 ; 8-byte Folded Reload
	v_cmp_eq_u32_e64 s[0:1], s14, v88
	s_waitcnt vmcnt(0)
	v_lshl_add_u64 v[80:81], v[122:123], 0, v[0:1]
	global_load_dword v0, v[80:81], off
	s_waitcnt vmcnt(0)
	v_and_b32_e32 v1, 0xffff, v0
	v_lshrrev_b32_e32 v0, 16, v0
	v_cvt_pk_f32_fp8_e32 v[38:39], v1
	v_cvt_pk_f32_fp8_e32 v[40:41], v0
	v_add_u32_e32 v0, 2, v86
	v_add_u32_e32 v1, 3, v86
	v_pk_mul_f32 v[96:97], s[6:7], v[38:39]
	v_pk_mul_f32 v[94:95], s[6:7], v[40:41]
	s_and_saveexec_b64 s[10:11], s[0:1]
; %bb.41:                               ;   in Loop: Header=BB215_40 Depth=1
	v_cmp_gt_i32_e32 vcc, s17, v86
	s_nop 1
	v_cndmask_b32_e32 v96, 0, v96, vcc
	v_cmp_gt_i32_e32 vcc, s17, v87
	s_nop 1
	v_cndmask_b32_e32 v97, 0, v97, vcc
	v_cmp_gt_i32_e32 vcc, s17, v0
	s_nop 1
	v_cndmask_b32_e32 v94, 0, v94, vcc
	v_cmp_gt_i32_e32 vcc, s17, v1
	s_nop 1
	v_cndmask_b32_e32 v95, 0, v95, vcc
; %bb.42:                               ;   in Loop: Header=BB215_40 Depth=1
	s_or_b64 exec, exec, s[10:11]
	global_load_dword v38, v[80:81], off offset:256
	s_waitcnt vmcnt(0)
	v_and_b32_e32 v39, 0xffff, v38
	v_lshrrev_b32_e32 v40, 16, v38
	v_cvt_pk_f32_fp8_e32 v[38:39], v39
	v_cvt_pk_f32_fp8_e32 v[40:41], v40
	v_pk_mul_f32 v[100:101], s[6:7], v[38:39]
	v_pk_mul_f32 v[98:99], s[6:7], v[40:41]
	s_and_saveexec_b64 s[10:11], s[0:1]
; %bb.43:                               ;   in Loop: Header=BB215_40 Depth=1
	v_cmp_gt_i32_e32 vcc, s17, v86
	s_nop 1
	v_cndmask_b32_e32 v100, 0, v100, vcc
	v_cmp_gt_i32_e32 vcc, s17, v87
	s_nop 1
	v_cndmask_b32_e32 v101, 0, v101, vcc
	v_cmp_gt_i32_e32 vcc, s17, v0
	s_nop 1
	v_cndmask_b32_e32 v98, 0, v98, vcc
	v_cmp_gt_i32_e32 vcc, s17, v1
	s_nop 1
	v_cndmask_b32_e32 v99, 0, v99, vcc
; %bb.44:                               ;   in Loop: Header=BB215_40 Depth=1
	s_or_b64 exec, exec, s[10:11]
	global_load_dword v38, v[80:81], off offset:512
	s_waitcnt vmcnt(0)
	v_and_b32_e32 v39, 0xffff, v38
	v_lshrrev_b32_e32 v40, 16, v38
	v_cvt_pk_f32_fp8_e32 v[38:39], v39
	v_cvt_pk_f32_fp8_e32 v[40:41], v40
	;; [unrolled: 24-line block ×7, first 2 shown]
	v_pk_mul_f32 v[38:39], s[6:7], v[38:39]
	scratch_store_dwordx2 off, v[38:39], off offset:8 ; 8-byte Folded Spill
	v_pk_mul_f32 v[38:39], s[6:7], v[40:41]
	scratch_store_dwordx2 off, v[38:39], off ; 8-byte Folded Spill
	s_and_saveexec_b64 s[10:11], s[0:1]
	s_cbranch_execz .LBB215_56
; %bb.55:                               ;   in Loop: Header=BB215_40 Depth=1
	scratch_load_dwordx2 v[38:39], off, off offset:8 ; 8-byte Folded Reload
	v_cmp_gt_i32_e32 vcc, s17, v86
	s_waitcnt vmcnt(0)
	s_nop 0
	v_cndmask_b32_e32 v38, 0, v38, vcc
	v_cmp_gt_i32_e32 vcc, s17, v87
	s_nop 1
	v_cndmask_b32_e32 v39, 0, v39, vcc
	scratch_store_dwordx2 off, v[38:39], off offset:8 ; 8-byte Folded Spill
	scratch_load_dwordx2 v[38:39], off, off ; 8-byte Folded Reload
	v_cmp_gt_i32_e32 vcc, s17, v0
	s_waitcnt vmcnt(0)
	s_nop 0
	v_cndmask_b32_e32 v38, 0, v38, vcc
	v_cmp_gt_i32_e32 vcc, s17, v1
	s_nop 1
	v_cndmask_b32_e32 v39, 0, v39, vcc
	scratch_store_dwordx2 off, v[38:39], off ; 8-byte Folded Spill
.LBB215_56:                             ;   in Loop: Header=BB215_40 Depth=1
	s_or_b64 exec, exec, s[10:11]
	global_load_dword v38, v[80:81], off offset:2048
	s_waitcnt vmcnt(0)
	v_and_b32_e32 v39, 0xffff, v38
	v_lshrrev_b32_e32 v40, 16, v38
	v_cvt_pk_f32_fp8_e32 v[38:39], v39
	v_cvt_pk_f32_fp8_e32 v[40:41], v40
	v_pk_mul_f32 v[38:39], s[6:7], v[38:39]
	scratch_store_dwordx2 off, v[38:39], off offset:40 ; 8-byte Folded Spill
	v_pk_mul_f32 v[38:39], s[6:7], v[40:41]
	scratch_store_dwordx2 off, v[38:39], off offset:24 ; 8-byte Folded Spill
	s_and_saveexec_b64 s[10:11], s[0:1]
	s_cbranch_execz .LBB215_58
; %bb.57:                               ;   in Loop: Header=BB215_40 Depth=1
	scratch_load_dwordx2 v[38:39], off, off offset:40 ; 8-byte Folded Reload
	v_cmp_gt_i32_e32 vcc, s17, v86
	s_waitcnt vmcnt(0)
	s_nop 0
	v_cndmask_b32_e32 v38, 0, v38, vcc
	v_cmp_gt_i32_e32 vcc, s17, v87
	s_nop 1
	v_cndmask_b32_e32 v39, 0, v39, vcc
	scratch_store_dwordx2 off, v[38:39], off offset:40 ; 8-byte Folded Spill
	scratch_load_dwordx2 v[38:39], off, off offset:24 ; 8-byte Folded Reload
	v_cmp_gt_i32_e32 vcc, s17, v0
	s_waitcnt vmcnt(0)
	s_nop 0
	v_cndmask_b32_e32 v38, 0, v38, vcc
	v_cmp_gt_i32_e32 vcc, s17, v1
	s_nop 1
	v_cndmask_b32_e32 v39, 0, v39, vcc
	scratch_store_dwordx2 off, v[38:39], off offset:24 ; 8-byte Folded Spill
.LBB215_58:                             ;   in Loop: Header=BB215_40 Depth=1
	s_or_b64 exec, exec, s[10:11]
	global_load_dword v38, v[80:81], off offset:2304
	s_waitcnt vmcnt(0)
	v_and_b32_e32 v39, 0xffff, v38
	v_lshrrev_b32_e32 v40, 16, v38
	v_cvt_pk_f32_fp8_e32 v[38:39], v39
	v_cvt_pk_f32_fp8_e32 v[40:41], v40
	v_pk_mul_f32 v[38:39], s[6:7], v[38:39]
	scratch_store_dwordx2 off, v[38:39], off offset:72 ; 8-byte Folded Spill
	v_pk_mul_f32 v[38:39], s[6:7], v[40:41]
	scratch_store_dwordx2 off, v[38:39], off offset:56 ; 8-byte Folded Spill
	s_and_saveexec_b64 s[10:11], s[0:1]
	s_cbranch_execz .LBB215_60
; %bb.59:                               ;   in Loop: Header=BB215_40 Depth=1
	scratch_load_dwordx2 v[38:39], off, off offset:72 ; 8-byte Folded Reload
	v_cmp_gt_i32_e32 vcc, s17, v86
	s_waitcnt vmcnt(0)
	s_nop 0
	v_cndmask_b32_e32 v38, 0, v38, vcc
	v_cmp_gt_i32_e32 vcc, s17, v87
	s_nop 1
	v_cndmask_b32_e32 v39, 0, v39, vcc
	scratch_store_dwordx2 off, v[38:39], off offset:72 ; 8-byte Folded Spill
	scratch_load_dwordx2 v[38:39], off, off offset:56 ; 8-byte Folded Reload
	v_cmp_gt_i32_e32 vcc, s17, v0
	s_waitcnt vmcnt(0)
	s_nop 0
	v_cndmask_b32_e32 v38, 0, v38, vcc
	v_cmp_gt_i32_e32 vcc, s17, v1
	s_nop 1
	v_cndmask_b32_e32 v39, 0, v39, vcc
	scratch_store_dwordx2 off, v[38:39], off offset:56 ; 8-byte Folded Spill
.LBB215_60:                             ;   in Loop: Header=BB215_40 Depth=1
	;; [unrolled: 33-line block ×7, first 2 shown]
	s_or_b64 exec, exec, s[10:11]
	scratch_load_dwordx2 v[38:39], off, off offset:248 ; 8-byte Folded Reload
	s_waitcnt vmcnt(0)
	v_lshl_add_u64 v[38:39], v[122:123], 0, v[38:39]
	global_load_dword v38, v[38:39], off
	s_waitcnt vmcnt(0)
	v_and_b32_e32 v39, 0xffff, v38
	v_lshrrev_b32_e32 v40, 16, v38
	v_cvt_pk_f32_fp8_e32 v[38:39], v39
	v_cvt_pk_f32_fp8_e32 v[40:41], v40
	v_pk_mul_f32 v[38:39], s[6:7], v[38:39]
	scratch_store_dwordx2 off, v[38:39], off offset:192 ; 8-byte Folded Spill
	v_pk_mul_f32 v[38:39], s[6:7], v[40:41]
	scratch_store_dwordx2 off, v[38:39], off offset:184 ; 8-byte Folded Spill
	s_and_saveexec_b64 s[10:11], s[0:1]
	s_cbranch_execz .LBB215_72
; %bb.71:                               ;   in Loop: Header=BB215_40 Depth=1
	scratch_load_dwordx2 v[38:39], off, off offset:192 ; 8-byte Folded Reload
	v_cmp_gt_i32_e32 vcc, s17, v86
	s_waitcnt vmcnt(0)
	s_nop 0
	v_cndmask_b32_e32 v38, 0, v38, vcc
	v_cmp_gt_i32_e32 vcc, s17, v87
	s_nop 1
	v_cndmask_b32_e32 v39, 0, v39, vcc
	scratch_store_dwordx2 off, v[38:39], off offset:192 ; 8-byte Folded Spill
	scratch_load_dwordx2 v[38:39], off, off offset:184 ; 8-byte Folded Reload
	v_cmp_gt_i32_e32 vcc, s17, v0
	s_waitcnt vmcnt(0)
	s_nop 0
	v_cndmask_b32_e32 v38, 0, v38, vcc
	v_cmp_gt_i32_e32 vcc, s17, v1
	s_nop 1
	v_cndmask_b32_e32 v39, 0, v39, vcc
	scratch_store_dwordx2 off, v[38:39], off offset:184 ; 8-byte Folded Spill
.LBB215_72:                             ;   in Loop: Header=BB215_40 Depth=1
	s_or_b64 exec, exec, s[10:11]
	v_add_co_u32_e32 v38, vcc, 0x1000, v80
	s_nop 1
	v_addc_co_u32_e32 v39, vcc, 0, v81, vcc
	global_load_dword v38, v[38:39], off
	s_waitcnt vmcnt(0)
	v_and_b32_e32 v39, 0xffff, v38
	v_lshrrev_b32_e32 v40, 16, v38
	v_cvt_pk_f32_fp8_e32 v[38:39], v39
	v_cvt_pk_f32_fp8_e32 v[40:41], v40
	v_pk_mul_f32 v[38:39], s[6:7], v[38:39]
	scratch_store_dwordx2 off, v[38:39], off offset:208 ; 8-byte Folded Spill
	v_pk_mul_f32 v[38:39], s[6:7], v[40:41]
	scratch_store_dwordx2 off, v[38:39], off offset:200 ; 8-byte Folded Spill
	s_and_saveexec_b64 s[10:11], s[0:1]
	s_cbranch_execz .LBB215_74
; %bb.73:                               ;   in Loop: Header=BB215_40 Depth=1
	scratch_load_dwordx2 v[38:39], off, off offset:208 ; 8-byte Folded Reload
	v_cmp_gt_i32_e32 vcc, s17, v86
	s_waitcnt vmcnt(0)
	s_nop 0
	v_cndmask_b32_e32 v38, 0, v38, vcc
	v_cmp_gt_i32_e32 vcc, s17, v87
	s_nop 1
	v_cndmask_b32_e32 v39, 0, v39, vcc
	scratch_store_dwordx2 off, v[38:39], off offset:208 ; 8-byte Folded Spill
	scratch_load_dwordx2 v[38:39], off, off offset:200 ; 8-byte Folded Reload
	v_cmp_gt_i32_e32 vcc, s17, v0
	s_waitcnt vmcnt(0)
	s_nop 0
	v_cndmask_b32_e32 v38, 0, v38, vcc
	v_cmp_gt_i32_e32 vcc, s17, v1
	s_nop 1
	v_cndmask_b32_e32 v39, 0, v39, vcc
	scratch_store_dwordx2 off, v[38:39], off offset:200 ; 8-byte Folded Spill
.LBB215_74:                             ;   in Loop: Header=BB215_40 Depth=1
	s_or_b64 exec, exec, s[10:11]
	v_add_co_u32_e32 v38, vcc, 0x1000, v80
	s_nop 1
	v_addc_co_u32_e32 v39, vcc, 0, v81, vcc
	global_load_dword v38, v[38:39], off offset:256
	s_waitcnt vmcnt(0)
	v_and_b32_e32 v39, 0xffff, v38
	v_lshrrev_b32_e32 v40, 16, v38
	v_cvt_pk_f32_fp8_e32 v[38:39], v39
	v_cvt_pk_f32_fp8_e32 v[40:41], v40
	v_pk_mul_f32 v[38:39], s[6:7], v[38:39]
	scratch_store_dwordx2 off, v[38:39], off offset:224 ; 8-byte Folded Spill
	v_pk_mul_f32 v[38:39], s[6:7], v[40:41]
	scratch_store_dwordx2 off, v[38:39], off offset:216 ; 8-byte Folded Spill
	s_and_saveexec_b64 s[10:11], s[0:1]
	s_cbranch_execz .LBB215_76
; %bb.75:                               ;   in Loop: Header=BB215_40 Depth=1
	scratch_load_dwordx2 v[38:39], off, off offset:224 ; 8-byte Folded Reload
	v_cmp_gt_i32_e32 vcc, s17, v86
	s_waitcnt vmcnt(0)
	s_nop 0
	v_cndmask_b32_e32 v38, 0, v38, vcc
	v_cmp_gt_i32_e32 vcc, s17, v87
	s_nop 1
	v_cndmask_b32_e32 v39, 0, v39, vcc
	scratch_store_dwordx2 off, v[38:39], off offset:224 ; 8-byte Folded Spill
	scratch_load_dwordx2 v[38:39], off, off offset:216 ; 8-byte Folded Reload
	v_cmp_gt_i32_e32 vcc, s17, v0
	s_waitcnt vmcnt(0)
	s_nop 0
	v_cndmask_b32_e32 v38, 0, v38, vcc
	v_cmp_gt_i32_e32 vcc, s17, v1
	s_nop 1
	v_cndmask_b32_e32 v39, 0, v39, vcc
	scratch_store_dwordx2 off, v[38:39], off offset:216 ; 8-byte Folded Spill
.LBB215_76:                             ;   in Loop: Header=BB215_40 Depth=1
	s_or_b64 exec, exec, s[10:11]
	v_add_co_u32_e32 v38, vcc, 0x1000, v80
	s_nop 1
	v_addc_co_u32_e32 v39, vcc, 0, v81, vcc
	global_load_dword v38, v[38:39], off offset:512
	s_waitcnt vmcnt(0)
	v_and_b32_e32 v39, 0xffff, v38
	v_lshrrev_b32_e32 v40, 16, v38
	v_cvt_pk_f32_fp8_e32 v[38:39], v39
	v_cvt_pk_f32_fp8_e32 v[40:41], v40
	v_pk_mul_f32 v[124:125], s[6:7], v[38:39]
	v_pk_mul_f32 v[38:39], s[6:7], v[40:41]
	scratch_store_dwordx2 off, v[38:39], off offset:232 ; 8-byte Folded Spill
	s_and_saveexec_b64 s[10:11], s[0:1]
	s_cbranch_execz .LBB215_78
; %bb.77:                               ;   in Loop: Header=BB215_40 Depth=1
	scratch_load_dwordx2 v[38:39], off, off offset:232 ; 8-byte Folded Reload
	v_cmp_gt_i32_e32 vcc, s17, v86
	s_nop 1
	v_cndmask_b32_e32 v124, 0, v124, vcc
	v_cmp_gt_i32_e32 vcc, s17, v87
	s_nop 1
	v_cndmask_b32_e32 v125, 0, v125, vcc
	v_cmp_gt_i32_e32 vcc, s17, v0
	s_waitcnt vmcnt(0)
	s_nop 0
	v_cndmask_b32_e32 v38, 0, v38, vcc
	v_cmp_gt_i32_e32 vcc, s17, v1
	s_nop 1
	v_cndmask_b32_e32 v39, 0, v39, vcc
	scratch_store_dwordx2 off, v[38:39], off offset:232 ; 8-byte Folded Spill
.LBB215_78:                             ;   in Loop: Header=BB215_40 Depth=1
	s_or_b64 exec, exec, s[10:11]
	v_add_co_u32_e32 v38, vcc, 0x1000, v80
	s_nop 1
	v_addc_co_u32_e32 v39, vcc, 0, v81, vcc
	global_load_dword v38, v[38:39], off offset:768
	s_waitcnt vmcnt(0)
	v_and_b32_e32 v39, 0xffff, v38
	v_lshrrev_b32_e32 v40, 16, v38
	v_cvt_pk_f32_fp8_e32 v[38:39], v39
	v_cvt_pk_f32_fp8_e32 v[40:41], v40
	v_pk_mul_f32 v[46:47], s[6:7], v[38:39]
	v_pk_mul_f32 v[126:127], s[6:7], v[40:41]
	s_and_saveexec_b64 s[10:11], s[0:1]
; %bb.79:                               ;   in Loop: Header=BB215_40 Depth=1
	v_cmp_gt_i32_e32 vcc, s17, v86
	s_nop 1
	v_cndmask_b32_e32 v46, 0, v46, vcc
	v_cmp_gt_i32_e32 vcc, s17, v87
	s_nop 1
	v_cndmask_b32_e32 v47, 0, v47, vcc
	v_cmp_gt_i32_e32 vcc, s17, v0
	s_nop 1
	v_cndmask_b32_e32 v126, 0, v126, vcc
	v_cmp_gt_i32_e32 vcc, s17, v1
	s_nop 1
	v_cndmask_b32_e32 v127, 0, v127, vcc
; %bb.80:                               ;   in Loop: Header=BB215_40 Depth=1
	s_or_b64 exec, exec, s[10:11]
	v_add_co_u32_e32 v38, vcc, 0x1000, v80
	s_nop 1
	v_addc_co_u32_e32 v39, vcc, 0, v81, vcc
	global_load_dword v38, v[38:39], off offset:1024
	s_waitcnt vmcnt(0)
	v_and_b32_e32 v39, 0xffff, v38
	v_lshrrev_b32_e32 v40, 16, v38
	v_cvt_pk_f32_fp8_e32 v[38:39], v39
	v_cvt_pk_f32_fp8_e32 v[40:41], v40
	v_pk_mul_f32 v[42:43], s[6:7], v[38:39]
	v_pk_mul_f32 v[40:41], s[6:7], v[40:41]
	s_and_saveexec_b64 s[10:11], s[0:1]
; %bb.81:                               ;   in Loop: Header=BB215_40 Depth=1
	v_cmp_gt_i32_e32 vcc, s17, v86
	s_nop 1
	v_cndmask_b32_e32 v42, 0, v42, vcc
	v_cmp_gt_i32_e32 vcc, s17, v87
	s_nop 1
	v_cndmask_b32_e32 v43, 0, v43, vcc
	v_cmp_gt_i32_e32 vcc, s17, v0
	s_nop 1
	v_cndmask_b32_e32 v40, 0, v40, vcc
	v_cmp_gt_i32_e32 vcc, s17, v1
	s_nop 1
	v_cndmask_b32_e32 v41, 0, v41, vcc
; %bb.82:                               ;   in Loop: Header=BB215_40 Depth=1
	;; [unrolled: 27-line block ×10, first 2 shown]
	s_or_b64 exec, exec, s[10:11]
	v_add_co_u32_e32 v44, vcc, 0x1000, v80
	s_nop 1
	v_addc_co_u32_e32 v45, vcc, 0, v81, vcc
	global_load_dword v44, v[44:45], off offset:3328
	s_waitcnt vmcnt(0)
	v_and_b32_e32 v45, 0xffff, v44
	v_lshrrev_b32_e32 v78, 16, v44
	v_cvt_pk_f32_fp8_e32 v[44:45], v45
	v_cvt_pk_f32_fp8_e32 v[78:79], v78
	v_pk_mul_f32 v[44:45], s[6:7], v[44:45]
	v_pk_mul_f32 v[78:79], s[6:7], v[78:79]
	s_and_saveexec_b64 s[10:11], s[0:1]
; %bb.99:                               ;   in Loop: Header=BB215_40 Depth=1
	v_cmp_gt_i32_e32 vcc, s17, v86
	s_nop 1
	v_cndmask_b32_e32 v44, 0, v44, vcc
	v_cmp_gt_i32_e32 vcc, s17, v87
	s_nop 1
	v_cndmask_b32_e32 v45, 0, v45, vcc
	;; [unrolled: 3-line block ×4, first 2 shown]
; %bb.100:                              ;   in Loop: Header=BB215_40 Depth=1
	s_or_b64 exec, exec, s[10:11]
	v_add_co_u32_e32 v80, vcc, 0x1000, v80
	s_nop 1
	v_addc_co_u32_e32 v81, vcc, 0, v81, vcc
	global_load_dword v80, v[80:81], off offset:3584
	s_waitcnt vmcnt(0)
	v_and_b32_e32 v81, 0xffff, v80
	v_lshrrev_b32_e32 v82, 16, v80
	v_cvt_pk_f32_fp8_e32 v[80:81], v81
	v_cvt_pk_f32_fp8_e32 v[82:83], v82
	v_pk_mul_f32 v[84:85], s[6:7], v[80:81]
	v_pk_mul_f32 v[82:83], s[6:7], v[82:83]
	s_and_saveexec_b64 s[10:11], s[0:1]
; %bb.101:                              ;   in Loop: Header=BB215_40 Depth=1
	v_cmp_gt_i32_e32 vcc, s17, v86
	s_nop 1
	v_cndmask_b32_e32 v84, 0, v84, vcc
	v_cmp_gt_i32_e32 vcc, s17, v87
	s_nop 1
	v_cndmask_b32_e32 v85, 0, v85, vcc
	;; [unrolled: 3-line block ×4, first 2 shown]
; %bb.102:                              ;   in Loop: Header=BB215_40 Depth=1
	s_or_b64 exec, exec, s[10:11]
	scratch_load_dwordx2 v[0:1], off, off offset:256 ; 8-byte Folded Reload
	s_waitcnt vmcnt(0)
	v_lshl_add_u64 v[0:1], v[122:123], 0, v[0:1]
	global_load_dword v0, v[0:1], off
	s_waitcnt vmcnt(0)
	v_and_b32_e32 v1, 0xffff, v0
	v_lshrrev_b32_e32 v80, 16, v0
	v_cvt_pk_f32_fp8_e32 v[0:1], v1
	v_cvt_pk_f32_fp8_e32 v[80:81], v80
	v_pk_mul_f32 v[0:1], s[6:7], v[0:1]
	v_pk_mul_f32 v[80:81], s[6:7], v[80:81]
	s_and_saveexec_b64 s[10:11], s[0:1]
	s_cbranch_execz .LBB215_39
; %bb.103:                              ;   in Loop: Header=BB215_40 Depth=1
	v_cmp_gt_i32_e32 vcc, s15, v87
	v_or_b32_e32 v87, 3, v86
	v_or_b32_e32 v122, 2, v86
	v_cndmask_b32_e32 v1, 0, v1, vcc
	v_cmp_gt_i32_e32 vcc, s17, v86
	s_nop 1
	v_cndmask_b32_e32 v0, 0, v0, vcc
	v_cmp_gt_i32_e32 vcc, s15, v87
	s_nop 1
	v_cndmask_b32_e32 v81, 0, v81, vcc
	v_cmp_gt_i32_e32 vcc, s17, v122
	s_nop 1
	v_cndmask_b32_e32 v80, 0, v80, vcc
	s_branch .LBB215_39
.LBB215_104:
	s_or_b64 exec, exec, s[8:9]
	scratch_load_dword v50, off, off offset:264 ; 4-byte Folded Reload
	scratch_load_dword v51, off, off offset:272 ; 4-byte Folded Reload
	;; [unrolled: 1-line block ×5, first 2 shown]
.LBB215_105:
	s_or_b64 exec, exec, s[2:3]
	s_waitcnt vmcnt(2)
	ds_bpermute_b32 v0, v52, v36
	ds_bpermute_b32 v1, v52, v37
	;; [unrolled: 1-line block ×6, first 2 shown]
	s_waitcnt lgkmcnt(4)
	v_pk_add_f32 v[0:1], v[36:37], v[0:1]
	ds_bpermute_b32 v36, v52, v32
	s_waitcnt lgkmcnt(3)
	v_pk_add_f32 v[2:3], v[34:35], v[2:3]
	ds_bpermute_b32 v37, v52, v33
	s_waitcnt vmcnt(1)
	ds_bpermute_b32 v34, v53, v2
	ds_bpermute_b32 v35, v53, v3
	;; [unrolled: 1-line block ×4, first 2 shown]
	s_waitcnt lgkmcnt(4)
	v_pk_add_f32 v[32:33], v[32:33], v[36:37]
	v_pk_add_f32 v[30:31], v[30:31], v[38:39]
	s_waitcnt lgkmcnt(2)
	v_pk_add_f32 v[2:3], v[2:3], v[34:35]
	ds_bpermute_b32 v34, v53, v32
	ds_bpermute_b32 v35, v53, v33
	s_waitcnt lgkmcnt(2)
	v_pk_add_f32 v[0:1], v[0:1], v[4:5]
	s_waitcnt vmcnt(0)
	ds_bpermute_b32 v4, v54, v0
	ds_bpermute_b32 v5, v54, v1
	;; [unrolled: 1-line block ×3, first 2 shown]
	s_waitcnt lgkmcnt(3)
	v_pk_add_f32 v[32:33], v[32:33], v[34:35]
	ds_bpermute_b32 v34, v54, v32
	ds_bpermute_b32 v35, v54, v33
	;; [unrolled: 1-line block ×3, first 2 shown]
	s_waitcnt lgkmcnt(4)
	v_pk_add_f32 v[4:5], v[0:1], v[4:5]
	ds_bpermute_b32 v38, v53, v30
	ds_bpermute_b32 v39, v53, v31
	s_waitcnt lgkmcnt(3)
	v_pk_add_f32 v[0:1], v[32:33], v[34:35]
	ds_bpermute_b32 v32, v52, v28
	ds_bpermute_b32 v33, v52, v29
	;; [unrolled: 4-line block ×3, first 2 shown]
	s_waitcnt lgkmcnt(4)
	v_pk_add_f32 v[30:31], v[30:31], v[38:39]
	s_waitcnt lgkmcnt(2)
	v_pk_add_f32 v[28:29], v[28:29], v[32:33]
	ds_bpermute_b32 v32, v53, v28
	ds_bpermute_b32 v33, v53, v29
	s_waitcnt lgkmcnt(2)
	v_pk_add_f32 v[26:27], v[26:27], v[36:37]
	ds_bpermute_b32 v38, v52, v24
	ds_bpermute_b32 v39, v52, v25
	;; [unrolled: 1-line block ×4, first 2 shown]
	s_waitcnt lgkmcnt(4)
	v_pk_add_f32 v[32:33], v[28:29], v[32:33]
	ds_bpermute_b32 v40, v54, v32
	s_waitcnt lgkmcnt(3)
	v_pk_add_f32 v[24:25], v[24:25], v[38:39]
	ds_bpermute_b32 v41, v54, v33
	s_waitcnt lgkmcnt(2)
	v_pk_add_f32 v[36:37], v[26:27], v[36:37]
	ds_bpermute_b32 v26, v53, v24
	ds_bpermute_b32 v27, v53, v25
	ds_bpermute_b32 v38, v54, v36
	;; [unrolled: 1-line block ×5, first 2 shown]
	s_waitcnt lgkmcnt(4)
	v_pk_add_f32 v[42:43], v[24:25], v[26:27]
	v_pk_add_f32 v[26:27], v[32:33], v[40:41]
	ds_bpermute_b32 v32, v52, v20
	ds_bpermute_b32 v33, v52, v21
	s_waitcnt lgkmcnt(4)
	v_pk_add_f32 v[24:25], v[36:37], v[38:39]
	ds_bpermute_b32 v36, v52, v18
	ds_bpermute_b32 v37, v52, v19
	;; [unrolled: 1-line block ×3, first 2 shown]
	s_waitcnt lgkmcnt(3)
	v_pk_add_f32 v[20:21], v[20:21], v[32:33]
	ds_bpermute_b32 v32, v53, v20
	ds_bpermute_b32 v33, v53, v21
	s_waitcnt lgkmcnt(3)
	v_pk_add_f32 v[18:19], v[18:19], v[36:37]
	ds_bpermute_b32 v39, v52, v17
	ds_bpermute_b32 v36, v53, v18
	;; [unrolled: 1-line block ×3, first 2 shown]
	s_waitcnt lgkmcnt(3)
	v_pk_add_f32 v[32:33], v[20:21], v[32:33]
	ds_bpermute_b32 v44, v54, v42
	s_waitcnt lgkmcnt(3)
	v_pk_add_f32 v[16:17], v[16:17], v[38:39]
	ds_bpermute_b32 v45, v54, v43
	ds_bpermute_b32 v40, v54, v32
	;; [unrolled: 1-line block ×3, first 2 shown]
	s_waitcnt lgkmcnt(4)
	v_pk_add_f32 v[36:37], v[18:19], v[36:37]
	ds_bpermute_b32 v18, v53, v16
	ds_bpermute_b32 v19, v53, v17
	v_pk_add_f32 v[46:47], v[22:23], v[28:29]
	s_waitcnt lgkmcnt(4)
	v_pk_add_f32 v[22:23], v[42:43], v[44:45]
	ds_bpermute_b32 v38, v54, v36
	ds_bpermute_b32 v39, v54, v37
	s_waitcnt lgkmcnt(2)
	v_pk_add_f32 v[42:43], v[16:17], v[18:19]
	v_pk_add_f32 v[18:19], v[32:33], v[40:41]
	ds_bpermute_b32 v32, v52, v12
	ds_bpermute_b32 v33, v52, v13
	;; [unrolled: 1-line block ×8, first 2 shown]
	s_waitcnt lgkmcnt(8)
	v_pk_add_f32 v[16:17], v[36:37], v[38:39]
	ds_bpermute_b32 v36, v52, v10
	ds_bpermute_b32 v37, v52, v11
	s_waitcnt lgkmcnt(8)
	v_pk_add_f32 v[12:13], v[12:13], v[32:33]
	ds_bpermute_b32 v32, v53, v12
	ds_bpermute_b32 v33, v53, v13
	s_waitcnt lgkmcnt(8)
	v_pk_add_f32 v[28:29], v[30:31], v[34:35]
	s_waitcnt lgkmcnt(6)
	v_pk_add_f32 v[30:31], v[46:47], v[48:49]
	;; [unrolled: 2-line block ×4, first 2 shown]
	ds_bpermute_b32 v38, v52, v8
	ds_bpermute_b32 v39, v52, v9
	;; [unrolled: 1-line block ×8, first 2 shown]
	s_waitcnt lgkmcnt(8)
	v_pk_add_f32 v[32:33], v[12:13], v[32:33]
	ds_bpermute_b32 v12, v52, v6
	ds_bpermute_b32 v13, v52, v7
	s_waitcnt lgkmcnt(8)
	v_pk_add_f32 v[8:9], v[8:9], v[38:39]
	ds_bpermute_b32 v44, v54, v42
	ds_bpermute_b32 v45, v54, v43
	s_waitcnt lgkmcnt(8)
	v_pk_add_f32 v[20:21], v[30:31], v[34:35]
	s_waitcnt lgkmcnt(6)
	v_pk_add_f32 v[30:31], v[46:47], v[48:49]
	;; [unrolled: 2-line block ×3, first 2 shown]
	ds_bpermute_b32 v10, v53, v8
	ds_bpermute_b32 v11, v53, v9
	s_waitcnt lgkmcnt(4)
	v_pk_add_f32 v[46:47], v[6:7], v[12:13]
	ds_bpermute_b32 v34, v54, v30
	ds_bpermute_b32 v35, v54, v31
	;; [unrolled: 1-line block ×6, first 2 shown]
	s_waitcnt lgkmcnt(8)
	v_pk_add_f32 v[14:15], v[42:43], v[44:45]
	s_waitcnt lgkmcnt(6)
	v_pk_add_f32 v[42:43], v[8:9], v[10:11]
	ds_bpermute_b32 v38, v54, v36
	ds_bpermute_b32 v39, v54, v37
	;; [unrolled: 1-line block ×4, first 2 shown]
	s_waitcnt lgkmcnt(8)
	v_pk_add_f32 v[12:13], v[30:31], v[34:35]
	s_waitcnt lgkmcnt(6)
	v_pk_add_f32 v[30:31], v[46:47], v[48:49]
	;; [unrolled: 2-line block ×3, first 2 shown]
	ds_bpermute_b32 v32, v54, v30
	ds_bpermute_b32 v33, v54, v31
	v_and_b32_e32 v34, 0x3c7, v50
	s_waitcnt lgkmcnt(4)
	v_pk_add_f32 v[8:9], v[36:37], v[38:39]
	s_waitcnt lgkmcnt(2)
	v_pk_add_f32 v[6:7], v[42:43], v[44:45]
	v_cmp_ne_u32_e32 vcc, 64, v34
	s_waitcnt lgkmcnt(0)
	s_barrier
	s_and_saveexec_b64 s[0:1], vcc
	s_xor_b64 s[0:1], exec, s[0:1]
; %bb.106:
                                        ; implicit-def: $vgpr51
; %bb.107:
	s_or_saveexec_b64 s[0:1], s[0:1]
	v_pk_add_f32 v[30:31], v[30:31], v[32:33]
	s_xor_b64 exec, exec, s[0:1]
	s_cbranch_execz .LBB215_109
; %bb.108:
	v_lshrrev_b32_e32 v32, 1, v51
	v_add_u32_e32 v32, 0x410, v32
	ds_write2_b32 v32, v4, v5 offset1:8
	ds_write2_b32 v32, v2, v3 offset0:16 offset1:24
	ds_write2_b32 v32, v0, v1 offset0:32 offset1:40
	;; [unrolled: 1-line block ×15, first 2 shown]
.LBB215_109:
	s_or_b64 exec, exec, s[0:1]
	v_cmp_gt_u32_e32 vcc, 64, v50
	v_lshrrev_b32_e32 v32, 3, v50
	s_waitcnt lgkmcnt(0)
	s_barrier
	s_and_saveexec_b64 s[0:1], vcc
	s_cbranch_execz .LBB215_144
; %bb.110:
	scratch_load_dword v33, off, off offset:268 ; 4-byte Folded Reload
	s_waitcnt vmcnt(0)
	v_cmp_eq_u32_e32 vcc, 0, v33
	v_mov_b32_e32 v33, 0x410
	v_lshl_add_u32 v33, v32, 2, v33
	s_and_saveexec_b64 s[2:3], vcc
	s_cbranch_execnz .LBB215_147
; %bb.111:
	s_or_b64 exec, exec, s[2:3]
	s_and_saveexec_b64 s[2:3], vcc
	s_cbranch_execnz .LBB215_148
.LBB215_112:
	s_or_b64 exec, exec, s[2:3]
	s_and_saveexec_b64 s[2:3], vcc
	s_cbranch_execnz .LBB215_149
.LBB215_113:
	s_or_b64 exec, exec, s[2:3]
	s_and_saveexec_b64 s[2:3], vcc
	s_cbranch_execnz .LBB215_150
.LBB215_114:
	s_or_b64 exec, exec, s[2:3]
	s_and_saveexec_b64 s[2:3], vcc
	s_cbranch_execnz .LBB215_151
.LBB215_115:
	s_or_b64 exec, exec, s[2:3]
	s_and_saveexec_b64 s[2:3], vcc
	s_cbranch_execnz .LBB215_152
.LBB215_116:
	s_or_b64 exec, exec, s[2:3]
	s_and_saveexec_b64 s[2:3], vcc
	s_cbranch_execnz .LBB215_153
.LBB215_117:
	s_or_b64 exec, exec, s[2:3]
	s_and_saveexec_b64 s[2:3], vcc
	s_cbranch_execnz .LBB215_154
.LBB215_118:
	s_or_b64 exec, exec, s[2:3]
	s_and_saveexec_b64 s[2:3], vcc
	s_cbranch_execnz .LBB215_155
.LBB215_119:
	s_or_b64 exec, exec, s[2:3]
	s_and_saveexec_b64 s[2:3], vcc
	s_cbranch_execnz .LBB215_156
.LBB215_120:
	s_or_b64 exec, exec, s[2:3]
	s_and_saveexec_b64 s[2:3], vcc
	s_cbranch_execnz .LBB215_157
.LBB215_121:
	s_or_b64 exec, exec, s[2:3]
	s_and_saveexec_b64 s[2:3], vcc
	s_cbranch_execnz .LBB215_158
.LBB215_122:
	s_or_b64 exec, exec, s[2:3]
	s_and_saveexec_b64 s[2:3], vcc
	s_cbranch_execnz .LBB215_159
.LBB215_123:
	s_or_b64 exec, exec, s[2:3]
	s_and_saveexec_b64 s[2:3], vcc
	s_cbranch_execnz .LBB215_160
.LBB215_124:
	s_or_b64 exec, exec, s[2:3]
	s_and_saveexec_b64 s[2:3], vcc
	s_cbranch_execnz .LBB215_161
.LBB215_125:
	s_or_b64 exec, exec, s[2:3]
	s_and_saveexec_b64 s[2:3], vcc
	s_cbranch_execnz .LBB215_162
.LBB215_126:
	s_or_b64 exec, exec, s[2:3]
	s_and_saveexec_b64 s[2:3], vcc
	s_cbranch_execnz .LBB215_163
.LBB215_127:
	s_or_b64 exec, exec, s[2:3]
	s_and_saveexec_b64 s[2:3], vcc
	s_cbranch_execnz .LBB215_164
.LBB215_128:
	s_or_b64 exec, exec, s[2:3]
	s_and_saveexec_b64 s[2:3], vcc
	s_cbranch_execnz .LBB215_165
.LBB215_129:
	s_or_b64 exec, exec, s[2:3]
	s_and_saveexec_b64 s[2:3], vcc
	s_cbranch_execnz .LBB215_166
.LBB215_130:
	s_or_b64 exec, exec, s[2:3]
	s_and_saveexec_b64 s[2:3], vcc
	s_cbranch_execnz .LBB215_167
.LBB215_131:
	s_or_b64 exec, exec, s[2:3]
	s_and_saveexec_b64 s[2:3], vcc
	s_cbranch_execnz .LBB215_168
.LBB215_132:
	s_or_b64 exec, exec, s[2:3]
	s_and_saveexec_b64 s[2:3], vcc
	s_cbranch_execnz .LBB215_169
.LBB215_133:
	s_or_b64 exec, exec, s[2:3]
	s_and_saveexec_b64 s[2:3], vcc
	s_cbranch_execnz .LBB215_170
.LBB215_134:
	s_or_b64 exec, exec, s[2:3]
	s_and_saveexec_b64 s[2:3], vcc
	s_cbranch_execnz .LBB215_171
.LBB215_135:
	s_or_b64 exec, exec, s[2:3]
	s_and_saveexec_b64 s[2:3], vcc
	s_cbranch_execnz .LBB215_172
.LBB215_136:
	s_or_b64 exec, exec, s[2:3]
	s_and_saveexec_b64 s[2:3], vcc
	s_cbranch_execnz .LBB215_173
.LBB215_137:
	s_or_b64 exec, exec, s[2:3]
	s_and_saveexec_b64 s[2:3], vcc
	s_cbranch_execnz .LBB215_174
.LBB215_138:
	s_or_b64 exec, exec, s[2:3]
	s_and_saveexec_b64 s[2:3], vcc
	s_cbranch_execnz .LBB215_175
.LBB215_139:
	s_or_b64 exec, exec, s[2:3]
	s_and_saveexec_b64 s[2:3], vcc
	s_cbranch_execnz .LBB215_176
.LBB215_140:
	s_or_b64 exec, exec, s[2:3]
	s_and_saveexec_b64 s[2:3], vcc
	s_cbranch_execnz .LBB215_177
.LBB215_141:
	s_or_b64 exec, exec, s[2:3]
	s_and_saveexec_b64 s[2:3], vcc
	s_cbranch_execz .LBB215_143
.LBB215_142:
	ds_read_b32 v33, v33 offset:992
	s_waitcnt lgkmcnt(0)
	v_add_f32_e32 v31, v31, v33
.LBB215_143:
	s_or_b64 exec, exec, s[2:3]
.LBB215_144:
	s_or_b64 exec, exec, s[0:1]
	v_cmp_eq_u32_e32 vcc, 0, v34
	s_barrier
	s_and_saveexec_b64 s[0:1], vcc
	s_cbranch_execz .LBB215_146
; %bb.145:
	s_mul_i32 s0, s16, s12
	s_mul_i32 s0, s0, s5
	s_lshl_b32 s0, s0, 8
	s_ashr_i32 s1, s0, 31
	s_lshl_b64 s[0:1], s[0:1], 2
	s_add_u32 s2, s20, s0
	s_mul_i32 s0, s12, s18
	s_addc_u32 s3, s21, s1
	s_ashr_i32 s1, s0, 31
	s_lshl_b64 s[0:1], s[0:1], 2
	s_add_u32 s2, s2, s0
	s_addc_u32 s3, s3, s1
	s_lshl_b32 s0, s4, 8
	s_ashr_i32 s1, s0, 31
	s_lshl_b64 s[0:1], s[0:1], 2
	s_add_u32 s0, s2, s0
	s_addc_u32 s1, s3, s1
	v_lshlrev_b32_e32 v32, 2, v32
	global_store_dword v32, v4, s[0:1]
	global_store_dword v32, v5, s[0:1] offset:32
	global_store_dword v32, v2, s[0:1] offset:64
	global_store_dword v32, v3, s[0:1] offset:96
	global_store_dword v32, v0, s[0:1] offset:128
	global_store_dword v32, v1, s[0:1] offset:160
	global_store_dword v32, v28, s[0:1] offset:192
	global_store_dword v32, v29, s[0:1] offset:224
	global_store_dword v32, v26, s[0:1] offset:256
	global_store_dword v32, v27, s[0:1] offset:288
	global_store_dword v32, v24, s[0:1] offset:320
	global_store_dword v32, v25, s[0:1] offset:352
	global_store_dword v32, v22, s[0:1] offset:384
	global_store_dword v32, v23, s[0:1] offset:416
	global_store_dword v32, v20, s[0:1] offset:448
	global_store_dword v32, v21, s[0:1] offset:480
	global_store_dword v32, v18, s[0:1] offset:512
	global_store_dword v32, v19, s[0:1] offset:544
	global_store_dword v32, v16, s[0:1] offset:576
	global_store_dword v32, v17, s[0:1] offset:608
	global_store_dword v32, v14, s[0:1] offset:640
	global_store_dword v32, v15, s[0:1] offset:672
	global_store_dword v32, v12, s[0:1] offset:704
	global_store_dword v32, v13, s[0:1] offset:736
	global_store_dword v32, v10, s[0:1] offset:768
	global_store_dword v32, v11, s[0:1] offset:800
	global_store_dword v32, v8, s[0:1] offset:832
	global_store_dword v32, v9, s[0:1] offset:864
	global_store_dword v32, v6, s[0:1] offset:896
	global_store_dword v32, v7, s[0:1] offset:928
	global_store_dword v32, v30, s[0:1] offset:960
	global_store_dword v32, v31, s[0:1] offset:992
.LBB215_146:
	s_endpgm
.LBB215_147:
	ds_read_b32 v35, v33
	s_waitcnt lgkmcnt(0)
	v_add_f32_e32 v4, v4, v35
	s_or_b64 exec, exec, s[2:3]
	s_and_saveexec_b64 s[2:3], vcc
	s_cbranch_execz .LBB215_112
.LBB215_148:
	ds_read_b32 v35, v33 offset:32
	s_waitcnt lgkmcnt(0)
	v_add_f32_e32 v5, v5, v35
	s_or_b64 exec, exec, s[2:3]
	s_and_saveexec_b64 s[2:3], vcc
	s_cbranch_execz .LBB215_113
.LBB215_149:
	ds_read_b32 v35, v33 offset:64
	s_waitcnt lgkmcnt(0)
	v_add_f32_e32 v2, v2, v35
	s_or_b64 exec, exec, s[2:3]
	s_and_saveexec_b64 s[2:3], vcc
	s_cbranch_execz .LBB215_114
.LBB215_150:
	ds_read_b32 v35, v33 offset:96
	s_waitcnt lgkmcnt(0)
	v_add_f32_e32 v3, v3, v35
	s_or_b64 exec, exec, s[2:3]
	s_and_saveexec_b64 s[2:3], vcc
	s_cbranch_execz .LBB215_115
.LBB215_151:
	ds_read_b32 v35, v33 offset:128
	s_waitcnt lgkmcnt(0)
	v_add_f32_e32 v0, v0, v35
	s_or_b64 exec, exec, s[2:3]
	s_and_saveexec_b64 s[2:3], vcc
	s_cbranch_execz .LBB215_116
.LBB215_152:
	ds_read_b32 v35, v33 offset:160
	s_waitcnt lgkmcnt(0)
	v_add_f32_e32 v1, v1, v35
	s_or_b64 exec, exec, s[2:3]
	s_and_saveexec_b64 s[2:3], vcc
	s_cbranch_execz .LBB215_117
.LBB215_153:
	ds_read_b32 v35, v33 offset:192
	s_waitcnt lgkmcnt(0)
	v_add_f32_e32 v28, v28, v35
	s_or_b64 exec, exec, s[2:3]
	s_and_saveexec_b64 s[2:3], vcc
	s_cbranch_execz .LBB215_118
.LBB215_154:
	ds_read_b32 v35, v33 offset:224
	s_waitcnt lgkmcnt(0)
	v_add_f32_e32 v29, v29, v35
	s_or_b64 exec, exec, s[2:3]
	s_and_saveexec_b64 s[2:3], vcc
	s_cbranch_execz .LBB215_119
.LBB215_155:
	ds_read_b32 v35, v33 offset:256
	s_waitcnt lgkmcnt(0)
	v_add_f32_e32 v26, v26, v35
	s_or_b64 exec, exec, s[2:3]
	s_and_saveexec_b64 s[2:3], vcc
	s_cbranch_execz .LBB215_120
.LBB215_156:
	ds_read_b32 v35, v33 offset:288
	s_waitcnt lgkmcnt(0)
	v_add_f32_e32 v27, v27, v35
	s_or_b64 exec, exec, s[2:3]
	s_and_saveexec_b64 s[2:3], vcc
	s_cbranch_execz .LBB215_121
.LBB215_157:
	ds_read_b32 v35, v33 offset:320
	s_waitcnt lgkmcnt(0)
	v_add_f32_e32 v24, v24, v35
	s_or_b64 exec, exec, s[2:3]
	s_and_saveexec_b64 s[2:3], vcc
	s_cbranch_execz .LBB215_122
.LBB215_158:
	ds_read_b32 v35, v33 offset:352
	s_waitcnt lgkmcnt(0)
	v_add_f32_e32 v25, v25, v35
	s_or_b64 exec, exec, s[2:3]
	s_and_saveexec_b64 s[2:3], vcc
	s_cbranch_execz .LBB215_123
.LBB215_159:
	ds_read_b32 v35, v33 offset:384
	s_waitcnt lgkmcnt(0)
	v_add_f32_e32 v22, v22, v35
	s_or_b64 exec, exec, s[2:3]
	s_and_saveexec_b64 s[2:3], vcc
	s_cbranch_execz .LBB215_124
.LBB215_160:
	ds_read_b32 v35, v33 offset:416
	s_waitcnt lgkmcnt(0)
	v_add_f32_e32 v23, v23, v35
	s_or_b64 exec, exec, s[2:3]
	s_and_saveexec_b64 s[2:3], vcc
	s_cbranch_execz .LBB215_125
.LBB215_161:
	ds_read_b32 v35, v33 offset:448
	s_waitcnt lgkmcnt(0)
	v_add_f32_e32 v20, v20, v35
	s_or_b64 exec, exec, s[2:3]
	s_and_saveexec_b64 s[2:3], vcc
	s_cbranch_execz .LBB215_126
.LBB215_162:
	ds_read_b32 v35, v33 offset:480
	s_waitcnt lgkmcnt(0)
	v_add_f32_e32 v21, v21, v35
	s_or_b64 exec, exec, s[2:3]
	s_and_saveexec_b64 s[2:3], vcc
	s_cbranch_execz .LBB215_127
.LBB215_163:
	ds_read_b32 v35, v33 offset:512
	s_waitcnt lgkmcnt(0)
	v_add_f32_e32 v18, v18, v35
	s_or_b64 exec, exec, s[2:3]
	s_and_saveexec_b64 s[2:3], vcc
	s_cbranch_execz .LBB215_128
.LBB215_164:
	ds_read_b32 v35, v33 offset:544
	s_waitcnt lgkmcnt(0)
	v_add_f32_e32 v19, v19, v35
	s_or_b64 exec, exec, s[2:3]
	s_and_saveexec_b64 s[2:3], vcc
	s_cbranch_execz .LBB215_129
.LBB215_165:
	ds_read_b32 v35, v33 offset:576
	s_waitcnt lgkmcnt(0)
	v_add_f32_e32 v16, v16, v35
	s_or_b64 exec, exec, s[2:3]
	s_and_saveexec_b64 s[2:3], vcc
	s_cbranch_execz .LBB215_130
.LBB215_166:
	ds_read_b32 v35, v33 offset:608
	s_waitcnt lgkmcnt(0)
	v_add_f32_e32 v17, v17, v35
	s_or_b64 exec, exec, s[2:3]
	s_and_saveexec_b64 s[2:3], vcc
	s_cbranch_execz .LBB215_131
.LBB215_167:
	ds_read_b32 v35, v33 offset:640
	s_waitcnt lgkmcnt(0)
	v_add_f32_e32 v14, v14, v35
	s_or_b64 exec, exec, s[2:3]
	s_and_saveexec_b64 s[2:3], vcc
	s_cbranch_execz .LBB215_132
.LBB215_168:
	ds_read_b32 v35, v33 offset:672
	s_waitcnt lgkmcnt(0)
	v_add_f32_e32 v15, v15, v35
	s_or_b64 exec, exec, s[2:3]
	s_and_saveexec_b64 s[2:3], vcc
	s_cbranch_execz .LBB215_133
.LBB215_169:
	ds_read_b32 v35, v33 offset:704
	s_waitcnt lgkmcnt(0)
	v_add_f32_e32 v12, v12, v35
	s_or_b64 exec, exec, s[2:3]
	s_and_saveexec_b64 s[2:3], vcc
	s_cbranch_execz .LBB215_134
.LBB215_170:
	ds_read_b32 v35, v33 offset:736
	s_waitcnt lgkmcnt(0)
	v_add_f32_e32 v13, v13, v35
	s_or_b64 exec, exec, s[2:3]
	s_and_saveexec_b64 s[2:3], vcc
	s_cbranch_execz .LBB215_135
.LBB215_171:
	ds_read_b32 v35, v33 offset:768
	s_waitcnt lgkmcnt(0)
	v_add_f32_e32 v10, v10, v35
	s_or_b64 exec, exec, s[2:3]
	s_and_saveexec_b64 s[2:3], vcc
	s_cbranch_execz .LBB215_136
.LBB215_172:
	ds_read_b32 v35, v33 offset:800
	s_waitcnt lgkmcnt(0)
	v_add_f32_e32 v11, v11, v35
	s_or_b64 exec, exec, s[2:3]
	s_and_saveexec_b64 s[2:3], vcc
	s_cbranch_execz .LBB215_137
.LBB215_173:
	ds_read_b32 v35, v33 offset:832
	s_waitcnt lgkmcnt(0)
	v_add_f32_e32 v8, v8, v35
	s_or_b64 exec, exec, s[2:3]
	s_and_saveexec_b64 s[2:3], vcc
	s_cbranch_execz .LBB215_138
.LBB215_174:
	ds_read_b32 v35, v33 offset:864
	s_waitcnt lgkmcnt(0)
	v_add_f32_e32 v9, v9, v35
	s_or_b64 exec, exec, s[2:3]
	s_and_saveexec_b64 s[2:3], vcc
	s_cbranch_execz .LBB215_139
.LBB215_175:
	ds_read_b32 v35, v33 offset:896
	s_waitcnt lgkmcnt(0)
	v_add_f32_e32 v6, v6, v35
	s_or_b64 exec, exec, s[2:3]
	s_and_saveexec_b64 s[2:3], vcc
	s_cbranch_execz .LBB215_140
.LBB215_176:
	ds_read_b32 v35, v33 offset:928
	s_waitcnt lgkmcnt(0)
	v_add_f32_e32 v7, v7, v35
	s_or_b64 exec, exec, s[2:3]
	s_and_saveexec_b64 s[2:3], vcc
	s_cbranch_execz .LBB215_141
.LBB215_177:
	ds_read_b32 v35, v33 offset:960
	s_waitcnt lgkmcnt(0)
	v_add_f32_e32 v30, v30, v35
	s_or_b64 exec, exec, s[2:3]
	s_and_saveexec_b64 s[2:3], vcc
	s_cbranch_execnz .LBB215_142
	s_branch .LBB215_143
	.section	.rodata,"a",@progbits
	.p2align	6, 0x0
	.amdhsa_kernel _ZN4vllm25paged_attention_v1_kernelIfhLi256ELi32ELi128ELNS_18Fp8KVCacheDataTypeE1ELb0EEEvPT_PKS2_PKT0_S8_ifPKiSA_iPKfiiiSC_SC_iiiii
		.amdhsa_group_segment_fixed_size 1040
		.amdhsa_private_segment_fixed_size 292
		.amdhsa_kernarg_size 384
		.amdhsa_user_sgpr_count 2
		.amdhsa_user_sgpr_dispatch_ptr 0
		.amdhsa_user_sgpr_queue_ptr 0
		.amdhsa_user_sgpr_kernarg_segment_ptr 1
		.amdhsa_user_sgpr_dispatch_id 0
		.amdhsa_user_sgpr_kernarg_preload_length 0
		.amdhsa_user_sgpr_kernarg_preload_offset 0
		.amdhsa_user_sgpr_private_segment_size 0
		.amdhsa_uses_dynamic_stack 0
		.amdhsa_enable_private_segment 1
		.amdhsa_system_sgpr_workgroup_id_x 1
		.amdhsa_system_sgpr_workgroup_id_y 1
		.amdhsa_system_sgpr_workgroup_id_z 1
		.amdhsa_system_sgpr_workgroup_info 0
		.amdhsa_system_vgpr_workitem_id 0
		.amdhsa_next_free_vgpr 128
		.amdhsa_next_free_sgpr 54
		.amdhsa_accum_offset 128
		.amdhsa_reserve_vcc 1
		.amdhsa_float_round_mode_32 0
		.amdhsa_float_round_mode_16_64 0
		.amdhsa_float_denorm_mode_32 3
		.amdhsa_float_denorm_mode_16_64 3
		.amdhsa_dx10_clamp 1
		.amdhsa_ieee_mode 1
		.amdhsa_fp16_overflow 0
		.amdhsa_tg_split 0
		.amdhsa_exception_fp_ieee_invalid_op 0
		.amdhsa_exception_fp_denorm_src 0
		.amdhsa_exception_fp_ieee_div_zero 0
		.amdhsa_exception_fp_ieee_overflow 0
		.amdhsa_exception_fp_ieee_underflow 0
		.amdhsa_exception_fp_ieee_inexact 0
		.amdhsa_exception_int_div_zero 0
	.end_amdhsa_kernel
	.section	.text._ZN4vllm25paged_attention_v1_kernelIfhLi256ELi32ELi128ELNS_18Fp8KVCacheDataTypeE1ELb0EEEvPT_PKS2_PKT0_S8_ifPKiSA_iPKfiiiSC_SC_iiiii,"axG",@progbits,_ZN4vllm25paged_attention_v1_kernelIfhLi256ELi32ELi128ELNS_18Fp8KVCacheDataTypeE1ELb0EEEvPT_PKS2_PKT0_S8_ifPKiSA_iPKfiiiSC_SC_iiiii,comdat
.Lfunc_end215:
	.size	_ZN4vllm25paged_attention_v1_kernelIfhLi256ELi32ELi128ELNS_18Fp8KVCacheDataTypeE1ELb0EEEvPT_PKS2_PKT0_S8_ifPKiSA_iPKfiiiSC_SC_iiiii, .Lfunc_end215-_ZN4vllm25paged_attention_v1_kernelIfhLi256ELi32ELi128ELNS_18Fp8KVCacheDataTypeE1ELb0EEEvPT_PKS2_PKT0_S8_ifPKiSA_iPKfiiiSC_SC_iiiii
                                        ; -- End function
	.set _ZN4vllm25paged_attention_v1_kernelIfhLi256ELi32ELi128ELNS_18Fp8KVCacheDataTypeE1ELb0EEEvPT_PKS2_PKT0_S8_ifPKiSA_iPKfiiiSC_SC_iiiii.num_vgpr, 128
	.set _ZN4vllm25paged_attention_v1_kernelIfhLi256ELi32ELi128ELNS_18Fp8KVCacheDataTypeE1ELb0EEEvPT_PKS2_PKT0_S8_ifPKiSA_iPKfiiiSC_SC_iiiii.num_agpr, 0
	.set _ZN4vllm25paged_attention_v1_kernelIfhLi256ELi32ELi128ELNS_18Fp8KVCacheDataTypeE1ELb0EEEvPT_PKS2_PKT0_S8_ifPKiSA_iPKfiiiSC_SC_iiiii.numbered_sgpr, 54
	.set _ZN4vllm25paged_attention_v1_kernelIfhLi256ELi32ELi128ELNS_18Fp8KVCacheDataTypeE1ELb0EEEvPT_PKS2_PKT0_S8_ifPKiSA_iPKfiiiSC_SC_iiiii.num_named_barrier, 0
	.set _ZN4vllm25paged_attention_v1_kernelIfhLi256ELi32ELi128ELNS_18Fp8KVCacheDataTypeE1ELb0EEEvPT_PKS2_PKT0_S8_ifPKiSA_iPKfiiiSC_SC_iiiii.private_seg_size, 292
	.set _ZN4vllm25paged_attention_v1_kernelIfhLi256ELi32ELi128ELNS_18Fp8KVCacheDataTypeE1ELb0EEEvPT_PKS2_PKT0_S8_ifPKiSA_iPKfiiiSC_SC_iiiii.uses_vcc, 1
	.set _ZN4vllm25paged_attention_v1_kernelIfhLi256ELi32ELi128ELNS_18Fp8KVCacheDataTypeE1ELb0EEEvPT_PKS2_PKT0_S8_ifPKiSA_iPKfiiiSC_SC_iiiii.uses_flat_scratch, 0
	.set _ZN4vllm25paged_attention_v1_kernelIfhLi256ELi32ELi128ELNS_18Fp8KVCacheDataTypeE1ELb0EEEvPT_PKS2_PKT0_S8_ifPKiSA_iPKfiiiSC_SC_iiiii.has_dyn_sized_stack, 0
	.set _ZN4vllm25paged_attention_v1_kernelIfhLi256ELi32ELi128ELNS_18Fp8KVCacheDataTypeE1ELb0EEEvPT_PKS2_PKT0_S8_ifPKiSA_iPKfiiiSC_SC_iiiii.has_recursion, 0
	.set _ZN4vllm25paged_attention_v1_kernelIfhLi256ELi32ELi128ELNS_18Fp8KVCacheDataTypeE1ELb0EEEvPT_PKS2_PKT0_S8_ifPKiSA_iPKfiiiSC_SC_iiiii.has_indirect_call, 0
	.section	.AMDGPU.csdata,"",@progbits
; Kernel info:
; codeLenInByte = 14680
; TotalNumSgprs: 60
; NumVgprs: 128
; NumAgprs: 0
; TotalNumVgprs: 128
; ScratchSize: 292
; MemoryBound: 0
; FloatMode: 240
; IeeeMode: 1
; LDSByteSize: 1040 bytes/workgroup (compile time only)
; SGPRBlocks: 7
; VGPRBlocks: 15
; NumSGPRsForWavesPerEU: 60
; NumVGPRsForWavesPerEU: 128
; AccumOffset: 128
; Occupancy: 4
; WaveLimiterHint : 1
; COMPUTE_PGM_RSRC2:SCRATCH_EN: 1
; COMPUTE_PGM_RSRC2:USER_SGPR: 2
; COMPUTE_PGM_RSRC2:TRAP_HANDLER: 0
; COMPUTE_PGM_RSRC2:TGID_X_EN: 1
; COMPUTE_PGM_RSRC2:TGID_Y_EN: 1
; COMPUTE_PGM_RSRC2:TGID_Z_EN: 1
; COMPUTE_PGM_RSRC2:TIDIG_COMP_CNT: 0
; COMPUTE_PGM_RSRC3_GFX90A:ACCUM_OFFSET: 31
; COMPUTE_PGM_RSRC3_GFX90A:TG_SPLIT: 0
	.section	.text._ZN4vllm25paged_attention_v1_kernelIthLi32ELi8ELi128ELNS_18Fp8KVCacheDataTypeE1ELb1EEEvPT_PKS2_PKT0_S8_ifPKiSA_iPKfiiiSC_SC_iiiii,"axG",@progbits,_ZN4vllm25paged_attention_v1_kernelIthLi32ELi8ELi128ELNS_18Fp8KVCacheDataTypeE1ELb1EEEvPT_PKS2_PKT0_S8_ifPKiSA_iPKfiiiSC_SC_iiiii,comdat
	.protected	_ZN4vllm25paged_attention_v1_kernelIthLi32ELi8ELi128ELNS_18Fp8KVCacheDataTypeE1ELb1EEEvPT_PKS2_PKT0_S8_ifPKiSA_iPKfiiiSC_SC_iiiii ; -- Begin function _ZN4vllm25paged_attention_v1_kernelIthLi32ELi8ELi128ELNS_18Fp8KVCacheDataTypeE1ELb1EEEvPT_PKS2_PKT0_S8_ifPKiSA_iPKfiiiSC_SC_iiiii
	.globl	_ZN4vllm25paged_attention_v1_kernelIthLi32ELi8ELi128ELNS_18Fp8KVCacheDataTypeE1ELb1EEEvPT_PKS2_PKT0_S8_ifPKiSA_iPKfiiiSC_SC_iiiii
	.p2align	8
	.type	_ZN4vllm25paged_attention_v1_kernelIthLi32ELi8ELi128ELNS_18Fp8KVCacheDataTypeE1ELb1EEEvPT_PKS2_PKT0_S8_ifPKiSA_iPKfiiiSC_SC_iiiii,@function
_ZN4vllm25paged_attention_v1_kernelIthLi32ELi8ELi128ELNS_18Fp8KVCacheDataTypeE1ELb1EEEvPT_PKS2_PKT0_S8_ifPKiSA_iPKfiiiSC_SC_iiiii: ; @_ZN4vllm25paged_attention_v1_kernelIthLi32ELi8ELi128ELNS_18Fp8KVCacheDataTypeE1ELb1EEEvPT_PKS2_PKT0_S8_ifPKiSA_iPKfiiiSC_SC_iiiii
; %bb.0:
	s_load_dword s5, s[0:1], 0x80
	s_load_dwordx2 s[6:7], s[0:1], 0x30
	s_load_dwordx2 s[36:37], s[0:1], 0x20
	s_mov_b32 s10, s3
	s_ashr_i32 s11, s3, 31
	s_lshl_b64 s[8:9], s[10:11], 2
	s_waitcnt lgkmcnt(0)
	s_add_u32 s6, s6, s8
	s_addc_u32 s7, s7, s9
	s_abs_i32 s3, s36
	v_cvt_f32_u32_e32 v1, s3
	s_sub_i32 s11, 0, s3
	s_abs_i32 s9, s5
	s_xor_b32 s8, s5, s36
	v_rcp_iflag_f32_e32 v1, v1
	s_ashr_i32 s8, s8, 31
	s_mov_b32 s45, 0
	v_mul_f32_e32 v1, 0x4f7ffffe, v1
	v_cvt_u32_f32_e32 v1, v1
	s_nop 0
	v_readfirstlane_b32 s12, v1
	s_mul_i32 s11, s11, s12
	s_mul_hi_u32 s11, s12, s11
	s_add_i32 s12, s12, s11
	s_mul_hi_u32 s11, s9, s12
	s_mul_i32 s12, s11, s3
	s_sub_i32 s9, s9, s12
	s_add_i32 s12, s11, 1
	s_sub_i32 s13, s9, s3
	s_cmp_ge_u32 s9, s3
	s_cselect_b32 s11, s12, s11
	s_cselect_b32 s9, s13, s9
	s_add_i32 s12, s11, 1
	s_cmp_ge_u32 s9, s3
	s_cselect_b32 s3, s12, s11
	s_xor_b32 s3, s3, s8
	s_sub_i32 s15, s3, s8
	s_abs_i32 s12, s15
	v_cvt_f32_u32_e32 v1, s12
	s_load_dwordx2 s[8:9], s[0:1], 0x40
	s_sub_i32 s3, 0, s12
	s_abs_i32 s13, s2
	v_rcp_iflag_f32_e32 v1, v1
	s_nop 0
	v_mul_f32_e32 v1, 0x4f7ffffe, v1
	v_cvt_u32_f32_e32 v1, v1
	s_nop 0
	v_readfirstlane_b32 s11, v1
	s_mul_i32 s3, s3, s11
	s_mul_hi_u32 s3, s11, s3
	s_add_i32 s11, s11, s3
	s_waitcnt lgkmcnt(0)
	s_cmp_eq_u64 s[8:9], 0
	s_mul_hi_u32 s14, s13, s11
	s_cbranch_scc1 .LBB216_2
; %bb.1:
	s_ashr_i32 s3, s2, 31
	s_lshl_b64 s[16:17], s[2:3], 2
	s_add_u32 s8, s8, s16
	s_addc_u32 s9, s9, s17
	s_load_dword s45, s[8:9], 0x0
.LBB216_2:
	s_load_dword s11, s[6:7], 0x0
	s_load_dwordx4 s[16:19], s[0:1], 0x48
	s_ashr_i32 s3, s2, 31
	s_ashr_i32 s9, s15, 31
	v_and_b32_e32 v4, 7, v0
	s_lshl_b32 s24, s2, 5
	v_cmp_gt_u32_e32 vcc, 32, v0
	s_and_saveexec_b64 s[6:7], vcc
	s_cbranch_execz .LBB216_4
; %bb.3:
	s_load_dwordx2 s[20:21], s[0:1], 0x8
	s_waitcnt lgkmcnt(0)
	s_mul_i32 s22, s16, s10
	s_ashr_i32 s23, s22, 31
	s_lshl_b64 s[22:23], s[22:23], 1
	v_lshlrev_b32_e32 v1, 1, v0
	s_add_u32 s8, s20, s22
	s_addc_u32 s15, s21, s23
	s_ashr_i32 s25, s24, 31
	s_lshl_b64 s[20:21], s[24:25], 1
	s_add_u32 s20, s8, s20
	s_addc_u32 s21, s15, s21
	global_load_ushort v1, v1, s[20:21]
	v_lshrrev_b32_e32 v2, 2, v0
	v_and_b32_e32 v2, 0xfe, v2
	v_lshl_add_u32 v2, v4, 3, v2
	s_waitcnt vmcnt(0)
	ds_write_b16 v2, v1
.LBB216_4:
	s_or_b64 exec, exec, s[6:7]
	s_mul_i32 s6, s14, s12
	s_sub_i32 s6, s13, s6
	s_xor_b32 s3, s3, s9
	s_add_i32 s7, s14, 1
	s_sub_i32 s9, s6, s12
	s_load_dwordx4 s[20:23], s[0:1], 0x68
	s_load_dword s8, s[0:1], 0x78
	s_cmp_ge_u32 s6, s12
	s_cselect_b32 s7, s7, s14
	s_cselect_b32 s6, s9, s6
	s_add_i32 s9, s7, 1
	s_cmp_ge_u32 s6, s12
	s_cselect_b32 s6, s9, s7
	s_waitcnt lgkmcnt(0)
	s_abs_i32 s33, s23
	v_cvt_f32_u32_e32 v1, s33
	s_xor_b32 s6, s6, s3
	s_sub_i32 s3, s6, s3
	s_sub_i32 s6, 0, s33
	v_rcp_iflag_f32_e32 v1, v1
	s_add_i32 s12, s11, -1
	s_abs_i32 s9, s12
	v_mul_f32_e32 v1, 0x4f7ffffe, v1
	v_cvt_u32_f32_e32 v1, v1
	s_barrier
	v_readfirstlane_b32 s42, v1
	s_mul_i32 s6, s6, s42
	s_mul_hi_u32 s6, s42, s6
	s_add_i32 s42, s42, s6
	s_cmp_lt_i32 s8, 0
	s_mul_hi_u32 s16, s9, s42
	s_cbranch_scc0 .LBB216_6
; %bb.5:
	s_mul_i32 s6, s20, s36
	s_add_i32 s6, s3, s6
	s_mul_i32 s6, s6, s8
	s_sub_i32 s36, 1, s6
	s_mov_b64 s[6:7], 0
	s_branch .LBB216_7
.LBB216_6:
	s_mov_b64 s[6:7], -1
                                        ; implicit-def: $sgpr36
.LBB216_7:
	s_load_dwordx2 s[28:29], s[0:1], 0x28
	s_ashr_i32 s19, s12, 31
	s_andn2_b64 vcc, exec, s[6:7]
	s_ashr_i32 s43, s23, 31
	s_cbranch_vccnz .LBB216_9
; %bb.8:
	s_mul_i32 s6, s5, s20
	s_add_i32 s2, s6, s2
	s_mul_i32 s2, s2, s8
	s_add_i32 s36, s2, 1
.LBB216_9:
	s_load_dword s2, s[0:1], 0x38
	s_load_dwordx2 s[26:27], s[0:1], 0x0
	s_load_dwordx2 s[34:35], s[0:1], 0x18
	s_load_dword s25, s[0:1], 0x88
	s_load_dwordx4 s[12:15], s[0:1], 0x58
	s_mul_i32 s6, s16, s33
	s_waitcnt lgkmcnt(0)
	s_mul_i32 s30, s2, s10
	s_sub_i32 s6, s9, s6
	s_ashr_i32 s31, s30, 31
	s_xor_b32 s2, s19, s43
	s_add_i32 s7, s16, 1
	s_sub_i32 s8, s6, s33
	s_cmp_ge_u32 s6, s33
	s_cselect_b32 s7, s7, s16
	s_cselect_b32 s6, s8, s6
	s_add_i32 s8, s7, 1
	s_cmp_ge_u32 s6, s33
	s_cselect_b32 s6, s8, s7
	s_xor_b32 s6, s6, s2
	s_sub_i32 s16, s6, s2
	s_add_i32 s2, s11, 7
	s_ashr_i32 s6, s2, 31
	s_lshr_b32 s6, s6, 29
	s_add_i32 s2, s2, s6
	s_ashr_i32 s44, s2, 3
	v_lshrrev_b32_e32 v18, 6, v0
	v_cmp_gt_i32_e64 s[6:7], s44, v18
	v_mov_b32_e32 v2, 0xff7fffff
	s_mul_i32 s20, s3, s18
	v_lshrrev_b32_e32 v1, 4, v0
	v_lshlrev_b32_e32 v19, 3, v18
	v_mbcnt_lo_u32_b32 v8, -1, 0
	s_and_saveexec_b64 s[18:19], s[6:7]
	s_cbranch_execz .LBB216_21
; %bb.10:
	s_load_dwordx2 s[0:1], s[0:1], 0x10
	s_sub_i32 s23, s16, s21
	s_ashr_i32 s2, s20, 31
	v_bfe_u32 v9, v0, 3, 3
	v_mov_b32_e32 v3, 0
	s_waitcnt lgkmcnt(0)
	s_add_u32 s0, s0, s20
	s_addc_u32 s1, s1, s2
	s_abs_i32 s46, s22
	v_cvt_f32_u32_e32 v2, s46
	v_cmp_eq_u32_e32 vcc, 0, v4
	v_lshlrev_b32_e32 v10, 3, v4
	v_mbcnt_hi_u32_b32 v16, -1, v8
	v_rcp_iflag_f32_e32 v5, v2
	v_lshlrev_b32_e32 v2, 4, v9
	v_lshl_add_u64 v[6:7], s[0:1], 0, v[2:3]
	s_sub_i32 s0, 0, s46
	v_mul_f32_e32 v5, 0x4f7ffffe, v5
	v_cvt_u32_f32_e32 v11, v5
	v_mov_b32_e32 v5, v3
	v_lshl_add_u64 v[4:5], v[6:7], 0, v[4:5]
	s_mov_b32 s47, s17
	v_mul_lo_u32 v2, s0, v11
	s_lshl_b64 s[0:1], s[30:31], 2
	v_mul_hi_u32 v2, v11, v2
	s_add_u32 s0, s28, s0
	v_add_u32_e32 v11, v11, v2
	v_and_b32_e32 v2, 60, v1
	s_addc_u32 s1, s29, s1
	v_lshl_add_u64 v[6:7], s[0:1], 0, v[2:3]
	v_subrev_u32_e32 v2, s11, v9
	v_add_u32_e32 v13, 1, v2
	v_lshlrev_b32_e32 v2, 2, v9
	v_lshl_or_b32 v2, v18, 5, v2
	v_add_u32_e32 v14, 0x50, v2
	v_and_b32_e32 v2, 64, v16
	v_cmp_neq_f32_e64 s[2:3], s45, 0
	v_lshlrev_b32_e32 v12, 3, v18
	v_mov_b32_e32 v15, 0xff7fffff
	s_mov_b64 s[38:39], 0
	v_add_u32_e32 v17, 64, v2
	v_xor_b32_e32 v20, 4, v16
	v_xor_b32_e32 v21, 2, v16
	;; [unrolled: 1-line block ×3, first 2 shown]
	v_mov_b32_e32 v2, 0xff7fffff
	v_mov_b32_e32 v23, v18
	s_branch .LBB216_13
.LBB216_11:                             ;   in Loop: Header=BB216_13 Depth=1
	s_or_b64 exec, exec, s[40:41]
.LBB216_12:                             ;   in Loop: Header=BB216_13 Depth=1
	s_or_b64 exec, exec, s[8:9]
	v_add_u32_e32 v23, 2, v23
	v_cmp_le_i32_e64 s[0:1], s44, v23
	v_lshl_add_u64 v[6:7], v[6:7], 0, 8
	v_add_u32_e32 v12, 16, v12
	s_or_b64 s[38:39], s[0:1], s[38:39]
	v_add_u32_e32 v14, 64, v14
	s_andn2_b64 exec, exec, s[38:39]
	s_cbranch_execz .LBB216_20
.LBB216_13:                             ; =>This Inner Loop Header: Depth=1
	v_mul_hi_u32 v24, v12, s42
	s_waitcnt lgkmcnt(0)
	v_mul_lo_u32 v25, v24, s33
	v_sub_u32_e32 v25, v12, v25
	v_add_u32_e32 v26, 1, v24
	v_cmp_le_u32_e64 s[0:1], s33, v25
	s_nop 1
	v_cndmask_b32_e64 v24, v24, v26, s[0:1]
	v_subrev_u32_e32 v26, s33, v25
	v_cndmask_b32_e64 v25, v25, v26, s[0:1]
	v_add_u32_e32 v26, 1, v24
	v_cmp_le_u32_e64 s[0:1], s33, v25
	s_nop 1
	v_cndmask_b32_e64 v24, v24, v26, s[0:1]
	v_xor_b32_e32 v24, s43, v24
	v_subrev_u32_e32 v24, s43, v24
	v_add_u32_e32 v25, s36, v24
	v_sub_u32_e32 v27, 0, v25
	v_ashrrev_i32_e32 v26, 31, v25
	v_max_i32_e32 v25, v25, v27
	v_mul_hi_u32 v27, v25, v11
	v_mul_lo_u32 v27, v27, s46
	v_sub_u32_e32 v25, v25, v27
	v_subrev_u32_e32 v27, s46, v25
	v_cmp_le_u32_e64 s[0:1], s46, v25
	v_cmp_ge_i32_e64 s[8:9], s23, v24
	s_nop 0
	v_cndmask_b32_e64 v25, v25, v27, s[0:1]
	v_subrev_u32_e32 v27, s46, v25
	v_cmp_le_u32_e64 s[0:1], s46, v25
	s_nop 1
	v_cndmask_b32_e64 v25, v25, v27, s[0:1]
	v_xor_b32_e32 v25, v25, v26
	v_sub_u32_e32 v25, v25, v26
	v_cmp_ne_u32_e64 s[0:1], 0, v25
	s_and_b64 s[0:1], s[0:1], s[8:9]
	s_and_saveexec_b64 s[8:9], s[0:1]
	s_xor_b64 s[0:1], exec, s[8:9]
	s_cbranch_execz .LBB216_17
; %bb.14:                               ;   in Loop: Header=BB216_13 Depth=1
	s_and_saveexec_b64 s[8:9], vcc
; %bb.15:                               ;   in Loop: Header=BB216_13 Depth=1
	ds_write_b32 v14, v15
; %bb.16:                               ;   in Loop: Header=BB216_13 Depth=1
	s_or_b64 exec, exec, s[8:9]
.LBB216_17:                             ;   in Loop: Header=BB216_13 Depth=1
	s_andn2_saveexec_b64 s[8:9], s[0:1]
	s_cbranch_execz .LBB216_12
; %bb.18:                               ;   in Loop: Header=BB216_13 Depth=1
	global_load_dword v24, v[6:7], off
	s_waitcnt vmcnt(0)
	v_mad_i64_i32 v[24:25], s[0:1], v24, s47, v[4:5]
	global_load_ubyte v26, v[24:25], off
	global_load_ubyte v27, v[24:25], off offset:8
	global_load_dword v28, v3, s[12:13]
	global_load_ubyte v29, v[24:25], off offset:128
	global_load_ubyte v30, v[24:25], off offset:136
	ds_read_u16 v31, v10
	v_cmp_lt_i32_e64 s[0:1], v20, v17
	s_waitcnt vmcnt(4)
	v_cvt_f32_fp8_e32 v24, v26
	s_waitcnt vmcnt(3)
	v_cvt_f32_fp8_e32 v27, v27
	s_waitcnt lgkmcnt(0)
	;;#ASMSTART
	v_cvt_f32_f16 v26, v31;
	;;#ASMEND
	s_waitcnt vmcnt(1)
	v_cvt_f32_fp8_e32 v29, v29
	v_fma_mixlo_f16 v24, v28, v24, 0
	s_waitcnt vmcnt(0)
	v_cvt_f32_fp8_e32 v30, v30
	v_and_b32_e32 v24, 0xffff, v24
	v_fma_mixlo_f16 v27, v28, v27, 0
	;;#ASMSTART
	v_cvt_f32_f16 v24, v24;
	;;#ASMEND
	ds_read_u16 v31, v10 offset:2
	v_and_b32_e32 v32, 0xffff, v27
	s_waitcnt lgkmcnt(0)
	;;#ASMSTART
	v_cvt_f32_f16 v27, v31;
	;;#ASMEND
	;;#ASMSTART
	v_cvt_f32_f16 v31, v32;
	;;#ASMEND
	v_fma_mixlo_f16 v29, v28, v29, 0
	v_mul_f32_e32 v27, v27, v31
	v_fma_mixlo_f16 v28, v28, v30, 0
	v_and_b32_e32 v30, 0xffff, v29
	v_fmac_f32_e32 v27, v26, v24
	v_cndmask_b32_e64 v25, v16, v20, s[0:1]
	ds_read_u16 v32, v10 offset:4
	s_waitcnt lgkmcnt(0)
	;;#ASMSTART
	v_cvt_f32_f16 v29, v32;
	;;#ASMEND
	;;#ASMSTART
	v_cvt_f32_f16 v30, v30;
	;;#ASMEND
	v_lshlrev_b32_e32 v25, 2, v25
	v_fmac_f32_e32 v27, v29, v30
	ds_read_u16 v32, v10 offset:6
	v_and_b32_e32 v28, 0xffff, v28
	s_waitcnt lgkmcnt(0)
	;;#ASMSTART
	v_cvt_f32_f16 v24, v32;
	;;#ASMEND
	;;#ASMSTART
	v_cvt_f32_f16 v26, v28;
	;;#ASMEND
	v_cmp_lt_i32_e64 s[0:1], v21, v17
	v_fmac_f32_e32 v27, v24, v26
	ds_bpermute_b32 v24, v25, v27
	v_cndmask_b32_e64 v25, v16, v21, s[0:1]
	v_lshlrev_b32_e32 v25, 2, v25
	v_cmp_lt_i32_e64 s[0:1], v22, v17
	s_waitcnt lgkmcnt(0)
	v_add_f32_e32 v24, v27, v24
	ds_bpermute_b32 v25, v25, v24
	v_cndmask_b32_e64 v26, v16, v22, s[0:1]
	s_waitcnt lgkmcnt(0)
	v_add_f32_e32 v24, v24, v25
	v_lshlrev_b32_e32 v25, 2, v26
	ds_bpermute_b32 v25, v25, v24
	s_and_saveexec_b64 s[40:41], vcc
	s_cbranch_execz .LBB216_11
; %bb.19:                               ;   in Loop: Header=BB216_13 Depth=1
	v_add_u32_e32 v26, v13, v12
	v_cvt_f32_i32_e32 v26, v26
	s_waitcnt lgkmcnt(0)
	v_add_f32_e32 v24, v24, v25
	v_add_u32_e32 v27, v9, v12
	v_cmp_gt_i32_e64 s[0:1], s11, v27
	v_mul_f32_e32 v25, s45, v26
	v_cndmask_b32_e64 v25, 0, v25, s[2:3]
	v_fmac_f32_e32 v25, s37, v24
	v_cndmask_b32_e64 v24, 0, v25, s[0:1]
	ds_write_b32 v14, v24
	v_max_f32_e32 v24, v2, v2
	v_max_f32_e32 v24, v24, v25
	v_cndmask_b32_e64 v2, v2, v24, s[0:1]
	s_branch .LBB216_11
.LBB216_20:
	s_or_b64 exec, exec, s[38:39]
.LBB216_21:
	s_or_b64 exec, exec, s[18:19]
	v_mbcnt_hi_u32_b32 v3, -1, v8
	v_and_b32_e32 v10, 64, v3
	v_add_u32_e32 v4, 64, v10
	v_xor_b32_e32 v5, 32, v3
	v_cmp_lt_i32_e32 vcc, v5, v4
	v_xor_b32_e32 v7, 16, v3
	v_xor_b32_e32 v8, 8, v3
	v_cndmask_b32_e32 v5, v3, v5, vcc
	v_lshlrev_b32_e32 v5, 2, v5
	ds_bpermute_b32 v6, v5, v2
	v_max_f32_e32 v2, v2, v2
	v_cmp_lt_i32_e32 vcc, v7, v4
	v_and_b32_e32 v20, 63, v0
	s_waitcnt lgkmcnt(0)
	v_max_f32_e32 v6, v6, v6
	v_max_f32_e32 v2, v2, v6
	v_cndmask_b32_e32 v6, v3, v7, vcc
	v_lshlrev_b32_e32 v7, 2, v6
	ds_bpermute_b32 v6, v7, v2
	v_cmp_lt_i32_e32 vcc, v8, v4
	s_waitcnt lgkmcnt(0)
	v_max_f32_e32 v6, v6, v6
	v_max_f32_e32 v6, v2, v6
	v_cndmask_b32_e32 v2, v3, v8, vcc
	v_lshlrev_b32_e32 v9, 2, v2
	ds_bpermute_b32 v8, v9, v6
	v_cmp_eq_u32_e32 vcc, 0, v20
	v_lshlrev_b32_e32 v2, 2, v18
	s_and_saveexec_b64 s[0:1], vcc
	s_cbranch_execz .LBB216_23
; %bb.22:
	s_waitcnt lgkmcnt(0)
	v_max_f32_e32 v8, v8, v8
	v_max_f32_e32 v6, v6, v6
	;; [unrolled: 1-line block ×3, first 2 shown]
	ds_write_b32 v2, v6 offset:64
.LBB216_23:
	s_or_b64 exec, exec, s[0:1]
	v_cmp_gt_u32_e64 s[0:1], 2, v20
	v_mov_b32_e32 v11, 0xff7fffff
	v_lshlrev_b32_e32 v6, 2, v20
	s_waitcnt lgkmcnt(0)
	s_barrier
	s_and_saveexec_b64 s[2:3], s[0:1]
; %bb.24:
	ds_read_b32 v11, v6 offset:64
; %bb.25:
	s_or_b64 exec, exec, s[2:3]
	v_xor_b32_e32 v8, 1, v3
	v_cmp_lt_i32_e64 s[2:3], v8, v4
	v_lshlrev_b32_e32 v10, 2, v10
	s_nop 0
	v_cndmask_b32_e64 v8, v3, v8, s[2:3]
	v_lshlrev_b32_e32 v8, 2, v8
	s_waitcnt lgkmcnt(0)
	ds_bpermute_b32 v12, v8, v11
	v_max_f32_e32 v11, v11, v11
	s_lshl_b32 s2, s44, 3
	s_min_i32 s23, s2, s11
	v_cmp_gt_i32_e64 s[2:3], s23, v0
	s_waitcnt lgkmcnt(0)
	v_max_f32_e32 v12, v12, v12
	v_max_f32_e32 v11, v11, v12
	ds_bpermute_b32 v11, v10, v11
	v_mov_b32_e32 v10, 0
	s_and_saveexec_b64 s[12:13], s[2:3]
	s_cbranch_execz .LBB216_29
; %bb.26:
	v_mov_b32_e32 v10, 0x50
	v_lshl_add_u32 v12, v0, 2, v10
	v_mov_b32_e32 v10, 0
	s_mov_b64 s[18:19], 0
	v_mov_b32_e32 v13, v0
.LBB216_27:                             ; =>This Inner Loop Header: Depth=1
	ds_read_b32 v14, v12
	v_add_u32_e32 v13, 0x80, v13
	v_cmp_le_i32_e64 s[8:9], s23, v13
	s_or_b64 s[18:19], s[8:9], s[18:19]
	s_waitcnt lgkmcnt(0)
	v_sub_f32_e32 v14, v14, v11
	v_mul_f32_e32 v14, 0x3fb8aa3b, v14
	v_exp_f32_e32 v14, v14
	ds_write_b32 v12, v14
	v_add_f32_e32 v10, v10, v14
	v_add_u32_e32 v12, 0x200, v12
	s_andn2_b64 exec, exec, s[18:19]
	s_cbranch_execnz .LBB216_27
; %bb.28:
	s_or_b64 exec, exec, s[18:19]
.LBB216_29:
	s_or_b64 exec, exec, s[12:13]
	ds_bpermute_b32 v5, v5, v10
	s_waitcnt lgkmcnt(0)
	v_add_f32_e32 v5, v10, v5
	ds_bpermute_b32 v7, v7, v5
	s_waitcnt lgkmcnt(0)
	v_add_f32_e32 v5, v5, v7
	ds_bpermute_b32 v7, v9, v5
	v_xor_b32_e32 v9, 4, v3
	v_cmp_lt_i32_e64 s[8:9], v9, v4
	s_waitcnt lgkmcnt(0)
	v_add_f32_e32 v5, v5, v7
	v_cndmask_b32_e64 v9, v3, v9, s[8:9]
	v_lshlrev_b32_e32 v9, 2, v9
	ds_bpermute_b32 v7, v9, v5
	v_xor_b32_e32 v9, 2, v3
	v_cmp_lt_i32_e64 s[8:9], v9, v4
	s_waitcnt lgkmcnt(0)
	v_add_f32_e32 v5, v5, v7
	v_cndmask_b32_e64 v4, v3, v9, s[8:9]
	v_lshlrev_b32_e32 v4, 2, v4
	ds_bpermute_b32 v4, v4, v5
	s_waitcnt lgkmcnt(0)
	v_add_f32_e32 v4, v5, v4
	ds_bpermute_b32 v5, v8, v4
	s_waitcnt lgkmcnt(0)
	v_add_f32_e32 v4, v4, v5
	s_and_saveexec_b64 s[8:9], vcc
; %bb.30:
	ds_write_b32 v2, v4 offset:72
; %bb.31:
	s_or_b64 exec, exec, s[8:9]
	s_waitcnt lgkmcnt(0)
	s_barrier
	s_and_saveexec_b64 s[8:9], s[0:1]
; %bb.32:
	ds_read_b32 v4, v6 offset:72
; %bb.33:
	s_or_b64 exec, exec, s[8:9]
	s_waitcnt lgkmcnt(0)
	ds_bpermute_b32 v2, v8, v4
	v_lshlrev_b32_e32 v3, 2, v3
	v_and_b32_e32 v3, 0x100, v3
	s_waitcnt lgkmcnt(0)
	v_add_f32_e32 v2, v4, v2
	ds_bpermute_b32 v2, v3, v2
	s_and_saveexec_b64 s[0:1], s[2:3]
	s_cbranch_execz .LBB216_46
; %bb.34:
	s_waitcnt lgkmcnt(0)
	v_add_f32_e32 v2, 0x358637bd, v2
	v_div_scale_f32 v3, s[2:3], v2, v2, 1.0
	v_rcp_f32_e32 v4, v3
	v_div_scale_f32 v5, vcc, 1.0, v2, 1.0
	s_movk_i32 s2, 0x7f
	v_fma_f32 v6, -v3, v4, 1.0
	v_fmac_f32_e32 v4, v6, v4
	v_mul_f32_e32 v6, v5, v4
	v_fma_f32 v7, -v3, v6, v5
	v_fmac_f32_e32 v6, v7, v4
	v_fma_f32 v3, -v3, v6, v5
	v_div_fmas_f32 v3, v3, v4, v6
	v_xad_u32 v4, v0, -1, s23
	v_div_fixup_f32 v2, v3, v2, 1.0
	v_cmp_lt_u32_e32 vcc, s2, v4
	s_mov_b64 s[8:9], -1
	v_mov_b32_e32 v3, v0
	s_and_saveexec_b64 s[2:3], vcc
	s_cbranch_execz .LBB216_43
; %bb.35:
	v_lshrrev_b32_e32 v4, 7, v4
	v_add_u32_e32 v6, -1, v4
	v_lshrrev_b32_e32 v5, 1, v6
	v_mov_b32_e32 v3, v2
	v_add_u32_e32 v5, 1, v5
	v_cmp_lt_u32_e32 vcc, 13, v6
	v_mov_b32_e32 v8, 0
	s_and_saveexec_b64 s[8:9], vcc
	s_cbranch_execz .LBB216_39
; %bb.36:
	v_mov_b32_e32 v7, 0x50
	v_and_b32_e32 v6, -8, v5
	v_lshl_add_u32 v7, v0, 2, v7
	s_mov_b32 s18, 0
	s_mov_b64 s[12:13], 0
.LBB216_37:                             ; =>This Inner Loop Header: Depth=1
	ds_read2st64_b32 v[8:9], v7 offset1:2
	ds_read2st64_b32 v[10:11], v7 offset0:4 offset1:6
	ds_read2st64_b32 v[12:13], v7 offset0:8 offset1:10
	;; [unrolled: 1-line block ×3, first 2 shown]
	v_add_u32_e32 v6, -8, v6
	s_waitcnt lgkmcnt(3)
	v_pk_mul_f32 v[8:9], v[2:3], v[8:9]
	s_waitcnt lgkmcnt(2)
	v_pk_mul_f32 v[10:11], v[2:3], v[10:11]
	ds_write2st64_b32 v7, v8, v9 offset1:2
	ds_write2st64_b32 v7, v10, v11 offset0:4 offset1:6
	ds_read2st64_b32 v[10:11], v7 offset0:16 offset1:18
	s_waitcnt lgkmcnt(4)
	v_pk_mul_f32 v[8:9], v[2:3], v[12:13]
	ds_write2st64_b32 v7, v8, v9 offset0:8 offset1:10
	s_waitcnt lgkmcnt(4)
	v_pk_mul_f32 v[8:9], v[2:3], v[14:15]
	ds_write2st64_b32 v7, v8, v9 offset0:12 offset1:14
	ds_read2st64_b32 v[8:9], v7 offset0:20 offset1:22
	s_waitcnt lgkmcnt(3)
	v_pk_mul_f32 v[10:11], v[2:3], v[10:11]
	ds_read2st64_b32 v[12:13], v7 offset0:24 offset1:26
	ds_write2st64_b32 v7, v10, v11 offset0:16 offset1:18
	ds_read2st64_b32 v[10:11], v7 offset0:28 offset1:30
	s_waitcnt lgkmcnt(3)
	v_pk_mul_f32 v[8:9], v[2:3], v[8:9]
	ds_write2st64_b32 v7, v8, v9 offset0:20 offset1:22
	s_waitcnt lgkmcnt(3)
	v_pk_mul_f32 v[8:9], v[2:3], v[12:13]
	ds_write2st64_b32 v7, v8, v9 offset0:24 offset1:26
	s_waitcnt lgkmcnt(2)
	v_pk_mul_f32 v[8:9], v[2:3], v[10:11]
	s_add_i32 s18, s18, 16
	v_cmp_eq_u32_e32 vcc, 0, v6
	ds_write2st64_b32 v7, v8, v9 offset0:28 offset1:30
	v_add_u32_e32 v7, 0x2000, v7
	s_or_b64 s[12:13], vcc, s[12:13]
	v_mov_b32_e32 v8, s18
	s_andn2_b64 exec, exec, s[12:13]
	s_cbranch_execnz .LBB216_37
; %bb.38:
	s_or_b64 exec, exec, s[12:13]
.LBB216_39:
	s_or_b64 exec, exec, s[8:9]
	v_and_b32_e32 v5, 7, v5
	v_cmp_ne_u32_e32 vcc, 0, v5
	s_and_saveexec_b64 s[8:9], vcc
	s_cbranch_execz .LBB216_42
; %bb.40:
	v_lshlrev_b32_e32 v6, 9, v8
	v_lshlrev_b32_e32 v7, 2, v0
	s_movk_i32 s12, 0x50
	v_add3_u32 v6, v6, v7, s12
	s_mov_b64 s[12:13], 0
.LBB216_41:                             ; =>This Inner Loop Header: Depth=1
	ds_read2st64_b32 v[8:9], v6 offset1:2
	v_add_u32_e32 v5, -1, v5
	v_cmp_eq_u32_e32 vcc, 0, v5
	s_or_b64 s[12:13], vcc, s[12:13]
	s_waitcnt lgkmcnt(0)
	v_pk_mul_f32 v[8:9], v[2:3], v[8:9]
	ds_write2st64_b32 v6, v8, v9 offset1:2
	v_add_u32_e32 v6, 0x400, v6
	s_andn2_b64 exec, exec, s[12:13]
	s_cbranch_execnz .LBB216_41
.LBB216_42:
	s_or_b64 exec, exec, s[8:9]
	v_add_u32_e32 v4, 1, v4
	v_and_b32_e32 v5, 0x3fffffe, v4
	v_cmp_ne_u32_e32 vcc, v4, v5
	v_lshl_add_u32 v3, v5, 7, v0
	s_orn2_b64 s[8:9], vcc, exec
.LBB216_43:
	s_or_b64 exec, exec, s[2:3]
	s_and_b64 exec, exec, s[8:9]
	s_cbranch_execz .LBB216_46
; %bb.44:
	v_mov_b32_e32 v4, 0x50
	v_lshl_add_u32 v4, v3, 2, v4
	s_mov_b64 s[2:3], 0
.LBB216_45:                             ; =>This Inner Loop Header: Depth=1
	ds_read_b32 v5, v4
	v_add_u32_e32 v3, 0x80, v3
	v_cmp_le_i32_e32 vcc, s23, v3
	s_or_b64 s[2:3], vcc, s[2:3]
	s_waitcnt lgkmcnt(0)
	v_mul_f32_e32 v5, v2, v5
	ds_write_b32 v4, v5
	v_add_u32_e32 v4, 0x200, v4
	s_andn2_b64 exec, exec, s[2:3]
	s_cbranch_execnz .LBB216_45
.LBB216_46:
	s_or_b64 exec, exec, s[0:1]
	v_mov_b32_e32 v21, 0
	s_waitcnt lgkmcnt(0)
	s_barrier
	s_and_saveexec_b64 s[8:9], s[6:7]
	s_cbranch_execz .LBB216_104
; %bb.47:
	s_sub_i32 s37, s16, s21
	s_ashr_i32 s1, s20, 31
	s_add_u32 s0, s34, s20
	s_addc_u32 s1, s35, s1
	s_abs_i32 s34, s22
	v_cvt_f32_u32_e32 v3, s34
	v_lshlrev_b32_e32 v2, 3, v20
	s_add_i32 s38, s44, -1
	s_mov_b32 s6, -1
	v_rcp_iflag_f32_e32 v6, v3
	v_mov_b32_e32 v3, 0
	v_lshl_add_u64 v[4:5], s[0:1], 0, v[2:3]
	s_sub_i32 s0, 0, s34
	v_mul_f32_e32 v2, 0x4f7ffffe, v6
	v_cvt_u32_f32_e32 v2, v2
	s_mov_b32 s35, s17
	v_cmp_gt_u32_e32 vcc, 32, v20
	s_mov_b32 s7, 0xffffff
	v_mul_lo_u32 v6, s0, v2
	s_lshl_b64 s[0:1], s[30:31], 2
	v_mul_hi_u32 v6, v2, v6
	s_add_u32 s0, s28, s0
	v_add_u32_e32 v22, v2, v6
	v_and_b32_e32 v2, 60, v1
	s_addc_u32 s1, s29, s1
	v_mov_b32_e32 v1, 0x50
	s_mov_b32 s39, s11
	v_lshl_add_u64 v[6:7], s[0:1], 0, v[2:3]
	v_lshl_add_u32 v23, v18, 5, v1
	s_mov_b64 s[12:13], 0
	s_movk_i32 s28, 0x80
	s_movk_i32 s29, 0x7f
	s_mov_b32 s30, 0x8000
	v_mov_b32_e32 v24, 0x2000
	v_mov_b32_e32 v21, 0
	s_branch .LBB216_51
.LBB216_48:                             ;   in Loop: Header=BB216_51 Depth=1
	s_or_b64 exec, exec, s[18:19]
	v_and_b32_e32 v8, 0xffff, v25
	v_and_b32_e32 v9, 0xffff, v27
	v_lshl_or_b32 v8, v26, 16, v8
	v_lshl_or_b32 v9, v28, 16, v9
	v_and_b32_e32 v10, 0xffff, v29
	v_and_b32_e32 v11, 0xffff, v31
	;;#ASMSTART
	v_pk_mul_f16 v1, v8, v1;

	;;#ASMEND
	v_lshl_or_b32 v10, v30, 16, v10
	v_lshl_or_b32 v11, v32, 16, v11
	;;#ASMSTART
	v_pk_mul_f16 v2, v9, v2;

	;;#ASMEND
	;;#ASMSTART
	v_pk_mul_f16 v8, v10, v17;

	;;#ASMEND
	;; [unrolled: 4-line block ×3, first 2 shown]
	s_nop 0
	;;#ASMSTART
	v_pk_add_f16 v1, v1, v2;

	;;#ASMEND
	s_nop 0
	;;#ASMSTART
	v_pk_add_f16 v1, v1, v8;

	;;#ASMEND
	;; [unrolled: 5-line block ×3, first 2 shown]
	s_nop 0
	v_lshrrev_b32_e32 v2, 16, v1
	v_and_b32_e32 v1, 0xffff, v1
	;;#ASMSTART
	v_cvt_f32_f16 v1, v1;
	;;#ASMEND
	;;#ASMSTART
	v_cvt_f32_f16 v2, v2;
	;;#ASMEND
	s_nop 0
	v_add_f32_e32 v1, v1, v2
	v_add_f32_e32 v21, v21, v1
.LBB216_49:                             ;   in Loop: Header=BB216_51 Depth=1
	s_or_b64 exec, exec, s[16:17]
.LBB216_50:                             ;   in Loop: Header=BB216_51 Depth=1
	s_or_b64 exec, exec, s[2:3]
	v_add_u32_e32 v18, 2, v18
	v_cmp_le_i32_e64 s[0:1], s44, v18
	v_lshl_add_u64 v[6:7], v[6:7], 0, 8
	v_add_u32_e32 v19, 16, v19
	s_or_b64 s[12:13], s[0:1], s[12:13]
	v_add_u32_e32 v23, 64, v23
	s_andn2_b64 exec, exec, s[12:13]
	s_cbranch_execz .LBB216_103
.LBB216_51:                             ; =>This Inner Loop Header: Depth=1
	v_mul_hi_u32 v1, v19, s42
	v_mul_lo_u32 v2, v1, s33
	v_sub_u32_e32 v2, v19, v2
	v_add_u32_e32 v8, 1, v1
	v_cmp_le_u32_e64 s[0:1], s33, v2
	s_nop 1
	v_cndmask_b32_e64 v1, v1, v8, s[0:1]
	v_subrev_u32_e32 v8, s33, v2
	v_cndmask_b32_e64 v2, v2, v8, s[0:1]
	v_add_u32_e32 v8, 1, v1
	v_cmp_le_u32_e64 s[0:1], s33, v2
	s_nop 1
	v_cndmask_b32_e64 v1, v1, v8, s[0:1]
	v_xor_b32_e32 v1, s43, v1
	v_subrev_u32_e32 v1, s43, v1
	v_add_u32_e32 v2, s36, v1
	v_sub_u32_e32 v9, 0, v2
	v_ashrrev_i32_e32 v8, 31, v2
	v_max_i32_e32 v2, v2, v9
	v_mul_hi_u32 v9, v2, v22
	v_mul_lo_u32 v9, v9, s34
	v_sub_u32_e32 v2, v2, v9
	v_subrev_u32_e32 v9, s34, v2
	v_cmp_le_u32_e64 s[0:1], s34, v2
	v_cmp_lt_i32_e64 s[2:3], s37, v1
	s_nop 0
	v_cndmask_b32_e64 v2, v2, v9, s[0:1]
	v_subrev_u32_e32 v9, s34, v2
	v_cmp_le_u32_e64 s[0:1], s34, v2
	s_nop 1
	v_cndmask_b32_e64 v2, v2, v9, s[0:1]
	v_xor_b32_e32 v2, v2, v8
	v_sub_u32_e32 v2, v2, v8
	v_cmp_eq_u32_e64 s[0:1], 0, v2
	s_or_b64 s[0:1], s[0:1], s[2:3]
	s_and_saveexec_b64 s[2:3], s[0:1]
	s_cbranch_execz .LBB216_50
; %bb.52:                               ;   in Loop: Header=BB216_51 Depth=1
	ds_read2_b64 v[8:11], v23 offset1:1
	ds_read2_b64 v[12:15], v23 offset0:2 offset1:3
	s_waitcnt lgkmcnt(1)
	;;#ASMSTART
	v_cvt_f16_f32 v25, v8;

	;;#ASMEND
	;;#ASMSTART
	v_cvt_f16_f32 v26, v9;

	;;#ASMEND
	;;#ASMSTART
	v_cvt_f16_f32 v27, v10;

	;;#ASMEND
	;;#ASMSTART
	v_cvt_f16_f32 v28, v11;

	;;#ASMEND
	s_waitcnt lgkmcnt(0)
	;;#ASMSTART
	v_cvt_f16_f32 v29, v12;

	;;#ASMEND
	;;#ASMSTART
	v_cvt_f16_f32 v30, v13;

	;;#ASMEND
	;; [unrolled: 4-line block ×4, first 2 shown]
	s_and_saveexec_b64 s[16:17], vcc
	s_cbranch_execz .LBB216_49
; %bb.53:                               ;   in Loop: Header=BB216_51 Depth=1
	global_load_dword v1, v[6:7], off
	s_waitcnt vmcnt(0)
	v_mad_i64_i32 v[8:9], s[0:1], v1, s35, v[4:5]
	global_load_dwordx2 v[10:11], v[8:9], off
	v_mov_b32_e32 v1, 0
	global_load_dword v8, v1, s[14:15]
	v_mov_b32_e32 v9, 0
	s_waitcnt vmcnt(1)
	v_cmp_ne_u16_sdwa s[0:1], v10, v3 src0_sel:BYTE_0 src1_sel:DWORD
	s_and_saveexec_b64 s[18:19], s[0:1]
	s_cbranch_execz .LBB216_59
; %bb.54:                               ;   in Loop: Header=BB216_51 Depth=1
	v_cmp_ne_u16_sdwa s[0:1], v10, s28 src0_sel:BYTE_0 src1_sel:DWORD
	v_mov_b32_e32 v9, 0x8000
	s_and_saveexec_b64 s[20:21], s[0:1]
	s_cbranch_execz .LBB216_58
; %bb.55:                               ;   in Loop: Header=BB216_51 Depth=1
	v_and_b32_e32 v2, 0x7f, v10
	v_cmp_ne_u32_e64 s[0:1], s29, v2
	v_mov_b32_e32 v9, 0x7c01
	s_and_saveexec_b64 s[22:23], s[0:1]
	s_cbranch_execz .LBB216_57
; %bb.56:                               ;   in Loop: Header=BB216_51 Depth=1
	v_and_b32_e32 v9, 7, v10
	v_ffbh_u32_e32 v12, v9
	v_min_u32_e32 v15, 32, v12
	v_subrev_u32_e32 v12, 28, v15
	v_lshlrev_b64 v[12:13], v12, v[10:11]
	v_lshrrev_b32_e32 v14, 3, v2
	v_sub_u32_e32 v13, 29, v15
	v_cmp_gt_u32_e64 s[0:1], 8, v2
	v_and_b32_e32 v12, 7, v12
	s_nop 0
	v_cndmask_b32_e64 v2, v14, v13, s[0:1]
	v_lshl_add_u32 v2, v2, 10, v24
	v_lshlrev_b32_e32 v13, 8, v10
	v_and_b32_e32 v2, 0xfc00, v2
	v_cndmask_b32_e64 v9, v9, v12, s[0:1]
	v_and_or_b32 v2, v13, s30, v2
	v_lshl_or_b32 v9, v9, 7, v2
.LBB216_57:                             ;   in Loop: Header=BB216_51 Depth=1
	s_or_b64 exec, exec, s[22:23]
.LBB216_58:                             ;   in Loop: Header=BB216_51 Depth=1
	s_or_b64 exec, exec, s[20:21]
.LBB216_59:                             ;   in Loop: Header=BB216_51 Depth=1
	s_or_b64 exec, exec, s[18:19]
	v_lshrrev_b16_e32 v2, 8, v10
	v_cmp_ne_u16_e64 s[0:1], 0, v2
	s_and_saveexec_b64 s[18:19], s[0:1]
	s_cbranch_execz .LBB216_65
; %bb.60:                               ;   in Loop: Header=BB216_51 Depth=1
	v_cmp_ne_u16_e64 s[0:1], s28, v2
	v_bfrev_b32_e32 v1, 1
	s_and_saveexec_b64 s[20:21], s[0:1]
	s_cbranch_execz .LBB216_64
; %bb.61:                               ;   in Loop: Header=BB216_51 Depth=1
	v_and_b32_e32 v12, 0x7f, v2
	v_cmp_ne_u32_e64 s[0:1], s29, v12
	v_mov_b32_e32 v1, 0x7c010000
	s_and_saveexec_b64 s[22:23], s[0:1]
	s_cbranch_execz .LBB216_63
; %bb.62:                               ;   in Loop: Header=BB216_51 Depth=1
	v_and_b32_e32 v1, 7, v2
	v_ffbh_u32_e32 v14, v1
	v_min_u32_e32 v16, 32, v14
	v_subrev_u32_e32 v14, 28, v16
	v_lshlrev_b64 v[14:15], v14, v[2:3]
	v_lshrrev_b32_e32 v13, 3, v12
	v_sub_u32_e32 v15, 29, v16
	v_cmp_gt_u32_e64 s[0:1], 8, v12
	v_lshlrev_b32_e32 v2, 8, v2
	s_nop 0
	v_cndmask_b32_e64 v12, v13, v15, s[0:1]
	v_lshl_add_u32 v12, v12, 10, v24
	v_and_b32_e32 v13, 7, v14
	v_and_or_b32 v2, v2, s30, v12
	v_cndmask_b32_e64 v1, v1, v13, s[0:1]
	v_lshlrev_b32_e32 v2, 16, v2
	v_lshl_or_b32 v1, v1, 23, v2
.LBB216_63:                             ;   in Loop: Header=BB216_51 Depth=1
	s_or_b64 exec, exec, s[22:23]
.LBB216_64:                             ;   in Loop: Header=BB216_51 Depth=1
	s_or_b64 exec, exec, s[20:21]
.LBB216_65:                             ;   in Loop: Header=BB216_51 Depth=1
	s_or_b64 exec, exec, s[18:19]
	v_lshrrev_b32_e32 v2, 16, v10
	v_cmp_ne_u16_sdwa s[0:1], v2, v3 src0_sel:BYTE_0 src1_sel:DWORD
	v_mov_b32_e32 v13, 0
	v_mov_b32_e32 v12, 0
	s_and_saveexec_b64 s[18:19], s[0:1]
	s_cbranch_execz .LBB216_71
; %bb.66:                               ;   in Loop: Header=BB216_51 Depth=1
	v_cmp_ne_u16_sdwa s[0:1], v2, s28 src0_sel:BYTE_0 src1_sel:DWORD
	v_mov_b32_e32 v12, 0x8000
	s_and_saveexec_b64 s[20:21], s[0:1]
	s_cbranch_execz .LBB216_70
; %bb.67:                               ;   in Loop: Header=BB216_51 Depth=1
	v_bfe_u32 v14, v10, 16, 7
	v_cmp_ne_u32_e64 s[0:1], s29, v14
	v_mov_b32_e32 v12, 0x7c01
	s_and_saveexec_b64 s[22:23], s[0:1]
	s_cbranch_execz .LBB216_69
; %bb.68:                               ;   in Loop: Header=BB216_51 Depth=1
	v_and_b32_e32 v12, 7, v2
	v_ffbh_u32_e32 v16, v12
	v_min_u32_e32 v33, 32, v16
	v_subrev_u32_e32 v16, 28, v33
	v_lshlrev_b64 v[16:17], v16, v[2:3]
	v_lshrrev_b32_e32 v15, 3, v14
	v_sub_u32_e32 v17, 29, v33
	v_cmp_gt_u32_e64 s[0:1], 8, v14
	v_lshlrev_b32_e32 v2, 8, v2
	s_nop 0
	v_cndmask_b32_e64 v14, v15, v17, s[0:1]
	v_lshl_add_u32 v14, v14, 10, v24
	v_and_b32_e32 v15, 7, v16
	v_and_b32_e32 v14, 0xfc00, v14
	v_cndmask_b32_e64 v12, v12, v15, s[0:1]
	v_and_or_b32 v2, v2, s30, v14
	v_lshl_or_b32 v12, v12, 7, v2
.LBB216_69:                             ;   in Loop: Header=BB216_51 Depth=1
	s_or_b64 exec, exec, s[22:23]
.LBB216_70:                             ;   in Loop: Header=BB216_51 Depth=1
	s_or_b64 exec, exec, s[20:21]
.LBB216_71:                             ;   in Loop: Header=BB216_51 Depth=1
	s_or_b64 exec, exec, s[18:19]
	v_cmp_lt_u32_e64 s[0:1], s7, v10
	s_and_saveexec_b64 s[18:19], s[0:1]
	s_cbranch_execz .LBB216_77
; %bb.72:                               ;   in Loop: Header=BB216_51 Depth=1
	v_lshrrev_b32_e32 v2, 24, v10
	v_cmp_ne_u32_e64 s[0:1], s28, v2
	v_bfrev_b32_e32 v13, 1
	s_and_saveexec_b64 s[20:21], s[0:1]
	s_cbranch_execz .LBB216_76
; %bb.73:                               ;   in Loop: Header=BB216_51 Depth=1
	v_and_b32_e32 v14, 0x7f, v2
	v_cmp_ne_u32_e64 s[0:1], s29, v14
	v_mov_b32_e32 v13, 0x7c010000
	s_and_saveexec_b64 s[22:23], s[0:1]
	s_cbranch_execz .LBB216_75
; %bb.74:                               ;   in Loop: Header=BB216_51 Depth=1
	v_and_b32_e32 v13, 7, v2
	v_ffbh_u32_e32 v16, v13
	v_min_u32_e32 v33, 32, v16
	v_subrev_u32_e32 v16, 28, v33
	v_lshlrev_b64 v[16:17], v16, v[2:3]
	v_lshrrev_b32_e32 v15, 3, v14
	v_sub_u32_e32 v17, 29, v33
	v_cmp_gt_u32_e64 s[0:1], 8, v14
	v_lshlrev_b32_e32 v2, 8, v2
	s_nop 0
	v_cndmask_b32_e64 v14, v15, v17, s[0:1]
	v_lshl_add_u32 v14, v14, 10, v24
	v_and_b32_e32 v15, 7, v16
	v_and_or_b32 v2, v2, s30, v14
	v_cndmask_b32_e64 v13, v13, v15, s[0:1]
	v_lshlrev_b32_e32 v2, 16, v2
	v_lshl_or_b32 v13, v13, 23, v2
.LBB216_75:                             ;   in Loop: Header=BB216_51 Depth=1
	s_or_b64 exec, exec, s[22:23]
.LBB216_76:                             ;   in Loop: Header=BB216_51 Depth=1
	s_or_b64 exec, exec, s[20:21]
.LBB216_77:                             ;   in Loop: Header=BB216_51 Depth=1
	s_or_b64 exec, exec, s[18:19]
	v_mov_b32_e32 v2, v11
	v_cmp_ne_u16_sdwa s[0:1], v11, v3 src0_sel:BYTE_0 src1_sel:DWORD
	v_mov_b32_e32 v14, 0
	v_mov_b32_e32 v15, 0
	s_and_saveexec_b64 s[18:19], s[0:1]
	s_cbranch_execz .LBB216_83
; %bb.78:                               ;   in Loop: Header=BB216_51 Depth=1
	v_cmp_ne_u16_sdwa s[0:1], v11, s28 src0_sel:BYTE_0 src1_sel:DWORD
	v_mov_b32_e32 v15, 0x8000
	s_and_saveexec_b64 s[20:21], s[0:1]
	s_cbranch_execz .LBB216_82
; %bb.79:                               ;   in Loop: Header=BB216_51 Depth=1
	v_and_b32_e32 v16, 0x7f, v11
	v_cmp_ne_u32_e64 s[0:1], s29, v16
	v_mov_b32_e32 v15, 0x7c01
	s_and_saveexec_b64 s[22:23], s[0:1]
	s_cbranch_execz .LBB216_81
; %bb.80:                               ;   in Loop: Header=BB216_51 Depth=1
	v_and_b32_e32 v15, 7, v11
	v_ffbh_u32_e32 v33, v15
	v_min_u32_e32 v33, 32, v33
	v_lshrrev_b32_e32 v17, 3, v16
	v_subrev_u32_e32 v34, 28, v33
	v_sub_u32_e32 v33, 29, v33
	v_cmp_gt_u32_e64 s[0:1], 8, v16
	v_lshlrev_b64 v[34:35], v34, v[2:3]
	s_nop 0
	v_cndmask_b32_e64 v16, v17, v33, s[0:1]
	v_lshl_add_u32 v16, v16, 10, v24
	v_lshlrev_b32_e32 v17, 8, v11
	v_and_b32_e32 v33, 7, v34
	v_and_b32_e32 v16, 0xfc00, v16
	v_cndmask_b32_e64 v15, v15, v33, s[0:1]
	v_and_or_b32 v16, v17, s30, v16
	v_lshl_or_b32 v15, v15, 7, v16
.LBB216_81:                             ;   in Loop: Header=BB216_51 Depth=1
	s_or_b64 exec, exec, s[22:23]
.LBB216_82:                             ;   in Loop: Header=BB216_51 Depth=1
	s_or_b64 exec, exec, s[20:21]
.LBB216_83:                             ;   in Loop: Header=BB216_51 Depth=1
	s_or_b64 exec, exec, s[18:19]
	v_lshrrev_b16_e32 v2, 8, v2
	v_cmp_ne_u16_e64 s[0:1], 0, v2
	v_mov_b32_e32 v16, 0
	s_and_saveexec_b64 s[18:19], s[0:1]
	s_cbranch_execz .LBB216_89
; %bb.84:                               ;   in Loop: Header=BB216_51 Depth=1
	v_cmp_ne_u16_e64 s[0:1], s28, v2
	v_bfrev_b32_e32 v16, 1
	s_and_saveexec_b64 s[20:21], s[0:1]
	s_cbranch_execz .LBB216_88
; %bb.85:                               ;   in Loop: Header=BB216_51 Depth=1
	v_and_b32_e32 v17, 0x7f, v2
	v_cmp_ne_u32_e64 s[0:1], s29, v17
	v_mov_b32_e32 v16, 0x7c010000
	s_and_saveexec_b64 s[22:23], s[0:1]
	s_cbranch_execz .LBB216_87
; %bb.86:                               ;   in Loop: Header=BB216_51 Depth=1
	v_and_b32_e32 v16, 7, v2
	v_ffbh_u32_e32 v34, v16
	v_min_u32_e32 v36, 32, v34
	v_subrev_u32_e32 v34, 28, v36
	v_lshlrev_b64 v[34:35], v34, v[2:3]
	v_lshrrev_b32_e32 v33, 3, v17
	v_sub_u32_e32 v35, 29, v36
	v_cmp_gt_u32_e64 s[0:1], 8, v17
	v_lshlrev_b32_e32 v2, 8, v2
	s_nop 0
	v_cndmask_b32_e64 v17, v33, v35, s[0:1]
	v_lshl_add_u32 v17, v17, 10, v24
	v_and_b32_e32 v33, 7, v34
	v_and_or_b32 v2, v2, s30, v17
	v_cndmask_b32_e64 v16, v16, v33, s[0:1]
	v_lshlrev_b32_e32 v2, 16, v2
	v_lshl_or_b32 v16, v16, 23, v2
.LBB216_87:                             ;   in Loop: Header=BB216_51 Depth=1
	s_or_b64 exec, exec, s[22:23]
.LBB216_88:                             ;   in Loop: Header=BB216_51 Depth=1
	s_or_b64 exec, exec, s[20:21]
.LBB216_89:                             ;   in Loop: Header=BB216_51 Depth=1
	s_or_b64 exec, exec, s[18:19]
	v_lshrrev_b32_e32 v2, 16, v11
	v_cmp_ne_u16_sdwa s[0:1], v2, v3 src0_sel:BYTE_0 src1_sel:DWORD
	s_and_saveexec_b64 s[18:19], s[0:1]
	s_cbranch_execz .LBB216_95
; %bb.90:                               ;   in Loop: Header=BB216_51 Depth=1
	v_cmp_ne_u16_sdwa s[0:1], v2, s28 src0_sel:BYTE_0 src1_sel:DWORD
	v_mov_b32_e32 v14, 0x8000
	s_and_saveexec_b64 s[20:21], s[0:1]
	s_cbranch_execz .LBB216_94
; %bb.91:                               ;   in Loop: Header=BB216_51 Depth=1
	v_bfe_u32 v17, v11, 16, 7
	v_cmp_ne_u32_e64 s[0:1], s29, v17
	v_mov_b32_e32 v14, 0x7c01
	s_and_saveexec_b64 s[22:23], s[0:1]
	s_cbranch_execz .LBB216_93
; %bb.92:                               ;   in Loop: Header=BB216_51 Depth=1
	v_and_b32_e32 v14, 7, v2
	v_ffbh_u32_e32 v34, v14
	v_min_u32_e32 v36, 32, v34
	v_subrev_u32_e32 v34, 28, v36
	v_lshlrev_b64 v[34:35], v34, v[2:3]
	v_lshrrev_b32_e32 v33, 3, v17
	v_sub_u32_e32 v35, 29, v36
	v_cmp_gt_u32_e64 s[0:1], 8, v17
	v_lshlrev_b32_e32 v2, 8, v2
	s_nop 0
	v_cndmask_b32_e64 v17, v33, v35, s[0:1]
	v_lshl_add_u32 v17, v17, 10, v24
	v_and_b32_e32 v33, 7, v34
	v_and_b32_e32 v17, 0xfc00, v17
	v_cndmask_b32_e64 v14, v14, v33, s[0:1]
	v_and_or_b32 v2, v2, s30, v17
	v_lshl_or_b32 v14, v14, 7, v2
.LBB216_93:                             ;   in Loop: Header=BB216_51 Depth=1
	s_or_b64 exec, exec, s[22:23]
.LBB216_94:                             ;   in Loop: Header=BB216_51 Depth=1
	s_or_b64 exec, exec, s[20:21]
.LBB216_95:                             ;   in Loop: Header=BB216_51 Depth=1
	s_or_b64 exec, exec, s[18:19]
	v_cmp_lt_u64_e64 s[0:1], s[6:7], v[10:11]
	v_mov_b32_e32 v17, 0
	s_and_saveexec_b64 s[18:19], s[0:1]
	s_cbranch_execz .LBB216_101
; %bb.96:                               ;   in Loop: Header=BB216_51 Depth=1
	v_lshrrev_b32_e32 v2, 24, v11
	v_cmp_ne_u32_e64 s[0:1], s28, v2
	v_bfrev_b32_e32 v17, 1
	s_and_saveexec_b64 s[20:21], s[0:1]
	s_cbranch_execz .LBB216_100
; %bb.97:                               ;   in Loop: Header=BB216_51 Depth=1
	v_and_b32_e32 v10, 0x7f, v2
	v_cmp_ne_u32_e64 s[0:1], s29, v10
	v_mov_b32_e32 v17, 0x7c010000
	s_and_saveexec_b64 s[22:23], s[0:1]
	s_cbranch_execz .LBB216_99
; %bb.98:                               ;   in Loop: Header=BB216_51 Depth=1
	v_and_b32_e32 v11, 7, v2
	v_ffbh_u32_e32 v33, v11
	v_min_u32_e32 v33, 32, v33
	v_lshrrev_b32_e32 v17, 3, v10
	v_subrev_u32_e32 v34, 28, v33
	v_sub_u32_e32 v33, 29, v33
	v_cmp_gt_u32_e64 s[0:1], 8, v10
	v_lshlrev_b64 v[34:35], v34, v[2:3]
	v_lshlrev_b32_e32 v2, 8, v2
	v_cndmask_b32_e64 v10, v17, v33, s[0:1]
	v_lshl_add_u32 v10, v10, 10, v24
	v_and_b32_e32 v17, 7, v34
	v_and_or_b32 v2, v2, s30, v10
	v_cndmask_b32_e64 v11, v11, v17, s[0:1]
	v_lshlrev_b32_e32 v2, 16, v2
	v_lshl_or_b32 v17, v11, 23, v2
.LBB216_99:                             ;   in Loop: Header=BB216_51 Depth=1
	s_or_b64 exec, exec, s[22:23]
.LBB216_100:                            ;   in Loop: Header=BB216_51 Depth=1
	s_or_b64 exec, exec, s[20:21]
.LBB216_101:                            ;   in Loop: Header=BB216_51 Depth=1
	s_or_b64 exec, exec, s[18:19]
	v_cvt_f32_f16_sdwa v11, v1 dst_sel:DWORD dst_unused:UNUSED_PAD src0_sel:WORD_1
	v_cvt_f32_f16_sdwa v10, v13 dst_sel:DWORD dst_unused:UNUSED_PAD src0_sel:WORD_1
	v_or_b32_e32 v1, v1, v9
	v_or_b32_e32 v2, v13, v12
	v_cvt_f32_f16_e32 v12, v2
	v_cvt_f32_f16_e32 v13, v1
	s_waitcnt vmcnt(0)
	v_pk_mul_f32 v[10:11], v[8:9], v[10:11] op_sel_hi:[0,1]
	v_cvt_pk_f16_f32 v1, v10, v11
	v_and_b32_e32 v9, 0xffff0000, v1
	v_pk_mul_f32 v[12:13], v[8:9], v[12:13] op_sel_hi:[0,1]
	v_lshlrev_b32_e32 v10, 16, v1
	v_cvt_pk_f16_f32 v1, v12, v13
	v_or_b32_e32 v2, v16, v15
	v_or_b32_e32 v13, v17, v14
	v_cvt_f32_f16_e32 v14, v13
	v_cvt_f32_f16_e32 v15, v2
	v_cvt_f32_f16_sdwa v35, v16 dst_sel:DWORD dst_unused:UNUSED_PAD src0_sel:WORD_1
	v_cvt_f32_f16_sdwa v34, v17 dst_sel:DWORD dst_unused:UNUSED_PAD src0_sel:WORD_1
	v_lshrrev_b32_e32 v11, 16, v1
	v_pk_mul_f32 v[14:15], v[8:9], v[14:15] op_sel_hi:[0,1]
	v_cvt_pk_f16_f32 v16, v14, v15
	v_pk_mul_f32 v[14:15], v[8:9], v[34:35] op_sel_hi:[0,1]
	v_cvt_pk_f16_f32 v8, v14, v15
	v_and_b32_e32 v12, 0xffff, v1
	v_and_b32_e32 v13, 0xffff0000, v8
	v_lshlrev_b32_e32 v8, 16, v8
	v_lshrrev_b32_e32 v15, 16, v16
	v_and_b32_e32 v14, 0xffff, v16
	v_cmp_eq_u32_e64 s[0:1], s38, v18
	v_or_b32_e32 v1, v9, v11
	v_or_b32_e32 v2, v10, v12
	v_or_b32_e32 v17, v13, v15
	v_or_b32_e32 v16, v8, v14
	s_and_saveexec_b64 s[18:19], s[0:1]
	s_cbranch_execz .LBB216_48
; %bb.102:                              ;   in Loop: Header=BB216_51 Depth=1
	v_add_u32_e32 v16, 2, v19
	v_cmp_gt_i32_e64 s[0:1], s39, v19
	v_or_b32_e32 v1, 1, v19
	v_or_b32_e32 v2, 3, v19
	v_cndmask_b32_e64 v11, 0, v11, s[0:1]
	v_cmp_gt_i32_e64 s[0:1], s11, v16
	s_nop 1
	v_cndmask_b32_e64 v12, 0, v12, s[0:1]
	v_cmp_gt_i32_e64 s[0:1], s39, v1
	s_nop 1
	v_cndmask_b32_e64 v1, 0, v9, s[0:1]
	v_cmp_gt_i32_e64 s[0:1], s11, v2
	v_or_b32_e32 v9, 4, v19
	v_or_b32_e32 v1, v1, v11
	v_cndmask_b32_e64 v2, 0, v10, s[0:1]
	v_or_b32_e32 v10, 6, v19
	v_cmp_gt_i32_e64 s[0:1], s39, v9
	v_or_b32_e32 v11, 5, v19
	v_or_b32_e32 v2, v2, v12
	v_cndmask_b32_e64 v9, 0, v15, s[0:1]
	v_cmp_gt_i32_e64 s[0:1], s11, v10
	v_or_b32_e32 v12, 7, v19
	s_nop 0
	v_cndmask_b32_e64 v10, 0, v14, s[0:1]
	v_cmp_gt_i32_e64 s[0:1], s39, v11
	s_nop 1
	v_cndmask_b32_e64 v11, 0, v13, s[0:1]
	v_cmp_gt_i32_e64 s[0:1], s11, v12
	v_or_b32_e32 v17, v11, v9
	s_nop 0
	v_cndmask_b32_e64 v8, 0, v8, s[0:1]
	v_or_b32_e32 v16, v8, v10
	s_branch .LBB216_48
.LBB216_103:
	s_or_b64 exec, exec, s[12:13]
.LBB216_104:
	s_or_b64 exec, exec, s[8:9]
	v_and_b32_e32 v1, 0x3c0, v0
	v_cmp_eq_u32_e64 s[0:1], 64, v1
	v_cmp_gt_u32_e64 s[2:3], 32, v20
	v_mov_b32_e32 v1, 0x50
	v_cmp_lt_u32_e32 vcc, 31, v20
	v_lshl_add_u32 v1, v20, 2, v1
	s_and_b64 s[2:3], s[0:1], s[2:3]
	s_barrier
	s_and_saveexec_b64 s[0:1], s[2:3]
; %bb.105:
	ds_write_b32 v1, v21
; %bb.106:
	s_or_b64 exec, exec, s[0:1]
	v_cmp_gt_u32_e64 s[0:1], 64, v0
	s_xor_b64 s[2:3], vcc, -1
	s_and_b64 s[2:3], s[0:1], s[2:3]
	s_waitcnt lgkmcnt(0)
	s_barrier
	s_and_saveexec_b64 s[0:1], s[2:3]
	s_cbranch_execz .LBB216_108
; %bb.107:
	ds_read_b32 v1, v1
	s_waitcnt lgkmcnt(0)
	v_add_f32_e32 v21, v21, v1
.LBB216_108:
	s_or_b64 exec, exec, s[0:1]
	v_cmp_gt_u32_e32 vcc, 64, v0
	v_cmp_gt_u32_e64 s[0:1], 32, v20
	s_and_b64 s[0:1], vcc, s[0:1]
	s_barrier
	s_and_saveexec_b64 s[2:3], s[0:1]
	s_cbranch_execz .LBB216_110
; %bb.109:
	s_mul_i32 s0, s10, s25
	s_mul_i32 s0, s0, s5
	s_lshl_b32 s0, s0, 5
	s_ashr_i32 s1, s0, 31
	s_lshl_b64 s[0:1], s[0:1], 1
	s_add_u32 s2, s26, s0
	s_mul_i32 s0, s25, s24
	s_addc_u32 s3, s27, s1
	s_ashr_i32 s1, s0, 31
	s_lshl_b64 s[0:1], s[0:1], 1
	s_add_u32 s2, s2, s0
	s_addc_u32 s3, s3, s1
	s_lshl_b32 s0, s4, 5
	s_ashr_i32 s1, s0, 31
	s_lshl_b64 s[0:1], s[0:1], 1
	s_add_u32 s0, s2, s0
	s_addc_u32 s1, s3, s1
	v_lshlrev_b32_e32 v0, 1, v20
	;;#ASMSTART
	v_cvt_f16_f32 v1, v21;

	;;#ASMEND
	global_store_short v0, v1, s[0:1]
.LBB216_110:
	s_endpgm
	.section	.rodata,"a",@progbits
	.p2align	6, 0x0
	.amdhsa_kernel _ZN4vllm25paged_attention_v1_kernelIthLi32ELi8ELi128ELNS_18Fp8KVCacheDataTypeE1ELb1EEEvPT_PKS2_PKT0_S8_ifPKiSA_iPKfiiiSC_SC_iiiii
		.amdhsa_group_segment_fixed_size 80
		.amdhsa_private_segment_fixed_size 0
		.amdhsa_kernarg_size 384
		.amdhsa_user_sgpr_count 2
		.amdhsa_user_sgpr_dispatch_ptr 0
		.amdhsa_user_sgpr_queue_ptr 0
		.amdhsa_user_sgpr_kernarg_segment_ptr 1
		.amdhsa_user_sgpr_dispatch_id 0
		.amdhsa_user_sgpr_kernarg_preload_length 0
		.amdhsa_user_sgpr_kernarg_preload_offset 0
		.amdhsa_user_sgpr_private_segment_size 0
		.amdhsa_uses_dynamic_stack 0
		.amdhsa_enable_private_segment 0
		.amdhsa_system_sgpr_workgroup_id_x 1
		.amdhsa_system_sgpr_workgroup_id_y 1
		.amdhsa_system_sgpr_workgroup_id_z 1
		.amdhsa_system_sgpr_workgroup_info 0
		.amdhsa_system_vgpr_workitem_id 0
		.amdhsa_next_free_vgpr 37
		.amdhsa_next_free_sgpr 48
		.amdhsa_accum_offset 40
		.amdhsa_reserve_vcc 1
		.amdhsa_float_round_mode_32 0
		.amdhsa_float_round_mode_16_64 0
		.amdhsa_float_denorm_mode_32 3
		.amdhsa_float_denorm_mode_16_64 3
		.amdhsa_dx10_clamp 1
		.amdhsa_ieee_mode 1
		.amdhsa_fp16_overflow 0
		.amdhsa_tg_split 0
		.amdhsa_exception_fp_ieee_invalid_op 0
		.amdhsa_exception_fp_denorm_src 0
		.amdhsa_exception_fp_ieee_div_zero 0
		.amdhsa_exception_fp_ieee_overflow 0
		.amdhsa_exception_fp_ieee_underflow 0
		.amdhsa_exception_fp_ieee_inexact 0
		.amdhsa_exception_int_div_zero 0
	.end_amdhsa_kernel
	.section	.text._ZN4vllm25paged_attention_v1_kernelIthLi32ELi8ELi128ELNS_18Fp8KVCacheDataTypeE1ELb1EEEvPT_PKS2_PKT0_S8_ifPKiSA_iPKfiiiSC_SC_iiiii,"axG",@progbits,_ZN4vllm25paged_attention_v1_kernelIthLi32ELi8ELi128ELNS_18Fp8KVCacheDataTypeE1ELb1EEEvPT_PKS2_PKT0_S8_ifPKiSA_iPKfiiiSC_SC_iiiii,comdat
.Lfunc_end216:
	.size	_ZN4vllm25paged_attention_v1_kernelIthLi32ELi8ELi128ELNS_18Fp8KVCacheDataTypeE1ELb1EEEvPT_PKS2_PKT0_S8_ifPKiSA_iPKfiiiSC_SC_iiiii, .Lfunc_end216-_ZN4vllm25paged_attention_v1_kernelIthLi32ELi8ELi128ELNS_18Fp8KVCacheDataTypeE1ELb1EEEvPT_PKS2_PKT0_S8_ifPKiSA_iPKfiiiSC_SC_iiiii
                                        ; -- End function
	.set _ZN4vllm25paged_attention_v1_kernelIthLi32ELi8ELi128ELNS_18Fp8KVCacheDataTypeE1ELb1EEEvPT_PKS2_PKT0_S8_ifPKiSA_iPKfiiiSC_SC_iiiii.num_vgpr, 37
	.set _ZN4vllm25paged_attention_v1_kernelIthLi32ELi8ELi128ELNS_18Fp8KVCacheDataTypeE1ELb1EEEvPT_PKS2_PKT0_S8_ifPKiSA_iPKfiiiSC_SC_iiiii.num_agpr, 0
	.set _ZN4vllm25paged_attention_v1_kernelIthLi32ELi8ELi128ELNS_18Fp8KVCacheDataTypeE1ELb1EEEvPT_PKS2_PKT0_S8_ifPKiSA_iPKfiiiSC_SC_iiiii.numbered_sgpr, 48
	.set _ZN4vllm25paged_attention_v1_kernelIthLi32ELi8ELi128ELNS_18Fp8KVCacheDataTypeE1ELb1EEEvPT_PKS2_PKT0_S8_ifPKiSA_iPKfiiiSC_SC_iiiii.num_named_barrier, 0
	.set _ZN4vllm25paged_attention_v1_kernelIthLi32ELi8ELi128ELNS_18Fp8KVCacheDataTypeE1ELb1EEEvPT_PKS2_PKT0_S8_ifPKiSA_iPKfiiiSC_SC_iiiii.private_seg_size, 0
	.set _ZN4vllm25paged_attention_v1_kernelIthLi32ELi8ELi128ELNS_18Fp8KVCacheDataTypeE1ELb1EEEvPT_PKS2_PKT0_S8_ifPKiSA_iPKfiiiSC_SC_iiiii.uses_vcc, 1
	.set _ZN4vllm25paged_attention_v1_kernelIthLi32ELi8ELi128ELNS_18Fp8KVCacheDataTypeE1ELb1EEEvPT_PKS2_PKT0_S8_ifPKiSA_iPKfiiiSC_SC_iiiii.uses_flat_scratch, 0
	.set _ZN4vllm25paged_attention_v1_kernelIthLi32ELi8ELi128ELNS_18Fp8KVCacheDataTypeE1ELb1EEEvPT_PKS2_PKT0_S8_ifPKiSA_iPKfiiiSC_SC_iiiii.has_dyn_sized_stack, 0
	.set _ZN4vllm25paged_attention_v1_kernelIthLi32ELi8ELi128ELNS_18Fp8KVCacheDataTypeE1ELb1EEEvPT_PKS2_PKT0_S8_ifPKiSA_iPKfiiiSC_SC_iiiii.has_recursion, 0
	.set _ZN4vllm25paged_attention_v1_kernelIthLi32ELi8ELi128ELNS_18Fp8KVCacheDataTypeE1ELb1EEEvPT_PKS2_PKT0_S8_ifPKiSA_iPKfiiiSC_SC_iiiii.has_indirect_call, 0
	.section	.AMDGPU.csdata,"",@progbits
; Kernel info:
; codeLenInByte = 6252
; TotalNumSgprs: 54
; NumVgprs: 37
; NumAgprs: 0
; TotalNumVgprs: 37
; ScratchSize: 0
; MemoryBound: 0
; FloatMode: 240
; IeeeMode: 1
; LDSByteSize: 80 bytes/workgroup (compile time only)
; SGPRBlocks: 6
; VGPRBlocks: 4
; NumSGPRsForWavesPerEU: 54
; NumVGPRsForWavesPerEU: 37
; AccumOffset: 40
; Occupancy: 8
; WaveLimiterHint : 1
; COMPUTE_PGM_RSRC2:SCRATCH_EN: 0
; COMPUTE_PGM_RSRC2:USER_SGPR: 2
; COMPUTE_PGM_RSRC2:TRAP_HANDLER: 0
; COMPUTE_PGM_RSRC2:TGID_X_EN: 1
; COMPUTE_PGM_RSRC2:TGID_Y_EN: 1
; COMPUTE_PGM_RSRC2:TGID_Z_EN: 1
; COMPUTE_PGM_RSRC2:TIDIG_COMP_CNT: 0
; COMPUTE_PGM_RSRC3_GFX90A:ACCUM_OFFSET: 9
; COMPUTE_PGM_RSRC3_GFX90A:TG_SPLIT: 0
	.section	.text._ZN4vllm25paged_attention_v1_kernelIthLi64ELi8ELi128ELNS_18Fp8KVCacheDataTypeE1ELb1EEEvPT_PKS2_PKT0_S8_ifPKiSA_iPKfiiiSC_SC_iiiii,"axG",@progbits,_ZN4vllm25paged_attention_v1_kernelIthLi64ELi8ELi128ELNS_18Fp8KVCacheDataTypeE1ELb1EEEvPT_PKS2_PKT0_S8_ifPKiSA_iPKfiiiSC_SC_iiiii,comdat
	.protected	_ZN4vllm25paged_attention_v1_kernelIthLi64ELi8ELi128ELNS_18Fp8KVCacheDataTypeE1ELb1EEEvPT_PKS2_PKT0_S8_ifPKiSA_iPKfiiiSC_SC_iiiii ; -- Begin function _ZN4vllm25paged_attention_v1_kernelIthLi64ELi8ELi128ELNS_18Fp8KVCacheDataTypeE1ELb1EEEvPT_PKS2_PKT0_S8_ifPKiSA_iPKfiiiSC_SC_iiiii
	.globl	_ZN4vllm25paged_attention_v1_kernelIthLi64ELi8ELi128ELNS_18Fp8KVCacheDataTypeE1ELb1EEEvPT_PKS2_PKT0_S8_ifPKiSA_iPKfiiiSC_SC_iiiii
	.p2align	8
	.type	_ZN4vllm25paged_attention_v1_kernelIthLi64ELi8ELi128ELNS_18Fp8KVCacheDataTypeE1ELb1EEEvPT_PKS2_PKT0_S8_ifPKiSA_iPKfiiiSC_SC_iiiii,@function
_ZN4vllm25paged_attention_v1_kernelIthLi64ELi8ELi128ELNS_18Fp8KVCacheDataTypeE1ELb1EEEvPT_PKS2_PKT0_S8_ifPKiSA_iPKfiiiSC_SC_iiiii: ; @_ZN4vllm25paged_attention_v1_kernelIthLi64ELi8ELi128ELNS_18Fp8KVCacheDataTypeE1ELb1EEEvPT_PKS2_PKT0_S8_ifPKiSA_iPKfiiiSC_SC_iiiii
; %bb.0:
	s_load_dword s5, s[0:1], 0x80
	s_load_dwordx2 s[6:7], s[0:1], 0x30
	s_load_dwordx2 s[38:39], s[0:1], 0x20
	s_mov_b32 s24, s3
	s_ashr_i32 s25, s3, 31
	s_lshl_b64 s[8:9], s[24:25], 2
	s_waitcnt lgkmcnt(0)
	s_add_u32 s6, s6, s8
	s_addc_u32 s7, s7, s9
	s_abs_i32 s3, s38
	v_cvt_f32_u32_e32 v1, s3
	s_sub_i32 s10, 0, s3
	s_abs_i32 s9, s5
	s_xor_b32 s8, s5, s38
	v_rcp_iflag_f32_e32 v1, v1
	s_ashr_i32 s8, s8, 31
	s_mov_b32 s46, 0
	v_mul_f32_e32 v1, 0x4f7ffffe, v1
	v_cvt_u32_f32_e32 v1, v1
	s_nop 0
	v_readfirstlane_b32 s11, v1
	s_mul_i32 s10, s10, s11
	s_mul_hi_u32 s10, s11, s10
	s_add_i32 s11, s11, s10
	s_mul_hi_u32 s10, s9, s11
	s_mul_i32 s11, s10, s3
	s_sub_i32 s9, s9, s11
	s_add_i32 s11, s10, 1
	s_sub_i32 s12, s9, s3
	s_cmp_ge_u32 s9, s3
	s_cselect_b32 s10, s11, s10
	s_cselect_b32 s9, s12, s9
	s_add_i32 s11, s10, 1
	s_cmp_ge_u32 s9, s3
	s_cselect_b32 s3, s11, s10
	s_xor_b32 s3, s3, s8
	s_sub_i32 s14, s3, s8
	s_abs_i32 s10, s14
	v_cvt_f32_u32_e32 v1, s10
	s_load_dwordx2 s[8:9], s[0:1], 0x40
	s_sub_i32 s3, 0, s10
	s_abs_i32 s11, s2
	v_rcp_iflag_f32_e32 v1, v1
	s_nop 0
	v_mul_f32_e32 v1, 0x4f7ffffe, v1
	v_cvt_u32_f32_e32 v1, v1
	s_nop 0
	v_readfirstlane_b32 s12, v1
	s_mul_i32 s3, s3, s12
	s_mul_hi_u32 s3, s12, s3
	s_add_i32 s12, s12, s3
	s_waitcnt lgkmcnt(0)
	s_cmp_eq_u64 s[8:9], 0
	s_mul_hi_u32 s12, s11, s12
	s_cbranch_scc1 .LBB217_2
; %bb.1:
	s_ashr_i32 s3, s2, 31
	s_lshl_b64 s[16:17], s[2:3], 2
	s_add_u32 s8, s8, s16
	s_addc_u32 s9, s9, s17
	s_load_dword s46, s[8:9], 0x0
.LBB217_2:
	s_load_dword s25, s[6:7], 0x0
	s_load_dwordx4 s[16:19], s[0:1], 0x48
	s_ashr_i32 s13, s2, 31
	s_ashr_i32 s14, s14, 31
	v_and_b32_e32 v4, 7, v0
	s_lshl_b32 s26, s2, 6
	v_cmp_gt_u32_e64 s[6:7], 64, v0
	s_and_saveexec_b64 s[8:9], s[6:7]
	s_cbranch_execz .LBB217_4
; %bb.3:
	s_load_dwordx2 s[20:21], s[0:1], 0x8
	s_waitcnt lgkmcnt(0)
	s_mul_i32 s22, s16, s24
	s_ashr_i32 s23, s22, 31
	s_lshl_b64 s[22:23], s[22:23], 1
	v_lshlrev_b32_e32 v1, 1, v0
	s_add_u32 s3, s20, s22
	s_addc_u32 s15, s21, s23
	s_ashr_i32 s27, s26, 31
	s_lshl_b64 s[20:21], s[26:27], 1
	s_add_u32 s20, s3, s20
	s_addc_u32 s21, s15, s21
	global_load_ushort v1, v1, s[20:21]
	v_lshrrev_b32_e32 v2, 2, v0
	v_and_b32_e32 v2, 0xfe, v2
	v_lshl_add_u32 v2, v4, 4, v2
	s_waitcnt vmcnt(0)
	ds_write_b16 v2, v1
.LBB217_4:
	s_or_b64 exec, exec, s[8:9]
	s_mul_i32 s9, s12, s10
	s_sub_i32 s9, s11, s9
	s_xor_b32 s8, s13, s14
	s_add_i32 s11, s12, 1
	s_sub_i32 s13, s9, s10
	s_load_dwordx4 s[20:23], s[0:1], 0x68
	s_load_dword s3, s[0:1], 0x78
	s_cmp_ge_u32 s9, s10
	s_cselect_b32 s11, s11, s12
	s_cselect_b32 s9, s13, s9
	s_add_i32 s12, s11, 1
	s_cmp_ge_u32 s9, s10
	s_cselect_b32 s9, s12, s11
	s_waitcnt lgkmcnt(0)
	s_abs_i32 s27, s23
	v_cvt_f32_u32_e32 v1, s27
	s_xor_b32 s9, s9, s8
	s_sub_i32 s45, s9, s8
	s_sub_i32 s8, 0, s27
	v_rcp_iflag_f32_e32 v1, v1
	s_add_i32 s12, s25, -1
	s_abs_i32 s10, s12
	v_mul_f32_e32 v1, 0x4f7ffffe, v1
	v_cvt_u32_f32_e32 v1, v1
	s_barrier
	v_readfirstlane_b32 s33, v1
	s_mul_i32 s8, s8, s33
	s_mul_hi_u32 s8, s33, s8
	s_add_i32 s33, s33, s8
	s_cmp_lt_i32 s3, 0
	s_mul_hi_u32 s11, s10, s33
	s_cbranch_scc0 .LBB217_6
; %bb.5:
	s_mul_i32 s8, s20, s38
	s_add_i32 s8, s45, s8
	s_mul_i32 s8, s8, s3
	s_sub_i32 s38, 1, s8
	s_mov_b64 s[8:9], 0
	s_branch .LBB217_7
.LBB217_6:
	s_mov_b64 s[8:9], -1
                                        ; implicit-def: $sgpr38
.LBB217_7:
	s_load_dwordx2 s[30:31], s[0:1], 0x28
	s_ashr_i32 s16, s12, 31
	s_andn2_b64 vcc, exec, s[8:9]
	s_ashr_i32 s23, s23, 31
	s_cbranch_vccnz .LBB217_9
; %bb.8:
	s_mul_i32 s8, s5, s20
	s_add_i32 s2, s8, s2
	s_mul_i32 s2, s2, s3
	s_add_i32 s38, s2, 1
.LBB217_9:
	s_load_dword s2, s[0:1], 0x38
	s_load_dwordx2 s[28:29], s[0:1], 0x0
	s_load_dwordx2 s[36:37], s[0:1], 0x18
	s_load_dword s20, s[0:1], 0x88
	s_load_dwordx4 s[12:15], s[0:1], 0x58
	s_mul_i32 s3, s11, s27
	s_waitcnt lgkmcnt(0)
	s_mul_i32 s34, s2, s24
	s_sub_i32 s3, s10, s3
	s_ashr_i32 s35, s34, 31
	s_xor_b32 s2, s16, s23
	s_add_i32 s8, s11, 1
	s_sub_i32 s9, s3, s27
	s_cmp_ge_u32 s3, s27
	s_cselect_b32 s8, s8, s11
	s_cselect_b32 s3, s9, s3
	s_add_i32 s9, s8, 1
	s_cmp_ge_u32 s3, s27
	s_cselect_b32 s3, s9, s8
	s_xor_b32 s3, s3, s2
	s_sub_i32 s16, s3, s2
	s_add_i32 s2, s25, 7
	s_ashr_i32 s3, s2, 31
	s_lshr_b32 s3, s3, 29
	s_add_i32 s2, s2, s3
	s_ashr_i32 s44, s2, 3
	v_lshrrev_b32_e32 v18, 6, v0
	v_cmp_gt_i32_e64 s[2:3], s44, v18
	v_mov_b32_e32 v2, 0xff7fffff
	s_mul_i32 s45, s45, s18
	v_lshrrev_b32_e32 v1, 4, v0
	v_lshlrev_b32_e32 v19, 3, v18
	v_mbcnt_lo_u32_b32 v8, -1, 0
	s_and_saveexec_b64 s[18:19], s[2:3]
	s_cbranch_execz .LBB217_21
; %bb.10:
	s_load_dwordx2 s[0:1], s[0:1], 0x10
	s_sub_i32 s47, s16, s21
	s_ashr_i32 s9, s45, 31
	v_bfe_u32 v9, v0, 3, 3
	v_mov_b32_e32 v3, 0
	s_waitcnt lgkmcnt(0)
	s_add_u32 s8, s0, s45
	s_addc_u32 s9, s1, s9
	s_abs_i32 s48, s22
	v_cvt_f32_u32_e32 v2, s48
	v_cmp_eq_u32_e32 vcc, 0, v4
	v_lshlrev_b32_e32 v10, 4, v4
	v_mbcnt_hi_u32_b32 v16, -1, v8
	v_rcp_iflag_f32_e32 v5, v2
	v_lshlrev_b32_e32 v2, 4, v9
	v_lshl_add_u64 v[6:7], s[8:9], 0, v[2:3]
	s_sub_i32 s8, 0, s48
	v_mul_f32_e32 v5, 0x4f7ffffe, v5
	v_cvt_u32_f32_e32 v11, v5
	v_mov_b32_e32 v5, v3
	v_lshl_add_u64 v[4:5], v[6:7], 0, v[4:5]
	s_mov_b32 s49, s17
	v_mul_lo_u32 v2, s8, v11
	s_lshl_b64 s[8:9], s[34:35], 2
	v_mul_hi_u32 v2, v11, v2
	s_add_u32 s8, s30, s8
	v_add_u32_e32 v11, v11, v2
	v_and_b32_e32 v2, 60, v1
	s_addc_u32 s9, s31, s9
	v_lshl_add_u64 v[6:7], s[8:9], 0, v[2:3]
	v_subrev_u32_e32 v2, s25, v9
	v_add_u32_e32 v13, 1, v2
	v_lshlrev_b32_e32 v2, 2, v9
	v_lshl_or_b32 v2, v18, 5, v2
	v_add_u32_e32 v14, 0x90, v2
	v_and_b32_e32 v2, 64, v16
	v_cmp_neq_f32_e64 s[0:1], s46, 0
	v_lshlrev_b32_e32 v12, 3, v18
	v_mov_b32_e32 v15, 0xff7fffff
	s_mov_b64 s[40:41], 0
	v_add_u32_e32 v17, 64, v2
	v_xor_b32_e32 v20, 4, v16
	v_xor_b32_e32 v21, 2, v16
	;; [unrolled: 1-line block ×3, first 2 shown]
	v_mov_b32_e32 v2, 0xff7fffff
	v_mov_b32_e32 v23, v18
	s_branch .LBB217_13
.LBB217_11:                             ;   in Loop: Header=BB217_13 Depth=1
	s_or_b64 exec, exec, s[42:43]
.LBB217_12:                             ;   in Loop: Header=BB217_13 Depth=1
	s_or_b64 exec, exec, s[10:11]
	v_add_u32_e32 v23, 2, v23
	v_cmp_le_i32_e64 s[8:9], s44, v23
	v_lshl_add_u64 v[6:7], v[6:7], 0, 8
	v_add_u32_e32 v12, 16, v12
	s_or_b64 s[40:41], s[8:9], s[40:41]
	v_add_u32_e32 v14, 64, v14
	s_andn2_b64 exec, exec, s[40:41]
	s_cbranch_execz .LBB217_20
.LBB217_13:                             ; =>This Inner Loop Header: Depth=1
	v_mul_hi_u32 v24, v12, s33
	s_waitcnt lgkmcnt(0)
	v_mul_lo_u32 v25, v24, s27
	v_sub_u32_e32 v25, v12, v25
	v_add_u32_e32 v26, 1, v24
	v_cmp_le_u32_e64 s[8:9], s27, v25
	s_nop 1
	v_cndmask_b32_e64 v24, v24, v26, s[8:9]
	v_subrev_u32_e32 v26, s27, v25
	v_cndmask_b32_e64 v25, v25, v26, s[8:9]
	v_add_u32_e32 v26, 1, v24
	v_cmp_le_u32_e64 s[8:9], s27, v25
	s_nop 1
	v_cndmask_b32_e64 v24, v24, v26, s[8:9]
	v_xor_b32_e32 v24, s23, v24
	v_subrev_u32_e32 v24, s23, v24
	v_add_u32_e32 v25, s38, v24
	v_sub_u32_e32 v27, 0, v25
	v_ashrrev_i32_e32 v26, 31, v25
	v_max_i32_e32 v25, v25, v27
	v_mul_hi_u32 v27, v25, v11
	v_mul_lo_u32 v27, v27, s48
	v_sub_u32_e32 v25, v25, v27
	v_subrev_u32_e32 v27, s48, v25
	v_cmp_le_u32_e64 s[8:9], s48, v25
	v_cmp_ge_i32_e64 s[10:11], s47, v24
	s_nop 0
	v_cndmask_b32_e64 v25, v25, v27, s[8:9]
	v_subrev_u32_e32 v27, s48, v25
	v_cmp_le_u32_e64 s[8:9], s48, v25
	s_nop 1
	v_cndmask_b32_e64 v25, v25, v27, s[8:9]
	v_xor_b32_e32 v25, v25, v26
	v_sub_u32_e32 v25, v25, v26
	v_cmp_ne_u32_e64 s[8:9], 0, v25
	s_and_b64 s[8:9], s[8:9], s[10:11]
	s_and_saveexec_b64 s[10:11], s[8:9]
	s_xor_b64 s[8:9], exec, s[10:11]
	s_cbranch_execz .LBB217_17
; %bb.14:                               ;   in Loop: Header=BB217_13 Depth=1
	s_and_saveexec_b64 s[10:11], vcc
; %bb.15:                               ;   in Loop: Header=BB217_13 Depth=1
	ds_write_b32 v14, v15
; %bb.16:                               ;   in Loop: Header=BB217_13 Depth=1
	s_or_b64 exec, exec, s[10:11]
.LBB217_17:                             ;   in Loop: Header=BB217_13 Depth=1
	s_andn2_saveexec_b64 s[10:11], s[8:9]
	s_cbranch_execz .LBB217_12
; %bb.18:                               ;   in Loop: Header=BB217_13 Depth=1
	global_load_dword v24, v[6:7], off
	s_waitcnt vmcnt(0)
	v_mad_i64_i32 v[24:25], s[8:9], v24, s49, v[4:5]
	global_load_ubyte v26, v[24:25], off
	global_load_ubyte v27, v[24:25], off offset:8
	global_load_dword v28, v3, s[12:13]
	global_load_ubyte v29, v[24:25], off offset:128
	global_load_ubyte v30, v[24:25], off offset:136
	;; [unrolled: 1-line block ×6, first 2 shown]
	ds_read_u16 v35, v10
	v_cmp_lt_i32_e64 s[8:9], v20, v17
	s_waitcnt vmcnt(8)
	v_cvt_f32_fp8_e32 v24, v26
	s_waitcnt vmcnt(7)
	v_cvt_f32_fp8_e32 v27, v27
	s_waitcnt lgkmcnt(0)
	;;#ASMSTART
	v_cvt_f32_f16 v26, v35;
	;;#ASMEND
	s_waitcnt vmcnt(5)
	v_cvt_f32_fp8_e32 v29, v29
	v_fma_mixlo_f16 v24, v28, v24, 0
	s_waitcnt vmcnt(4)
	v_cvt_f32_fp8_e32 v30, v30
	v_and_b32_e32 v24, 0xffff, v24
	v_fma_mixlo_f16 v27, v28, v27, 0
	;;#ASMSTART
	v_cvt_f32_f16 v24, v24;
	;;#ASMEND
	ds_read_u16 v35, v10 offset:2
	v_and_b32_e32 v36, 0xffff, v27
	s_waitcnt lgkmcnt(0)
	;;#ASMSTART
	v_cvt_f32_f16 v27, v35;
	;;#ASMEND
	s_waitcnt vmcnt(3)
	v_cvt_f32_fp8_e32 v31, v31
	;;#ASMSTART
	v_cvt_f32_f16 v35, v36;
	;;#ASMEND
	v_fma_mixlo_f16 v29, v28, v29, 0
	s_waitcnt vmcnt(2)
	v_cvt_f32_fp8_e32 v32, v32
	s_waitcnt vmcnt(1)
	v_cvt_f32_fp8_e32 v33, v33
	v_mul_f32_e32 v27, v27, v35
	ds_read_u16 v36, v10 offset:4
	v_and_b32_e32 v37, 0xffff, v29
	v_fma_mixlo_f16 v30, v28, v30, 0
	s_waitcnt vmcnt(0)
	v_cvt_f32_fp8_e32 v34, v34
	v_fmac_f32_e32 v27, v26, v24
	s_waitcnt lgkmcnt(0)
	;;#ASMSTART
	v_cvt_f32_f16 v29, v36;
	;;#ASMEND
	;;#ASMSTART
	v_cvt_f32_f16 v36, v37;
	;;#ASMEND
	ds_read_u16 v37, v10 offset:6
	v_and_b32_e32 v38, 0xffff, v30
	v_fmac_f32_e32 v27, v29, v36
	s_waitcnt lgkmcnt(0)
	;;#ASMSTART
	v_cvt_f32_f16 v30, v37;
	;;#ASMEND
	;;#ASMSTART
	v_cvt_f32_f16 v37, v38;
	;;#ASMEND
	ds_read_u16 v38, v10 offset:8
	v_fma_mixlo_f16 v31, v28, v31, 0
	v_fmac_f32_e32 v27, v30, v37
	v_fma_mixlo_f16 v32, v28, v32, 0
	v_and_b32_e32 v39, 0xffff, v31
	s_waitcnt lgkmcnt(0)
	;;#ASMSTART
	v_cvt_f32_f16 v31, v38;
	;;#ASMEND
	;;#ASMSTART
	v_cvt_f32_f16 v38, v39;
	;;#ASMEND
	v_fma_mixlo_f16 v33, v28, v33, 0
	v_fmac_f32_e32 v27, v31, v38
	ds_read_u16 v39, v10 offset:10
	v_fma_mixlo_f16 v28, v28, v34, 0
	v_and_b32_e32 v34, 0xffff, v32
	v_and_b32_e32 v40, 0xffff, v33
	s_waitcnt lgkmcnt(0)
	;;#ASMSTART
	v_cvt_f32_f16 v32, v39;
	;;#ASMEND
	;;#ASMSTART
	v_cvt_f32_f16 v33, v34;
	;;#ASMEND
	v_cndmask_b32_e64 v25, v16, v20, s[8:9]
	v_fmac_f32_e32 v27, v32, v33
	ds_read_u16 v34, v10 offset:12
	s_waitcnt lgkmcnt(0)
	;;#ASMSTART
	v_cvt_f32_f16 v24, v34;
	;;#ASMEND
	;;#ASMSTART
	v_cvt_f32_f16 v26, v40;
	;;#ASMEND
	v_lshlrev_b32_e32 v25, 2, v25
	v_fmac_f32_e32 v27, v24, v26
	v_and_b32_e32 v28, 0xffff, v28
	ds_read_u16 v29, v10 offset:14
	s_waitcnt lgkmcnt(0)
	;;#ASMSTART
	v_cvt_f32_f16 v24, v29;
	;;#ASMEND
	;;#ASMSTART
	v_cvt_f32_f16 v26, v28;
	;;#ASMEND
	v_cmp_lt_i32_e64 s[8:9], v21, v17
	v_fmac_f32_e32 v27, v24, v26
	ds_bpermute_b32 v24, v25, v27
	v_cndmask_b32_e64 v25, v16, v21, s[8:9]
	v_lshlrev_b32_e32 v25, 2, v25
	v_cmp_lt_i32_e64 s[8:9], v22, v17
	s_waitcnt lgkmcnt(0)
	v_add_f32_e32 v24, v27, v24
	ds_bpermute_b32 v25, v25, v24
	v_cndmask_b32_e64 v26, v16, v22, s[8:9]
	s_waitcnt lgkmcnt(0)
	v_add_f32_e32 v24, v24, v25
	v_lshlrev_b32_e32 v25, 2, v26
	ds_bpermute_b32 v25, v25, v24
	s_and_saveexec_b64 s[42:43], vcc
	s_cbranch_execz .LBB217_11
; %bb.19:                               ;   in Loop: Header=BB217_13 Depth=1
	v_add_u32_e32 v26, v13, v12
	v_cvt_f32_i32_e32 v26, v26
	s_waitcnt lgkmcnt(0)
	v_add_f32_e32 v24, v24, v25
	v_add_u32_e32 v27, v9, v12
	v_cmp_gt_i32_e64 s[8:9], s25, v27
	v_mul_f32_e32 v25, s46, v26
	v_cndmask_b32_e64 v25, 0, v25, s[0:1]
	v_fmac_f32_e32 v25, s39, v24
	v_cndmask_b32_e64 v24, 0, v25, s[8:9]
	ds_write_b32 v14, v24
	v_max_f32_e32 v24, v2, v2
	v_max_f32_e32 v24, v24, v25
	v_cndmask_b32_e64 v2, v2, v24, s[8:9]
	s_branch .LBB217_11
.LBB217_20:
	s_or_b64 exec, exec, s[40:41]
.LBB217_21:
	s_or_b64 exec, exec, s[18:19]
	v_mbcnt_hi_u32_b32 v3, -1, v8
	v_and_b32_e32 v10, 64, v3
	v_add_u32_e32 v4, 64, v10
	v_xor_b32_e32 v5, 32, v3
	v_cmp_lt_i32_e32 vcc, v5, v4
	v_xor_b32_e32 v7, 16, v3
	v_xor_b32_e32 v8, 8, v3
	v_cndmask_b32_e32 v5, v3, v5, vcc
	v_lshlrev_b32_e32 v5, 2, v5
	ds_bpermute_b32 v6, v5, v2
	v_max_f32_e32 v2, v2, v2
	v_cmp_lt_i32_e32 vcc, v7, v4
	v_and_b32_e32 v20, 63, v0
	s_waitcnt lgkmcnt(0)
	v_max_f32_e32 v6, v6, v6
	v_max_f32_e32 v2, v2, v6
	v_cndmask_b32_e32 v6, v3, v7, vcc
	v_lshlrev_b32_e32 v7, 2, v6
	ds_bpermute_b32 v6, v7, v2
	v_cmp_lt_i32_e32 vcc, v8, v4
	s_waitcnt lgkmcnt(0)
	v_max_f32_e32 v6, v6, v6
	v_max_f32_e32 v6, v2, v6
	v_cndmask_b32_e32 v2, v3, v8, vcc
	v_lshlrev_b32_e32 v9, 2, v2
	ds_bpermute_b32 v8, v9, v6
	v_cmp_eq_u32_e32 vcc, 0, v20
	v_lshlrev_b32_e32 v2, 2, v18
	s_and_saveexec_b64 s[0:1], vcc
	s_cbranch_execz .LBB217_23
; %bb.22:
	s_waitcnt lgkmcnt(0)
	v_max_f32_e32 v8, v8, v8
	v_max_f32_e32 v6, v6, v6
	;; [unrolled: 1-line block ×3, first 2 shown]
	ds_write_b32 v2, v6 offset:128
.LBB217_23:
	s_or_b64 exec, exec, s[0:1]
	v_cmp_gt_u32_e64 s[0:1], 2, v20
	v_mov_b32_e32 v11, 0xff7fffff
	v_lshlrev_b32_e32 v6, 2, v20
	s_waitcnt lgkmcnt(0)
	s_barrier
	s_and_saveexec_b64 s[8:9], s[0:1]
; %bb.24:
	ds_read_b32 v11, v6 offset:128
; %bb.25:
	s_or_b64 exec, exec, s[8:9]
	v_xor_b32_e32 v8, 1, v3
	v_cmp_lt_i32_e64 s[8:9], v8, v4
	v_lshlrev_b32_e32 v10, 2, v10
	s_nop 0
	v_cndmask_b32_e64 v8, v3, v8, s[8:9]
	v_lshlrev_b32_e32 v8, 2, v8
	s_waitcnt lgkmcnt(0)
	ds_bpermute_b32 v12, v8, v11
	v_max_f32_e32 v11, v11, v11
	s_lshl_b32 s8, s44, 3
	s_min_i32 s39, s8, s25
	v_cmp_gt_i32_e64 s[8:9], s39, v0
	s_waitcnt lgkmcnt(0)
	v_max_f32_e32 v12, v12, v12
	v_max_f32_e32 v11, v11, v12
	ds_bpermute_b32 v11, v10, v11
	v_mov_b32_e32 v10, 0
	s_and_saveexec_b64 s[12:13], s[8:9]
	s_cbranch_execz .LBB217_29
; %bb.26:
	v_mov_b32_e32 v10, 0x90
	v_lshl_add_u32 v12, v0, 2, v10
	v_mov_b32_e32 v10, 0
	s_mov_b64 s[18:19], 0
	v_mov_b32_e32 v13, v0
.LBB217_27:                             ; =>This Inner Loop Header: Depth=1
	ds_read_b32 v14, v12
	v_add_u32_e32 v13, 0x80, v13
	v_cmp_le_i32_e64 s[10:11], s39, v13
	s_or_b64 s[18:19], s[10:11], s[18:19]
	s_waitcnt lgkmcnt(0)
	v_sub_f32_e32 v14, v14, v11
	v_mul_f32_e32 v14, 0x3fb8aa3b, v14
	v_exp_f32_e32 v14, v14
	ds_write_b32 v12, v14
	v_add_f32_e32 v10, v10, v14
	v_add_u32_e32 v12, 0x200, v12
	s_andn2_b64 exec, exec, s[18:19]
	s_cbranch_execnz .LBB217_27
; %bb.28:
	s_or_b64 exec, exec, s[18:19]
.LBB217_29:
	s_or_b64 exec, exec, s[12:13]
	ds_bpermute_b32 v5, v5, v10
	s_waitcnt lgkmcnt(0)
	v_add_f32_e32 v5, v10, v5
	ds_bpermute_b32 v7, v7, v5
	s_waitcnt lgkmcnt(0)
	v_add_f32_e32 v5, v5, v7
	ds_bpermute_b32 v7, v9, v5
	v_xor_b32_e32 v9, 4, v3
	v_cmp_lt_i32_e64 s[10:11], v9, v4
	s_waitcnt lgkmcnt(0)
	v_add_f32_e32 v5, v5, v7
	v_cndmask_b32_e64 v9, v3, v9, s[10:11]
	v_lshlrev_b32_e32 v9, 2, v9
	ds_bpermute_b32 v7, v9, v5
	v_xor_b32_e32 v9, 2, v3
	v_cmp_lt_i32_e64 s[10:11], v9, v4
	s_waitcnt lgkmcnt(0)
	v_add_f32_e32 v5, v5, v7
	v_cndmask_b32_e64 v4, v3, v9, s[10:11]
	v_lshlrev_b32_e32 v4, 2, v4
	ds_bpermute_b32 v4, v4, v5
	s_waitcnt lgkmcnt(0)
	v_add_f32_e32 v4, v5, v4
	ds_bpermute_b32 v5, v8, v4
	s_waitcnt lgkmcnt(0)
	v_add_f32_e32 v4, v4, v5
	s_and_saveexec_b64 s[10:11], vcc
; %bb.30:
	ds_write_b32 v2, v4 offset:136
; %bb.31:
	s_or_b64 exec, exec, s[10:11]
	s_waitcnt lgkmcnt(0)
	s_barrier
	s_and_saveexec_b64 s[10:11], s[0:1]
; %bb.32:
	ds_read_b32 v4, v6 offset:136
; %bb.33:
	s_or_b64 exec, exec, s[10:11]
	s_waitcnt lgkmcnt(0)
	ds_bpermute_b32 v2, v8, v4
	v_lshlrev_b32_e32 v3, 2, v3
	v_and_b32_e32 v3, 0x100, v3
	s_waitcnt lgkmcnt(0)
	v_add_f32_e32 v2, v4, v2
	ds_bpermute_b32 v2, v3, v2
	s_and_saveexec_b64 s[0:1], s[8:9]
	s_cbranch_execz .LBB217_46
; %bb.34:
	s_waitcnt lgkmcnt(0)
	v_add_f32_e32 v2, 0x358637bd, v2
	v_div_scale_f32 v3, s[8:9], v2, v2, 1.0
	v_rcp_f32_e32 v4, v3
	v_div_scale_f32 v5, vcc, 1.0, v2, 1.0
	s_movk_i32 s8, 0x7f
	v_fma_f32 v6, -v3, v4, 1.0
	v_fmac_f32_e32 v4, v6, v4
	v_mul_f32_e32 v6, v5, v4
	v_fma_f32 v7, -v3, v6, v5
	v_fmac_f32_e32 v6, v7, v4
	v_fma_f32 v3, -v3, v6, v5
	v_div_fmas_f32 v3, v3, v4, v6
	v_xad_u32 v4, v0, -1, s39
	v_div_fixup_f32 v2, v3, v2, 1.0
	v_cmp_lt_u32_e32 vcc, s8, v4
	s_mov_b64 s[10:11], -1
	v_mov_b32_e32 v3, v0
	s_and_saveexec_b64 s[8:9], vcc
	s_cbranch_execz .LBB217_43
; %bb.35:
	v_lshrrev_b32_e32 v4, 7, v4
	v_add_u32_e32 v6, -1, v4
	v_lshrrev_b32_e32 v5, 1, v6
	v_mov_b32_e32 v3, v2
	v_add_u32_e32 v5, 1, v5
	v_cmp_lt_u32_e32 vcc, 13, v6
	v_mov_b32_e32 v8, 0
	s_and_saveexec_b64 s[10:11], vcc
	s_cbranch_execz .LBB217_39
; %bb.36:
	v_mov_b32_e32 v7, 0x90
	v_and_b32_e32 v6, -8, v5
	v_lshl_add_u32 v7, v0, 2, v7
	s_mov_b32 s18, 0
	s_mov_b64 s[12:13], 0
.LBB217_37:                             ; =>This Inner Loop Header: Depth=1
	ds_read2st64_b32 v[8:9], v7 offset1:2
	ds_read2st64_b32 v[10:11], v7 offset0:4 offset1:6
	ds_read2st64_b32 v[12:13], v7 offset0:8 offset1:10
	;; [unrolled: 1-line block ×3, first 2 shown]
	v_add_u32_e32 v6, -8, v6
	s_waitcnt lgkmcnt(3)
	v_pk_mul_f32 v[8:9], v[2:3], v[8:9]
	s_waitcnt lgkmcnt(2)
	v_pk_mul_f32 v[10:11], v[2:3], v[10:11]
	ds_write2st64_b32 v7, v8, v9 offset1:2
	ds_write2st64_b32 v7, v10, v11 offset0:4 offset1:6
	ds_read2st64_b32 v[10:11], v7 offset0:16 offset1:18
	s_waitcnt lgkmcnt(4)
	v_pk_mul_f32 v[8:9], v[2:3], v[12:13]
	ds_write2st64_b32 v7, v8, v9 offset0:8 offset1:10
	s_waitcnt lgkmcnt(4)
	v_pk_mul_f32 v[8:9], v[2:3], v[14:15]
	ds_write2st64_b32 v7, v8, v9 offset0:12 offset1:14
	ds_read2st64_b32 v[8:9], v7 offset0:20 offset1:22
	s_waitcnt lgkmcnt(3)
	v_pk_mul_f32 v[10:11], v[2:3], v[10:11]
	ds_read2st64_b32 v[12:13], v7 offset0:24 offset1:26
	ds_write2st64_b32 v7, v10, v11 offset0:16 offset1:18
	ds_read2st64_b32 v[10:11], v7 offset0:28 offset1:30
	s_waitcnt lgkmcnt(3)
	v_pk_mul_f32 v[8:9], v[2:3], v[8:9]
	ds_write2st64_b32 v7, v8, v9 offset0:20 offset1:22
	s_waitcnt lgkmcnt(3)
	v_pk_mul_f32 v[8:9], v[2:3], v[12:13]
	ds_write2st64_b32 v7, v8, v9 offset0:24 offset1:26
	s_waitcnt lgkmcnt(2)
	v_pk_mul_f32 v[8:9], v[2:3], v[10:11]
	s_add_i32 s18, s18, 16
	v_cmp_eq_u32_e32 vcc, 0, v6
	ds_write2st64_b32 v7, v8, v9 offset0:28 offset1:30
	v_add_u32_e32 v7, 0x2000, v7
	s_or_b64 s[12:13], vcc, s[12:13]
	v_mov_b32_e32 v8, s18
	s_andn2_b64 exec, exec, s[12:13]
	s_cbranch_execnz .LBB217_37
; %bb.38:
	s_or_b64 exec, exec, s[12:13]
.LBB217_39:
	s_or_b64 exec, exec, s[10:11]
	v_and_b32_e32 v5, 7, v5
	v_cmp_ne_u32_e32 vcc, 0, v5
	s_and_saveexec_b64 s[10:11], vcc
	s_cbranch_execz .LBB217_42
; %bb.40:
	v_lshlrev_b32_e32 v6, 9, v8
	v_lshlrev_b32_e32 v7, 2, v0
	s_movk_i32 s12, 0x90
	v_add3_u32 v6, v6, v7, s12
	s_mov_b64 s[12:13], 0
.LBB217_41:                             ; =>This Inner Loop Header: Depth=1
	ds_read2st64_b32 v[8:9], v6 offset1:2
	v_add_u32_e32 v5, -1, v5
	v_cmp_eq_u32_e32 vcc, 0, v5
	s_or_b64 s[12:13], vcc, s[12:13]
	s_waitcnt lgkmcnt(0)
	v_pk_mul_f32 v[8:9], v[2:3], v[8:9]
	ds_write2st64_b32 v6, v8, v9 offset1:2
	v_add_u32_e32 v6, 0x400, v6
	s_andn2_b64 exec, exec, s[12:13]
	s_cbranch_execnz .LBB217_41
.LBB217_42:
	s_or_b64 exec, exec, s[10:11]
	v_add_u32_e32 v4, 1, v4
	v_and_b32_e32 v5, 0x3fffffe, v4
	v_cmp_ne_u32_e32 vcc, v4, v5
	v_lshl_add_u32 v3, v5, 7, v0
	s_orn2_b64 s[10:11], vcc, exec
.LBB217_43:
	s_or_b64 exec, exec, s[8:9]
	s_and_b64 exec, exec, s[10:11]
	s_cbranch_execz .LBB217_46
; %bb.44:
	v_mov_b32_e32 v4, 0x90
	v_lshl_add_u32 v4, v3, 2, v4
	s_mov_b64 s[8:9], 0
.LBB217_45:                             ; =>This Inner Loop Header: Depth=1
	ds_read_b32 v5, v4
	v_add_u32_e32 v3, 0x80, v3
	v_cmp_le_i32_e32 vcc, s39, v3
	s_or_b64 s[8:9], vcc, s[8:9]
	s_waitcnt lgkmcnt(0)
	v_mul_f32_e32 v5, v2, v5
	ds_write_b32 v4, v5
	v_add_u32_e32 v4, 0x200, v4
	s_andn2_b64 exec, exec, s[8:9]
	s_cbranch_execnz .LBB217_45
.LBB217_46:
	s_or_b64 exec, exec, s[0:1]
	v_mov_b32_e32 v21, 0
	s_waitcnt lgkmcnt(0)
	s_barrier
	s_and_saveexec_b64 s[8:9], s[2:3]
	s_cbranch_execz .LBB217_102
; %bb.47:
	s_sub_i32 s21, s16, s21
	s_ashr_i32 s1, s45, 31
	s_add_u32 s0, s36, s45
	s_addc_u32 s1, s37, s1
	s_abs_i32 s22, s22
	v_cvt_f32_u32_e32 v3, s22
	v_lshlrev_b32_e32 v2, 3, v20
	s_add_i32 s37, s44, -1
	s_mov_b32 s2, -1
	v_rcp_iflag_f32_e32 v6, v3
	v_mov_b32_e32 v3, 0
	v_lshl_add_u64 v[4:5], s[0:1], 0, v[2:3]
	s_sub_i32 s0, 0, s22
	v_mul_f32_e32 v2, 0x4f7ffffe, v6
	v_cvt_u32_f32_e32 v2, v2
	s_mov_b32 s36, s17
	s_mov_b32 s3, 0xffffff
	;; [unrolled: 1-line block ×3, first 2 shown]
	v_mul_lo_u32 v6, s0, v2
	s_lshl_b64 s[0:1], s[34:35], 2
	v_mul_hi_u32 v6, v2, v6
	s_add_u32 s0, s30, s0
	v_add_u32_e32 v22, v2, v6
	v_and_b32_e32 v2, 60, v1
	s_addc_u32 s1, s31, s1
	v_mov_b32_e32 v1, 0x90
	v_lshl_add_u64 v[6:7], s[0:1], 0, v[2:3]
	v_lshl_add_u32 v23, v18, 5, v1
	s_mov_b64 s[10:11], 0
	s_movk_i32 s30, 0x7f
	s_movk_i32 s31, 0x80
	s_mov_b32 s34, 0xffff
	s_mov_b32 s35, 0x8000
	v_mov_b32_e32 v24, 0x2000
	v_mov_b32_e32 v25, 0x7c01
	;; [unrolled: 1-line block ×3, first 2 shown]
	v_bfrev_b32_e32 v27, 1
	v_mov_b32_e32 v21, 0
	s_branch .LBB217_50
.LBB217_48:                             ;   in Loop: Header=BB217_50 Depth=1
	s_or_b64 exec, exec, s[0:1]
	v_and_b32_e32 v8, 0xffff, v28
	v_and_b32_e32 v9, 0xffff, v30
	v_lshl_or_b32 v8, v29, 16, v8
	v_lshl_or_b32 v9, v31, 16, v9
	v_and_b32_e32 v10, 0xffff, v32
	v_and_b32_e32 v11, 0xffff, v34
	;;#ASMSTART
	v_pk_mul_f16 v1, v8, v1;

	;;#ASMEND
	v_lshl_or_b32 v10, v33, 16, v10
	v_lshl_or_b32 v11, v35, 16, v11
	;;#ASMSTART
	v_pk_mul_f16 v2, v9, v2;

	;;#ASMEND
	;;#ASMSTART
	v_pk_mul_f16 v8, v10, v17;

	;;#ASMEND
	;; [unrolled: 4-line block ×3, first 2 shown]
	s_nop 0
	;;#ASMSTART
	v_pk_add_f16 v1, v1, v2;

	;;#ASMEND
	s_nop 0
	;;#ASMSTART
	v_pk_add_f16 v1, v1, v8;

	;;#ASMEND
	;; [unrolled: 5-line block ×3, first 2 shown]
	s_nop 0
	v_lshrrev_b32_e32 v2, 16, v1
	v_and_b32_e32 v1, 0xffff, v1
	;;#ASMSTART
	v_cvt_f32_f16 v1, v1;
	;;#ASMEND
	;;#ASMSTART
	v_cvt_f32_f16 v2, v2;
	;;#ASMEND
	s_nop 0
	v_add_f32_e32 v1, v1, v2
	v_add_f32_e32 v21, v21, v1
.LBB217_49:                             ;   in Loop: Header=BB217_50 Depth=1
	s_or_b64 exec, exec, s[12:13]
	v_add_u32_e32 v18, 2, v18
	v_cmp_le_i32_e32 vcc, s44, v18
	v_lshl_add_u64 v[6:7], v[6:7], 0, 8
	v_add_u32_e32 v19, 16, v19
	s_or_b64 s[10:11], vcc, s[10:11]
	v_add_u32_e32 v23, 64, v23
	s_andn2_b64 exec, exec, s[10:11]
	s_cbranch_execz .LBB217_101
.LBB217_50:                             ; =>This Inner Loop Header: Depth=1
	v_mul_hi_u32 v1, v19, s33
	v_mul_lo_u32 v2, v1, s27
	v_sub_u32_e32 v2, v19, v2
	v_add_u32_e32 v8, 1, v1
	v_cmp_le_u32_e32 vcc, s27, v2
	s_nop 1
	v_cndmask_b32_e32 v1, v1, v8, vcc
	v_subrev_u32_e32 v8, s27, v2
	v_cndmask_b32_e32 v2, v2, v8, vcc
	v_add_u32_e32 v8, 1, v1
	v_cmp_le_u32_e32 vcc, s27, v2
	s_nop 1
	v_cndmask_b32_e32 v1, v1, v8, vcc
	v_xor_b32_e32 v1, s23, v1
	v_subrev_u32_e32 v1, s23, v1
	v_add_u32_e32 v2, s38, v1
	v_sub_u32_e32 v9, 0, v2
	v_ashrrev_i32_e32 v8, 31, v2
	v_max_i32_e32 v2, v2, v9
	v_mul_hi_u32 v9, v2, v22
	v_mul_lo_u32 v9, v9, s22
	v_sub_u32_e32 v2, v2, v9
	v_subrev_u32_e32 v9, s22, v2
	v_cmp_le_u32_e32 vcc, s22, v2
	v_cmp_lt_i32_e64 s[0:1], s21, v1
	s_nop 0
	v_cndmask_b32_e32 v2, v2, v9, vcc
	v_subrev_u32_e32 v9, s22, v2
	v_cmp_le_u32_e32 vcc, s22, v2
	s_nop 1
	v_cndmask_b32_e32 v2, v2, v9, vcc
	v_xor_b32_e32 v2, v2, v8
	v_sub_u32_e32 v2, v2, v8
	v_cmp_eq_u32_e32 vcc, 0, v2
	s_or_b64 s[0:1], vcc, s[0:1]
	s_and_saveexec_b64 s[12:13], s[0:1]
	s_cbranch_execz .LBB217_49
; %bb.51:                               ;   in Loop: Header=BB217_50 Depth=1
	ds_read2_b64 v[8:11], v23 offset1:1
	ds_read2_b64 v[12:15], v23 offset0:2 offset1:3
	s_waitcnt lgkmcnt(1)
	;;#ASMSTART
	v_cvt_f16_f32 v28, v8;

	;;#ASMEND
	;;#ASMSTART
	v_cvt_f16_f32 v29, v9;

	;;#ASMEND
	;; [unrolled: 4-line block ×4, first 2 shown]
	s_waitcnt lgkmcnt(0)
	;;#ASMSTART
	v_cvt_f16_f32 v32, v12;

	;;#ASMEND
	;;#ASMSTART
	v_cvt_f16_f32 v33, v13;

	;;#ASMEND
	;; [unrolled: 4-line block ×4, first 2 shown]
	global_load_dword v1, v[6:7], off
	s_waitcnt vmcnt(0)
	v_mad_i64_i32 v[12:13], s[0:1], v1, s36, v[4:5]
	global_load_dwordx2 v[10:11], v[12:13], off
	global_load_dword v8, v3, s[14:15]
	s_mov_b64 s[0:1], 0
	s_waitcnt vmcnt(1)
	v_cmp_gt_i16_sdwa s[16:17], v10, s30 src0_sel:BYTE_0 src1_sel:DWORD
	s_and_saveexec_b64 s[18:19], s[16:17]
	s_xor_b64 s[16:17], exec, s[18:19]
	s_cbranch_execnz .LBB217_77
; %bb.52:                               ;   in Loop: Header=BB217_50 Depth=1
	s_or_saveexec_b64 s[16:17], s[16:17]
	v_mov_b32_e32 v1, 0x8000
	s_xor_b64 exec, exec, s[16:17]
	s_cbranch_execnz .LBB217_80
.LBB217_53:                             ;   in Loop: Header=BB217_50 Depth=1
	s_or_b64 exec, exec, s[16:17]
	s_and_saveexec_b64 s[16:17], s[0:1]
	s_cbranch_execz .LBB217_55
.LBB217_54:                             ;   in Loop: Header=BB217_50 Depth=1
	v_and_b32_e32 v2, 7, v10
	v_ffbh_u32_e32 v9, v2
	v_min_u32_e32 v9, 32, v9
	v_subrev_u32_e32 v12, 28, v9
	v_and_b32_e32 v1, 0x7f, v10
	v_lshlrev_b64 v[12:13], v12, v[10:11]
	v_cmp_gt_u32_e32 vcc, 8, v1
	v_sub_u32_e32 v9, 29, v9
	v_bfe_u32 v13, v10, 3, 4
	v_cndmask_b32_e32 v9, v13, v9, vcc
	v_and_b32_e32 v12, 7, v12
	v_lshl_add_u32 v9, v9, 10, v24
	v_cndmask_b32_e32 v2, v2, v12, vcc
	v_lshlrev_b32_e32 v12, 8, v10
	v_and_b32_e32 v9, 0xfc00, v9
	v_and_or_b32 v9, v12, s35, v9
	v_lshl_or_b32 v2, v2, 7, v9
	v_cmp_ne_u32_e32 vcc, s30, v1
	s_nop 1
	v_cndmask_b32_e32 v1, v25, v2, vcc
.LBB217_55:                             ;   in Loop: Header=BB217_50 Depth=1
	s_or_b64 exec, exec, s[16:17]
	v_lshrrev_b16_e32 v2, 8, v10
	v_cmp_lt_i16_e32 vcc, s30, v2
	s_mov_b64 s[0:1], 0
	s_and_saveexec_b64 s[16:17], vcc
	s_xor_b64 s[16:17], exec, s[16:17]
	s_cbranch_execnz .LBB217_81
; %bb.56:                               ;   in Loop: Header=BB217_50 Depth=1
	s_or_saveexec_b64 s[16:17], s[16:17]
	v_bfrev_b32_e32 v9, 1
	s_xor_b64 exec, exec, s[16:17]
	s_cbranch_execnz .LBB217_84
.LBB217_57:                             ;   in Loop: Header=BB217_50 Depth=1
	s_or_b64 exec, exec, s[16:17]
	s_and_saveexec_b64 s[16:17], s[0:1]
	s_cbranch_execz .LBB217_59
.LBB217_58:                             ;   in Loop: Header=BB217_50 Depth=1
	v_and_b32_e32 v9, 7, v2
	v_ffbh_u32_e32 v12, v9
	v_min_u32_e32 v16, 32, v12
	v_subrev_u32_e32 v12, 28, v16
	v_and_b32_e32 v14, 0x7f, v2
	v_lshlrev_b64 v[12:13], v12, v[2:3]
	v_bfe_u32 v15, v2, 3, 4
	v_sub_u32_e32 v13, 29, v16
	v_cmp_gt_u32_e32 vcc, 8, v14
	v_lshlrev_b32_e32 v2, 8, v2
	v_and_b32_e32 v12, 7, v12
	v_cndmask_b32_e32 v13, v15, v13, vcc
	v_lshl_add_u32 v13, v13, 10, v24
	v_and_or_b32 v2, v2, s35, v13
	v_cndmask_b32_e32 v9, v9, v12, vcc
	v_lshlrev_b32_e32 v2, 16, v2
	v_lshl_or_b32 v2, v9, 23, v2
	v_cmp_ne_u32_e32 vcc, s30, v14
	s_nop 1
	v_cndmask_b32_e32 v9, v26, v2, vcc
.LBB217_59:                             ;   in Loop: Header=BB217_50 Depth=1
	s_or_b64 exec, exec, s[16:17]
	v_lshrrev_b32_e32 v12, 16, v10
	v_cmp_gt_i16_sdwa s[16:17], v12, s30 src0_sel:BYTE_0 src1_sel:DWORD
	s_mov_b64 s[0:1], 0
	s_and_saveexec_b64 s[18:19], s[16:17]
	s_xor_b64 s[16:17], exec, s[18:19]
	s_cbranch_execnz .LBB217_85
; %bb.60:                               ;   in Loop: Header=BB217_50 Depth=1
	s_or_saveexec_b64 s[16:17], s[16:17]
	v_mov_b32_e32 v13, 0x8000
	s_xor_b64 exec, exec, s[16:17]
	s_cbranch_execnz .LBB217_88
.LBB217_61:                             ;   in Loop: Header=BB217_50 Depth=1
	s_or_b64 exec, exec, s[16:17]
	s_and_saveexec_b64 s[16:17], s[0:1]
	s_cbranch_execz .LBB217_63
.LBB217_62:                             ;   in Loop: Header=BB217_50 Depth=1
	v_and_b32_e32 v2, 7, v12
	v_ffbh_u32_e32 v14, v2
	v_min_u32_e32 v17, 32, v14
	v_and_b32_e32 v13, 0x7f, v12
	v_subrev_u32_e32 v14, 28, v17
	v_lshlrev_b64 v[14:15], v14, v[12:13]
	v_bfe_u32 v16, v12, 3, 4
	v_sub_u32_e32 v15, 29, v17
	v_cmp_gt_u32_e32 vcc, 8, v13
	v_and_b32_e32 v14, 7, v14
	s_nop 0
	v_cndmask_b32_e32 v15, v16, v15, vcc
	v_lshl_add_u32 v15, v15, 10, v24
	v_lshlrev_b32_e32 v16, 8, v12
	v_cndmask_b32_e32 v2, v2, v14, vcc
	v_and_b32_e32 v14, 0xfc00, v15
	v_and_or_b32 v14, v16, s35, v14
	v_lshl_or_b32 v2, v2, 7, v14
	v_cmp_ne_u32_e32 vcc, s30, v13
	s_nop 1
	v_cndmask_b32_e32 v13, v25, v2, vcc
.LBB217_63:                             ;   in Loop: Header=BB217_50 Depth=1
	s_or_b64 exec, exec, s[16:17]
	v_mov_b32_e32 v2, v11
	v_cmp_gt_i16_sdwa s[16:17], v11, s30 src0_sel:BYTE_0 src1_sel:DWORD
	s_mov_b64 s[0:1], 0
	s_and_saveexec_b64 s[18:19], s[16:17]
	s_xor_b64 s[16:17], exec, s[18:19]
	s_cbranch_execnz .LBB217_89
; %bb.64:                               ;   in Loop: Header=BB217_50 Depth=1
	s_or_saveexec_b64 s[16:17], s[16:17]
	v_mov_b32_e32 v14, 0x8000
	s_xor_b64 exec, exec, s[16:17]
	s_cbranch_execnz .LBB217_92
.LBB217_65:                             ;   in Loop: Header=BB217_50 Depth=1
	s_or_b64 exec, exec, s[16:17]
	s_and_saveexec_b64 s[16:17], s[0:1]
	s_cbranch_execz .LBB217_67
.LBB217_66:                             ;   in Loop: Header=BB217_50 Depth=1
	v_and_b32_e32 v16, 7, v11
	v_ffbh_u32_e32 v14, v16
	v_min_u32_e32 v37, 32, v14
	v_subrev_u32_e32 v14, 28, v37
	v_and_b32_e32 v17, 0x7f, v11
	v_lshlrev_b64 v[14:15], v14, v[2:3]
	v_bfe_u32 v36, v11, 3, 4
	v_sub_u32_e32 v15, 29, v37
	v_cmp_gt_u32_e32 vcc, 8, v17
	v_and_b32_e32 v14, 7, v14
	s_nop 0
	v_cndmask_b32_e32 v15, v36, v15, vcc
	v_lshl_add_u32 v15, v15, 10, v24
	v_lshlrev_b32_e32 v36, 8, v11
	v_and_b32_e32 v15, 0xfc00, v15
	v_cndmask_b32_e32 v14, v16, v14, vcc
	v_and_or_b32 v15, v36, s35, v15
	v_lshl_or_b32 v14, v14, 7, v15
	v_cmp_ne_u32_e32 vcc, s30, v17
	s_nop 1
	v_cndmask_b32_e32 v14, v25, v14, vcc
.LBB217_67:                             ;   in Loop: Header=BB217_50 Depth=1
	s_or_b64 exec, exec, s[16:17]
	v_lshrrev_b16_e32 v2, 8, v2
	v_cmp_lt_i16_e32 vcc, s30, v2
	s_mov_b64 s[0:1], 0
	s_and_saveexec_b64 s[16:17], vcc
	s_xor_b64 s[16:17], exec, s[16:17]
	s_cbranch_execnz .LBB217_93
; %bb.68:                               ;   in Loop: Header=BB217_50 Depth=1
	s_or_saveexec_b64 s[16:17], s[16:17]
	v_bfrev_b32_e32 v15, 1
	s_xor_b64 exec, exec, s[16:17]
	s_cbranch_execnz .LBB217_96
.LBB217_69:                             ;   in Loop: Header=BB217_50 Depth=1
	s_or_b64 exec, exec, s[16:17]
	s_and_saveexec_b64 s[16:17], s[0:1]
	s_cbranch_execz .LBB217_71
.LBB217_70:                             ;   in Loop: Header=BB217_50 Depth=1
	v_and_b32_e32 v15, 7, v2
	v_ffbh_u32_e32 v16, v15
	v_min_u32_e32 v38, 32, v16
	v_subrev_u32_e32 v16, 28, v38
	v_and_b32_e32 v36, 0x7f, v2
	v_lshlrev_b64 v[16:17], v16, v[2:3]
	v_bfe_u32 v37, v2, 3, 4
	v_sub_u32_e32 v17, 29, v38
	v_cmp_gt_u32_e32 vcc, 8, v36
	v_lshlrev_b32_e32 v2, 8, v2
	v_and_b32_e32 v16, 7, v16
	v_cndmask_b32_e32 v17, v37, v17, vcc
	v_lshl_add_u32 v17, v17, 10, v24
	v_and_or_b32 v2, v2, s35, v17
	v_cndmask_b32_e32 v15, v15, v16, vcc
	v_lshlrev_b32_e32 v2, 16, v2
	v_lshl_or_b32 v2, v15, 23, v2
	v_cmp_ne_u32_e32 vcc, s30, v36
	s_nop 1
	v_cndmask_b32_e32 v15, v26, v2, vcc
.LBB217_71:                             ;   in Loop: Header=BB217_50 Depth=1
	s_or_b64 exec, exec, s[16:17]
	v_lshrrev_b32_e32 v2, 16, v11
	v_cmp_gt_i16_sdwa s[16:17], v2, s30 src0_sel:BYTE_0 src1_sel:DWORD
	s_mov_b64 s[0:1], 0
	s_and_saveexec_b64 s[18:19], s[16:17]
	s_xor_b64 s[16:17], exec, s[18:19]
	s_cbranch_execnz .LBB217_97
; %bb.72:                               ;   in Loop: Header=BB217_50 Depth=1
	s_or_saveexec_b64 s[16:17], s[16:17]
	v_mov_b32_e32 v16, 0x8000
	s_xor_b64 exec, exec, s[16:17]
	s_cbranch_execnz .LBB217_100
.LBB217_73:                             ;   in Loop: Header=BB217_50 Depth=1
	s_or_b64 exec, exec, s[16:17]
	s_and_saveexec_b64 s[16:17], s[0:1]
	s_cbranch_execz .LBB217_75
.LBB217_74:                             ;   in Loop: Header=BB217_50 Depth=1
	v_and_b32_e32 v36, 7, v2
	v_ffbh_u32_e32 v16, v36
	v_min_u32_e32 v39, 32, v16
	v_subrev_u32_e32 v16, 28, v39
	v_and_b32_e32 v37, 0x7f, v2
	v_lshlrev_b64 v[16:17], v16, v[2:3]
	v_bfe_u32 v38, v2, 3, 4
	v_sub_u32_e32 v17, 29, v39
	v_cmp_gt_u32_e32 vcc, 8, v37
	v_and_b32_e32 v16, 7, v16
	s_nop 0
	v_cndmask_b32_e32 v17, v38, v17, vcc
	v_lshl_add_u32 v17, v17, 10, v24
	v_lshlrev_b32_e32 v38, 8, v2
	v_and_b32_e32 v17, 0xfc00, v17
	v_cndmask_b32_e32 v16, v36, v16, vcc
	v_and_or_b32 v17, v38, s35, v17
	v_lshl_or_b32 v16, v16, 7, v17
	v_cmp_ne_u32_e32 vcc, s30, v37
	s_nop 1
	v_cndmask_b32_e32 v16, v25, v16, vcc
.LBB217_75:                             ;   in Loop: Header=BB217_50 Depth=1
	s_or_b64 exec, exec, s[16:17]
	v_bfe_u32 v17, v10, 24, 3
	v_ffbh_u32_e32 v38, v17
	v_min_u32_e32 v41, 32, v38
	v_lshrrev_b32_e32 v36, 24, v10
	v_bfe_u32 v37, v10, 24, 7
	v_subrev_u32_e32 v38, 28, v41
	v_lshlrev_b64 v[38:39], v38, v[36:37]
	v_bfe_u32 v40, v36, 3, 4
	v_sub_u32_e32 v39, 29, v41
	v_cmp_gt_u32_e32 vcc, 8, v37
	v_and_b32_e32 v38, 7, v38
	v_or_b32_e32 v1, v9, v1
	v_cndmask_b32_e32 v39, v40, v39, vcc
	v_lshl_add_u32 v39, v39, 10, v24
	v_and_or_b32 v12, v12, s35, v39
	v_cndmask_b32_e32 v17, v17, v38, vcc
	v_lshlrev_b32_e32 v12, 16, v12
	v_lshl_or_b32 v12, v17, 23, v12
	v_cmp_ne_u32_e32 vcc, s30, v37
	v_bfe_u32 v38, v11, 24, 3
	v_bfe_u32 v39, v11, 24, 7
	v_cndmask_b32_e32 v12, v26, v12, vcc
	v_cmp_ne_u32_e32 vcc, s31, v36
	v_ffbh_u32_e32 v36, v38
	v_min_u32_e32 v41, 32, v36
	v_cndmask_b32_e32 v12, v27, v12, vcc
	v_cmp_lt_u32_e32 vcc, s3, v10
	v_subrev_u32_e32 v36, 28, v41
	v_cmp_ne_u32_e64 s[0:1], s30, v39
	v_cndmask_b32_e32 v17, 0, v12, vcc
	v_lshrrev_b32_e32 v12, 24, v11
	v_lshlrev_b64 v[36:37], v36, v[12:13]
	v_bfe_u32 v40, v12, 3, 4
	v_sub_u32_e32 v37, 29, v41
	v_cmp_gt_u32_e32 vcc, 8, v39
	v_and_b32_e32 v36, 7, v36
	s_nop 0
	v_cndmask_b32_e32 v37, v40, v37, vcc
	v_lshl_add_u32 v37, v37, 10, v24
	v_and_or_b32 v2, v2, s35, v37
	v_cndmask_b32_e32 v36, v38, v36, vcc
	v_lshlrev_b32_e32 v2, 16, v2
	v_lshl_or_b32 v2, v36, 23, v2
	v_cvt_f32_f16_sdwa v36, v17 dst_sel:DWORD dst_unused:UNUSED_PAD src0_sel:WORD_1
	v_cvt_f32_f16_sdwa v37, v9 dst_sel:DWORD dst_unused:UNUSED_PAD src0_sel:WORD_1
	v_or_b32_e32 v9, v13, v17
	v_cndmask_b32_e64 v2, v26, v2, s[0:1]
	v_cmp_ne_u32_e64 s[0:1], s31, v12
	v_cvt_f32_f16_e32 v12, v9
	v_cvt_f32_f16_e32 v13, v1
	v_cndmask_b32_e64 v2, v27, v2, s[0:1]
	v_cmp_lt_u64_e64 s[0:1], s[2:3], v[10:11]
	s_waitcnt vmcnt(0)
	v_pk_mul_f32 v[10:11], v[8:9], v[36:37] op_sel_hi:[0,1]
	v_cvt_pk_f16_f32 v1, v10, v11
	v_and_b32_e32 v9, 0xffff0000, v1
	v_cndmask_b32_e64 v2, 0, v2, s[0:1]
	v_pk_mul_f32 v[12:13], v[8:9], v[12:13] op_sel_hi:[0,1]
	v_lshlrev_b32_e32 v10, 16, v1
	v_cvt_pk_f16_f32 v1, v12, v13
	v_or_b32_e32 v13, v15, v14
	v_or_b32_e32 v14, v16, v2
	v_cvt_f32_f16_e32 v16, v14
	v_cvt_f32_f16_e32 v17, v13
	v_cvt_f32_f16_sdwa v14, v2 dst_sel:DWORD dst_unused:UNUSED_PAD src0_sel:WORD_1
	v_cvt_f32_f16_sdwa v15, v15 dst_sel:DWORD dst_unused:UNUSED_PAD src0_sel:WORD_1
	v_lshrrev_b32_e32 v11, 16, v1
	v_pk_mul_f32 v[16:17], v[8:9], v[16:17] op_sel_hi:[0,1]
	v_cvt_pk_f16_f32 v16, v16, v17
	v_pk_mul_f32 v[14:15], v[8:9], v[14:15] op_sel_hi:[0,1]
	v_cvt_pk_f16_f32 v8, v14, v15
	v_and_b32_e32 v12, 0xffff, v1
	v_and_b32_e32 v13, 0xffff0000, v8
	v_lshlrev_b32_e32 v8, 16, v8
	v_lshrrev_b32_e32 v15, 16, v16
	v_and_b32_e32 v14, 0xffff, v16
	v_cmp_eq_u32_e32 vcc, s37, v18
	v_or_b32_e32 v1, v9, v11
	v_or_b32_e32 v2, v10, v12
	;; [unrolled: 1-line block ×4, first 2 shown]
	s_and_saveexec_b64 s[0:1], vcc
	s_cbranch_execz .LBB217_48
; %bb.76:                               ;   in Loop: Header=BB217_50 Depth=1
	v_add_u32_e32 v16, 2, v19
	v_cmp_gt_i32_e32 vcc, s39, v19
	v_or_b32_e32 v1, 1, v19
	v_or_b32_e32 v2, 3, v19
	v_cndmask_b32_e32 v11, 0, v11, vcc
	v_cmp_gt_i32_e32 vcc, s25, v16
	s_nop 1
	v_cndmask_b32_e32 v12, 0, v12, vcc
	v_cmp_gt_i32_e32 vcc, s39, v1
	s_nop 1
	v_cndmask_b32_e32 v1, 0, v9, vcc
	v_cmp_gt_i32_e32 vcc, s25, v2
	v_or_b32_e32 v9, 4, v19
	v_or_b32_e32 v1, v1, v11
	v_cndmask_b32_e32 v2, 0, v10, vcc
	v_or_b32_e32 v10, 6, v19
	v_cmp_gt_i32_e32 vcc, s39, v9
	v_or_b32_e32 v11, 5, v19
	v_or_b32_e32 v2, v2, v12
	v_cndmask_b32_e32 v9, 0, v15, vcc
	v_cmp_gt_i32_e32 vcc, s25, v10
	v_or_b32_e32 v12, 7, v19
	s_nop 0
	v_cndmask_b32_e32 v10, 0, v14, vcc
	v_cmp_gt_i32_e32 vcc, s39, v11
	s_nop 1
	v_cndmask_b32_e32 v11, 0, v13, vcc
	v_cmp_gt_i32_e32 vcc, s25, v12
	v_or_b32_e32 v17, v11, v9
	s_nop 0
	v_cndmask_b32_e32 v8, 0, v8, vcc
	v_or_b32_e32 v16, v8, v10
	s_branch .LBB217_48
.LBB217_77:                             ;   in Loop: Header=BB217_50 Depth=1
	v_cmp_eq_u16_sdwa s[40:41], v10, s31 src0_sel:BYTE_0 src1_sel:DWORD
	s_mov_b64 s[0:1], -1
	s_and_saveexec_b64 s[18:19], s[40:41]
; %bb.78:                               ;   in Loop: Header=BB217_50 Depth=1
	s_xor_b64 s[0:1], exec, -1
; %bb.79:                               ;   in Loop: Header=BB217_50 Depth=1
	s_or_b64 exec, exec, s[18:19]
	s_and_b64 s[0:1], s[0:1], exec
	s_or_saveexec_b64 s[16:17], s[16:17]
	v_mov_b32_e32 v1, 0x8000
	s_xor_b64 exec, exec, s[16:17]
	s_cbranch_execz .LBB217_53
.LBB217_80:                             ;   in Loop: Header=BB217_50 Depth=1
	v_cmp_ne_u16_sdwa s[18:19], v10, v3 src0_sel:BYTE_0 src1_sel:DWORD
	s_andn2_b64 s[0:1], s[0:1], exec
	s_and_b64 s[18:19], s[18:19], exec
	v_and_b32_sdwa v1, s34, v10 dst_sel:DWORD dst_unused:UNUSED_PAD src0_sel:DWORD src1_sel:BYTE_0
	s_or_b64 s[0:1], s[0:1], s[18:19]
	s_or_b64 exec, exec, s[16:17]
	s_and_saveexec_b64 s[16:17], s[0:1]
	s_cbranch_execnz .LBB217_54
	s_branch .LBB217_55
.LBB217_81:                             ;   in Loop: Header=BB217_50 Depth=1
	v_cmp_eq_u16_e32 vcc, s31, v2
	s_mov_b64 s[0:1], -1
	s_and_saveexec_b64 s[18:19], vcc
; %bb.82:                               ;   in Loop: Header=BB217_50 Depth=1
	s_xor_b64 s[0:1], exec, -1
; %bb.83:                               ;   in Loop: Header=BB217_50 Depth=1
	s_or_b64 exec, exec, s[18:19]
	s_and_b64 s[0:1], s[0:1], exec
	s_or_saveexec_b64 s[16:17], s[16:17]
	v_bfrev_b32_e32 v9, 1
	s_xor_b64 exec, exec, s[16:17]
	s_cbranch_execz .LBB217_57
.LBB217_84:                             ;   in Loop: Header=BB217_50 Depth=1
	v_cmp_ne_u16_e32 vcc, 0, v2
	s_andn2_b64 s[0:1], s[0:1], exec
	s_and_b64 s[18:19], vcc, exec
	s_or_b64 s[0:1], s[0:1], s[18:19]
	v_mov_b32_e32 v9, v2
	s_or_b64 exec, exec, s[16:17]
	s_and_saveexec_b64 s[16:17], s[0:1]
	s_cbranch_execnz .LBB217_58
	s_branch .LBB217_59
.LBB217_85:                             ;   in Loop: Header=BB217_50 Depth=1
	v_cmp_eq_u16_sdwa s[40:41], v12, s31 src0_sel:BYTE_0 src1_sel:DWORD
	s_mov_b64 s[0:1], -1
	s_and_saveexec_b64 s[18:19], s[40:41]
; %bb.86:                               ;   in Loop: Header=BB217_50 Depth=1
	s_xor_b64 s[0:1], exec, -1
; %bb.87:                               ;   in Loop: Header=BB217_50 Depth=1
	s_or_b64 exec, exec, s[18:19]
	s_and_b64 s[0:1], s[0:1], exec
	s_or_saveexec_b64 s[16:17], s[16:17]
	v_mov_b32_e32 v13, 0x8000
	s_xor_b64 exec, exec, s[16:17]
	s_cbranch_execz .LBB217_61
.LBB217_88:                             ;   in Loop: Header=BB217_50 Depth=1
	v_cmp_ne_u16_sdwa s[18:19], v12, v3 src0_sel:BYTE_0 src1_sel:DWORD
	s_andn2_b64 s[0:1], s[0:1], exec
	s_and_b64 s[18:19], s[18:19], exec
	v_and_b32_sdwa v13, s34, v12 dst_sel:DWORD dst_unused:UNUSED_PAD src0_sel:DWORD src1_sel:BYTE_0
	s_or_b64 s[0:1], s[0:1], s[18:19]
	s_or_b64 exec, exec, s[16:17]
	s_and_saveexec_b64 s[16:17], s[0:1]
	s_cbranch_execnz .LBB217_62
	s_branch .LBB217_63
.LBB217_89:                             ;   in Loop: Header=BB217_50 Depth=1
	v_cmp_eq_u16_sdwa s[40:41], v11, s31 src0_sel:BYTE_0 src1_sel:DWORD
	s_mov_b64 s[0:1], -1
	s_and_saveexec_b64 s[18:19], s[40:41]
; %bb.90:                               ;   in Loop: Header=BB217_50 Depth=1
	s_xor_b64 s[0:1], exec, -1
; %bb.91:                               ;   in Loop: Header=BB217_50 Depth=1
	s_or_b64 exec, exec, s[18:19]
	s_and_b64 s[0:1], s[0:1], exec
	s_or_saveexec_b64 s[16:17], s[16:17]
	v_mov_b32_e32 v14, 0x8000
	s_xor_b64 exec, exec, s[16:17]
	s_cbranch_execz .LBB217_65
.LBB217_92:                             ;   in Loop: Header=BB217_50 Depth=1
	v_cmp_ne_u16_sdwa s[18:19], v11, v3 src0_sel:BYTE_0 src1_sel:DWORD
	s_andn2_b64 s[0:1], s[0:1], exec
	s_and_b64 s[18:19], s[18:19], exec
	v_and_b32_sdwa v14, s34, v11 dst_sel:DWORD dst_unused:UNUSED_PAD src0_sel:DWORD src1_sel:BYTE_0
	s_or_b64 s[0:1], s[0:1], s[18:19]
	s_or_b64 exec, exec, s[16:17]
	s_and_saveexec_b64 s[16:17], s[0:1]
	s_cbranch_execnz .LBB217_66
	s_branch .LBB217_67
.LBB217_93:                             ;   in Loop: Header=BB217_50 Depth=1
	v_cmp_eq_u16_e32 vcc, s31, v2
	s_mov_b64 s[0:1], -1
	s_and_saveexec_b64 s[18:19], vcc
; %bb.94:                               ;   in Loop: Header=BB217_50 Depth=1
	s_xor_b64 s[0:1], exec, -1
; %bb.95:                               ;   in Loop: Header=BB217_50 Depth=1
	s_or_b64 exec, exec, s[18:19]
	s_and_b64 s[0:1], s[0:1], exec
	s_or_saveexec_b64 s[16:17], s[16:17]
	v_bfrev_b32_e32 v15, 1
	s_xor_b64 exec, exec, s[16:17]
	s_cbranch_execz .LBB217_69
.LBB217_96:                             ;   in Loop: Header=BB217_50 Depth=1
	v_cmp_ne_u16_e32 vcc, 0, v2
	s_andn2_b64 s[0:1], s[0:1], exec
	s_and_b64 s[18:19], vcc, exec
	s_or_b64 s[0:1], s[0:1], s[18:19]
	v_mov_b32_e32 v15, v2
	s_or_b64 exec, exec, s[16:17]
	s_and_saveexec_b64 s[16:17], s[0:1]
	s_cbranch_execnz .LBB217_70
	s_branch .LBB217_71
.LBB217_97:                             ;   in Loop: Header=BB217_50 Depth=1
	v_cmp_eq_u16_sdwa s[40:41], v2, s31 src0_sel:BYTE_0 src1_sel:DWORD
	s_mov_b64 s[0:1], -1
	s_and_saveexec_b64 s[18:19], s[40:41]
; %bb.98:                               ;   in Loop: Header=BB217_50 Depth=1
	s_xor_b64 s[0:1], exec, -1
; %bb.99:                               ;   in Loop: Header=BB217_50 Depth=1
	s_or_b64 exec, exec, s[18:19]
	s_and_b64 s[0:1], s[0:1], exec
	s_or_saveexec_b64 s[16:17], s[16:17]
	v_mov_b32_e32 v16, 0x8000
	s_xor_b64 exec, exec, s[16:17]
	s_cbranch_execz .LBB217_73
.LBB217_100:                            ;   in Loop: Header=BB217_50 Depth=1
	v_cmp_ne_u16_sdwa s[18:19], v2, v3 src0_sel:BYTE_0 src1_sel:DWORD
	s_andn2_b64 s[0:1], s[0:1], exec
	s_and_b64 s[18:19], s[18:19], exec
	v_and_b32_sdwa v16, s34, v2 dst_sel:DWORD dst_unused:UNUSED_PAD src0_sel:DWORD src1_sel:BYTE_0
	s_or_b64 s[0:1], s[0:1], s[18:19]
	s_or_b64 exec, exec, s[16:17]
	s_and_saveexec_b64 s[16:17], s[0:1]
	s_cbranch_execnz .LBB217_74
	s_branch .LBB217_75
.LBB217_101:
	s_or_b64 exec, exec, s[10:11]
.LBB217_102:
	s_or_b64 exec, exec, s[8:9]
	v_and_b32_e32 v0, 0x3c0, v0
	v_cmp_eq_u32_e32 vcc, 64, v0
	v_mov_b32_e32 v0, 0x90
	v_lshl_add_u32 v0, v20, 2, v0
	s_barrier
	s_and_saveexec_b64 s[0:1], vcc
; %bb.103:
	ds_write_b32 v0, v21
; %bb.104:
	s_or_b64 exec, exec, s[0:1]
	s_waitcnt lgkmcnt(0)
	s_barrier
	s_and_saveexec_b64 s[0:1], s[6:7]
	s_cbranch_execz .LBB217_106
; %bb.105:
	ds_read_b32 v0, v0
	s_waitcnt lgkmcnt(0)
	v_add_f32_e32 v21, v21, v0
.LBB217_106:
	s_or_b64 exec, exec, s[0:1]
	s_barrier
	s_and_saveexec_b64 s[0:1], s[6:7]
	s_cbranch_execz .LBB217_108
; %bb.107:
	s_mul_i32 s0, s24, s20
	s_mul_i32 s0, s0, s5
	s_lshl_b32 s0, s0, 6
	s_ashr_i32 s1, s0, 31
	s_lshl_b64 s[0:1], s[0:1], 1
	s_add_u32 s2, s28, s0
	s_mul_i32 s0, s20, s26
	s_addc_u32 s3, s29, s1
	s_ashr_i32 s1, s0, 31
	s_lshl_b64 s[0:1], s[0:1], 1
	s_add_u32 s2, s2, s0
	s_addc_u32 s3, s3, s1
	s_lshl_b32 s0, s4, 6
	s_ashr_i32 s1, s0, 31
	s_lshl_b64 s[0:1], s[0:1], 1
	s_add_u32 s0, s2, s0
	s_addc_u32 s1, s3, s1
	v_lshlrev_b32_e32 v0, 1, v20
	;;#ASMSTART
	v_cvt_f16_f32 v1, v21;

	;;#ASMEND
	global_store_short v0, v1, s[0:1]
.LBB217_108:
	s_endpgm
	.section	.rodata,"a",@progbits
	.p2align	6, 0x0
	.amdhsa_kernel _ZN4vllm25paged_attention_v1_kernelIthLi64ELi8ELi128ELNS_18Fp8KVCacheDataTypeE1ELb1EEEvPT_PKS2_PKT0_S8_ifPKiSA_iPKfiiiSC_SC_iiiii
		.amdhsa_group_segment_fixed_size 144
		.amdhsa_private_segment_fixed_size 0
		.amdhsa_kernarg_size 384
		.amdhsa_user_sgpr_count 2
		.amdhsa_user_sgpr_dispatch_ptr 0
		.amdhsa_user_sgpr_queue_ptr 0
		.amdhsa_user_sgpr_kernarg_segment_ptr 1
		.amdhsa_user_sgpr_dispatch_id 0
		.amdhsa_user_sgpr_kernarg_preload_length 0
		.amdhsa_user_sgpr_kernarg_preload_offset 0
		.amdhsa_user_sgpr_private_segment_size 0
		.amdhsa_uses_dynamic_stack 0
		.amdhsa_enable_private_segment 0
		.amdhsa_system_sgpr_workgroup_id_x 1
		.amdhsa_system_sgpr_workgroup_id_y 1
		.amdhsa_system_sgpr_workgroup_id_z 1
		.amdhsa_system_sgpr_workgroup_info 0
		.amdhsa_system_vgpr_workitem_id 0
		.amdhsa_next_free_vgpr 42
		.amdhsa_next_free_sgpr 50
		.amdhsa_accum_offset 44
		.amdhsa_reserve_vcc 1
		.amdhsa_float_round_mode_32 0
		.amdhsa_float_round_mode_16_64 0
		.amdhsa_float_denorm_mode_32 3
		.amdhsa_float_denorm_mode_16_64 3
		.amdhsa_dx10_clamp 1
		.amdhsa_ieee_mode 1
		.amdhsa_fp16_overflow 0
		.amdhsa_tg_split 0
		.amdhsa_exception_fp_ieee_invalid_op 0
		.amdhsa_exception_fp_denorm_src 0
		.amdhsa_exception_fp_ieee_div_zero 0
		.amdhsa_exception_fp_ieee_overflow 0
		.amdhsa_exception_fp_ieee_underflow 0
		.amdhsa_exception_fp_ieee_inexact 0
		.amdhsa_exception_int_div_zero 0
	.end_amdhsa_kernel
	.section	.text._ZN4vllm25paged_attention_v1_kernelIthLi64ELi8ELi128ELNS_18Fp8KVCacheDataTypeE1ELb1EEEvPT_PKS2_PKT0_S8_ifPKiSA_iPKfiiiSC_SC_iiiii,"axG",@progbits,_ZN4vllm25paged_attention_v1_kernelIthLi64ELi8ELi128ELNS_18Fp8KVCacheDataTypeE1ELb1EEEvPT_PKS2_PKT0_S8_ifPKiSA_iPKfiiiSC_SC_iiiii,comdat
.Lfunc_end217:
	.size	_ZN4vllm25paged_attention_v1_kernelIthLi64ELi8ELi128ELNS_18Fp8KVCacheDataTypeE1ELb1EEEvPT_PKS2_PKT0_S8_ifPKiSA_iPKfiiiSC_SC_iiiii, .Lfunc_end217-_ZN4vllm25paged_attention_v1_kernelIthLi64ELi8ELi128ELNS_18Fp8KVCacheDataTypeE1ELb1EEEvPT_PKS2_PKT0_S8_ifPKiSA_iPKfiiiSC_SC_iiiii
                                        ; -- End function
	.set _ZN4vllm25paged_attention_v1_kernelIthLi64ELi8ELi128ELNS_18Fp8KVCacheDataTypeE1ELb1EEEvPT_PKS2_PKT0_S8_ifPKiSA_iPKfiiiSC_SC_iiiii.num_vgpr, 42
	.set _ZN4vllm25paged_attention_v1_kernelIthLi64ELi8ELi128ELNS_18Fp8KVCacheDataTypeE1ELb1EEEvPT_PKS2_PKT0_S8_ifPKiSA_iPKfiiiSC_SC_iiiii.num_agpr, 0
	.set _ZN4vllm25paged_attention_v1_kernelIthLi64ELi8ELi128ELNS_18Fp8KVCacheDataTypeE1ELb1EEEvPT_PKS2_PKT0_S8_ifPKiSA_iPKfiiiSC_SC_iiiii.numbered_sgpr, 50
	.set _ZN4vllm25paged_attention_v1_kernelIthLi64ELi8ELi128ELNS_18Fp8KVCacheDataTypeE1ELb1EEEvPT_PKS2_PKT0_S8_ifPKiSA_iPKfiiiSC_SC_iiiii.num_named_barrier, 0
	.set _ZN4vllm25paged_attention_v1_kernelIthLi64ELi8ELi128ELNS_18Fp8KVCacheDataTypeE1ELb1EEEvPT_PKS2_PKT0_S8_ifPKiSA_iPKfiiiSC_SC_iiiii.private_seg_size, 0
	.set _ZN4vllm25paged_attention_v1_kernelIthLi64ELi8ELi128ELNS_18Fp8KVCacheDataTypeE1ELb1EEEvPT_PKS2_PKT0_S8_ifPKiSA_iPKfiiiSC_SC_iiiii.uses_vcc, 1
	.set _ZN4vllm25paged_attention_v1_kernelIthLi64ELi8ELi128ELNS_18Fp8KVCacheDataTypeE1ELb1EEEvPT_PKS2_PKT0_S8_ifPKiSA_iPKfiiiSC_SC_iiiii.uses_flat_scratch, 0
	.set _ZN4vllm25paged_attention_v1_kernelIthLi64ELi8ELi128ELNS_18Fp8KVCacheDataTypeE1ELb1EEEvPT_PKS2_PKT0_S8_ifPKiSA_iPKfiiiSC_SC_iiiii.has_dyn_sized_stack, 0
	.set _ZN4vllm25paged_attention_v1_kernelIthLi64ELi8ELi128ELNS_18Fp8KVCacheDataTypeE1ELb1EEEvPT_PKS2_PKT0_S8_ifPKiSA_iPKfiiiSC_SC_iiiii.has_recursion, 0
	.set _ZN4vllm25paged_attention_v1_kernelIthLi64ELi8ELi128ELNS_18Fp8KVCacheDataTypeE1ELb1EEEvPT_PKS2_PKT0_S8_ifPKiSA_iPKfiiiSC_SC_iiiii.has_indirect_call, 0
	.section	.AMDGPU.csdata,"",@progbits
; Kernel info:
; codeLenInByte = 6732
; TotalNumSgprs: 56
; NumVgprs: 42
; NumAgprs: 0
; TotalNumVgprs: 42
; ScratchSize: 0
; MemoryBound: 0
; FloatMode: 240
; IeeeMode: 1
; LDSByteSize: 144 bytes/workgroup (compile time only)
; SGPRBlocks: 6
; VGPRBlocks: 5
; NumSGPRsForWavesPerEU: 56
; NumVGPRsForWavesPerEU: 42
; AccumOffset: 44
; Occupancy: 8
; WaveLimiterHint : 1
; COMPUTE_PGM_RSRC2:SCRATCH_EN: 0
; COMPUTE_PGM_RSRC2:USER_SGPR: 2
; COMPUTE_PGM_RSRC2:TRAP_HANDLER: 0
; COMPUTE_PGM_RSRC2:TGID_X_EN: 1
; COMPUTE_PGM_RSRC2:TGID_Y_EN: 1
; COMPUTE_PGM_RSRC2:TGID_Z_EN: 1
; COMPUTE_PGM_RSRC2:TIDIG_COMP_CNT: 0
; COMPUTE_PGM_RSRC3_GFX90A:ACCUM_OFFSET: 10
; COMPUTE_PGM_RSRC3_GFX90A:TG_SPLIT: 0
	.section	.text._ZN4vllm25paged_attention_v1_kernelIthLi80ELi8ELi128ELNS_18Fp8KVCacheDataTypeE1ELb1EEEvPT_PKS2_PKT0_S8_ifPKiSA_iPKfiiiSC_SC_iiiii,"axG",@progbits,_ZN4vllm25paged_attention_v1_kernelIthLi80ELi8ELi128ELNS_18Fp8KVCacheDataTypeE1ELb1EEEvPT_PKS2_PKT0_S8_ifPKiSA_iPKfiiiSC_SC_iiiii,comdat
	.protected	_ZN4vllm25paged_attention_v1_kernelIthLi80ELi8ELi128ELNS_18Fp8KVCacheDataTypeE1ELb1EEEvPT_PKS2_PKT0_S8_ifPKiSA_iPKfiiiSC_SC_iiiii ; -- Begin function _ZN4vllm25paged_attention_v1_kernelIthLi80ELi8ELi128ELNS_18Fp8KVCacheDataTypeE1ELb1EEEvPT_PKS2_PKT0_S8_ifPKiSA_iPKfiiiSC_SC_iiiii
	.globl	_ZN4vllm25paged_attention_v1_kernelIthLi80ELi8ELi128ELNS_18Fp8KVCacheDataTypeE1ELb1EEEvPT_PKS2_PKT0_S8_ifPKiSA_iPKfiiiSC_SC_iiiii
	.p2align	8
	.type	_ZN4vllm25paged_attention_v1_kernelIthLi80ELi8ELi128ELNS_18Fp8KVCacheDataTypeE1ELb1EEEvPT_PKS2_PKT0_S8_ifPKiSA_iPKfiiiSC_SC_iiiii,@function
_ZN4vllm25paged_attention_v1_kernelIthLi80ELi8ELi128ELNS_18Fp8KVCacheDataTypeE1ELb1EEEvPT_PKS2_PKT0_S8_ifPKiSA_iPKfiiiSC_SC_iiiii: ; @_ZN4vllm25paged_attention_v1_kernelIthLi80ELi8ELi128ELNS_18Fp8KVCacheDataTypeE1ELb1EEEvPT_PKS2_PKT0_S8_ifPKiSA_iPKfiiiSC_SC_iiiii
; %bb.0:
	s_load_dword s5, s[0:1], 0x80
	s_load_dwordx2 s[6:7], s[0:1], 0x30
	s_load_dwordx2 s[38:39], s[0:1], 0x20
	s_mov_b32 s24, s3
	s_ashr_i32 s25, s3, 31
	s_lshl_b64 s[8:9], s[24:25], 2
	s_waitcnt lgkmcnt(0)
	s_add_u32 s6, s6, s8
	s_addc_u32 s7, s7, s9
	s_abs_i32 s3, s38
	v_cvt_f32_u32_e32 v1, s3
	s_sub_i32 s10, 0, s3
	s_abs_i32 s9, s5
	s_xor_b32 s8, s5, s38
	v_rcp_iflag_f32_e32 v1, v1
	s_ashr_i32 s8, s8, 31
	s_mov_b32 s47, 0
	v_mul_f32_e32 v1, 0x4f7ffffe, v1
	v_cvt_u32_f32_e32 v1, v1
	s_nop 0
	v_readfirstlane_b32 s11, v1
	s_mul_i32 s10, s10, s11
	s_mul_hi_u32 s10, s11, s10
	s_add_i32 s11, s11, s10
	s_mul_hi_u32 s10, s9, s11
	s_mul_i32 s11, s10, s3
	s_sub_i32 s9, s9, s11
	s_add_i32 s11, s10, 1
	s_sub_i32 s12, s9, s3
	s_cmp_ge_u32 s9, s3
	s_cselect_b32 s10, s11, s10
	s_cselect_b32 s9, s12, s9
	s_add_i32 s11, s10, 1
	s_cmp_ge_u32 s9, s3
	s_cselect_b32 s3, s11, s10
	s_xor_b32 s3, s3, s8
	s_sub_i32 s14, s3, s8
	s_abs_i32 s10, s14
	v_cvt_f32_u32_e32 v1, s10
	s_load_dwordx2 s[8:9], s[0:1], 0x40
	s_sub_i32 s3, 0, s10
	s_abs_i32 s11, s2
	v_rcp_iflag_f32_e32 v1, v1
	s_nop 0
	v_mul_f32_e32 v1, 0x4f7ffffe, v1
	v_cvt_u32_f32_e32 v1, v1
	s_nop 0
	v_readfirstlane_b32 s12, v1
	s_mul_i32 s3, s3, s12
	s_mul_hi_u32 s3, s12, s3
	s_add_i32 s12, s12, s3
	s_waitcnt lgkmcnt(0)
	s_cmp_eq_u64 s[8:9], 0
	s_mul_hi_u32 s12, s11, s12
	s_cbranch_scc1 .LBB218_2
; %bb.1:
	s_ashr_i32 s3, s2, 31
	s_lshl_b64 s[16:17], s[2:3], 2
	s_add_u32 s8, s8, s16
	s_addc_u32 s9, s9, s17
	s_load_dword s47, s[8:9], 0x0
.LBB218_2:
	s_load_dword s25, s[6:7], 0x0
	s_load_dwordx4 s[16:19], s[0:1], 0x48
	s_movk_i32 s3, 0x50
	s_ashr_i32 s13, s2, 31
	s_ashr_i32 s14, s14, 31
	v_and_b32_e32 v6, 7, v0
	s_mul_i32 s26, s2, 0x50
	v_cmp_gt_u32_e64 s[6:7], s3, v0
	v_lshlrev_b32_e32 v2, 1, v0
	s_and_saveexec_b64 s[8:9], s[6:7]
	s_cbranch_execz .LBB218_4
; %bb.3:
	s_load_dwordx2 s[20:21], s[0:1], 0x8
	s_waitcnt lgkmcnt(0)
	s_mul_i32 s22, s16, s24
	s_ashr_i32 s23, s22, 31
	s_lshl_b64 s[22:23], s[22:23], 1
	v_lshrrev_b32_e32 v3, 2, v0
	s_add_u32 s3, s20, s22
	s_addc_u32 s15, s21, s23
	s_ashr_i32 s27, s26, 31
	s_lshl_b64 s[20:21], s[26:27], 1
	s_add_u32 s20, s3, s20
	s_addc_u32 s21, s15, s21
	global_load_ushort v1, v2, s[20:21]
	v_and_b32_e32 v3, 0xfe, v3
	v_mad_u32_u24 v3, v6, 20, v3
	s_waitcnt vmcnt(0)
	ds_write_b16 v3, v1
.LBB218_4:
	s_or_b64 exec, exec, s[8:9]
	s_mul_i32 s9, s12, s10
	s_sub_i32 s9, s11, s9
	s_xor_b32 s8, s13, s14
	s_add_i32 s11, s12, 1
	s_sub_i32 s13, s9, s10
	s_load_dwordx4 s[20:23], s[0:1], 0x68
	s_load_dword s3, s[0:1], 0x78
	s_cmp_ge_u32 s9, s10
	s_cselect_b32 s11, s11, s12
	s_cselect_b32 s9, s13, s9
	s_add_i32 s12, s11, 1
	s_cmp_ge_u32 s9, s10
	s_cselect_b32 s9, s12, s11
	s_waitcnt lgkmcnt(0)
	s_abs_i32 s33, s23
	v_cvt_f32_u32_e32 v1, s33
	s_xor_b32 s9, s9, s8
	s_sub_i32 s10, s9, s8
	s_sub_i32 s8, 0, s33
	v_rcp_iflag_f32_e32 v1, v1
	s_add_i32 s12, s25, -1
	s_abs_i32 s11, s12
	v_mul_f32_e32 v1, 0x4f7ffffe, v1
	v_cvt_u32_f32_e32 v1, v1
	s_barrier
	v_readfirstlane_b32 s44, v1
	s_mul_i32 s8, s8, s44
	s_mul_hi_u32 s8, s44, s8
	s_add_i32 s44, s44, s8
	s_cmp_lt_i32 s3, 0
	s_mul_hi_u32 s16, s11, s44
	s_cbranch_scc0 .LBB218_6
; %bb.5:
	s_mul_i32 s8, s20, s38
	s_add_i32 s8, s10, s8
	s_mul_i32 s8, s8, s3
	s_sub_i32 s38, 1, s8
	s_mov_b64 s[8:9], 0
	s_branch .LBB218_7
.LBB218_6:
	s_mov_b64 s[8:9], -1
                                        ; implicit-def: $sgpr38
.LBB218_7:
	s_load_dwordx2 s[30:31], s[0:1], 0x28
	s_ashr_i32 s19, s12, 31
	s_andn2_b64 vcc, exec, s[8:9]
	s_ashr_i32 s45, s23, 31
	s_cbranch_vccnz .LBB218_9
; %bb.8:
	s_mul_i32 s8, s5, s20
	s_add_i32 s2, s8, s2
	s_mul_i32 s2, s2, s3
	s_add_i32 s38, s2, 1
.LBB218_9:
	s_load_dword s2, s[0:1], 0x38
	s_load_dwordx2 s[28:29], s[0:1], 0x0
	s_load_dwordx2 s[36:37], s[0:1], 0x18
	s_load_dword s27, s[0:1], 0x88
	s_load_dwordx4 s[12:15], s[0:1], 0x58
	s_mul_i32 s3, s16, s33
	s_waitcnt lgkmcnt(0)
	s_mul_i32 s34, s2, s24
	s_sub_i32 s3, s11, s3
	s_ashr_i32 s35, s34, 31
	s_xor_b32 s2, s19, s45
	s_add_i32 s8, s16, 1
	s_sub_i32 s9, s3, s33
	s_cmp_ge_u32 s3, s33
	s_cselect_b32 s8, s8, s16
	s_cselect_b32 s3, s9, s3
	s_add_i32 s9, s8, 1
	s_cmp_ge_u32 s3, s33
	s_cselect_b32 s3, s9, s8
	s_xor_b32 s3, s3, s2
	s_sub_i32 s16, s3, s2
	s_add_i32 s2, s25, 7
	s_ashr_i32 s3, s2, 31
	s_lshr_b32 s3, s3, 29
	s_add_i32 s2, s2, s3
	s_ashr_i32 s46, s2, 3
	v_lshrrev_b32_e32 v23, 6, v0
	v_cmp_gt_i32_e64 s[2:3], s46, v23
	v_mov_b32_e32 v4, 0xff7fffff
	s_mul_i32 s20, s10, s18
	v_lshrrev_b32_e32 v1, 4, v0
	v_lshlrev_b32_e32 v24, 3, v23
	v_mbcnt_lo_u32_b32 v3, -1, 0
	s_and_saveexec_b64 s[18:19], s[2:3]
	s_cbranch_execz .LBB218_21
; %bb.10:
	s_load_dwordx2 s[0:1], s[0:1], 0x10
	s_sub_i32 s23, s16, s21
	s_ashr_i32 s9, s20, 31
	v_bfe_u32 v10, v0, 3, 3
	v_mov_b32_e32 v5, 0
	s_waitcnt lgkmcnt(0)
	s_add_u32 s8, s0, s20
	s_addc_u32 s9, s1, s9
	s_abs_i32 s48, s22
	v_cvt_f32_u32_e32 v4, s48
	v_cmp_eq_u32_e32 vcc, 0, v6
	v_mul_u32_u24_e32 v11, 20, v6
	v_mbcnt_hi_u32_b32 v17, -1, v3
	v_rcp_iflag_f32_e32 v7, v4
	v_lshlrev_b32_e32 v4, 4, v10
	v_lshl_add_u64 v[8:9], s[8:9], 0, v[4:5]
	s_sub_i32 s8, 0, s48
	v_mul_f32_e32 v7, 0x4f7ffffe, v7
	v_cvt_u32_f32_e32 v12, v7
	v_mov_b32_e32 v7, v5
	v_lshl_add_u64 v[6:7], v[8:9], 0, v[6:7]
	s_mov_b32 s49, s17
	v_mul_lo_u32 v4, s8, v12
	s_lshl_b64 s[8:9], s[34:35], 2
	v_mul_hi_u32 v4, v12, v4
	s_add_u32 s8, s30, s8
	v_add_u32_e32 v12, v12, v4
	v_and_b32_e32 v4, 60, v1
	s_addc_u32 s9, s31, s9
	v_lshl_add_u64 v[8:9], s[8:9], 0, v[4:5]
	v_subrev_u32_e32 v4, s25, v10
	v_add_u32_e32 v14, 1, v4
	v_lshlrev_b32_e32 v4, 2, v10
	v_lshl_or_b32 v4, v23, 5, v4
	v_add_u32_e32 v15, 0xb0, v4
	v_and_b32_e32 v4, 64, v17
	v_cmp_neq_f32_e64 s[0:1], s47, 0
	v_lshlrev_b32_e32 v13, 3, v23
	v_mov_b32_e32 v16, 0xff7fffff
	s_mov_b64 s[40:41], 0
	v_add_u32_e32 v18, 64, v4
	v_xor_b32_e32 v19, 4, v17
	v_xor_b32_e32 v20, 2, v17
	;; [unrolled: 1-line block ×3, first 2 shown]
	v_mov_b32_e32 v4, 0xff7fffff
	v_mov_b32_e32 v22, v23
	s_branch .LBB218_13
.LBB218_11:                             ;   in Loop: Header=BB218_13 Depth=1
	s_or_b64 exec, exec, s[42:43]
.LBB218_12:                             ;   in Loop: Header=BB218_13 Depth=1
	s_or_b64 exec, exec, s[10:11]
	v_add_u32_e32 v22, 2, v22
	v_cmp_le_i32_e64 s[8:9], s46, v22
	v_lshl_add_u64 v[8:9], v[8:9], 0, 8
	v_add_u32_e32 v13, 16, v13
	s_or_b64 s[40:41], s[8:9], s[40:41]
	v_add_u32_e32 v15, 64, v15
	s_andn2_b64 exec, exec, s[40:41]
	s_cbranch_execz .LBB218_20
.LBB218_13:                             ; =>This Inner Loop Header: Depth=1
	v_mul_hi_u32 v25, v13, s44
	s_waitcnt lgkmcnt(0)
	v_mul_lo_u32 v26, v25, s33
	v_sub_u32_e32 v26, v13, v26
	v_add_u32_e32 v27, 1, v25
	v_cmp_le_u32_e64 s[8:9], s33, v26
	s_nop 1
	v_cndmask_b32_e64 v25, v25, v27, s[8:9]
	v_subrev_u32_e32 v27, s33, v26
	v_cndmask_b32_e64 v26, v26, v27, s[8:9]
	v_add_u32_e32 v27, 1, v25
	v_cmp_le_u32_e64 s[8:9], s33, v26
	s_nop 1
	v_cndmask_b32_e64 v25, v25, v27, s[8:9]
	v_xor_b32_e32 v25, s45, v25
	v_subrev_u32_e32 v25, s45, v25
	v_add_u32_e32 v26, s38, v25
	v_sub_u32_e32 v28, 0, v26
	v_ashrrev_i32_e32 v27, 31, v26
	v_max_i32_e32 v26, v26, v28
	v_mul_hi_u32 v28, v26, v12
	v_mul_lo_u32 v28, v28, s48
	v_sub_u32_e32 v26, v26, v28
	v_subrev_u32_e32 v28, s48, v26
	v_cmp_le_u32_e64 s[8:9], s48, v26
	v_cmp_ge_i32_e64 s[10:11], s23, v25
	s_nop 0
	v_cndmask_b32_e64 v26, v26, v28, s[8:9]
	v_subrev_u32_e32 v28, s48, v26
	v_cmp_le_u32_e64 s[8:9], s48, v26
	s_nop 1
	v_cndmask_b32_e64 v26, v26, v28, s[8:9]
	v_xor_b32_e32 v26, v26, v27
	v_sub_u32_e32 v26, v26, v27
	v_cmp_ne_u32_e64 s[8:9], 0, v26
	s_and_b64 s[8:9], s[8:9], s[10:11]
	s_and_saveexec_b64 s[10:11], s[8:9]
	s_xor_b64 s[8:9], exec, s[10:11]
	s_cbranch_execz .LBB218_17
; %bb.14:                               ;   in Loop: Header=BB218_13 Depth=1
	s_and_saveexec_b64 s[10:11], vcc
; %bb.15:                               ;   in Loop: Header=BB218_13 Depth=1
	ds_write_b32 v15, v16
; %bb.16:                               ;   in Loop: Header=BB218_13 Depth=1
	s_or_b64 exec, exec, s[10:11]
.LBB218_17:                             ;   in Loop: Header=BB218_13 Depth=1
	s_andn2_saveexec_b64 s[10:11], s[8:9]
	s_cbranch_execz .LBB218_12
; %bb.18:                               ;   in Loop: Header=BB218_13 Depth=1
	global_load_dword v25, v[8:9], off
	s_waitcnt vmcnt(0)
	v_mad_i64_i32 v[26:27], s[8:9], v25, s49, v[6:7]
	global_load_ubyte v25, v[26:27], off
	global_load_ubyte v28, v[26:27], off offset:8
	global_load_dword v29, v5, s[12:13]
	global_load_ubyte v30, v[26:27], off offset:128
	global_load_ubyte v31, v[26:27], off offset:136
	;; [unrolled: 1-line block ×8, first 2 shown]
	ds_read_u16 v27, v11
	s_waitcnt lgkmcnt(0)
	;;#ASMSTART
	v_cvt_f32_f16 v27, v27;
	;;#ASMEND
	v_cmp_lt_i32_e64 s[8:9], v19, v18
	s_waitcnt vmcnt(10)
	v_cvt_f32_fp8_e32 v25, v25
	s_waitcnt vmcnt(9)
	v_cvt_f32_fp8_e32 v28, v28
	v_cndmask_b32_e64 v26, v17, v19, s[8:9]
	s_waitcnt vmcnt(7)
	v_cvt_f32_fp8_e32 v30, v30
	v_fma_mixlo_f16 v25, v29, v25, 0
	s_waitcnt vmcnt(6)
	v_cvt_f32_fp8_e32 v31, v31
	v_and_b32_e32 v25, 0xffff, v25
	v_fma_mixlo_f16 v28, v29, v28, 0
	s_waitcnt vmcnt(5)
	v_cvt_f32_fp8_e32 v32, v32
	;;#ASMSTART
	v_cvt_f32_f16 v25, v25;
	;;#ASMEND
	ds_read_u16 v38, v11 offset:2
	v_and_b32_e32 v39, 0xffff, v28
	s_waitcnt lgkmcnt(0)
	;;#ASMSTART
	v_cvt_f32_f16 v28, v38;
	;;#ASMEND
	;;#ASMSTART
	v_cvt_f32_f16 v38, v39;
	;;#ASMEND
	v_fma_mixlo_f16 v30, v29, v30, 0
	s_waitcnt vmcnt(4)
	v_cvt_f32_fp8_e32 v33, v33
	s_waitcnt vmcnt(3)
	v_cvt_f32_fp8_e32 v34, v34
	v_mul_f32_e32 v28, v28, v38
	ds_read_u16 v39, v11 offset:4
	v_and_b32_e32 v40, 0xffff, v30
	v_fma_mixlo_f16 v31, v29, v31, 0
	s_waitcnt vmcnt(2)
	v_cvt_f32_fp8_e32 v35, v35
	s_waitcnt vmcnt(1)
	v_cvt_f32_fp8_e32 v36, v36
	;; [unrolled: 2-line block ×3, first 2 shown]
	v_fmac_f32_e32 v28, v27, v25
	s_waitcnt lgkmcnt(0)
	;;#ASMSTART
	v_cvt_f32_f16 v30, v39;
	;;#ASMEND
	;;#ASMSTART
	v_cvt_f32_f16 v39, v40;
	;;#ASMEND
	ds_read_u16 v40, v11 offset:6
	v_and_b32_e32 v41, 0xffff, v31
	v_fma_mixlo_f16 v32, v29, v32, 0
	v_fmac_f32_e32 v28, v30, v39
	s_waitcnt lgkmcnt(0)
	;;#ASMSTART
	v_cvt_f32_f16 v31, v40;
	;;#ASMEND
	;;#ASMSTART
	v_cvt_f32_f16 v40, v41;
	;;#ASMEND
	ds_read_u16 v41, v11 offset:8
	v_and_b32_e32 v42, 0xffff, v32
	v_fmac_f32_e32 v28, v31, v40
	s_waitcnt lgkmcnt(0)
	;;#ASMSTART
	v_cvt_f32_f16 v32, v41;
	;;#ASMEND
	;;#ASMSTART
	v_cvt_f32_f16 v41, v42;
	;;#ASMEND
	ds_read_u16 v42, v11 offset:10
	v_fma_mixlo_f16 v33, v29, v33, 0
	v_fma_mixlo_f16 v34, v29, v34, 0
	v_fmac_f32_e32 v28, v32, v41
	v_and_b32_e32 v43, 0xffff, v33
	s_waitcnt lgkmcnt(0)
	;;#ASMSTART
	v_cvt_f32_f16 v33, v42;
	;;#ASMEND
	;;#ASMSTART
	v_cvt_f32_f16 v42, v43;
	;;#ASMEND
	v_fma_mixlo_f16 v35, v29, v35, 0
	v_fma_mixlo_f16 v36, v29, v36, 0
	;; [unrolled: 1-line block ×3, first 2 shown]
	v_and_b32_e32 v37, 0xffff, v34
	v_fmac_f32_e32 v28, v33, v42
	ds_read_u16 v43, v11 offset:12
	s_waitcnt lgkmcnt(0)
	;;#ASMSTART
	v_cvt_f32_f16 v34, v43;
	;;#ASMEND
	;;#ASMSTART
	v_cvt_f32_f16 v37, v37;
	;;#ASMEND
	v_and_b32_e32 v35, 0xffff, v35
	v_fmac_f32_e32 v28, v34, v37
	ds_read_u16 v43, v11 offset:14
	v_and_b32_e32 v44, 0xffff, v29
	s_waitcnt lgkmcnt(0)
	;;#ASMSTART
	v_cvt_f32_f16 v29, v43;
	;;#ASMEND
	;;#ASMSTART
	v_cvt_f32_f16 v35, v35;
	;;#ASMEND
	v_and_b32_e32 v36, 0xffff, v36
	v_fmac_f32_e32 v28, v29, v35
	ds_read_u16 v38, v11 offset:16
	s_waitcnt lgkmcnt(0)
	;;#ASMSTART
	v_cvt_f32_f16 v25, v38;
	;;#ASMEND
	;;#ASMSTART
	v_cvt_f32_f16 v27, v36;
	;;#ASMEND
	v_lshlrev_b32_e32 v26, 2, v26
	v_fmac_f32_e32 v28, v25, v27
	ds_read_u16 v30, v11 offset:18
	s_waitcnt lgkmcnt(0)
	;;#ASMSTART
	v_cvt_f32_f16 v25, v30;
	;;#ASMEND
	;;#ASMSTART
	v_cvt_f32_f16 v27, v44;
	;;#ASMEND
	v_cmp_lt_i32_e64 s[8:9], v20, v18
	v_fmac_f32_e32 v28, v25, v27
	ds_bpermute_b32 v25, v26, v28
	v_cndmask_b32_e64 v26, v17, v20, s[8:9]
	v_lshlrev_b32_e32 v26, 2, v26
	v_cmp_lt_i32_e64 s[8:9], v21, v18
	s_waitcnt lgkmcnt(0)
	v_add_f32_e32 v25, v28, v25
	ds_bpermute_b32 v26, v26, v25
	v_cndmask_b32_e64 v27, v17, v21, s[8:9]
	s_waitcnt lgkmcnt(0)
	v_add_f32_e32 v25, v25, v26
	v_lshlrev_b32_e32 v26, 2, v27
	ds_bpermute_b32 v26, v26, v25
	s_and_saveexec_b64 s[42:43], vcc
	s_cbranch_execz .LBB218_11
; %bb.19:                               ;   in Loop: Header=BB218_13 Depth=1
	v_add_u32_e32 v27, v14, v13
	v_cvt_f32_i32_e32 v27, v27
	s_waitcnt lgkmcnt(0)
	v_add_f32_e32 v25, v25, v26
	v_add_u32_e32 v28, v10, v13
	v_cmp_gt_i32_e64 s[8:9], s25, v28
	v_mul_f32_e32 v26, s47, v27
	v_cndmask_b32_e64 v26, 0, v26, s[0:1]
	v_fmac_f32_e32 v26, s39, v25
	v_cndmask_b32_e64 v25, 0, v26, s[8:9]
	ds_write_b32 v15, v25
	v_max_f32_e32 v25, v4, v4
	v_max_f32_e32 v25, v25, v26
	v_cndmask_b32_e64 v4, v4, v25, s[8:9]
	s_branch .LBB218_11
.LBB218_20:
	s_or_b64 exec, exec, s[40:41]
.LBB218_21:
	s_or_b64 exec, exec, s[18:19]
	v_mbcnt_hi_u32_b32 v3, -1, v3
	v_and_b32_e32 v11, 64, v3
	v_add_u32_e32 v5, 64, v11
	v_xor_b32_e32 v6, 32, v3
	v_cmp_lt_i32_e32 vcc, v6, v5
	v_xor_b32_e32 v8, 16, v3
	v_xor_b32_e32 v9, 8, v3
	v_cndmask_b32_e32 v6, v3, v6, vcc
	v_lshlrev_b32_e32 v6, 2, v6
	ds_bpermute_b32 v7, v6, v4
	v_max_f32_e32 v4, v4, v4
	v_cmp_lt_i32_e32 vcc, v8, v5
	v_and_b32_e32 v25, 63, v0
	s_waitcnt lgkmcnt(0)
	v_max_f32_e32 v7, v7, v7
	v_max_f32_e32 v4, v4, v7
	v_cndmask_b32_e32 v7, v3, v8, vcc
	v_lshlrev_b32_e32 v8, 2, v7
	ds_bpermute_b32 v7, v8, v4
	v_cmp_lt_i32_e32 vcc, v9, v5
	s_waitcnt lgkmcnt(0)
	v_max_f32_e32 v7, v7, v7
	v_max_f32_e32 v7, v4, v7
	v_cndmask_b32_e32 v4, v3, v9, vcc
	v_lshlrev_b32_e32 v10, 2, v4
	ds_bpermute_b32 v9, v10, v7
	v_cmp_eq_u32_e32 vcc, 0, v25
	v_lshlrev_b32_e32 v4, 2, v23
	s_and_saveexec_b64 s[0:1], vcc
	s_cbranch_execz .LBB218_23
; %bb.22:
	s_waitcnt lgkmcnt(0)
	v_max_f32_e32 v9, v9, v9
	v_max_f32_e32 v7, v7, v7
	v_max_f32_e32 v7, v7, v9
	ds_write_b32 v4, v7 offset:160
.LBB218_23:
	s_or_b64 exec, exec, s[0:1]
	v_cmp_gt_u32_e64 s[0:1], 2, v25
	v_mov_b32_e32 v12, 0xff7fffff
	v_lshlrev_b32_e32 v7, 2, v25
	s_waitcnt lgkmcnt(0)
	s_barrier
	s_and_saveexec_b64 s[8:9], s[0:1]
; %bb.24:
	ds_read_b32 v12, v7 offset:160
; %bb.25:
	s_or_b64 exec, exec, s[8:9]
	v_xor_b32_e32 v9, 1, v3
	v_cmp_lt_i32_e64 s[8:9], v9, v5
	v_lshlrev_b32_e32 v11, 2, v11
	s_nop 0
	v_cndmask_b32_e64 v9, v3, v9, s[8:9]
	v_lshlrev_b32_e32 v9, 2, v9
	s_waitcnt lgkmcnt(0)
	ds_bpermute_b32 v13, v9, v12
	v_max_f32_e32 v12, v12, v12
	s_lshl_b32 s8, s46, 3
	s_min_i32 s23, s8, s25
	v_cmp_gt_i32_e64 s[8:9], s23, v0
	s_waitcnt lgkmcnt(0)
	v_max_f32_e32 v13, v13, v13
	v_max_f32_e32 v12, v12, v13
	ds_bpermute_b32 v12, v11, v12
	v_mov_b32_e32 v11, 0
	s_and_saveexec_b64 s[12:13], s[8:9]
	s_cbranch_execz .LBB218_29
; %bb.26:
	v_mov_b32_e32 v11, 0xb0
	v_lshl_add_u32 v13, v0, 2, v11
	v_mov_b32_e32 v11, 0
	s_mov_b64 s[18:19], 0
	v_mov_b32_e32 v14, v0
.LBB218_27:                             ; =>This Inner Loop Header: Depth=1
	ds_read_b32 v15, v13
	v_add_u32_e32 v14, 0x80, v14
	v_cmp_le_i32_e64 s[10:11], s23, v14
	s_or_b64 s[18:19], s[10:11], s[18:19]
	s_waitcnt lgkmcnt(0)
	v_sub_f32_e32 v15, v15, v12
	v_mul_f32_e32 v15, 0x3fb8aa3b, v15
	v_exp_f32_e32 v15, v15
	ds_write_b32 v13, v15
	v_add_f32_e32 v11, v11, v15
	v_add_u32_e32 v13, 0x200, v13
	s_andn2_b64 exec, exec, s[18:19]
	s_cbranch_execnz .LBB218_27
; %bb.28:
	s_or_b64 exec, exec, s[18:19]
.LBB218_29:
	s_or_b64 exec, exec, s[12:13]
	ds_bpermute_b32 v6, v6, v11
	s_waitcnt lgkmcnt(0)
	v_add_f32_e32 v6, v11, v6
	ds_bpermute_b32 v8, v8, v6
	s_waitcnt lgkmcnt(0)
	v_add_f32_e32 v6, v6, v8
	ds_bpermute_b32 v8, v10, v6
	v_xor_b32_e32 v10, 4, v3
	v_cmp_lt_i32_e64 s[10:11], v10, v5
	s_waitcnt lgkmcnt(0)
	v_add_f32_e32 v6, v6, v8
	v_cndmask_b32_e64 v10, v3, v10, s[10:11]
	v_lshlrev_b32_e32 v10, 2, v10
	ds_bpermute_b32 v8, v10, v6
	v_xor_b32_e32 v10, 2, v3
	v_cmp_lt_i32_e64 s[10:11], v10, v5
	s_waitcnt lgkmcnt(0)
	v_add_f32_e32 v6, v6, v8
	v_cndmask_b32_e64 v5, v3, v10, s[10:11]
	v_lshlrev_b32_e32 v5, 2, v5
	ds_bpermute_b32 v5, v5, v6
	s_waitcnt lgkmcnt(0)
	v_add_f32_e32 v5, v6, v5
	ds_bpermute_b32 v6, v9, v5
	s_waitcnt lgkmcnt(0)
	v_add_f32_e32 v5, v5, v6
	s_and_saveexec_b64 s[10:11], vcc
; %bb.30:
	ds_write_b32 v4, v5 offset:168
; %bb.31:
	s_or_b64 exec, exec, s[10:11]
	s_waitcnt lgkmcnt(0)
	s_barrier
	s_and_saveexec_b64 s[10:11], s[0:1]
; %bb.32:
	ds_read_b32 v5, v7 offset:168
; %bb.33:
	s_or_b64 exec, exec, s[10:11]
	s_waitcnt lgkmcnt(0)
	ds_bpermute_b32 v4, v9, v5
	v_lshlrev_b32_e32 v3, 2, v3
	v_and_b32_e32 v3, 0x100, v3
	s_waitcnt lgkmcnt(0)
	v_add_f32_e32 v4, v5, v4
	ds_bpermute_b32 v3, v3, v4
	s_and_saveexec_b64 s[0:1], s[8:9]
	s_cbranch_execz .LBB218_46
; %bb.34:
	s_waitcnt lgkmcnt(0)
	v_add_f32_e32 v3, 0x358637bd, v3
	v_div_scale_f32 v4, s[8:9], v3, v3, 1.0
	v_rcp_f32_e32 v5, v4
	v_div_scale_f32 v6, vcc, 1.0, v3, 1.0
	s_movk_i32 s8, 0x7f
	v_fma_f32 v7, -v4, v5, 1.0
	v_fmac_f32_e32 v5, v7, v5
	v_mul_f32_e32 v7, v6, v5
	v_fma_f32 v8, -v4, v7, v6
	v_fmac_f32_e32 v7, v8, v5
	v_fma_f32 v4, -v4, v7, v6
	v_div_fmas_f32 v4, v4, v5, v7
	v_xad_u32 v5, v0, -1, s23
	v_div_fixup_f32 v4, v4, v3, 1.0
	v_cmp_lt_u32_e32 vcc, s8, v5
	s_mov_b64 s[10:11], -1
	v_mov_b32_e32 v3, v0
	s_and_saveexec_b64 s[8:9], vcc
	s_cbranch_execz .LBB218_43
; %bb.35:
	v_lshrrev_b32_e32 v3, 7, v5
	v_add_u32_e32 v7, -1, v3
	v_lshrrev_b32_e32 v6, 1, v7
	v_mov_b32_e32 v5, v4
	v_add_u32_e32 v6, 1, v6
	v_cmp_lt_u32_e32 vcc, 13, v7
	v_mov_b32_e32 v9, 0
	s_and_saveexec_b64 s[10:11], vcc
	s_cbranch_execz .LBB218_39
; %bb.36:
	v_mov_b32_e32 v8, 0xb0
	v_and_b32_e32 v7, -8, v6
	v_lshl_add_u32 v8, v0, 2, v8
	s_mov_b32 s18, 0
	s_mov_b64 s[12:13], 0
.LBB218_37:                             ; =>This Inner Loop Header: Depth=1
	ds_read2st64_b32 v[10:11], v8 offset1:2
	ds_read2st64_b32 v[12:13], v8 offset0:4 offset1:6
	ds_read2st64_b32 v[14:15], v8 offset0:8 offset1:10
	;; [unrolled: 1-line block ×3, first 2 shown]
	v_add_u32_e32 v7, -8, v7
	s_waitcnt lgkmcnt(3)
	v_pk_mul_f32 v[10:11], v[4:5], v[10:11]
	s_waitcnt lgkmcnt(2)
	v_pk_mul_f32 v[12:13], v[4:5], v[12:13]
	ds_write2st64_b32 v8, v10, v11 offset1:2
	ds_write2st64_b32 v8, v12, v13 offset0:4 offset1:6
	ds_read2st64_b32 v[12:13], v8 offset0:16 offset1:18
	s_waitcnt lgkmcnt(4)
	v_pk_mul_f32 v[10:11], v[4:5], v[14:15]
	ds_write2st64_b32 v8, v10, v11 offset0:8 offset1:10
	s_waitcnt lgkmcnt(4)
	v_pk_mul_f32 v[10:11], v[4:5], v[16:17]
	ds_write2st64_b32 v8, v10, v11 offset0:12 offset1:14
	ds_read2st64_b32 v[10:11], v8 offset0:20 offset1:22
	s_waitcnt lgkmcnt(3)
	v_pk_mul_f32 v[12:13], v[4:5], v[12:13]
	ds_read2st64_b32 v[14:15], v8 offset0:24 offset1:26
	ds_write2st64_b32 v8, v12, v13 offset0:16 offset1:18
	ds_read2st64_b32 v[12:13], v8 offset0:28 offset1:30
	s_waitcnt lgkmcnt(3)
	v_pk_mul_f32 v[10:11], v[4:5], v[10:11]
	ds_write2st64_b32 v8, v10, v11 offset0:20 offset1:22
	s_waitcnt lgkmcnt(3)
	v_pk_mul_f32 v[10:11], v[4:5], v[14:15]
	ds_write2st64_b32 v8, v10, v11 offset0:24 offset1:26
	s_waitcnt lgkmcnt(2)
	v_pk_mul_f32 v[10:11], v[4:5], v[12:13]
	s_add_i32 s18, s18, 16
	v_cmp_eq_u32_e32 vcc, 0, v7
	ds_write2st64_b32 v8, v10, v11 offset0:28 offset1:30
	v_add_u32_e32 v8, 0x2000, v8
	s_or_b64 s[12:13], vcc, s[12:13]
	v_mov_b32_e32 v9, s18
	s_andn2_b64 exec, exec, s[12:13]
	s_cbranch_execnz .LBB218_37
; %bb.38:
	s_or_b64 exec, exec, s[12:13]
.LBB218_39:
	s_or_b64 exec, exec, s[10:11]
	v_and_b32_e32 v6, 7, v6
	v_cmp_ne_u32_e32 vcc, 0, v6
	s_and_saveexec_b64 s[10:11], vcc
	s_cbranch_execz .LBB218_42
; %bb.40:
	v_lshlrev_b32_e32 v7, 9, v9
	v_lshlrev_b32_e32 v8, 2, v0
	s_movk_i32 s12, 0xb0
	v_add3_u32 v7, v7, v8, s12
	s_mov_b64 s[12:13], 0
.LBB218_41:                             ; =>This Inner Loop Header: Depth=1
	ds_read2st64_b32 v[8:9], v7 offset1:2
	v_add_u32_e32 v6, -1, v6
	v_cmp_eq_u32_e32 vcc, 0, v6
	s_or_b64 s[12:13], vcc, s[12:13]
	s_waitcnt lgkmcnt(0)
	v_pk_mul_f32 v[8:9], v[4:5], v[8:9]
	ds_write2st64_b32 v7, v8, v9 offset1:2
	v_add_u32_e32 v7, 0x400, v7
	s_andn2_b64 exec, exec, s[12:13]
	s_cbranch_execnz .LBB218_41
.LBB218_42:
	s_or_b64 exec, exec, s[10:11]
	v_add_u32_e32 v5, 1, v3
	v_and_b32_e32 v6, 0x3fffffe, v5
	v_cmp_ne_u32_e32 vcc, v5, v6
	v_lshl_add_u32 v3, v6, 7, v0
	s_orn2_b64 s[10:11], vcc, exec
.LBB218_43:
	s_or_b64 exec, exec, s[8:9]
	s_and_b64 exec, exec, s[10:11]
	s_cbranch_execz .LBB218_46
; %bb.44:
	v_mov_b32_e32 v5, 0xb0
	v_lshl_add_u32 v5, v3, 2, v5
	s_mov_b64 s[8:9], 0
.LBB218_45:                             ; =>This Inner Loop Header: Depth=1
	ds_read_b32 v6, v5
	v_add_u32_e32 v3, 0x80, v3
	v_cmp_le_i32_e32 vcc, s23, v3
	s_or_b64 s[8:9], vcc, s[8:9]
	s_waitcnt lgkmcnt(0)
	v_mul_f32_e32 v6, v4, v6
	ds_write_b32 v5, v6
	v_add_u32_e32 v5, 0x200, v5
	s_andn2_b64 exec, exec, s[8:9]
	s_cbranch_execnz .LBB218_45
.LBB218_46:
	s_or_b64 exec, exec, s[0:1]
	v_mov_b32_e32 v27, 0
	v_mov_b32_e32 v26, 0
	s_waitcnt lgkmcnt(0)
	s_barrier
	s_and_saveexec_b64 s[8:9], s[2:3]
	s_cbranch_execz .LBB218_154
; %bb.47:
	s_sub_i32 s39, s16, s21
	s_ashr_i32 s0, s20, 31
	s_add_u32 s10, s36, s20
	s_addc_u32 s11, s37, s0
	s_abs_i32 s37, s22
	v_cvt_f32_u32_e32 v3, s37
	v_or_b32_e32 v6, 64, v25
	s_movk_i32 s0, 0x50
	v_cmp_gt_u32_e32 vcc, s0, v6
	v_rcp_iflag_f32_e32 v3, v3
	s_sub_i32 s0, 0, s37
	s_add_i32 s36, s46, -1
	v_lshlrev_b32_e32 v8, 3, v6
	v_mul_f32_e32 v3, 0x4f7ffffe, v3
	v_cvt_u32_f32_e32 v3, v3
	s_mov_b32 s12, -1
	v_mov_b32_e32 v7, 0
	s_mov_b32 s40, s17
	v_mul_lo_u32 v6, s0, v3
	s_lshl_b64 s[0:1], s[34:35], 2
	v_mul_hi_u32 v6, v3, v6
	s_add_u32 s0, s30, s0
	v_add_u32_e32 v28, v3, v6
	v_and_b32_e32 v6, 60, v1
	s_addc_u32 s1, s31, s1
	v_mov_b32_e32 v1, 0xb0
	s_mov_b32 s13, 0xffffff
	v_lshlrev_b32_e32 v4, 3, v25
	v_mov_b32_e32 v5, v7
	v_mov_b32_e32 v9, v7
	s_mov_b32 s41, s25
	v_lshl_add_u64 v[10:11], s[0:1], 0, v[6:7]
	v_lshl_add_u32 v29, v23, 5, v1
	s_mov_b64 s[16:17], 0
	s_movk_i32 s42, 0x80
	s_movk_i32 s43, 0x7f
	s_mov_b32 s47, 0x8000
	v_mov_b32_e32 v30, 0x2000
	v_mov_b32_e32 v26, 0
	;; [unrolled: 1-line block ×3, first 2 shown]
	s_branch .LBB218_51
.LBB218_48:                             ;   in Loop: Header=BB218_51 Depth=1
	s_or_b64 exec, exec, s[22:23]
	;;#ASMSTART
	v_pk_mul_f16 v1, v34, v1;

	;;#ASMEND
	;;#ASMSTART
	v_pk_mul_f16 v3, v33, v14;

	;;#ASMEND
	;;#ASMSTART
	v_pk_mul_f16 v6, v32, v19;

	;;#ASMEND
	;;#ASMSTART
	v_pk_mul_f16 v12, v31, v20;

	;;#ASMEND
	s_nop 0
	;;#ASMSTART
	v_pk_add_f16 v1, v1, v3;

	;;#ASMEND
	s_nop 0
	;;#ASMSTART
	v_pk_add_f16 v1, v1, v6;

	;;#ASMEND
	;; [unrolled: 5-line block ×3, first 2 shown]
	s_nop 0
	v_lshrrev_b32_e32 v3, 16, v1
	v_and_b32_e32 v1, 0xffff, v1
	;;#ASMSTART
	v_cvt_f32_f16 v1, v1;
	;;#ASMEND
	;;#ASMSTART
	v_cvt_f32_f16 v3, v3;
	;;#ASMEND
	s_nop 0
	v_add_f32_e32 v1, v1, v3
	v_add_f32_e32 v26, v26, v1
.LBB218_49:                             ;   in Loop: Header=BB218_51 Depth=1
	s_or_b64 exec, exec, s[20:21]
	v_add_f32_e32 v1, v21, v22
	v_add_f32_e32 v27, v27, v1
.LBB218_50:                             ;   in Loop: Header=BB218_51 Depth=1
	s_or_b64 exec, exec, s[18:19]
	v_add_u32_e32 v23, 2, v23
	v_cmp_le_i32_e64 s[0:1], s46, v23
	v_lshl_add_u64 v[10:11], v[10:11], 0, 8
	v_add_u32_e32 v24, 16, v24
	s_or_b64 s[16:17], s[0:1], s[16:17]
	v_add_u32_e32 v29, 64, v29
	s_andn2_b64 exec, exec, s[16:17]
	s_cbranch_execz .LBB218_153
.LBB218_51:                             ; =>This Inner Loop Header: Depth=1
	v_mul_hi_u32 v1, v24, s44
	v_mul_lo_u32 v3, v1, s33
	v_sub_u32_e32 v3, v24, v3
	v_add_u32_e32 v6, 1, v1
	v_cmp_le_u32_e64 s[0:1], s33, v3
	s_nop 1
	v_cndmask_b32_e64 v1, v1, v6, s[0:1]
	v_subrev_u32_e32 v6, s33, v3
	v_cndmask_b32_e64 v3, v3, v6, s[0:1]
	v_add_u32_e32 v6, 1, v1
	v_cmp_le_u32_e64 s[0:1], s33, v3
	s_nop 1
	v_cndmask_b32_e64 v1, v1, v6, s[0:1]
	v_xor_b32_e32 v1, s45, v1
	v_subrev_u32_e32 v1, s45, v1
	v_add_u32_e32 v3, s38, v1
	v_sub_u32_e32 v12, 0, v3
	v_ashrrev_i32_e32 v6, 31, v3
	v_max_i32_e32 v3, v3, v12
	v_mul_hi_u32 v12, v3, v28
	v_mul_lo_u32 v12, v12, s37
	v_sub_u32_e32 v3, v3, v12
	v_subrev_u32_e32 v12, s37, v3
	v_cmp_le_u32_e64 s[0:1], s37, v3
	v_cmp_lt_i32_e64 s[2:3], s39, v1
	s_nop 0
	v_cndmask_b32_e64 v3, v3, v12, s[0:1]
	v_subrev_u32_e32 v12, s37, v3
	v_cmp_le_u32_e64 s[0:1], s37, v3
	s_nop 1
	v_cndmask_b32_e64 v3, v3, v12, s[0:1]
	v_xor_b32_e32 v3, v3, v6
	v_sub_u32_e32 v3, v3, v6
	v_cmp_eq_u32_e64 s[0:1], 0, v3
	s_or_b64 s[0:1], s[0:1], s[2:3]
	s_and_saveexec_b64 s[18:19], s[0:1]
	s_cbranch_execz .LBB218_50
; %bb.52:                               ;   in Loop: Header=BB218_51 Depth=1
	global_load_dword v1, v[10:11], off
	ds_read2_b64 v[12:15], v29 offset1:1
	ds_read2_b64 v[16:19], v29 offset0:2 offset1:3
	v_mov_b64_e32 v[20:21], s[10:11]
	v_mov_b32_e32 v3, 0
	s_waitcnt lgkmcnt(1)
	;;#ASMSTART
	v_cvt_f16_f32 v31, v12;

	;;#ASMEND
	;;#ASMSTART
	v_cvt_f16_f32 v32, v13;

	;;#ASMEND
	;; [unrolled: 4-line block ×4, first 2 shown]
	s_waitcnt lgkmcnt(0)
	;;#ASMSTART
	v_cvt_f16_f32 v36, v16;

	;;#ASMEND
	;;#ASMSTART
	v_cvt_f16_f32 v37, v17;

	;;#ASMEND
	;; [unrolled: 4-line block ×4, first 2 shown]
	s_waitcnt vmcnt(0)
	v_mad_i64_i32 v[12:13], s[0:1], v1, s40, v[20:21]
	v_lshl_add_u64 v[14:15], v[12:13], 0, v[4:5]
	global_load_dwordx2 v[16:17], v[14:15], off
	v_mov_b32_e32 v1, 0
	global_load_dword v14, v1, s[14:15]
	s_waitcnt vmcnt(1)
	v_cmp_ne_u16_sdwa s[0:1], v16, v7 src0_sel:BYTE_0 src1_sel:DWORD
	s_and_saveexec_b64 s[2:3], s[0:1]
	s_cbranch_execz .LBB218_58
; %bb.53:                               ;   in Loop: Header=BB218_51 Depth=1
	v_cmp_ne_u16_sdwa s[0:1], v16, s42 src0_sel:BYTE_0 src1_sel:DWORD
	v_mov_b32_e32 v3, 0x8000
	s_and_saveexec_b64 s[20:21], s[0:1]
	s_cbranch_execz .LBB218_57
; %bb.54:                               ;   in Loop: Header=BB218_51 Depth=1
	v_and_b32_e32 v6, 0x7f, v16
	v_cmp_ne_u32_e64 s[0:1], s43, v6
	v_mov_b32_e32 v3, 0x7c01
	s_and_saveexec_b64 s[22:23], s[0:1]
	s_cbranch_execz .LBB218_56
; %bb.55:                               ;   in Loop: Header=BB218_51 Depth=1
	v_and_b32_e32 v3, 7, v16
	v_ffbh_u32_e32 v18, v3
	v_min_u32_e32 v20, 32, v18
	v_subrev_u32_e32 v18, 28, v20
	v_lshlrev_b64 v[18:19], v18, v[16:17]
	v_lshrrev_b32_e32 v15, 3, v6
	v_sub_u32_e32 v19, 29, v20
	v_cmp_gt_u32_e64 s[0:1], 8, v6
	v_and_b32_e32 v18, 7, v18
	s_nop 0
	v_cndmask_b32_e64 v6, v15, v19, s[0:1]
	v_lshl_add_u32 v6, v6, 10, v30
	v_lshlrev_b32_e32 v15, 8, v16
	v_and_b32_e32 v6, 0xfc00, v6
	v_cndmask_b32_e64 v3, v3, v18, s[0:1]
	v_and_or_b32 v6, v15, s47, v6
	v_lshl_or_b32 v3, v3, 7, v6
.LBB218_56:                             ;   in Loop: Header=BB218_51 Depth=1
	s_or_b64 exec, exec, s[22:23]
.LBB218_57:                             ;   in Loop: Header=BB218_51 Depth=1
	s_or_b64 exec, exec, s[20:21]
.LBB218_58:                             ;   in Loop: Header=BB218_51 Depth=1
	s_or_b64 exec, exec, s[2:3]
	v_lshrrev_b16_e32 v6, 8, v16
	v_cmp_ne_u16_e64 s[0:1], 0, v6
	s_and_saveexec_b64 s[2:3], s[0:1]
	s_cbranch_execz .LBB218_64
; %bb.59:                               ;   in Loop: Header=BB218_51 Depth=1
	v_cmp_ne_u16_e64 s[0:1], s42, v6
	v_bfrev_b32_e32 v1, 1
	s_and_saveexec_b64 s[20:21], s[0:1]
	s_cbranch_execz .LBB218_63
; %bb.60:                               ;   in Loop: Header=BB218_51 Depth=1
	v_and_b32_e32 v15, 0x7f, v6
	v_cmp_ne_u32_e64 s[0:1], s43, v15
	v_mov_b32_e32 v1, 0x7c010000
	s_and_saveexec_b64 s[22:23], s[0:1]
	s_cbranch_execz .LBB218_62
; %bb.61:                               ;   in Loop: Header=BB218_51 Depth=1
	v_and_b32_e32 v1, 7, v6
	v_ffbh_u32_e32 v18, v1
	v_min_u32_e32 v21, 32, v18
	v_subrev_u32_e32 v18, 28, v21
	v_lshlrev_b64 v[18:19], v18, v[6:7]
	v_lshrrev_b32_e32 v20, 3, v15
	v_sub_u32_e32 v19, 29, v21
	v_cmp_gt_u32_e64 s[0:1], 8, v15
	v_lshlrev_b32_e32 v6, 8, v6
	v_and_b32_e32 v18, 7, v18
	v_cndmask_b32_e64 v15, v20, v19, s[0:1]
	v_lshl_add_u32 v15, v15, 10, v30
	v_and_or_b32 v6, v6, s47, v15
	v_cndmask_b32_e64 v1, v1, v18, s[0:1]
	v_lshlrev_b32_e32 v6, 16, v6
	v_lshl_or_b32 v1, v1, 23, v6
.LBB218_62:                             ;   in Loop: Header=BB218_51 Depth=1
	s_or_b64 exec, exec, s[22:23]
.LBB218_63:                             ;   in Loop: Header=BB218_51 Depth=1
	s_or_b64 exec, exec, s[20:21]
.LBB218_64:                             ;   in Loop: Header=BB218_51 Depth=1
	s_or_b64 exec, exec, s[2:3]
	v_lshrrev_b32_e32 v6, 16, v16
	v_cmp_ne_u16_sdwa s[0:1], v6, v7 src0_sel:BYTE_0 src1_sel:DWORD
	v_mov_b32_e32 v18, 0
	v_mov_b32_e32 v15, 0
	s_and_saveexec_b64 s[2:3], s[0:1]
	s_cbranch_execz .LBB218_70
; %bb.65:                               ;   in Loop: Header=BB218_51 Depth=1
	v_cmp_ne_u16_sdwa s[0:1], v6, s42 src0_sel:BYTE_0 src1_sel:DWORD
	v_mov_b32_e32 v15, 0x8000
	s_and_saveexec_b64 s[20:21], s[0:1]
	s_cbranch_execz .LBB218_69
; %bb.66:                               ;   in Loop: Header=BB218_51 Depth=1
	v_bfe_u32 v19, v16, 16, 7
	v_cmp_ne_u32_e64 s[0:1], s43, v19
	v_mov_b32_e32 v15, 0x7c01
	s_and_saveexec_b64 s[22:23], s[0:1]
	s_cbranch_execz .LBB218_68
; %bb.67:                               ;   in Loop: Header=BB218_51 Depth=1
	v_and_b32_e32 v15, 7, v6
	v_ffbh_u32_e32 v20, v15
	v_min_u32_e32 v34, 32, v20
	v_subrev_u32_e32 v20, 28, v34
	v_lshlrev_b64 v[20:21], v20, v[6:7]
	v_lshrrev_b32_e32 v22, 3, v19
	v_sub_u32_e32 v21, 29, v34
	v_cmp_gt_u32_e64 s[0:1], 8, v19
	v_lshlrev_b32_e32 v6, 8, v6
	v_and_b32_e32 v20, 7, v20
	v_cndmask_b32_e64 v19, v22, v21, s[0:1]
	v_lshl_add_u32 v19, v19, 10, v30
	v_and_b32_e32 v19, 0xfc00, v19
	v_cndmask_b32_e64 v15, v15, v20, s[0:1]
	v_and_or_b32 v6, v6, s47, v19
	v_lshl_or_b32 v15, v15, 7, v6
.LBB218_68:                             ;   in Loop: Header=BB218_51 Depth=1
	s_or_b64 exec, exec, s[22:23]
.LBB218_69:                             ;   in Loop: Header=BB218_51 Depth=1
	s_or_b64 exec, exec, s[20:21]
.LBB218_70:                             ;   in Loop: Header=BB218_51 Depth=1
	s_or_b64 exec, exec, s[2:3]
	v_cmp_lt_u32_e64 s[0:1], s13, v16
	s_and_saveexec_b64 s[2:3], s[0:1]
	s_cbranch_execz .LBB218_76
; %bb.71:                               ;   in Loop: Header=BB218_51 Depth=1
	v_lshrrev_b32_e32 v6, 24, v16
	v_cmp_ne_u32_e64 s[0:1], s42, v6
	v_bfrev_b32_e32 v18, 1
	s_and_saveexec_b64 s[20:21], s[0:1]
	s_cbranch_execz .LBB218_75
; %bb.72:                               ;   in Loop: Header=BB218_51 Depth=1
	v_and_b32_e32 v19, 0x7f, v6
	v_cmp_ne_u32_e64 s[0:1], s43, v19
	v_mov_b32_e32 v18, 0x7c010000
	s_and_saveexec_b64 s[22:23], s[0:1]
	s_cbranch_execz .LBB218_74
; %bb.73:                               ;   in Loop: Header=BB218_51 Depth=1
	v_and_b32_e32 v18, 7, v6
	v_ffbh_u32_e32 v20, v18
	v_min_u32_e32 v34, 32, v20
	v_subrev_u32_e32 v20, 28, v34
	v_lshlrev_b64 v[20:21], v20, v[6:7]
	v_lshrrev_b32_e32 v22, 3, v19
	v_sub_u32_e32 v21, 29, v34
	v_cmp_gt_u32_e64 s[0:1], 8, v19
	v_lshlrev_b32_e32 v6, 8, v6
	v_and_b32_e32 v20, 7, v20
	v_cndmask_b32_e64 v19, v22, v21, s[0:1]
	v_lshl_add_u32 v19, v19, 10, v30
	v_and_or_b32 v6, v6, s47, v19
	v_cndmask_b32_e64 v18, v18, v20, s[0:1]
	v_lshlrev_b32_e32 v6, 16, v6
	v_lshl_or_b32 v18, v18, 23, v6
.LBB218_74:                             ;   in Loop: Header=BB218_51 Depth=1
	s_or_b64 exec, exec, s[22:23]
.LBB218_75:                             ;   in Loop: Header=BB218_51 Depth=1
	s_or_b64 exec, exec, s[20:21]
.LBB218_76:                             ;   in Loop: Header=BB218_51 Depth=1
	s_or_b64 exec, exec, s[2:3]
	v_mov_b32_e32 v6, v17
	v_cmp_ne_u16_sdwa s[0:1], v17, v7 src0_sel:BYTE_0 src1_sel:DWORD
	v_mov_b32_e32 v19, 0
	v_mov_b32_e32 v20, 0
	s_and_saveexec_b64 s[2:3], s[0:1]
	s_cbranch_execz .LBB218_82
; %bb.77:                               ;   in Loop: Header=BB218_51 Depth=1
	v_cmp_ne_u16_sdwa s[0:1], v17, s42 src0_sel:BYTE_0 src1_sel:DWORD
	v_mov_b32_e32 v20, 0x8000
	s_and_saveexec_b64 s[20:21], s[0:1]
	s_cbranch_execz .LBB218_81
; %bb.78:                               ;   in Loop: Header=BB218_51 Depth=1
	v_and_b32_e32 v21, 0x7f, v17
	v_cmp_ne_u32_e64 s[0:1], s43, v21
	v_mov_b32_e32 v20, 0x7c01
	s_and_saveexec_b64 s[22:23], s[0:1]
	s_cbranch_execz .LBB218_80
; %bb.79:                               ;   in Loop: Header=BB218_51 Depth=1
	v_and_b32_e32 v20, 7, v17
	v_ffbh_u32_e32 v34, v20
	v_min_u32_e32 v34, 32, v34
	v_lshrrev_b32_e32 v22, 3, v21
	v_subrev_u32_e32 v40, 28, v34
	v_sub_u32_e32 v34, 29, v34
	v_cmp_gt_u32_e64 s[0:1], 8, v21
	v_lshlrev_b64 v[40:41], v40, v[6:7]
	s_nop 0
	v_cndmask_b32_e64 v21, v22, v34, s[0:1]
	v_lshl_add_u32 v21, v21, 10, v30
	v_lshlrev_b32_e32 v22, 8, v17
	v_and_b32_e32 v34, 7, v40
	v_and_b32_e32 v21, 0xfc00, v21
	v_cndmask_b32_e64 v20, v20, v34, s[0:1]
	v_and_or_b32 v21, v22, s47, v21
	v_lshl_or_b32 v20, v20, 7, v21
.LBB218_80:                             ;   in Loop: Header=BB218_51 Depth=1
	s_or_b64 exec, exec, s[22:23]
.LBB218_81:                             ;   in Loop: Header=BB218_51 Depth=1
	s_or_b64 exec, exec, s[20:21]
.LBB218_82:                             ;   in Loop: Header=BB218_51 Depth=1
	s_or_b64 exec, exec, s[2:3]
	v_lshrrev_b16_e32 v6, 8, v6
	v_cmp_ne_u16_e64 s[0:1], 0, v6
	v_mov_b32_e32 v21, 0
	s_and_saveexec_b64 s[2:3], s[0:1]
	s_cbranch_execz .LBB218_88
; %bb.83:                               ;   in Loop: Header=BB218_51 Depth=1
	v_cmp_ne_u16_e64 s[0:1], s42, v6
	v_bfrev_b32_e32 v21, 1
	s_and_saveexec_b64 s[20:21], s[0:1]
	s_cbranch_execz .LBB218_87
; %bb.84:                               ;   in Loop: Header=BB218_51 Depth=1
	v_and_b32_e32 v22, 0x7f, v6
	v_cmp_ne_u32_e64 s[0:1], s43, v22
	v_mov_b32_e32 v21, 0x7c010000
	s_and_saveexec_b64 s[22:23], s[0:1]
	s_cbranch_execz .LBB218_86
; %bb.85:                               ;   in Loop: Header=BB218_51 Depth=1
	v_and_b32_e32 v21, 7, v6
	v_ffbh_u32_e32 v40, v21
	v_min_u32_e32 v42, 32, v40
	v_subrev_u32_e32 v40, 28, v42
	v_lshlrev_b64 v[40:41], v40, v[6:7]
	v_lshrrev_b32_e32 v34, 3, v22
	v_sub_u32_e32 v41, 29, v42
	v_cmp_gt_u32_e64 s[0:1], 8, v22
	v_lshlrev_b32_e32 v6, 8, v6
	s_nop 0
	v_cndmask_b32_e64 v22, v34, v41, s[0:1]
	v_lshl_add_u32 v22, v22, 10, v30
	v_and_b32_e32 v34, 7, v40
	v_and_or_b32 v6, v6, s47, v22
	v_cndmask_b32_e64 v21, v21, v34, s[0:1]
	v_lshlrev_b32_e32 v6, 16, v6
	v_lshl_or_b32 v21, v21, 23, v6
.LBB218_86:                             ;   in Loop: Header=BB218_51 Depth=1
	s_or_b64 exec, exec, s[22:23]
.LBB218_87:                             ;   in Loop: Header=BB218_51 Depth=1
	s_or_b64 exec, exec, s[20:21]
.LBB218_88:                             ;   in Loop: Header=BB218_51 Depth=1
	s_or_b64 exec, exec, s[2:3]
	v_lshrrev_b32_e32 v6, 16, v17
	v_cmp_ne_u16_sdwa s[0:1], v6, v7 src0_sel:BYTE_0 src1_sel:DWORD
	s_and_saveexec_b64 s[2:3], s[0:1]
	s_cbranch_execz .LBB218_94
; %bb.89:                               ;   in Loop: Header=BB218_51 Depth=1
	v_cmp_ne_u16_sdwa s[0:1], v6, s42 src0_sel:BYTE_0 src1_sel:DWORD
	v_mov_b32_e32 v19, 0x8000
	s_and_saveexec_b64 s[20:21], s[0:1]
	s_cbranch_execz .LBB218_93
; %bb.90:                               ;   in Loop: Header=BB218_51 Depth=1
	v_bfe_u32 v22, v17, 16, 7
	v_cmp_ne_u32_e64 s[0:1], s43, v22
	v_mov_b32_e32 v19, 0x7c01
	s_and_saveexec_b64 s[22:23], s[0:1]
	s_cbranch_execz .LBB218_92
; %bb.91:                               ;   in Loop: Header=BB218_51 Depth=1
	v_and_b32_e32 v19, 7, v6
	v_ffbh_u32_e32 v40, v19
	v_min_u32_e32 v42, 32, v40
	v_subrev_u32_e32 v40, 28, v42
	v_lshlrev_b64 v[40:41], v40, v[6:7]
	v_lshrrev_b32_e32 v34, 3, v22
	v_sub_u32_e32 v41, 29, v42
	v_cmp_gt_u32_e64 s[0:1], 8, v22
	v_lshlrev_b32_e32 v6, 8, v6
	s_nop 0
	v_cndmask_b32_e64 v22, v34, v41, s[0:1]
	v_lshl_add_u32 v22, v22, 10, v30
	v_and_b32_e32 v34, 7, v40
	v_and_b32_e32 v22, 0xfc00, v22
	v_cndmask_b32_e64 v19, v19, v34, s[0:1]
	v_and_or_b32 v6, v6, s47, v22
	v_lshl_or_b32 v19, v19, 7, v6
.LBB218_92:                             ;   in Loop: Header=BB218_51 Depth=1
	s_or_b64 exec, exec, s[22:23]
.LBB218_93:                             ;   in Loop: Header=BB218_51 Depth=1
	s_or_b64 exec, exec, s[20:21]
.LBB218_94:                             ;   in Loop: Header=BB218_51 Depth=1
	s_or_b64 exec, exec, s[2:3]
	v_cmp_lt_u64_e64 s[0:1], s[12:13], v[16:17]
	v_mov_b32_e32 v22, 0
	s_and_saveexec_b64 s[2:3], s[0:1]
	s_cbranch_execz .LBB218_100
; %bb.95:                               ;   in Loop: Header=BB218_51 Depth=1
	v_lshrrev_b32_e32 v6, 24, v17
	v_cmp_ne_u32_e64 s[0:1], s42, v6
	v_bfrev_b32_e32 v22, 1
	s_and_saveexec_b64 s[20:21], s[0:1]
	s_cbranch_execz .LBB218_99
; %bb.96:                               ;   in Loop: Header=BB218_51 Depth=1
	v_and_b32_e32 v16, 0x7f, v6
	v_cmp_ne_u32_e64 s[0:1], s43, v16
	v_mov_b32_e32 v22, 0x7c010000
	s_and_saveexec_b64 s[22:23], s[0:1]
	s_cbranch_execz .LBB218_98
; %bb.97:                               ;   in Loop: Header=BB218_51 Depth=1
	v_and_b32_e32 v17, 7, v6
	v_ffbh_u32_e32 v34, v17
	v_min_u32_e32 v34, 32, v34
	v_lshrrev_b32_e32 v22, 3, v16
	v_subrev_u32_e32 v40, 28, v34
	v_sub_u32_e32 v34, 29, v34
	v_cmp_gt_u32_e64 s[0:1], 8, v16
	v_lshlrev_b64 v[40:41], v40, v[6:7]
	v_lshlrev_b32_e32 v6, 8, v6
	v_cndmask_b32_e64 v16, v22, v34, s[0:1]
	v_lshl_add_u32 v16, v16, 10, v30
	v_and_b32_e32 v22, 7, v40
	v_and_or_b32 v6, v6, s47, v16
	v_cndmask_b32_e64 v17, v17, v22, s[0:1]
	v_lshlrev_b32_e32 v6, 16, v6
	v_lshl_or_b32 v22, v17, 23, v6
.LBB218_98:                             ;   in Loop: Header=BB218_51 Depth=1
	s_or_b64 exec, exec, s[22:23]
.LBB218_99:                             ;   in Loop: Header=BB218_51 Depth=1
	s_or_b64 exec, exec, s[20:21]
.LBB218_100:                            ;   in Loop: Header=BB218_51 Depth=1
	s_or_b64 exec, exec, s[2:3]
	v_cvt_f32_f16_sdwa v17, v1 dst_sel:DWORD dst_unused:UNUSED_PAD src0_sel:WORD_1
	v_cvt_f32_f16_sdwa v16, v18 dst_sel:DWORD dst_unused:UNUSED_PAD src0_sel:WORD_1
	v_or_b32_e32 v1, v1, v3
	v_or_b32_e32 v3, v18, v15
	v_cvt_f32_f16_e32 v40, v3
	v_cvt_f32_f16_e32 v41, v1
	s_waitcnt vmcnt(0)
	v_pk_mul_f32 v[16:17], v[14:15], v[16:17] op_sel_hi:[0,1]
	v_cvt_pk_f16_f32 v1, v16, v17
	v_or_b32_e32 v6, v21, v20
	v_pk_mul_f32 v[40:41], v[14:15], v[40:41] op_sel_hi:[0,1]
	v_or_b32_e32 v17, v22, v19
	v_and_b32_e32 v3, 0xffff0000, v1
	v_lshlrev_b32_e32 v16, 16, v1
	v_cvt_pk_f16_f32 v1, v40, v41
	v_cvt_f32_f16_e32 v40, v17
	v_cvt_f32_f16_e32 v41, v6
	v_cvt_f32_f16_sdwa v21, v21 dst_sel:DWORD dst_unused:UNUSED_PAD src0_sel:WORD_1
	v_cvt_f32_f16_sdwa v20, v22 dst_sel:DWORD dst_unused:UNUSED_PAD src0_sel:WORD_1
	v_lshrrev_b32_e32 v15, 16, v1
	v_pk_mul_f32 v[40:41], v[14:15], v[40:41] op_sel_hi:[0,1]
	v_cvt_pk_f16_f32 v22, v40, v41
	v_pk_mul_f32 v[20:21], v[14:15], v[20:21] op_sel_hi:[0,1]
	v_cvt_pk_f16_f32 v14, v20, v21
	v_and_b32_e32 v18, 0xffff, v1
	v_and_b32_e32 v17, 0xffff0000, v14
	v_lshlrev_b32_e32 v14, 16, v14
	v_lshrrev_b32_e32 v19, 16, v22
	v_and_b32_e32 v20, 0xffff, v22
	v_cmp_eq_u32_e64 s[2:3], s36, v23
	v_or_b32_e32 v1, v3, v15
	v_or_b32_e32 v6, v16, v18
	;; [unrolled: 1-line block ×4, first 2 shown]
	s_and_saveexec_b64 s[20:21], s[2:3]
	s_cbranch_execz .LBB218_102
; %bb.101:                              ;   in Loop: Header=BB218_51 Depth=1
	v_add_u32_e32 v21, 2, v24
	v_cmp_gt_i32_e64 s[0:1], s41, v24
	v_or_b32_e32 v1, 1, v24
	v_or_b32_e32 v6, 3, v24
	v_cndmask_b32_e64 v15, 0, v15, s[0:1]
	v_cmp_gt_i32_e64 s[0:1], s25, v21
	s_nop 1
	v_cndmask_b32_e64 v18, 0, v18, s[0:1]
	v_cmp_gt_i32_e64 s[0:1], s41, v1
	s_nop 1
	v_cndmask_b32_e64 v1, 0, v3, s[0:1]
	v_cmp_gt_i32_e64 s[0:1], s25, v6
	v_or_b32_e32 v1, v1, v15
	v_or_b32_e32 v15, 6, v24
	v_cndmask_b32_e64 v3, 0, v16, s[0:1]
	v_or_b32_e32 v6, v3, v18
	v_or_b32_e32 v3, 4, v24
	v_cmp_gt_i32_e64 s[0:1], s41, v3
	v_or_b32_e32 v16, 5, v24
	v_or_b32_e32 v18, 7, v24
	v_cndmask_b32_e64 v3, 0, v19, s[0:1]
	v_cmp_gt_i32_e64 s[0:1], s25, v15
	s_nop 1
	v_cndmask_b32_e64 v15, 0, v20, s[0:1]
	v_cmp_gt_i32_e64 s[0:1], s41, v16
	s_nop 1
	v_cndmask_b32_e64 v16, 0, v17, s[0:1]
	v_cmp_gt_i32_e64 s[0:1], s25, v18
	v_or_b32_e32 v21, v16, v3
	s_nop 0
	v_cndmask_b32_e64 v14, 0, v14, s[0:1]
	v_or_b32_e32 v22, v14, v15
.LBB218_102:                            ;   in Loop: Header=BB218_51 Depth=1
	s_or_b64 exec, exec, s[20:21]
	v_and_b32_e32 v3, 0xffff, v31
	v_lshl_or_b32 v34, v32, 16, v3
	v_and_b32_e32 v3, 0xffff, v33
	v_lshl_or_b32 v33, v35, 16, v3
	;; [unrolled: 2-line block ×3, first 2 shown]
	v_and_b32_e32 v3, 0xffff, v38
	;;#ASMSTART
	v_pk_mul_f16 v1, v34, v1;

	;;#ASMEND
	v_lshl_or_b32 v31, v39, 16, v3
	;;#ASMSTART
	v_pk_mul_f16 v3, v33, v6;

	;;#ASMEND
	;;#ASMSTART
	v_pk_mul_f16 v6, v32, v21;

	;;#ASMEND
	;; [unrolled: 4-line block ×3, first 2 shown]
	s_nop 0
	;;#ASMSTART
	v_pk_add_f16 v1, v1, v3;

	;;#ASMEND
	s_nop 0
	;;#ASMSTART
	v_pk_add_f16 v1, v1, v6;

	;;#ASMEND
	;; [unrolled: 5-line block ×3, first 2 shown]
	s_nop 0
	v_lshrrev_b32_e32 v3, 16, v1
	v_and_b32_e32 v1, 0xffff, v1
	;;#ASMSTART
	v_cvt_f32_f16 v21, v1;
	;;#ASMEND
	;;#ASMSTART
	v_cvt_f32_f16 v22, v3;
	;;#ASMEND
	s_and_saveexec_b64 s[20:21], vcc
	s_cbranch_execz .LBB218_49
; %bb.103:                              ;   in Loop: Header=BB218_51 Depth=1
	v_lshl_add_u64 v[12:13], v[12:13], 0, v[8:9]
	global_load_dwordx2 v[14:15], v[12:13], off
	v_mov_b32_e32 v1, 0
	global_load_dword v12, v1, s[14:15]
	v_mov_b32_e32 v3, 0
	s_waitcnt vmcnt(1)
	v_cmp_ne_u16_sdwa s[0:1], v14, v7 src0_sel:BYTE_0 src1_sel:DWORD
	s_and_saveexec_b64 s[22:23], s[0:1]
	s_cbranch_execz .LBB218_109
; %bb.104:                              ;   in Loop: Header=BB218_51 Depth=1
	v_cmp_ne_u16_sdwa s[0:1], v14, s42 src0_sel:BYTE_0 src1_sel:DWORD
	v_mov_b32_e32 v3, 0x8000
	s_and_saveexec_b64 s[30:31], s[0:1]
	s_cbranch_execz .LBB218_108
; %bb.105:                              ;   in Loop: Header=BB218_51 Depth=1
	v_and_b32_e32 v6, 0x7f, v14
	v_cmp_ne_u32_e64 s[0:1], s43, v6
	v_mov_b32_e32 v3, 0x7c01
	s_and_saveexec_b64 s[34:35], s[0:1]
	s_cbranch_execz .LBB218_107
; %bb.106:                              ;   in Loop: Header=BB218_51 Depth=1
	v_and_b32_e32 v3, 7, v14
	v_ffbh_u32_e32 v16, v3
	v_min_u32_e32 v18, 32, v16
	v_subrev_u32_e32 v16, 28, v18
	v_lshlrev_b64 v[16:17], v16, v[14:15]
	v_lshrrev_b32_e32 v13, 3, v6
	v_sub_u32_e32 v17, 29, v18
	v_cmp_gt_u32_e64 s[0:1], 8, v6
	v_and_b32_e32 v16, 7, v16
	s_nop 0
	v_cndmask_b32_e64 v6, v13, v17, s[0:1]
	v_lshl_add_u32 v6, v6, 10, v30
	v_lshlrev_b32_e32 v13, 8, v14
	v_and_b32_e32 v6, 0xfc00, v6
	v_cndmask_b32_e64 v3, v3, v16, s[0:1]
	v_and_or_b32 v6, v13, s47, v6
	v_lshl_or_b32 v3, v3, 7, v6
.LBB218_107:                            ;   in Loop: Header=BB218_51 Depth=1
	s_or_b64 exec, exec, s[34:35]
.LBB218_108:                            ;   in Loop: Header=BB218_51 Depth=1
	s_or_b64 exec, exec, s[30:31]
.LBB218_109:                            ;   in Loop: Header=BB218_51 Depth=1
	s_or_b64 exec, exec, s[22:23]
	v_lshrrev_b16_e32 v6, 8, v14
	v_cmp_ne_u16_e64 s[0:1], 0, v6
	s_and_saveexec_b64 s[22:23], s[0:1]
	s_cbranch_execz .LBB218_115
; %bb.110:                              ;   in Loop: Header=BB218_51 Depth=1
	v_cmp_ne_u16_e64 s[0:1], s42, v6
	v_bfrev_b32_e32 v1, 1
	s_and_saveexec_b64 s[30:31], s[0:1]
	s_cbranch_execz .LBB218_114
; %bb.111:                              ;   in Loop: Header=BB218_51 Depth=1
	v_and_b32_e32 v13, 0x7f, v6
	v_cmp_ne_u32_e64 s[0:1], s43, v13
	v_mov_b32_e32 v1, 0x7c010000
	s_and_saveexec_b64 s[34:35], s[0:1]
	s_cbranch_execz .LBB218_113
; %bb.112:                              ;   in Loop: Header=BB218_51 Depth=1
	v_and_b32_e32 v1, 7, v6
	v_ffbh_u32_e32 v16, v1
	v_min_u32_e32 v19, 32, v16
	v_subrev_u32_e32 v16, 28, v19
	v_lshlrev_b64 v[16:17], v16, v[6:7]
	v_lshrrev_b32_e32 v18, 3, v13
	v_sub_u32_e32 v17, 29, v19
	v_cmp_gt_u32_e64 s[0:1], 8, v13
	v_lshlrev_b32_e32 v6, 8, v6
	v_and_b32_e32 v16, 7, v16
	v_cndmask_b32_e64 v13, v18, v17, s[0:1]
	v_lshl_add_u32 v13, v13, 10, v30
	v_and_or_b32 v6, v6, s47, v13
	v_cndmask_b32_e64 v1, v1, v16, s[0:1]
	v_lshlrev_b32_e32 v6, 16, v6
	v_lshl_or_b32 v1, v1, 23, v6
.LBB218_113:                            ;   in Loop: Header=BB218_51 Depth=1
	s_or_b64 exec, exec, s[34:35]
.LBB218_114:                            ;   in Loop: Header=BB218_51 Depth=1
	s_or_b64 exec, exec, s[30:31]
.LBB218_115:                            ;   in Loop: Header=BB218_51 Depth=1
	s_or_b64 exec, exec, s[22:23]
	v_lshrrev_b32_e32 v6, 16, v14
	v_cmp_ne_u16_sdwa s[0:1], v6, v7 src0_sel:BYTE_0 src1_sel:DWORD
	v_mov_b32_e32 v16, 0
	v_mov_b32_e32 v13, 0
	s_and_saveexec_b64 s[22:23], s[0:1]
	s_cbranch_execz .LBB218_121
; %bb.116:                              ;   in Loop: Header=BB218_51 Depth=1
	v_cmp_ne_u16_sdwa s[0:1], v6, s42 src0_sel:BYTE_0 src1_sel:DWORD
	v_mov_b32_e32 v13, 0x8000
	s_and_saveexec_b64 s[30:31], s[0:1]
	s_cbranch_execz .LBB218_120
; %bb.117:                              ;   in Loop: Header=BB218_51 Depth=1
	v_bfe_u32 v17, v14, 16, 7
	v_cmp_ne_u32_e64 s[0:1], s43, v17
	v_mov_b32_e32 v13, 0x7c01
	s_and_saveexec_b64 s[34:35], s[0:1]
	s_cbranch_execz .LBB218_119
; %bb.118:                              ;   in Loop: Header=BB218_51 Depth=1
	v_and_b32_e32 v13, 7, v6
	v_ffbh_u32_e32 v18, v13
	v_min_u32_e32 v35, 32, v18
	v_subrev_u32_e32 v18, 28, v35
	v_lshlrev_b64 v[18:19], v18, v[6:7]
	v_lshrrev_b32_e32 v20, 3, v17
	v_sub_u32_e32 v19, 29, v35
	v_cmp_gt_u32_e64 s[0:1], 8, v17
	v_lshlrev_b32_e32 v6, 8, v6
	v_and_b32_e32 v18, 7, v18
	v_cndmask_b32_e64 v17, v20, v19, s[0:1]
	v_lshl_add_u32 v17, v17, 10, v30
	v_and_b32_e32 v17, 0xfc00, v17
	v_cndmask_b32_e64 v13, v13, v18, s[0:1]
	v_and_or_b32 v6, v6, s47, v17
	v_lshl_or_b32 v13, v13, 7, v6
.LBB218_119:                            ;   in Loop: Header=BB218_51 Depth=1
	s_or_b64 exec, exec, s[34:35]
.LBB218_120:                            ;   in Loop: Header=BB218_51 Depth=1
	s_or_b64 exec, exec, s[30:31]
.LBB218_121:                            ;   in Loop: Header=BB218_51 Depth=1
	s_or_b64 exec, exec, s[22:23]
	v_cmp_lt_u32_e64 s[0:1], s13, v14
	s_and_saveexec_b64 s[22:23], s[0:1]
	s_cbranch_execz .LBB218_127
; %bb.122:                              ;   in Loop: Header=BB218_51 Depth=1
	v_lshrrev_b32_e32 v6, 24, v14
	v_cmp_ne_u32_e64 s[0:1], s42, v6
	v_bfrev_b32_e32 v16, 1
	s_and_saveexec_b64 s[30:31], s[0:1]
	s_cbranch_execz .LBB218_126
; %bb.123:                              ;   in Loop: Header=BB218_51 Depth=1
	v_and_b32_e32 v17, 0x7f, v6
	v_cmp_ne_u32_e64 s[0:1], s43, v17
	v_mov_b32_e32 v16, 0x7c010000
	s_and_saveexec_b64 s[34:35], s[0:1]
	s_cbranch_execz .LBB218_125
; %bb.124:                              ;   in Loop: Header=BB218_51 Depth=1
	v_and_b32_e32 v16, 7, v6
	v_ffbh_u32_e32 v18, v16
	v_min_u32_e32 v35, 32, v18
	v_subrev_u32_e32 v18, 28, v35
	v_lshlrev_b64 v[18:19], v18, v[6:7]
	v_lshrrev_b32_e32 v20, 3, v17
	v_sub_u32_e32 v19, 29, v35
	v_cmp_gt_u32_e64 s[0:1], 8, v17
	v_lshlrev_b32_e32 v6, 8, v6
	v_and_b32_e32 v18, 7, v18
	v_cndmask_b32_e64 v17, v20, v19, s[0:1]
	v_lshl_add_u32 v17, v17, 10, v30
	v_and_or_b32 v6, v6, s47, v17
	v_cndmask_b32_e64 v16, v16, v18, s[0:1]
	v_lshlrev_b32_e32 v6, 16, v6
	v_lshl_or_b32 v16, v16, 23, v6
.LBB218_125:                            ;   in Loop: Header=BB218_51 Depth=1
	s_or_b64 exec, exec, s[34:35]
.LBB218_126:                            ;   in Loop: Header=BB218_51 Depth=1
	s_or_b64 exec, exec, s[30:31]
.LBB218_127:                            ;   in Loop: Header=BB218_51 Depth=1
	s_or_b64 exec, exec, s[22:23]
	v_mov_b32_e32 v6, v15
	v_cmp_ne_u16_sdwa s[0:1], v15, v7 src0_sel:BYTE_0 src1_sel:DWORD
	v_mov_b32_e32 v17, 0
	v_mov_b32_e32 v18, 0
	s_and_saveexec_b64 s[22:23], s[0:1]
	s_cbranch_execz .LBB218_133
; %bb.128:                              ;   in Loop: Header=BB218_51 Depth=1
	v_cmp_ne_u16_sdwa s[0:1], v15, s42 src0_sel:BYTE_0 src1_sel:DWORD
	v_mov_b32_e32 v18, 0x8000
	s_and_saveexec_b64 s[30:31], s[0:1]
	s_cbranch_execz .LBB218_132
; %bb.129:                              ;   in Loop: Header=BB218_51 Depth=1
	v_and_b32_e32 v19, 0x7f, v15
	v_cmp_ne_u32_e64 s[0:1], s43, v19
	v_mov_b32_e32 v18, 0x7c01
	s_and_saveexec_b64 s[34:35], s[0:1]
	s_cbranch_execz .LBB218_131
; %bb.130:                              ;   in Loop: Header=BB218_51 Depth=1
	v_and_b32_e32 v18, 7, v15
	v_ffbh_u32_e32 v35, v18
	v_min_u32_e32 v35, 32, v35
	v_lshrrev_b32_e32 v20, 3, v19
	v_subrev_u32_e32 v36, 28, v35
	v_sub_u32_e32 v35, 29, v35
	v_cmp_gt_u32_e64 s[0:1], 8, v19
	v_lshlrev_b64 v[36:37], v36, v[6:7]
	s_nop 0
	v_cndmask_b32_e64 v19, v20, v35, s[0:1]
	v_lshl_add_u32 v19, v19, 10, v30
	v_lshlrev_b32_e32 v20, 8, v15
	v_and_b32_e32 v35, 7, v36
	v_and_b32_e32 v19, 0xfc00, v19
	v_cndmask_b32_e64 v18, v18, v35, s[0:1]
	v_and_or_b32 v19, v20, s47, v19
	v_lshl_or_b32 v18, v18, 7, v19
.LBB218_131:                            ;   in Loop: Header=BB218_51 Depth=1
	s_or_b64 exec, exec, s[34:35]
.LBB218_132:                            ;   in Loop: Header=BB218_51 Depth=1
	s_or_b64 exec, exec, s[30:31]
.LBB218_133:                            ;   in Loop: Header=BB218_51 Depth=1
	s_or_b64 exec, exec, s[22:23]
	v_lshrrev_b16_e32 v6, 8, v6
	v_cmp_ne_u16_e64 s[0:1], 0, v6
	v_mov_b32_e32 v19, 0
	s_and_saveexec_b64 s[22:23], s[0:1]
	s_cbranch_execz .LBB218_139
; %bb.134:                              ;   in Loop: Header=BB218_51 Depth=1
	v_cmp_ne_u16_e64 s[0:1], s42, v6
	v_bfrev_b32_e32 v19, 1
	s_and_saveexec_b64 s[30:31], s[0:1]
	s_cbranch_execz .LBB218_138
; %bb.135:                              ;   in Loop: Header=BB218_51 Depth=1
	v_and_b32_e32 v20, 0x7f, v6
	v_cmp_ne_u32_e64 s[0:1], s43, v20
	v_mov_b32_e32 v19, 0x7c010000
	s_and_saveexec_b64 s[34:35], s[0:1]
	s_cbranch_execz .LBB218_137
; %bb.136:                              ;   in Loop: Header=BB218_51 Depth=1
	v_and_b32_e32 v19, 7, v6
	v_ffbh_u32_e32 v36, v19
	v_min_u32_e32 v38, 32, v36
	v_subrev_u32_e32 v36, 28, v38
	v_lshlrev_b64 v[36:37], v36, v[6:7]
	v_lshrrev_b32_e32 v35, 3, v20
	v_sub_u32_e32 v37, 29, v38
	v_cmp_gt_u32_e64 s[0:1], 8, v20
	v_lshlrev_b32_e32 v6, 8, v6
	s_nop 0
	v_cndmask_b32_e64 v20, v35, v37, s[0:1]
	v_lshl_add_u32 v20, v20, 10, v30
	v_and_b32_e32 v35, 7, v36
	v_and_or_b32 v6, v6, s47, v20
	v_cndmask_b32_e64 v19, v19, v35, s[0:1]
	v_lshlrev_b32_e32 v6, 16, v6
	v_lshl_or_b32 v19, v19, 23, v6
.LBB218_137:                            ;   in Loop: Header=BB218_51 Depth=1
	s_or_b64 exec, exec, s[34:35]
.LBB218_138:                            ;   in Loop: Header=BB218_51 Depth=1
	s_or_b64 exec, exec, s[30:31]
.LBB218_139:                            ;   in Loop: Header=BB218_51 Depth=1
	s_or_b64 exec, exec, s[22:23]
	v_lshrrev_b32_e32 v6, 16, v15
	v_cmp_ne_u16_sdwa s[0:1], v6, v7 src0_sel:BYTE_0 src1_sel:DWORD
	s_and_saveexec_b64 s[22:23], s[0:1]
	s_cbranch_execz .LBB218_145
; %bb.140:                              ;   in Loop: Header=BB218_51 Depth=1
	v_cmp_ne_u16_sdwa s[0:1], v6, s42 src0_sel:BYTE_0 src1_sel:DWORD
	v_mov_b32_e32 v17, 0x8000
	s_and_saveexec_b64 s[30:31], s[0:1]
	s_cbranch_execz .LBB218_144
; %bb.141:                              ;   in Loop: Header=BB218_51 Depth=1
	v_bfe_u32 v20, v15, 16, 7
	v_cmp_ne_u32_e64 s[0:1], s43, v20
	v_mov_b32_e32 v17, 0x7c01
	s_and_saveexec_b64 s[34:35], s[0:1]
	s_cbranch_execz .LBB218_143
; %bb.142:                              ;   in Loop: Header=BB218_51 Depth=1
	v_and_b32_e32 v17, 7, v6
	v_ffbh_u32_e32 v36, v17
	v_min_u32_e32 v38, 32, v36
	v_subrev_u32_e32 v36, 28, v38
	v_lshlrev_b64 v[36:37], v36, v[6:7]
	v_lshrrev_b32_e32 v35, 3, v20
	v_sub_u32_e32 v37, 29, v38
	v_cmp_gt_u32_e64 s[0:1], 8, v20
	v_lshlrev_b32_e32 v6, 8, v6
	s_nop 0
	v_cndmask_b32_e64 v20, v35, v37, s[0:1]
	v_lshl_add_u32 v20, v20, 10, v30
	v_and_b32_e32 v35, 7, v36
	v_and_b32_e32 v20, 0xfc00, v20
	v_cndmask_b32_e64 v17, v17, v35, s[0:1]
	v_and_or_b32 v6, v6, s47, v20
	v_lshl_or_b32 v17, v17, 7, v6
.LBB218_143:                            ;   in Loop: Header=BB218_51 Depth=1
	s_or_b64 exec, exec, s[34:35]
.LBB218_144:                            ;   in Loop: Header=BB218_51 Depth=1
	s_or_b64 exec, exec, s[30:31]
.LBB218_145:                            ;   in Loop: Header=BB218_51 Depth=1
	s_or_b64 exec, exec, s[22:23]
	v_cmp_lt_u64_e64 s[0:1], s[12:13], v[14:15]
	v_mov_b32_e32 v14, 0
	s_and_saveexec_b64 s[22:23], s[0:1]
	s_cbranch_execz .LBB218_151
; %bb.146:                              ;   in Loop: Header=BB218_51 Depth=1
	v_lshrrev_b32_e32 v6, 24, v15
	v_cmp_ne_u32_e64 s[0:1], s42, v6
	v_bfrev_b32_e32 v14, 1
	s_and_saveexec_b64 s[30:31], s[0:1]
	s_cbranch_execz .LBB218_150
; %bb.147:                              ;   in Loop: Header=BB218_51 Depth=1
	v_and_b32_e32 v15, 0x7f, v6
	v_cmp_ne_u32_e64 s[0:1], s43, v15
	v_mov_b32_e32 v14, 0x7c010000
	s_and_saveexec_b64 s[34:35], s[0:1]
	s_cbranch_execz .LBB218_149
; %bb.148:                              ;   in Loop: Header=BB218_51 Depth=1
	v_and_b32_e32 v14, 7, v6
	v_ffbh_u32_e32 v35, v14
	v_min_u32_e32 v35, 32, v35
	v_lshrrev_b32_e32 v20, 3, v15
	v_subrev_u32_e32 v36, 28, v35
	v_sub_u32_e32 v35, 29, v35
	v_cmp_gt_u32_e64 s[0:1], 8, v15
	v_lshlrev_b64 v[36:37], v36, v[6:7]
	v_lshlrev_b32_e32 v6, 8, v6
	v_cndmask_b32_e64 v15, v20, v35, s[0:1]
	v_lshl_add_u32 v15, v15, 10, v30
	v_and_b32_e32 v20, 7, v36
	v_and_or_b32 v6, v6, s47, v15
	v_cndmask_b32_e64 v14, v14, v20, s[0:1]
	v_lshlrev_b32_e32 v6, 16, v6
	v_lshl_or_b32 v14, v14, 23, v6
.LBB218_149:                            ;   in Loop: Header=BB218_51 Depth=1
	s_or_b64 exec, exec, s[34:35]
.LBB218_150:                            ;   in Loop: Header=BB218_51 Depth=1
	s_or_b64 exec, exec, s[30:31]
.LBB218_151:                            ;   in Loop: Header=BB218_51 Depth=1
	s_or_b64 exec, exec, s[22:23]
	v_cvt_f32_f16_sdwa v37, v1 dst_sel:DWORD dst_unused:UNUSED_PAD src0_sel:WORD_1
	v_cvt_f32_f16_sdwa v36, v16 dst_sel:DWORD dst_unused:UNUSED_PAD src0_sel:WORD_1
	v_or_b32_e32 v1, v1, v3
	v_or_b32_e32 v3, v16, v13
	v_cvt_f32_f16_e32 v38, v3
	v_cvt_f32_f16_e32 v39, v1
	s_waitcnt vmcnt(0)
	v_pk_mul_f32 v[36:37], v[12:13], v[36:37] op_sel_hi:[0,1]
	v_cvt_pk_f16_f32 v1, v36, v37
	v_or_b32_e32 v15, v19, v18
	v_pk_mul_f32 v[36:37], v[12:13], v[38:39] op_sel_hi:[0,1]
	v_or_b32_e32 v17, v14, v17
	v_and_b32_e32 v3, 0xffff0000, v1
	v_lshlrev_b32_e32 v6, 16, v1
	v_cvt_pk_f16_f32 v1, v36, v37
	v_cvt_f32_f16_e32 v36, v17
	v_cvt_f32_f16_e32 v37, v15
	v_cvt_f32_f16_sdwa v19, v19 dst_sel:DWORD dst_unused:UNUSED_PAD src0_sel:WORD_1
	v_cvt_f32_f16_sdwa v18, v14 dst_sel:DWORD dst_unused:UNUSED_PAD src0_sel:WORD_1
	v_lshrrev_b32_e32 v13, 16, v1
	v_pk_mul_f32 v[36:37], v[12:13], v[36:37] op_sel_hi:[0,1]
	v_cvt_pk_f16_f32 v20, v36, v37
	v_pk_mul_f32 v[18:19], v[12:13], v[18:19] op_sel_hi:[0,1]
	v_cvt_pk_f16_f32 v12, v18, v19
	v_and_b32_e32 v16, 0xffff, v1
	v_and_b32_e32 v15, 0xffff0000, v12
	v_lshlrev_b32_e32 v12, 16, v12
	v_lshrrev_b32_e32 v17, 16, v20
	v_and_b32_e32 v18, 0xffff, v20
	v_or_b32_e32 v1, v3, v13
	v_or_b32_e32 v14, v6, v16
	;; [unrolled: 1-line block ×4, first 2 shown]
	s_and_saveexec_b64 s[22:23], s[2:3]
	s_cbranch_execz .LBB218_48
; %bb.152:                              ;   in Loop: Header=BB218_51 Depth=1
	v_add_u32_e32 v19, 2, v24
	v_cmp_gt_i32_e64 s[0:1], s41, v24
	v_or_b32_e32 v1, 1, v24
	v_or_b32_e32 v14, 3, v24
	v_cndmask_b32_e64 v13, 0, v13, s[0:1]
	v_cmp_gt_i32_e64 s[0:1], s25, v19
	s_nop 1
	v_cndmask_b32_e64 v16, 0, v16, s[0:1]
	v_cmp_gt_i32_e64 s[0:1], s41, v1
	s_nop 1
	v_cndmask_b32_e64 v1, 0, v3, s[0:1]
	v_cmp_gt_i32_e64 s[0:1], s25, v14
	v_or_b32_e32 v1, v1, v13
	v_or_b32_e32 v13, 5, v24
	v_cndmask_b32_e64 v3, 0, v6, s[0:1]
	v_or_b32_e32 v14, v3, v16
	v_or_b32_e32 v3, 4, v24
	;; [unrolled: 1-line block ×3, first 2 shown]
	v_cmp_gt_i32_e64 s[0:1], s41, v3
	v_or_b32_e32 v16, 7, v24
	s_nop 0
	v_cndmask_b32_e64 v3, 0, v17, s[0:1]
	v_cmp_gt_i32_e64 s[0:1], s25, v6
	s_nop 1
	v_cndmask_b32_e64 v6, 0, v18, s[0:1]
	v_cmp_gt_i32_e64 s[0:1], s41, v13
	;; [unrolled: 3-line block ×3, first 2 shown]
	v_or_b32_e32 v19, v13, v3
	s_nop 0
	v_cndmask_b32_e64 v12, 0, v12, s[0:1]
	v_or_b32_e32 v20, v12, v6
	s_branch .LBB218_48
.LBB218_153:
	s_or_b64 exec, exec, s[16:17]
.LBB218_154:
	s_or_b64 exec, exec, s[8:9]
	v_and_b32_e32 v1, 0x3c0, v0
	v_cmp_eq_u32_e32 vcc, 64, v1
	s_barrier
	s_and_saveexec_b64 s[0:1], vcc
	s_cbranch_execz .LBB218_157
; %bb.155:
	v_mov_b32_e32 v1, 0xb0
	v_lshl_add_u32 v3, v25, 2, v1
	ds_write_b32 v3, v27
	s_and_b64 exec, exec, s[6:7]
; %bb.156:
	v_lshl_add_u32 v1, v0, 2, v1
	ds_write_b32 v1, v26
.LBB218_157:
	s_or_b64 exec, exec, s[0:1]
	v_cmp_gt_u32_e32 vcc, 64, v0
	v_or_b32_e32 v1, 64, v0
	s_waitcnt lgkmcnt(0)
	s_barrier
	s_and_saveexec_b64 s[2:3], vcc
	s_cbranch_execz .LBB218_161
; %bb.158:
	v_mov_b32_e32 v3, 0xb0
	v_lshl_add_u32 v3, v0, 2, v3
	ds_read_b32 v0, v3
	s_movk_i32 s0, 0x50
	v_cmp_gt_u32_e64 s[0:1], s0, v1
	s_and_saveexec_b64 s[6:7], s[0:1]
	s_cbranch_execz .LBB218_160
; %bb.159:
	ds_read_b32 v3, v3 offset:256
	s_waitcnt lgkmcnt(0)
	v_add_f32_e32 v26, v26, v3
.LBB218_160:
	s_or_b64 exec, exec, s[6:7]
	s_waitcnt lgkmcnt(0)
	v_add_f32_e32 v27, v27, v0
.LBB218_161:
	s_or_b64 exec, exec, s[2:3]
	s_barrier
	s_and_saveexec_b64 s[0:1], vcc
	s_cbranch_execz .LBB218_164
; %bb.162:
	s_mul_i32 s0, s24, s27
	s_mul_i32 s0, s0, s5
	s_mulk_i32 s0, 0x50
	s_ashr_i32 s1, s0, 31
	s_lshl_b64 s[0:1], s[0:1], 1
	s_add_u32 s3, s28, s0
	s_mul_i32 s0, s27, s26
	s_addc_u32 s5, s29, s1
	s_ashr_i32 s1, s0, 31
	s_lshl_b64 s[0:1], s[0:1], 1
	s_add_u32 s3, s3, s0
	s_mul_i32 s0, s4, 0x50
	s_addc_u32 s5, s5, s1
	s_ashr_i32 s1, s0, 31
	s_lshl_b64 s[0:1], s[0:1], 1
	s_movk_i32 s2, 0x50
	s_add_u32 s0, s3, s0
	s_addc_u32 s1, s5, s1
	v_cmp_gt_u32_e32 vcc, s2, v1
	;;#ASMSTART
	v_cvt_f16_f32 v0, v27;

	;;#ASMEND
	global_store_short v2, v0, s[0:1]
	s_and_b64 exec, exec, vcc
	s_cbranch_execz .LBB218_164
; %bb.163:
	v_mov_b32_e32 v3, 0
	v_lshl_add_u64 v[0:1], s[0:1], 0, v[2:3]
	;;#ASMSTART
	v_cvt_f16_f32 v2, v26;

	;;#ASMEND
	global_store_short v[0:1], v2, off offset:128
.LBB218_164:
	s_endpgm
	.section	.rodata,"a",@progbits
	.p2align	6, 0x0
	.amdhsa_kernel _ZN4vllm25paged_attention_v1_kernelIthLi80ELi8ELi128ELNS_18Fp8KVCacheDataTypeE1ELb1EEEvPT_PKS2_PKT0_S8_ifPKiSA_iPKfiiiSC_SC_iiiii
		.amdhsa_group_segment_fixed_size 176
		.amdhsa_private_segment_fixed_size 0
		.amdhsa_kernarg_size 384
		.amdhsa_user_sgpr_count 2
		.amdhsa_user_sgpr_dispatch_ptr 0
		.amdhsa_user_sgpr_queue_ptr 0
		.amdhsa_user_sgpr_kernarg_segment_ptr 1
		.amdhsa_user_sgpr_dispatch_id 0
		.amdhsa_user_sgpr_kernarg_preload_length 0
		.amdhsa_user_sgpr_kernarg_preload_offset 0
		.amdhsa_user_sgpr_private_segment_size 0
		.amdhsa_uses_dynamic_stack 0
		.amdhsa_enable_private_segment 0
		.amdhsa_system_sgpr_workgroup_id_x 1
		.amdhsa_system_sgpr_workgroup_id_y 1
		.amdhsa_system_sgpr_workgroup_id_z 1
		.amdhsa_system_sgpr_workgroup_info 0
		.amdhsa_system_vgpr_workitem_id 0
		.amdhsa_next_free_vgpr 45
		.amdhsa_next_free_sgpr 50
		.amdhsa_accum_offset 48
		.amdhsa_reserve_vcc 1
		.amdhsa_float_round_mode_32 0
		.amdhsa_float_round_mode_16_64 0
		.amdhsa_float_denorm_mode_32 3
		.amdhsa_float_denorm_mode_16_64 3
		.amdhsa_dx10_clamp 1
		.amdhsa_ieee_mode 1
		.amdhsa_fp16_overflow 0
		.amdhsa_tg_split 0
		.amdhsa_exception_fp_ieee_invalid_op 0
		.amdhsa_exception_fp_denorm_src 0
		.amdhsa_exception_fp_ieee_div_zero 0
		.amdhsa_exception_fp_ieee_overflow 0
		.amdhsa_exception_fp_ieee_underflow 0
		.amdhsa_exception_fp_ieee_inexact 0
		.amdhsa_exception_int_div_zero 0
	.end_amdhsa_kernel
	.section	.text._ZN4vllm25paged_attention_v1_kernelIthLi80ELi8ELi128ELNS_18Fp8KVCacheDataTypeE1ELb1EEEvPT_PKS2_PKT0_S8_ifPKiSA_iPKfiiiSC_SC_iiiii,"axG",@progbits,_ZN4vllm25paged_attention_v1_kernelIthLi80ELi8ELi128ELNS_18Fp8KVCacheDataTypeE1ELb1EEEvPT_PKS2_PKT0_S8_ifPKiSA_iPKfiiiSC_SC_iiiii,comdat
.Lfunc_end218:
	.size	_ZN4vllm25paged_attention_v1_kernelIthLi80ELi8ELi128ELNS_18Fp8KVCacheDataTypeE1ELb1EEEvPT_PKS2_PKT0_S8_ifPKiSA_iPKfiiiSC_SC_iiiii, .Lfunc_end218-_ZN4vllm25paged_attention_v1_kernelIthLi80ELi8ELi128ELNS_18Fp8KVCacheDataTypeE1ELb1EEEvPT_PKS2_PKT0_S8_ifPKiSA_iPKfiiiSC_SC_iiiii
                                        ; -- End function
	.set _ZN4vllm25paged_attention_v1_kernelIthLi80ELi8ELi128ELNS_18Fp8KVCacheDataTypeE1ELb1EEEvPT_PKS2_PKT0_S8_ifPKiSA_iPKfiiiSC_SC_iiiii.num_vgpr, 45
	.set _ZN4vllm25paged_attention_v1_kernelIthLi80ELi8ELi128ELNS_18Fp8KVCacheDataTypeE1ELb1EEEvPT_PKS2_PKT0_S8_ifPKiSA_iPKfiiiSC_SC_iiiii.num_agpr, 0
	.set _ZN4vllm25paged_attention_v1_kernelIthLi80ELi8ELi128ELNS_18Fp8KVCacheDataTypeE1ELb1EEEvPT_PKS2_PKT0_S8_ifPKiSA_iPKfiiiSC_SC_iiiii.numbered_sgpr, 50
	.set _ZN4vllm25paged_attention_v1_kernelIthLi80ELi8ELi128ELNS_18Fp8KVCacheDataTypeE1ELb1EEEvPT_PKS2_PKT0_S8_ifPKiSA_iPKfiiiSC_SC_iiiii.num_named_barrier, 0
	.set _ZN4vllm25paged_attention_v1_kernelIthLi80ELi8ELi128ELNS_18Fp8KVCacheDataTypeE1ELb1EEEvPT_PKS2_PKT0_S8_ifPKiSA_iPKfiiiSC_SC_iiiii.private_seg_size, 0
	.set _ZN4vllm25paged_attention_v1_kernelIthLi80ELi8ELi128ELNS_18Fp8KVCacheDataTypeE1ELb1EEEvPT_PKS2_PKT0_S8_ifPKiSA_iPKfiiiSC_SC_iiiii.uses_vcc, 1
	.set _ZN4vllm25paged_attention_v1_kernelIthLi80ELi8ELi128ELNS_18Fp8KVCacheDataTypeE1ELb1EEEvPT_PKS2_PKT0_S8_ifPKiSA_iPKfiiiSC_SC_iiiii.uses_flat_scratch, 0
	.set _ZN4vllm25paged_attention_v1_kernelIthLi80ELi8ELi128ELNS_18Fp8KVCacheDataTypeE1ELb1EEEvPT_PKS2_PKT0_S8_ifPKiSA_iPKfiiiSC_SC_iiiii.has_dyn_sized_stack, 0
	.set _ZN4vllm25paged_attention_v1_kernelIthLi80ELi8ELi128ELNS_18Fp8KVCacheDataTypeE1ELb1EEEvPT_PKS2_PKT0_S8_ifPKiSA_iPKfiiiSC_SC_iiiii.has_recursion, 0
	.set _ZN4vllm25paged_attention_v1_kernelIthLi80ELi8ELi128ELNS_18Fp8KVCacheDataTypeE1ELb1EEEvPT_PKS2_PKT0_S8_ifPKiSA_iPKfiiiSC_SC_iiiii.has_indirect_call, 0
	.section	.AMDGPU.csdata,"",@progbits
; Kernel info:
; codeLenInByte = 8948
; TotalNumSgprs: 56
; NumVgprs: 45
; NumAgprs: 0
; TotalNumVgprs: 45
; ScratchSize: 0
; MemoryBound: 0
; FloatMode: 240
; IeeeMode: 1
; LDSByteSize: 176 bytes/workgroup (compile time only)
; SGPRBlocks: 6
; VGPRBlocks: 5
; NumSGPRsForWavesPerEU: 56
; NumVGPRsForWavesPerEU: 45
; AccumOffset: 48
; Occupancy: 8
; WaveLimiterHint : 1
; COMPUTE_PGM_RSRC2:SCRATCH_EN: 0
; COMPUTE_PGM_RSRC2:USER_SGPR: 2
; COMPUTE_PGM_RSRC2:TRAP_HANDLER: 0
; COMPUTE_PGM_RSRC2:TGID_X_EN: 1
; COMPUTE_PGM_RSRC2:TGID_Y_EN: 1
; COMPUTE_PGM_RSRC2:TGID_Z_EN: 1
; COMPUTE_PGM_RSRC2:TIDIG_COMP_CNT: 0
; COMPUTE_PGM_RSRC3_GFX90A:ACCUM_OFFSET: 11
; COMPUTE_PGM_RSRC3_GFX90A:TG_SPLIT: 0
	.section	.text._ZN4vllm25paged_attention_v1_kernelIthLi96ELi8ELi128ELNS_18Fp8KVCacheDataTypeE1ELb1EEEvPT_PKS2_PKT0_S8_ifPKiSA_iPKfiiiSC_SC_iiiii,"axG",@progbits,_ZN4vllm25paged_attention_v1_kernelIthLi96ELi8ELi128ELNS_18Fp8KVCacheDataTypeE1ELb1EEEvPT_PKS2_PKT0_S8_ifPKiSA_iPKfiiiSC_SC_iiiii,comdat
	.protected	_ZN4vllm25paged_attention_v1_kernelIthLi96ELi8ELi128ELNS_18Fp8KVCacheDataTypeE1ELb1EEEvPT_PKS2_PKT0_S8_ifPKiSA_iPKfiiiSC_SC_iiiii ; -- Begin function _ZN4vllm25paged_attention_v1_kernelIthLi96ELi8ELi128ELNS_18Fp8KVCacheDataTypeE1ELb1EEEvPT_PKS2_PKT0_S8_ifPKiSA_iPKfiiiSC_SC_iiiii
	.globl	_ZN4vllm25paged_attention_v1_kernelIthLi96ELi8ELi128ELNS_18Fp8KVCacheDataTypeE1ELb1EEEvPT_PKS2_PKT0_S8_ifPKiSA_iPKfiiiSC_SC_iiiii
	.p2align	8
	.type	_ZN4vllm25paged_attention_v1_kernelIthLi96ELi8ELi128ELNS_18Fp8KVCacheDataTypeE1ELb1EEEvPT_PKS2_PKT0_S8_ifPKiSA_iPKfiiiSC_SC_iiiii,@function
_ZN4vllm25paged_attention_v1_kernelIthLi96ELi8ELi128ELNS_18Fp8KVCacheDataTypeE1ELb1EEEvPT_PKS2_PKT0_S8_ifPKiSA_iPKfiiiSC_SC_iiiii: ; @_ZN4vllm25paged_attention_v1_kernelIthLi96ELi8ELi128ELNS_18Fp8KVCacheDataTypeE1ELb1EEEvPT_PKS2_PKT0_S8_ifPKiSA_iPKfiiiSC_SC_iiiii
; %bb.0:
	s_load_dword s5, s[0:1], 0x80
	s_load_dwordx2 s[6:7], s[0:1], 0x30
	s_load_dwordx2 s[38:39], s[0:1], 0x20
	s_mov_b32 s24, s3
	s_ashr_i32 s25, s3, 31
	s_lshl_b64 s[8:9], s[24:25], 2
	s_waitcnt lgkmcnt(0)
	s_add_u32 s6, s6, s8
	s_addc_u32 s7, s7, s9
	s_abs_i32 s3, s38
	v_cvt_f32_u32_e32 v1, s3
	s_sub_i32 s10, 0, s3
	s_abs_i32 s9, s5
	s_xor_b32 s8, s5, s38
	v_rcp_iflag_f32_e32 v1, v1
	s_ashr_i32 s8, s8, 31
	s_mov_b32 s47, 0
	v_mul_f32_e32 v1, 0x4f7ffffe, v1
	v_cvt_u32_f32_e32 v1, v1
	s_nop 0
	v_readfirstlane_b32 s11, v1
	s_mul_i32 s10, s10, s11
	s_mul_hi_u32 s10, s11, s10
	s_add_i32 s11, s11, s10
	s_mul_hi_u32 s10, s9, s11
	s_mul_i32 s11, s10, s3
	s_sub_i32 s9, s9, s11
	s_add_i32 s11, s10, 1
	s_sub_i32 s12, s9, s3
	s_cmp_ge_u32 s9, s3
	s_cselect_b32 s10, s11, s10
	s_cselect_b32 s9, s12, s9
	s_add_i32 s11, s10, 1
	s_cmp_ge_u32 s9, s3
	s_cselect_b32 s3, s11, s10
	s_xor_b32 s3, s3, s8
	s_sub_i32 s14, s3, s8
	s_abs_i32 s10, s14
	v_cvt_f32_u32_e32 v1, s10
	s_load_dwordx2 s[8:9], s[0:1], 0x40
	s_sub_i32 s3, 0, s10
	s_abs_i32 s11, s2
	v_rcp_iflag_f32_e32 v1, v1
	s_nop 0
	v_mul_f32_e32 v1, 0x4f7ffffe, v1
	v_cvt_u32_f32_e32 v1, v1
	s_nop 0
	v_readfirstlane_b32 s12, v1
	s_mul_i32 s3, s3, s12
	s_mul_hi_u32 s3, s12, s3
	s_add_i32 s12, s12, s3
	s_waitcnt lgkmcnt(0)
	s_cmp_eq_u64 s[8:9], 0
	s_mul_hi_u32 s12, s11, s12
	s_cbranch_scc1 .LBB219_2
; %bb.1:
	s_ashr_i32 s3, s2, 31
	s_lshl_b64 s[16:17], s[2:3], 2
	s_add_u32 s8, s8, s16
	s_addc_u32 s9, s9, s17
	s_load_dword s47, s[8:9], 0x0
.LBB219_2:
	s_load_dword s25, s[6:7], 0x0
	s_load_dwordx4 s[16:19], s[0:1], 0x48
	s_movk_i32 s3, 0x60
	s_ashr_i32 s13, s2, 31
	s_ashr_i32 s14, s14, 31
	v_and_b32_e32 v6, 7, v0
	s_mul_i32 s26, s2, 0x60
	v_cmp_gt_u32_e64 s[6:7], s3, v0
	v_lshlrev_b32_e32 v2, 1, v0
	s_and_saveexec_b64 s[8:9], s[6:7]
	s_cbranch_execz .LBB219_4
; %bb.3:
	s_load_dwordx2 s[20:21], s[0:1], 0x8
	s_waitcnt lgkmcnt(0)
	s_mul_i32 s22, s16, s24
	s_ashr_i32 s23, s22, 31
	s_lshl_b64 s[22:23], s[22:23], 1
	v_lshrrev_b32_e32 v3, 2, v0
	s_add_u32 s3, s20, s22
	s_addc_u32 s15, s21, s23
	s_ashr_i32 s27, s26, 31
	s_lshl_b64 s[20:21], s[26:27], 1
	s_add_u32 s20, s3, s20
	s_addc_u32 s21, s15, s21
	global_load_ushort v1, v2, s[20:21]
	v_and_b32_e32 v3, 0xfe, v3
	v_mad_u32_u24 v3, v6, 24, v3
	s_waitcnt vmcnt(0)
	ds_write_b16 v3, v1
.LBB219_4:
	s_or_b64 exec, exec, s[8:9]
	s_mul_i32 s9, s12, s10
	s_sub_i32 s9, s11, s9
	s_xor_b32 s8, s13, s14
	s_add_i32 s11, s12, 1
	s_sub_i32 s13, s9, s10
	s_load_dwordx4 s[20:23], s[0:1], 0x68
	s_load_dword s3, s[0:1], 0x78
	s_cmp_ge_u32 s9, s10
	s_cselect_b32 s11, s11, s12
	s_cselect_b32 s9, s13, s9
	s_add_i32 s12, s11, 1
	s_cmp_ge_u32 s9, s10
	s_cselect_b32 s9, s12, s11
	s_waitcnt lgkmcnt(0)
	s_abs_i32 s33, s23
	v_cvt_f32_u32_e32 v1, s33
	s_xor_b32 s9, s9, s8
	s_sub_i32 s10, s9, s8
	s_sub_i32 s8, 0, s33
	v_rcp_iflag_f32_e32 v1, v1
	s_add_i32 s12, s25, -1
	s_abs_i32 s11, s12
	v_mul_f32_e32 v1, 0x4f7ffffe, v1
	v_cvt_u32_f32_e32 v1, v1
	s_barrier
	v_readfirstlane_b32 s44, v1
	s_mul_i32 s8, s8, s44
	s_mul_hi_u32 s8, s44, s8
	s_add_i32 s44, s44, s8
	s_cmp_lt_i32 s3, 0
	s_mul_hi_u32 s16, s11, s44
	s_cbranch_scc0 .LBB219_6
; %bb.5:
	s_mul_i32 s8, s20, s38
	s_add_i32 s8, s10, s8
	s_mul_i32 s8, s8, s3
	s_sub_i32 s38, 1, s8
	s_mov_b64 s[8:9], 0
	s_branch .LBB219_7
.LBB219_6:
	s_mov_b64 s[8:9], -1
                                        ; implicit-def: $sgpr38
.LBB219_7:
	s_load_dwordx2 s[30:31], s[0:1], 0x28
	s_ashr_i32 s19, s12, 31
	s_andn2_b64 vcc, exec, s[8:9]
	s_ashr_i32 s45, s23, 31
	s_cbranch_vccnz .LBB219_9
; %bb.8:
	s_mul_i32 s8, s5, s20
	s_add_i32 s2, s8, s2
	s_mul_i32 s2, s2, s3
	s_add_i32 s38, s2, 1
.LBB219_9:
	s_load_dword s2, s[0:1], 0x38
	s_load_dwordx2 s[28:29], s[0:1], 0x0
	s_load_dwordx2 s[36:37], s[0:1], 0x18
	s_load_dword s27, s[0:1], 0x88
	s_load_dwordx4 s[12:15], s[0:1], 0x58
	s_mul_i32 s3, s16, s33
	s_waitcnt lgkmcnt(0)
	s_mul_i32 s34, s2, s24
	s_sub_i32 s3, s11, s3
	s_ashr_i32 s35, s34, 31
	s_xor_b32 s2, s19, s45
	s_add_i32 s8, s16, 1
	s_sub_i32 s9, s3, s33
	s_cmp_ge_u32 s3, s33
	s_cselect_b32 s8, s8, s16
	s_cselect_b32 s3, s9, s3
	s_add_i32 s9, s8, 1
	s_cmp_ge_u32 s3, s33
	s_cselect_b32 s3, s9, s8
	s_xor_b32 s3, s3, s2
	s_sub_i32 s16, s3, s2
	s_add_i32 s2, s25, 7
	s_ashr_i32 s3, s2, 31
	s_lshr_b32 s3, s3, 29
	s_add_i32 s2, s2, s3
	s_ashr_i32 s46, s2, 3
	v_lshrrev_b32_e32 v23, 6, v0
	v_cmp_gt_i32_e64 s[2:3], s46, v23
	v_mov_b32_e32 v4, 0xff7fffff
	s_mul_i32 s20, s10, s18
	v_lshrrev_b32_e32 v1, 4, v0
	v_lshlrev_b32_e32 v24, 3, v23
	v_mbcnt_lo_u32_b32 v3, -1, 0
	s_and_saveexec_b64 s[18:19], s[2:3]
	s_cbranch_execz .LBB219_21
; %bb.10:
	s_load_dwordx2 s[0:1], s[0:1], 0x10
	s_sub_i32 s23, s16, s21
	s_ashr_i32 s9, s20, 31
	v_bfe_u32 v10, v0, 3, 3
	v_mov_b32_e32 v5, 0
	s_waitcnt lgkmcnt(0)
	s_add_u32 s8, s0, s20
	s_addc_u32 s9, s1, s9
	s_abs_i32 s48, s22
	v_cvt_f32_u32_e32 v4, s48
	v_cmp_eq_u32_e32 vcc, 0, v6
	v_mul_u32_u24_e32 v11, 24, v6
	v_mbcnt_hi_u32_b32 v17, -1, v3
	v_rcp_iflag_f32_e32 v7, v4
	v_lshlrev_b32_e32 v4, 4, v10
	v_lshl_add_u64 v[8:9], s[8:9], 0, v[4:5]
	s_sub_i32 s8, 0, s48
	v_mul_f32_e32 v7, 0x4f7ffffe, v7
	v_cvt_u32_f32_e32 v12, v7
	v_mov_b32_e32 v7, v5
	v_lshl_add_u64 v[6:7], v[8:9], 0, v[6:7]
	s_mov_b32 s49, s17
	v_mul_lo_u32 v4, s8, v12
	s_lshl_b64 s[8:9], s[34:35], 2
	v_mul_hi_u32 v4, v12, v4
	s_add_u32 s8, s30, s8
	v_add_u32_e32 v12, v12, v4
	v_and_b32_e32 v4, 60, v1
	s_addc_u32 s9, s31, s9
	v_lshl_add_u64 v[8:9], s[8:9], 0, v[4:5]
	v_subrev_u32_e32 v4, s25, v10
	v_add_u32_e32 v14, 1, v4
	v_lshlrev_b32_e32 v4, 2, v10
	v_lshl_or_b32 v4, v23, 5, v4
	v_add_u32_e32 v15, 0xd0, v4
	v_and_b32_e32 v4, 64, v17
	v_cmp_neq_f32_e64 s[0:1], s47, 0
	v_lshlrev_b32_e32 v13, 3, v23
	v_mov_b32_e32 v16, 0xff7fffff
	s_mov_b64 s[40:41], 0
	v_add_u32_e32 v18, 64, v4
	v_xor_b32_e32 v19, 4, v17
	v_xor_b32_e32 v20, 2, v17
	;; [unrolled: 1-line block ×3, first 2 shown]
	v_mov_b32_e32 v4, 0xff7fffff
	v_mov_b32_e32 v22, v23
	s_branch .LBB219_13
.LBB219_11:                             ;   in Loop: Header=BB219_13 Depth=1
	s_or_b64 exec, exec, s[42:43]
.LBB219_12:                             ;   in Loop: Header=BB219_13 Depth=1
	s_or_b64 exec, exec, s[10:11]
	v_add_u32_e32 v22, 2, v22
	v_cmp_le_i32_e64 s[8:9], s46, v22
	v_lshl_add_u64 v[8:9], v[8:9], 0, 8
	v_add_u32_e32 v13, 16, v13
	s_or_b64 s[40:41], s[8:9], s[40:41]
	v_add_u32_e32 v15, 64, v15
	s_andn2_b64 exec, exec, s[40:41]
	s_cbranch_execz .LBB219_20
.LBB219_13:                             ; =>This Inner Loop Header: Depth=1
	v_mul_hi_u32 v25, v13, s44
	s_waitcnt lgkmcnt(0)
	v_mul_lo_u32 v26, v25, s33
	v_sub_u32_e32 v26, v13, v26
	v_add_u32_e32 v27, 1, v25
	v_cmp_le_u32_e64 s[8:9], s33, v26
	s_nop 1
	v_cndmask_b32_e64 v25, v25, v27, s[8:9]
	v_subrev_u32_e32 v27, s33, v26
	v_cndmask_b32_e64 v26, v26, v27, s[8:9]
	v_add_u32_e32 v27, 1, v25
	v_cmp_le_u32_e64 s[8:9], s33, v26
	s_nop 1
	v_cndmask_b32_e64 v25, v25, v27, s[8:9]
	v_xor_b32_e32 v25, s45, v25
	v_subrev_u32_e32 v25, s45, v25
	v_add_u32_e32 v26, s38, v25
	v_sub_u32_e32 v28, 0, v26
	v_ashrrev_i32_e32 v27, 31, v26
	v_max_i32_e32 v26, v26, v28
	v_mul_hi_u32 v28, v26, v12
	v_mul_lo_u32 v28, v28, s48
	v_sub_u32_e32 v26, v26, v28
	v_subrev_u32_e32 v28, s48, v26
	v_cmp_le_u32_e64 s[8:9], s48, v26
	v_cmp_ge_i32_e64 s[10:11], s23, v25
	s_nop 0
	v_cndmask_b32_e64 v26, v26, v28, s[8:9]
	v_subrev_u32_e32 v28, s48, v26
	v_cmp_le_u32_e64 s[8:9], s48, v26
	s_nop 1
	v_cndmask_b32_e64 v26, v26, v28, s[8:9]
	v_xor_b32_e32 v26, v26, v27
	v_sub_u32_e32 v26, v26, v27
	v_cmp_ne_u32_e64 s[8:9], 0, v26
	s_and_b64 s[8:9], s[8:9], s[10:11]
	s_and_saveexec_b64 s[10:11], s[8:9]
	s_xor_b64 s[8:9], exec, s[10:11]
	s_cbranch_execz .LBB219_17
; %bb.14:                               ;   in Loop: Header=BB219_13 Depth=1
	s_and_saveexec_b64 s[10:11], vcc
; %bb.15:                               ;   in Loop: Header=BB219_13 Depth=1
	ds_write_b32 v15, v16
; %bb.16:                               ;   in Loop: Header=BB219_13 Depth=1
	s_or_b64 exec, exec, s[10:11]
.LBB219_17:                             ;   in Loop: Header=BB219_13 Depth=1
	s_andn2_saveexec_b64 s[10:11], s[8:9]
	s_cbranch_execz .LBB219_12
; %bb.18:                               ;   in Loop: Header=BB219_13 Depth=1
	global_load_dword v25, v[8:9], off
	s_waitcnt vmcnt(0)
	v_mad_i64_i32 v[26:27], s[8:9], v25, s49, v[6:7]
	global_load_ubyte v25, v[26:27], off
	global_load_ubyte v28, v[26:27], off offset:8
	global_load_dword v29, v5, s[12:13]
	global_load_ubyte v30, v[26:27], off offset:128
	global_load_ubyte v31, v[26:27], off offset:136
	;; [unrolled: 1-line block ×10, first 2 shown]
	ds_read_u16 v27, v11
	s_waitcnt lgkmcnt(0)
	;;#ASMSTART
	v_cvt_f32_f16 v27, v27;
	;;#ASMEND
	v_cmp_lt_i32_e64 s[8:9], v19, v18
	s_waitcnt vmcnt(12)
	v_cvt_f32_fp8_e32 v25, v25
	s_waitcnt vmcnt(11)
	v_cvt_f32_fp8_e32 v28, v28
	v_cndmask_b32_e64 v26, v17, v19, s[8:9]
	s_waitcnt vmcnt(9)
	v_cvt_f32_fp8_e32 v30, v30
	v_fma_mixlo_f16 v25, v29, v25, 0
	s_waitcnt vmcnt(8)
	v_cvt_f32_fp8_e32 v31, v31
	v_and_b32_e32 v25, 0xffff, v25
	v_fma_mixlo_f16 v28, v29, v28, 0
	s_waitcnt vmcnt(7)
	v_cvt_f32_fp8_e32 v32, v32
	;;#ASMSTART
	v_cvt_f32_f16 v25, v25;
	;;#ASMEND
	ds_read_u16 v40, v11 offset:2
	v_and_b32_e32 v41, 0xffff, v28
	s_waitcnt lgkmcnt(0)
	;;#ASMSTART
	v_cvt_f32_f16 v28, v40;
	;;#ASMEND
	s_waitcnt vmcnt(6)
	v_cvt_f32_fp8_e32 v33, v33
	;;#ASMSTART
	v_cvt_f32_f16 v40, v41;
	;;#ASMEND
	v_fma_mixlo_f16 v30, v29, v30, 0
	s_waitcnt vmcnt(5)
	v_cvt_f32_fp8_e32 v34, v34
	v_mul_f32_e32 v28, v28, v40
	ds_read_u16 v41, v11 offset:4
	v_and_b32_e32 v42, 0xffff, v30
	v_fma_mixlo_f16 v31, v29, v31, 0
	v_fmac_f32_e32 v28, v27, v25
	s_waitcnt lgkmcnt(0)
	;;#ASMSTART
	v_cvt_f32_f16 v30, v41;
	;;#ASMEND
	;;#ASMSTART
	v_cvt_f32_f16 v41, v42;
	;;#ASMEND
	ds_read_u16 v42, v11 offset:6
	v_and_b32_e32 v43, 0xffff, v31
	s_waitcnt vmcnt(4)
	v_cvt_f32_fp8_e32 v35, v35
	v_fma_mixlo_f16 v32, v29, v32, 0
	v_fmac_f32_e32 v28, v30, v41
	s_waitcnt lgkmcnt(0)
	;;#ASMSTART
	v_cvt_f32_f16 v31, v42;
	;;#ASMEND
	;;#ASMSTART
	v_cvt_f32_f16 v42, v43;
	;;#ASMEND
	ds_read_u16 v43, v11 offset:8
	s_waitcnt vmcnt(3)
	v_cvt_f32_fp8_e32 v36, v36
	v_and_b32_e32 v44, 0xffff, v32
	s_waitcnt vmcnt(2)
	v_cvt_f32_fp8_e32 v37, v37
	v_fma_mixlo_f16 v33, v29, v33, 0
	v_fmac_f32_e32 v28, v31, v42
	s_waitcnt lgkmcnt(0)
	;;#ASMSTART
	v_cvt_f32_f16 v32, v43;
	;;#ASMEND
	;;#ASMSTART
	v_cvt_f32_f16 v43, v44;
	;;#ASMEND
	ds_read_u16 v44, v11 offset:10
	s_waitcnt vmcnt(1)
	v_cvt_f32_fp8_e32 v38, v38
	v_and_b32_e32 v45, 0xffff, v33
	s_waitcnt vmcnt(0)
	v_cvt_f32_fp8_e32 v39, v39
	v_fma_mixlo_f16 v34, v29, v34, 0
	v_fmac_f32_e32 v28, v32, v43
	s_waitcnt lgkmcnt(0)
	;;#ASMSTART
	v_cvt_f32_f16 v33, v44;
	;;#ASMEND
	;;#ASMSTART
	v_cvt_f32_f16 v44, v45;
	;;#ASMEND
	ds_read_u16 v45, v11 offset:12
	v_and_b32_e32 v46, 0xffff, v34
	v_fmac_f32_e32 v28, v33, v44
	v_fma_mixlo_f16 v35, v29, v35, 0
	s_waitcnt lgkmcnt(0)
	;;#ASMSTART
	v_cvt_f32_f16 v34, v45;
	;;#ASMEND
	;;#ASMSTART
	v_cvt_f32_f16 v45, v46;
	;;#ASMEND
	ds_read_u16 v46, v11 offset:14
	v_fmac_f32_e32 v28, v34, v45
	v_fma_mixlo_f16 v36, v29, v36, 0
	v_fma_mixlo_f16 v37, v29, v37, 0
	v_and_b32_e32 v47, 0xffff, v35
	s_waitcnt lgkmcnt(0)
	;;#ASMSTART
	v_cvt_f32_f16 v35, v46;
	;;#ASMEND
	;;#ASMSTART
	v_cvt_f32_f16 v46, v47;
	;;#ASMEND
	v_fma_mixlo_f16 v38, v29, v38, 0
	v_fmac_f32_e32 v28, v35, v46
	ds_read_u16 v47, v11 offset:16
	v_fma_mixlo_f16 v29, v29, v39, 0
	v_and_b32_e32 v39, 0xffff, v36
	v_and_b32_e32 v48, 0xffff, v37
	s_waitcnt lgkmcnt(0)
	;;#ASMSTART
	v_cvt_f32_f16 v36, v47;
	;;#ASMEND
	;;#ASMSTART
	v_cvt_f32_f16 v37, v39;
	;;#ASMEND
	ds_read_u16 v39, v11 offset:18
	v_fmac_f32_e32 v28, v36, v37
	v_and_b32_e32 v47, 0xffff, v29
	s_waitcnt lgkmcnt(0)
	;;#ASMSTART
	v_cvt_f32_f16 v25, v39;
	;;#ASMEND
	;;#ASMSTART
	v_cvt_f32_f16 v27, v48;
	;;#ASMEND
	ds_read_u16 v29, v11 offset:20
	v_fmac_f32_e32 v28, v25, v27
	v_and_b32_e32 v38, 0xffff, v38
	s_waitcnt lgkmcnt(0)
	;;#ASMSTART
	v_cvt_f32_f16 v29, v29;
	;;#ASMEND
	;;#ASMSTART
	v_cvt_f32_f16 v30, v38;
	;;#ASMEND
	v_lshlrev_b32_e32 v26, 2, v26
	v_fmac_f32_e32 v28, v29, v30
	ds_read_u16 v31, v11 offset:22
	s_waitcnt lgkmcnt(0)
	;;#ASMSTART
	v_cvt_f32_f16 v25, v31;
	;;#ASMEND
	;;#ASMSTART
	v_cvt_f32_f16 v27, v47;
	;;#ASMEND
	v_cmp_lt_i32_e64 s[8:9], v20, v18
	v_fmac_f32_e32 v28, v25, v27
	ds_bpermute_b32 v25, v26, v28
	v_cndmask_b32_e64 v26, v17, v20, s[8:9]
	v_lshlrev_b32_e32 v26, 2, v26
	v_cmp_lt_i32_e64 s[8:9], v21, v18
	s_waitcnt lgkmcnt(0)
	v_add_f32_e32 v25, v28, v25
	ds_bpermute_b32 v26, v26, v25
	v_cndmask_b32_e64 v27, v17, v21, s[8:9]
	s_waitcnt lgkmcnt(0)
	v_add_f32_e32 v25, v25, v26
	v_lshlrev_b32_e32 v26, 2, v27
	ds_bpermute_b32 v26, v26, v25
	s_and_saveexec_b64 s[42:43], vcc
	s_cbranch_execz .LBB219_11
; %bb.19:                               ;   in Loop: Header=BB219_13 Depth=1
	v_add_u32_e32 v27, v14, v13
	v_cvt_f32_i32_e32 v27, v27
	s_waitcnt lgkmcnt(0)
	v_add_f32_e32 v25, v25, v26
	v_add_u32_e32 v28, v10, v13
	v_cmp_gt_i32_e64 s[8:9], s25, v28
	v_mul_f32_e32 v26, s47, v27
	v_cndmask_b32_e64 v26, 0, v26, s[0:1]
	v_fmac_f32_e32 v26, s39, v25
	v_cndmask_b32_e64 v25, 0, v26, s[8:9]
	ds_write_b32 v15, v25
	v_max_f32_e32 v25, v4, v4
	v_max_f32_e32 v25, v25, v26
	v_cndmask_b32_e64 v4, v4, v25, s[8:9]
	s_branch .LBB219_11
.LBB219_20:
	s_or_b64 exec, exec, s[40:41]
.LBB219_21:
	s_or_b64 exec, exec, s[18:19]
	v_mbcnt_hi_u32_b32 v3, -1, v3
	v_and_b32_e32 v11, 64, v3
	v_add_u32_e32 v5, 64, v11
	v_xor_b32_e32 v6, 32, v3
	v_cmp_lt_i32_e32 vcc, v6, v5
	v_xor_b32_e32 v8, 16, v3
	v_xor_b32_e32 v9, 8, v3
	v_cndmask_b32_e32 v6, v3, v6, vcc
	v_lshlrev_b32_e32 v6, 2, v6
	ds_bpermute_b32 v7, v6, v4
	v_max_f32_e32 v4, v4, v4
	v_cmp_lt_i32_e32 vcc, v8, v5
	v_and_b32_e32 v25, 63, v0
	s_waitcnt lgkmcnt(0)
	v_max_f32_e32 v7, v7, v7
	v_max_f32_e32 v4, v4, v7
	v_cndmask_b32_e32 v7, v3, v8, vcc
	v_lshlrev_b32_e32 v8, 2, v7
	ds_bpermute_b32 v7, v8, v4
	v_cmp_lt_i32_e32 vcc, v9, v5
	s_waitcnt lgkmcnt(0)
	v_max_f32_e32 v7, v7, v7
	v_max_f32_e32 v7, v4, v7
	v_cndmask_b32_e32 v4, v3, v9, vcc
	v_lshlrev_b32_e32 v10, 2, v4
	ds_bpermute_b32 v9, v10, v7
	v_cmp_eq_u32_e32 vcc, 0, v25
	v_lshlrev_b32_e32 v4, 2, v23
	s_and_saveexec_b64 s[0:1], vcc
	s_cbranch_execz .LBB219_23
; %bb.22:
	s_waitcnt lgkmcnt(0)
	v_max_f32_e32 v9, v9, v9
	v_max_f32_e32 v7, v7, v7
	;; [unrolled: 1-line block ×3, first 2 shown]
	ds_write_b32 v4, v7 offset:192
.LBB219_23:
	s_or_b64 exec, exec, s[0:1]
	v_cmp_gt_u32_e64 s[0:1], 2, v25
	v_mov_b32_e32 v12, 0xff7fffff
	v_lshlrev_b32_e32 v7, 2, v25
	s_waitcnt lgkmcnt(0)
	s_barrier
	s_and_saveexec_b64 s[8:9], s[0:1]
; %bb.24:
	ds_read_b32 v12, v7 offset:192
; %bb.25:
	s_or_b64 exec, exec, s[8:9]
	v_xor_b32_e32 v9, 1, v3
	v_cmp_lt_i32_e64 s[8:9], v9, v5
	v_lshlrev_b32_e32 v11, 2, v11
	s_nop 0
	v_cndmask_b32_e64 v9, v3, v9, s[8:9]
	v_lshlrev_b32_e32 v9, 2, v9
	s_waitcnt lgkmcnt(0)
	ds_bpermute_b32 v13, v9, v12
	v_max_f32_e32 v12, v12, v12
	s_lshl_b32 s8, s46, 3
	s_min_i32 s23, s8, s25
	v_cmp_gt_i32_e64 s[8:9], s23, v0
	s_waitcnt lgkmcnt(0)
	v_max_f32_e32 v13, v13, v13
	v_max_f32_e32 v12, v12, v13
	ds_bpermute_b32 v12, v11, v12
	v_mov_b32_e32 v11, 0
	s_and_saveexec_b64 s[12:13], s[8:9]
	s_cbranch_execz .LBB219_29
; %bb.26:
	v_mov_b32_e32 v11, 0xd0
	v_lshl_add_u32 v13, v0, 2, v11
	v_mov_b32_e32 v11, 0
	s_mov_b64 s[18:19], 0
	v_mov_b32_e32 v14, v0
.LBB219_27:                             ; =>This Inner Loop Header: Depth=1
	ds_read_b32 v15, v13
	v_add_u32_e32 v14, 0x80, v14
	v_cmp_le_i32_e64 s[10:11], s23, v14
	s_or_b64 s[18:19], s[10:11], s[18:19]
	s_waitcnt lgkmcnt(0)
	v_sub_f32_e32 v15, v15, v12
	v_mul_f32_e32 v15, 0x3fb8aa3b, v15
	v_exp_f32_e32 v15, v15
	ds_write_b32 v13, v15
	v_add_f32_e32 v11, v11, v15
	v_add_u32_e32 v13, 0x200, v13
	s_andn2_b64 exec, exec, s[18:19]
	s_cbranch_execnz .LBB219_27
; %bb.28:
	s_or_b64 exec, exec, s[18:19]
.LBB219_29:
	s_or_b64 exec, exec, s[12:13]
	ds_bpermute_b32 v6, v6, v11
	s_waitcnt lgkmcnt(0)
	v_add_f32_e32 v6, v11, v6
	ds_bpermute_b32 v8, v8, v6
	s_waitcnt lgkmcnt(0)
	v_add_f32_e32 v6, v6, v8
	ds_bpermute_b32 v8, v10, v6
	v_xor_b32_e32 v10, 4, v3
	v_cmp_lt_i32_e64 s[10:11], v10, v5
	s_waitcnt lgkmcnt(0)
	v_add_f32_e32 v6, v6, v8
	v_cndmask_b32_e64 v10, v3, v10, s[10:11]
	v_lshlrev_b32_e32 v10, 2, v10
	ds_bpermute_b32 v8, v10, v6
	v_xor_b32_e32 v10, 2, v3
	v_cmp_lt_i32_e64 s[10:11], v10, v5
	s_waitcnt lgkmcnt(0)
	v_add_f32_e32 v6, v6, v8
	v_cndmask_b32_e64 v5, v3, v10, s[10:11]
	v_lshlrev_b32_e32 v5, 2, v5
	ds_bpermute_b32 v5, v5, v6
	s_waitcnt lgkmcnt(0)
	v_add_f32_e32 v5, v6, v5
	ds_bpermute_b32 v6, v9, v5
	s_waitcnt lgkmcnt(0)
	v_add_f32_e32 v5, v5, v6
	s_and_saveexec_b64 s[10:11], vcc
; %bb.30:
	ds_write_b32 v4, v5 offset:200
; %bb.31:
	s_or_b64 exec, exec, s[10:11]
	s_waitcnt lgkmcnt(0)
	s_barrier
	s_and_saveexec_b64 s[10:11], s[0:1]
; %bb.32:
	ds_read_b32 v5, v7 offset:200
; %bb.33:
	s_or_b64 exec, exec, s[10:11]
	s_waitcnt lgkmcnt(0)
	ds_bpermute_b32 v4, v9, v5
	v_lshlrev_b32_e32 v3, 2, v3
	v_and_b32_e32 v3, 0x100, v3
	s_waitcnt lgkmcnt(0)
	v_add_f32_e32 v4, v5, v4
	ds_bpermute_b32 v3, v3, v4
	s_and_saveexec_b64 s[0:1], s[8:9]
	s_cbranch_execz .LBB219_46
; %bb.34:
	s_waitcnt lgkmcnt(0)
	v_add_f32_e32 v3, 0x358637bd, v3
	v_div_scale_f32 v4, s[8:9], v3, v3, 1.0
	v_rcp_f32_e32 v5, v4
	v_div_scale_f32 v6, vcc, 1.0, v3, 1.0
	s_movk_i32 s8, 0x7f
	v_fma_f32 v7, -v4, v5, 1.0
	v_fmac_f32_e32 v5, v7, v5
	v_mul_f32_e32 v7, v6, v5
	v_fma_f32 v8, -v4, v7, v6
	v_fmac_f32_e32 v7, v8, v5
	v_fma_f32 v4, -v4, v7, v6
	v_div_fmas_f32 v4, v4, v5, v7
	v_xad_u32 v5, v0, -1, s23
	v_div_fixup_f32 v4, v4, v3, 1.0
	v_cmp_lt_u32_e32 vcc, s8, v5
	s_mov_b64 s[10:11], -1
	v_mov_b32_e32 v3, v0
	s_and_saveexec_b64 s[8:9], vcc
	s_cbranch_execz .LBB219_43
; %bb.35:
	v_lshrrev_b32_e32 v3, 7, v5
	v_add_u32_e32 v7, -1, v3
	v_lshrrev_b32_e32 v6, 1, v7
	v_mov_b32_e32 v5, v4
	v_add_u32_e32 v6, 1, v6
	v_cmp_lt_u32_e32 vcc, 13, v7
	v_mov_b32_e32 v9, 0
	s_and_saveexec_b64 s[10:11], vcc
	s_cbranch_execz .LBB219_39
; %bb.36:
	v_mov_b32_e32 v8, 0xd0
	v_and_b32_e32 v7, -8, v6
	v_lshl_add_u32 v8, v0, 2, v8
	s_mov_b32 s18, 0
	s_mov_b64 s[12:13], 0
.LBB219_37:                             ; =>This Inner Loop Header: Depth=1
	ds_read2st64_b32 v[10:11], v8 offset1:2
	ds_read2st64_b32 v[12:13], v8 offset0:4 offset1:6
	ds_read2st64_b32 v[14:15], v8 offset0:8 offset1:10
	;; [unrolled: 1-line block ×3, first 2 shown]
	v_add_u32_e32 v7, -8, v7
	s_waitcnt lgkmcnt(3)
	v_pk_mul_f32 v[10:11], v[4:5], v[10:11]
	s_waitcnt lgkmcnt(2)
	v_pk_mul_f32 v[12:13], v[4:5], v[12:13]
	ds_write2st64_b32 v8, v10, v11 offset1:2
	ds_write2st64_b32 v8, v12, v13 offset0:4 offset1:6
	ds_read2st64_b32 v[12:13], v8 offset0:16 offset1:18
	s_waitcnt lgkmcnt(4)
	v_pk_mul_f32 v[10:11], v[4:5], v[14:15]
	ds_write2st64_b32 v8, v10, v11 offset0:8 offset1:10
	s_waitcnt lgkmcnt(4)
	v_pk_mul_f32 v[10:11], v[4:5], v[16:17]
	ds_write2st64_b32 v8, v10, v11 offset0:12 offset1:14
	ds_read2st64_b32 v[10:11], v8 offset0:20 offset1:22
	s_waitcnt lgkmcnt(3)
	v_pk_mul_f32 v[12:13], v[4:5], v[12:13]
	ds_read2st64_b32 v[14:15], v8 offset0:24 offset1:26
	ds_write2st64_b32 v8, v12, v13 offset0:16 offset1:18
	ds_read2st64_b32 v[12:13], v8 offset0:28 offset1:30
	s_waitcnt lgkmcnt(3)
	v_pk_mul_f32 v[10:11], v[4:5], v[10:11]
	ds_write2st64_b32 v8, v10, v11 offset0:20 offset1:22
	s_waitcnt lgkmcnt(3)
	v_pk_mul_f32 v[10:11], v[4:5], v[14:15]
	ds_write2st64_b32 v8, v10, v11 offset0:24 offset1:26
	s_waitcnt lgkmcnt(2)
	v_pk_mul_f32 v[10:11], v[4:5], v[12:13]
	s_add_i32 s18, s18, 16
	v_cmp_eq_u32_e32 vcc, 0, v7
	ds_write2st64_b32 v8, v10, v11 offset0:28 offset1:30
	v_add_u32_e32 v8, 0x2000, v8
	s_or_b64 s[12:13], vcc, s[12:13]
	v_mov_b32_e32 v9, s18
	s_andn2_b64 exec, exec, s[12:13]
	s_cbranch_execnz .LBB219_37
; %bb.38:
	s_or_b64 exec, exec, s[12:13]
.LBB219_39:
	s_or_b64 exec, exec, s[10:11]
	v_and_b32_e32 v6, 7, v6
	v_cmp_ne_u32_e32 vcc, 0, v6
	s_and_saveexec_b64 s[10:11], vcc
	s_cbranch_execz .LBB219_42
; %bb.40:
	v_lshlrev_b32_e32 v7, 9, v9
	v_lshlrev_b32_e32 v8, 2, v0
	s_movk_i32 s12, 0xd0
	v_add3_u32 v7, v7, v8, s12
	s_mov_b64 s[12:13], 0
.LBB219_41:                             ; =>This Inner Loop Header: Depth=1
	ds_read2st64_b32 v[8:9], v7 offset1:2
	v_add_u32_e32 v6, -1, v6
	v_cmp_eq_u32_e32 vcc, 0, v6
	s_or_b64 s[12:13], vcc, s[12:13]
	s_waitcnt lgkmcnt(0)
	v_pk_mul_f32 v[8:9], v[4:5], v[8:9]
	ds_write2st64_b32 v7, v8, v9 offset1:2
	v_add_u32_e32 v7, 0x400, v7
	s_andn2_b64 exec, exec, s[12:13]
	s_cbranch_execnz .LBB219_41
.LBB219_42:
	s_or_b64 exec, exec, s[10:11]
	v_add_u32_e32 v5, 1, v3
	v_and_b32_e32 v6, 0x3fffffe, v5
	v_cmp_ne_u32_e32 vcc, v5, v6
	v_lshl_add_u32 v3, v6, 7, v0
	s_orn2_b64 s[10:11], vcc, exec
.LBB219_43:
	s_or_b64 exec, exec, s[8:9]
	s_and_b64 exec, exec, s[10:11]
	s_cbranch_execz .LBB219_46
; %bb.44:
	v_mov_b32_e32 v5, 0xd0
	v_lshl_add_u32 v5, v3, 2, v5
	s_mov_b64 s[8:9], 0
.LBB219_45:                             ; =>This Inner Loop Header: Depth=1
	ds_read_b32 v6, v5
	v_add_u32_e32 v3, 0x80, v3
	v_cmp_le_i32_e32 vcc, s23, v3
	s_or_b64 s[8:9], vcc, s[8:9]
	s_waitcnt lgkmcnt(0)
	v_mul_f32_e32 v6, v4, v6
	ds_write_b32 v5, v6
	v_add_u32_e32 v5, 0x200, v5
	s_andn2_b64 exec, exec, s[8:9]
	s_cbranch_execnz .LBB219_45
.LBB219_46:
	s_or_b64 exec, exec, s[0:1]
	v_mov_b32_e32 v27, 0
	v_mov_b32_e32 v26, 0
	s_waitcnt lgkmcnt(0)
	s_barrier
	s_and_saveexec_b64 s[8:9], s[2:3]
	s_cbranch_execz .LBB219_154
; %bb.47:
	s_sub_i32 s39, s16, s21
	s_ashr_i32 s0, s20, 31
	s_add_u32 s10, s36, s20
	s_addc_u32 s11, s37, s0
	s_abs_i32 s37, s22
	v_cvt_f32_u32_e32 v3, s37
	v_or_b32_e32 v6, 64, v25
	s_movk_i32 s0, 0x60
	v_cmp_gt_u32_e32 vcc, s0, v6
	v_rcp_iflag_f32_e32 v3, v3
	s_sub_i32 s0, 0, s37
	s_add_i32 s36, s46, -1
	v_lshlrev_b32_e32 v8, 3, v6
	v_mul_f32_e32 v3, 0x4f7ffffe, v3
	v_cvt_u32_f32_e32 v3, v3
	s_mov_b32 s12, -1
	v_mov_b32_e32 v7, 0
	s_mov_b32 s40, s17
	v_mul_lo_u32 v6, s0, v3
	s_lshl_b64 s[0:1], s[34:35], 2
	v_mul_hi_u32 v6, v3, v6
	s_add_u32 s0, s30, s0
	v_add_u32_e32 v28, v3, v6
	v_and_b32_e32 v6, 60, v1
	s_addc_u32 s1, s31, s1
	v_mov_b32_e32 v1, 0xd0
	s_mov_b32 s13, 0xffffff
	v_lshlrev_b32_e32 v4, 3, v25
	v_mov_b32_e32 v5, v7
	v_mov_b32_e32 v9, v7
	s_mov_b32 s41, s25
	v_lshl_add_u64 v[10:11], s[0:1], 0, v[6:7]
	v_lshl_add_u32 v29, v23, 5, v1
	s_mov_b64 s[16:17], 0
	s_movk_i32 s42, 0x80
	s_movk_i32 s43, 0x7f
	s_mov_b32 s47, 0x8000
	v_mov_b32_e32 v30, 0x2000
	v_mov_b32_e32 v26, 0
	;; [unrolled: 1-line block ×3, first 2 shown]
	s_branch .LBB219_51
.LBB219_48:                             ;   in Loop: Header=BB219_51 Depth=1
	s_or_b64 exec, exec, s[22:23]
	;;#ASMSTART
	v_pk_mul_f16 v1, v34, v1;

	;;#ASMEND
	;;#ASMSTART
	v_pk_mul_f16 v3, v33, v14;

	;;#ASMEND
	;; [unrolled: 4-line block ×4, first 2 shown]
	s_nop 0
	;;#ASMSTART
	v_pk_add_f16 v1, v1, v3;

	;;#ASMEND
	s_nop 0
	;;#ASMSTART
	v_pk_add_f16 v1, v1, v6;

	;;#ASMEND
	;; [unrolled: 5-line block ×3, first 2 shown]
	s_nop 0
	v_lshrrev_b32_e32 v3, 16, v1
	v_and_b32_e32 v1, 0xffff, v1
	;;#ASMSTART
	v_cvt_f32_f16 v1, v1;
	;;#ASMEND
	;;#ASMSTART
	v_cvt_f32_f16 v3, v3;
	;;#ASMEND
	s_nop 0
	v_add_f32_e32 v1, v1, v3
	v_add_f32_e32 v26, v26, v1
.LBB219_49:                             ;   in Loop: Header=BB219_51 Depth=1
	s_or_b64 exec, exec, s[20:21]
	v_add_f32_e32 v1, v21, v22
	v_add_f32_e32 v27, v27, v1
.LBB219_50:                             ;   in Loop: Header=BB219_51 Depth=1
	s_or_b64 exec, exec, s[18:19]
	v_add_u32_e32 v23, 2, v23
	v_cmp_le_i32_e64 s[0:1], s46, v23
	v_lshl_add_u64 v[10:11], v[10:11], 0, 8
	v_add_u32_e32 v24, 16, v24
	s_or_b64 s[16:17], s[0:1], s[16:17]
	v_add_u32_e32 v29, 64, v29
	s_andn2_b64 exec, exec, s[16:17]
	s_cbranch_execz .LBB219_153
.LBB219_51:                             ; =>This Inner Loop Header: Depth=1
	v_mul_hi_u32 v1, v24, s44
	v_mul_lo_u32 v3, v1, s33
	v_sub_u32_e32 v3, v24, v3
	v_add_u32_e32 v6, 1, v1
	v_cmp_le_u32_e64 s[0:1], s33, v3
	s_nop 1
	v_cndmask_b32_e64 v1, v1, v6, s[0:1]
	v_subrev_u32_e32 v6, s33, v3
	v_cndmask_b32_e64 v3, v3, v6, s[0:1]
	v_add_u32_e32 v6, 1, v1
	v_cmp_le_u32_e64 s[0:1], s33, v3
	s_nop 1
	v_cndmask_b32_e64 v1, v1, v6, s[0:1]
	v_xor_b32_e32 v1, s45, v1
	v_subrev_u32_e32 v1, s45, v1
	v_add_u32_e32 v3, s38, v1
	v_sub_u32_e32 v12, 0, v3
	v_ashrrev_i32_e32 v6, 31, v3
	v_max_i32_e32 v3, v3, v12
	v_mul_hi_u32 v12, v3, v28
	v_mul_lo_u32 v12, v12, s37
	v_sub_u32_e32 v3, v3, v12
	v_subrev_u32_e32 v12, s37, v3
	v_cmp_le_u32_e64 s[0:1], s37, v3
	v_cmp_lt_i32_e64 s[2:3], s39, v1
	s_nop 0
	v_cndmask_b32_e64 v3, v3, v12, s[0:1]
	v_subrev_u32_e32 v12, s37, v3
	v_cmp_le_u32_e64 s[0:1], s37, v3
	s_nop 1
	v_cndmask_b32_e64 v3, v3, v12, s[0:1]
	v_xor_b32_e32 v3, v3, v6
	v_sub_u32_e32 v3, v3, v6
	v_cmp_eq_u32_e64 s[0:1], 0, v3
	s_or_b64 s[0:1], s[0:1], s[2:3]
	s_and_saveexec_b64 s[18:19], s[0:1]
	s_cbranch_execz .LBB219_50
; %bb.52:                               ;   in Loop: Header=BB219_51 Depth=1
	global_load_dword v1, v[10:11], off
	ds_read2_b64 v[12:15], v29 offset1:1
	ds_read2_b64 v[16:19], v29 offset0:2 offset1:3
	v_mov_b64_e32 v[20:21], s[10:11]
	v_mov_b32_e32 v3, 0
	s_waitcnt lgkmcnt(1)
	;;#ASMSTART
	v_cvt_f16_f32 v31, v12;

	;;#ASMEND
	;;#ASMSTART
	v_cvt_f16_f32 v32, v13;

	;;#ASMEND
	;; [unrolled: 4-line block ×4, first 2 shown]
	s_waitcnt lgkmcnt(0)
	;;#ASMSTART
	v_cvt_f16_f32 v36, v16;

	;;#ASMEND
	;;#ASMSTART
	v_cvt_f16_f32 v37, v17;

	;;#ASMEND
	;; [unrolled: 4-line block ×4, first 2 shown]
	s_waitcnt vmcnt(0)
	v_mad_i64_i32 v[12:13], s[0:1], v1, s40, v[20:21]
	v_lshl_add_u64 v[14:15], v[12:13], 0, v[4:5]
	global_load_dwordx2 v[16:17], v[14:15], off
	v_mov_b32_e32 v1, 0
	global_load_dword v14, v1, s[14:15]
	s_waitcnt vmcnt(1)
	v_cmp_ne_u16_sdwa s[0:1], v16, v7 src0_sel:BYTE_0 src1_sel:DWORD
	s_and_saveexec_b64 s[2:3], s[0:1]
	s_cbranch_execz .LBB219_58
; %bb.53:                               ;   in Loop: Header=BB219_51 Depth=1
	v_cmp_ne_u16_sdwa s[0:1], v16, s42 src0_sel:BYTE_0 src1_sel:DWORD
	v_mov_b32_e32 v3, 0x8000
	s_and_saveexec_b64 s[20:21], s[0:1]
	s_cbranch_execz .LBB219_57
; %bb.54:                               ;   in Loop: Header=BB219_51 Depth=1
	v_and_b32_e32 v6, 0x7f, v16
	v_cmp_ne_u32_e64 s[0:1], s43, v6
	v_mov_b32_e32 v3, 0x7c01
	s_and_saveexec_b64 s[22:23], s[0:1]
	s_cbranch_execz .LBB219_56
; %bb.55:                               ;   in Loop: Header=BB219_51 Depth=1
	v_and_b32_e32 v3, 7, v16
	v_ffbh_u32_e32 v18, v3
	v_min_u32_e32 v20, 32, v18
	v_subrev_u32_e32 v18, 28, v20
	v_lshlrev_b64 v[18:19], v18, v[16:17]
	v_lshrrev_b32_e32 v15, 3, v6
	v_sub_u32_e32 v19, 29, v20
	v_cmp_gt_u32_e64 s[0:1], 8, v6
	v_and_b32_e32 v18, 7, v18
	s_nop 0
	v_cndmask_b32_e64 v6, v15, v19, s[0:1]
	v_lshl_add_u32 v6, v6, 10, v30
	v_lshlrev_b32_e32 v15, 8, v16
	v_and_b32_e32 v6, 0xfc00, v6
	v_cndmask_b32_e64 v3, v3, v18, s[0:1]
	v_and_or_b32 v6, v15, s47, v6
	v_lshl_or_b32 v3, v3, 7, v6
.LBB219_56:                             ;   in Loop: Header=BB219_51 Depth=1
	s_or_b64 exec, exec, s[22:23]
.LBB219_57:                             ;   in Loop: Header=BB219_51 Depth=1
	s_or_b64 exec, exec, s[20:21]
.LBB219_58:                             ;   in Loop: Header=BB219_51 Depth=1
	s_or_b64 exec, exec, s[2:3]
	v_lshrrev_b16_e32 v6, 8, v16
	v_cmp_ne_u16_e64 s[0:1], 0, v6
	s_and_saveexec_b64 s[2:3], s[0:1]
	s_cbranch_execz .LBB219_64
; %bb.59:                               ;   in Loop: Header=BB219_51 Depth=1
	v_cmp_ne_u16_e64 s[0:1], s42, v6
	v_bfrev_b32_e32 v1, 1
	s_and_saveexec_b64 s[20:21], s[0:1]
	s_cbranch_execz .LBB219_63
; %bb.60:                               ;   in Loop: Header=BB219_51 Depth=1
	v_and_b32_e32 v15, 0x7f, v6
	v_cmp_ne_u32_e64 s[0:1], s43, v15
	v_mov_b32_e32 v1, 0x7c010000
	s_and_saveexec_b64 s[22:23], s[0:1]
	s_cbranch_execz .LBB219_62
; %bb.61:                               ;   in Loop: Header=BB219_51 Depth=1
	v_and_b32_e32 v1, 7, v6
	v_ffbh_u32_e32 v18, v1
	v_min_u32_e32 v21, 32, v18
	v_subrev_u32_e32 v18, 28, v21
	v_lshlrev_b64 v[18:19], v18, v[6:7]
	v_lshrrev_b32_e32 v20, 3, v15
	v_sub_u32_e32 v19, 29, v21
	v_cmp_gt_u32_e64 s[0:1], 8, v15
	v_lshlrev_b32_e32 v6, 8, v6
	v_and_b32_e32 v18, 7, v18
	v_cndmask_b32_e64 v15, v20, v19, s[0:1]
	v_lshl_add_u32 v15, v15, 10, v30
	v_and_or_b32 v6, v6, s47, v15
	v_cndmask_b32_e64 v1, v1, v18, s[0:1]
	v_lshlrev_b32_e32 v6, 16, v6
	v_lshl_or_b32 v1, v1, 23, v6
.LBB219_62:                             ;   in Loop: Header=BB219_51 Depth=1
	s_or_b64 exec, exec, s[22:23]
.LBB219_63:                             ;   in Loop: Header=BB219_51 Depth=1
	s_or_b64 exec, exec, s[20:21]
.LBB219_64:                             ;   in Loop: Header=BB219_51 Depth=1
	s_or_b64 exec, exec, s[2:3]
	v_lshrrev_b32_e32 v6, 16, v16
	v_cmp_ne_u16_sdwa s[0:1], v6, v7 src0_sel:BYTE_0 src1_sel:DWORD
	v_mov_b32_e32 v18, 0
	v_mov_b32_e32 v15, 0
	s_and_saveexec_b64 s[2:3], s[0:1]
	s_cbranch_execz .LBB219_70
; %bb.65:                               ;   in Loop: Header=BB219_51 Depth=1
	v_cmp_ne_u16_sdwa s[0:1], v6, s42 src0_sel:BYTE_0 src1_sel:DWORD
	v_mov_b32_e32 v15, 0x8000
	s_and_saveexec_b64 s[20:21], s[0:1]
	s_cbranch_execz .LBB219_69
; %bb.66:                               ;   in Loop: Header=BB219_51 Depth=1
	v_bfe_u32 v19, v16, 16, 7
	v_cmp_ne_u32_e64 s[0:1], s43, v19
	v_mov_b32_e32 v15, 0x7c01
	s_and_saveexec_b64 s[22:23], s[0:1]
	s_cbranch_execz .LBB219_68
; %bb.67:                               ;   in Loop: Header=BB219_51 Depth=1
	v_and_b32_e32 v15, 7, v6
	v_ffbh_u32_e32 v20, v15
	v_min_u32_e32 v34, 32, v20
	v_subrev_u32_e32 v20, 28, v34
	v_lshlrev_b64 v[20:21], v20, v[6:7]
	v_lshrrev_b32_e32 v22, 3, v19
	v_sub_u32_e32 v21, 29, v34
	v_cmp_gt_u32_e64 s[0:1], 8, v19
	v_lshlrev_b32_e32 v6, 8, v6
	v_and_b32_e32 v20, 7, v20
	v_cndmask_b32_e64 v19, v22, v21, s[0:1]
	v_lshl_add_u32 v19, v19, 10, v30
	v_and_b32_e32 v19, 0xfc00, v19
	v_cndmask_b32_e64 v15, v15, v20, s[0:1]
	v_and_or_b32 v6, v6, s47, v19
	v_lshl_or_b32 v15, v15, 7, v6
.LBB219_68:                             ;   in Loop: Header=BB219_51 Depth=1
	s_or_b64 exec, exec, s[22:23]
.LBB219_69:                             ;   in Loop: Header=BB219_51 Depth=1
	s_or_b64 exec, exec, s[20:21]
.LBB219_70:                             ;   in Loop: Header=BB219_51 Depth=1
	s_or_b64 exec, exec, s[2:3]
	v_cmp_lt_u32_e64 s[0:1], s13, v16
	s_and_saveexec_b64 s[2:3], s[0:1]
	s_cbranch_execz .LBB219_76
; %bb.71:                               ;   in Loop: Header=BB219_51 Depth=1
	v_lshrrev_b32_e32 v6, 24, v16
	v_cmp_ne_u32_e64 s[0:1], s42, v6
	v_bfrev_b32_e32 v18, 1
	s_and_saveexec_b64 s[20:21], s[0:1]
	s_cbranch_execz .LBB219_75
; %bb.72:                               ;   in Loop: Header=BB219_51 Depth=1
	v_and_b32_e32 v19, 0x7f, v6
	v_cmp_ne_u32_e64 s[0:1], s43, v19
	v_mov_b32_e32 v18, 0x7c010000
	s_and_saveexec_b64 s[22:23], s[0:1]
	s_cbranch_execz .LBB219_74
; %bb.73:                               ;   in Loop: Header=BB219_51 Depth=1
	v_and_b32_e32 v18, 7, v6
	v_ffbh_u32_e32 v20, v18
	v_min_u32_e32 v34, 32, v20
	v_subrev_u32_e32 v20, 28, v34
	v_lshlrev_b64 v[20:21], v20, v[6:7]
	v_lshrrev_b32_e32 v22, 3, v19
	v_sub_u32_e32 v21, 29, v34
	v_cmp_gt_u32_e64 s[0:1], 8, v19
	v_lshlrev_b32_e32 v6, 8, v6
	v_and_b32_e32 v20, 7, v20
	v_cndmask_b32_e64 v19, v22, v21, s[0:1]
	v_lshl_add_u32 v19, v19, 10, v30
	v_and_or_b32 v6, v6, s47, v19
	v_cndmask_b32_e64 v18, v18, v20, s[0:1]
	v_lshlrev_b32_e32 v6, 16, v6
	v_lshl_or_b32 v18, v18, 23, v6
.LBB219_74:                             ;   in Loop: Header=BB219_51 Depth=1
	s_or_b64 exec, exec, s[22:23]
.LBB219_75:                             ;   in Loop: Header=BB219_51 Depth=1
	s_or_b64 exec, exec, s[20:21]
.LBB219_76:                             ;   in Loop: Header=BB219_51 Depth=1
	s_or_b64 exec, exec, s[2:3]
	v_mov_b32_e32 v6, v17
	v_cmp_ne_u16_sdwa s[0:1], v17, v7 src0_sel:BYTE_0 src1_sel:DWORD
	v_mov_b32_e32 v19, 0
	v_mov_b32_e32 v20, 0
	s_and_saveexec_b64 s[2:3], s[0:1]
	s_cbranch_execz .LBB219_82
; %bb.77:                               ;   in Loop: Header=BB219_51 Depth=1
	v_cmp_ne_u16_sdwa s[0:1], v17, s42 src0_sel:BYTE_0 src1_sel:DWORD
	v_mov_b32_e32 v20, 0x8000
	s_and_saveexec_b64 s[20:21], s[0:1]
	s_cbranch_execz .LBB219_81
; %bb.78:                               ;   in Loop: Header=BB219_51 Depth=1
	v_and_b32_e32 v21, 0x7f, v17
	v_cmp_ne_u32_e64 s[0:1], s43, v21
	v_mov_b32_e32 v20, 0x7c01
	s_and_saveexec_b64 s[22:23], s[0:1]
	s_cbranch_execz .LBB219_80
; %bb.79:                               ;   in Loop: Header=BB219_51 Depth=1
	v_and_b32_e32 v20, 7, v17
	v_ffbh_u32_e32 v34, v20
	v_min_u32_e32 v34, 32, v34
	v_lshrrev_b32_e32 v22, 3, v21
	v_subrev_u32_e32 v40, 28, v34
	v_sub_u32_e32 v34, 29, v34
	v_cmp_gt_u32_e64 s[0:1], 8, v21
	v_lshlrev_b64 v[40:41], v40, v[6:7]
	s_nop 0
	v_cndmask_b32_e64 v21, v22, v34, s[0:1]
	v_lshl_add_u32 v21, v21, 10, v30
	v_lshlrev_b32_e32 v22, 8, v17
	v_and_b32_e32 v34, 7, v40
	v_and_b32_e32 v21, 0xfc00, v21
	v_cndmask_b32_e64 v20, v20, v34, s[0:1]
	v_and_or_b32 v21, v22, s47, v21
	v_lshl_or_b32 v20, v20, 7, v21
.LBB219_80:                             ;   in Loop: Header=BB219_51 Depth=1
	s_or_b64 exec, exec, s[22:23]
.LBB219_81:                             ;   in Loop: Header=BB219_51 Depth=1
	s_or_b64 exec, exec, s[20:21]
.LBB219_82:                             ;   in Loop: Header=BB219_51 Depth=1
	s_or_b64 exec, exec, s[2:3]
	v_lshrrev_b16_e32 v6, 8, v6
	v_cmp_ne_u16_e64 s[0:1], 0, v6
	v_mov_b32_e32 v21, 0
	s_and_saveexec_b64 s[2:3], s[0:1]
	s_cbranch_execz .LBB219_88
; %bb.83:                               ;   in Loop: Header=BB219_51 Depth=1
	v_cmp_ne_u16_e64 s[0:1], s42, v6
	v_bfrev_b32_e32 v21, 1
	s_and_saveexec_b64 s[20:21], s[0:1]
	s_cbranch_execz .LBB219_87
; %bb.84:                               ;   in Loop: Header=BB219_51 Depth=1
	v_and_b32_e32 v22, 0x7f, v6
	v_cmp_ne_u32_e64 s[0:1], s43, v22
	v_mov_b32_e32 v21, 0x7c010000
	s_and_saveexec_b64 s[22:23], s[0:1]
	s_cbranch_execz .LBB219_86
; %bb.85:                               ;   in Loop: Header=BB219_51 Depth=1
	v_and_b32_e32 v21, 7, v6
	v_ffbh_u32_e32 v40, v21
	v_min_u32_e32 v42, 32, v40
	v_subrev_u32_e32 v40, 28, v42
	v_lshlrev_b64 v[40:41], v40, v[6:7]
	v_lshrrev_b32_e32 v34, 3, v22
	v_sub_u32_e32 v41, 29, v42
	v_cmp_gt_u32_e64 s[0:1], 8, v22
	v_lshlrev_b32_e32 v6, 8, v6
	s_nop 0
	v_cndmask_b32_e64 v22, v34, v41, s[0:1]
	v_lshl_add_u32 v22, v22, 10, v30
	v_and_b32_e32 v34, 7, v40
	v_and_or_b32 v6, v6, s47, v22
	v_cndmask_b32_e64 v21, v21, v34, s[0:1]
	v_lshlrev_b32_e32 v6, 16, v6
	v_lshl_or_b32 v21, v21, 23, v6
.LBB219_86:                             ;   in Loop: Header=BB219_51 Depth=1
	s_or_b64 exec, exec, s[22:23]
.LBB219_87:                             ;   in Loop: Header=BB219_51 Depth=1
	s_or_b64 exec, exec, s[20:21]
.LBB219_88:                             ;   in Loop: Header=BB219_51 Depth=1
	s_or_b64 exec, exec, s[2:3]
	v_lshrrev_b32_e32 v6, 16, v17
	v_cmp_ne_u16_sdwa s[0:1], v6, v7 src0_sel:BYTE_0 src1_sel:DWORD
	s_and_saveexec_b64 s[2:3], s[0:1]
	s_cbranch_execz .LBB219_94
; %bb.89:                               ;   in Loop: Header=BB219_51 Depth=1
	v_cmp_ne_u16_sdwa s[0:1], v6, s42 src0_sel:BYTE_0 src1_sel:DWORD
	v_mov_b32_e32 v19, 0x8000
	s_and_saveexec_b64 s[20:21], s[0:1]
	s_cbranch_execz .LBB219_93
; %bb.90:                               ;   in Loop: Header=BB219_51 Depth=1
	v_bfe_u32 v22, v17, 16, 7
	v_cmp_ne_u32_e64 s[0:1], s43, v22
	v_mov_b32_e32 v19, 0x7c01
	s_and_saveexec_b64 s[22:23], s[0:1]
	s_cbranch_execz .LBB219_92
; %bb.91:                               ;   in Loop: Header=BB219_51 Depth=1
	v_and_b32_e32 v19, 7, v6
	v_ffbh_u32_e32 v40, v19
	v_min_u32_e32 v42, 32, v40
	v_subrev_u32_e32 v40, 28, v42
	v_lshlrev_b64 v[40:41], v40, v[6:7]
	v_lshrrev_b32_e32 v34, 3, v22
	v_sub_u32_e32 v41, 29, v42
	v_cmp_gt_u32_e64 s[0:1], 8, v22
	v_lshlrev_b32_e32 v6, 8, v6
	s_nop 0
	v_cndmask_b32_e64 v22, v34, v41, s[0:1]
	v_lshl_add_u32 v22, v22, 10, v30
	v_and_b32_e32 v34, 7, v40
	v_and_b32_e32 v22, 0xfc00, v22
	v_cndmask_b32_e64 v19, v19, v34, s[0:1]
	v_and_or_b32 v6, v6, s47, v22
	v_lshl_or_b32 v19, v19, 7, v6
.LBB219_92:                             ;   in Loop: Header=BB219_51 Depth=1
	s_or_b64 exec, exec, s[22:23]
.LBB219_93:                             ;   in Loop: Header=BB219_51 Depth=1
	s_or_b64 exec, exec, s[20:21]
.LBB219_94:                             ;   in Loop: Header=BB219_51 Depth=1
	s_or_b64 exec, exec, s[2:3]
	v_cmp_lt_u64_e64 s[0:1], s[12:13], v[16:17]
	v_mov_b32_e32 v22, 0
	s_and_saveexec_b64 s[2:3], s[0:1]
	s_cbranch_execz .LBB219_100
; %bb.95:                               ;   in Loop: Header=BB219_51 Depth=1
	v_lshrrev_b32_e32 v6, 24, v17
	v_cmp_ne_u32_e64 s[0:1], s42, v6
	v_bfrev_b32_e32 v22, 1
	s_and_saveexec_b64 s[20:21], s[0:1]
	s_cbranch_execz .LBB219_99
; %bb.96:                               ;   in Loop: Header=BB219_51 Depth=1
	v_and_b32_e32 v16, 0x7f, v6
	v_cmp_ne_u32_e64 s[0:1], s43, v16
	v_mov_b32_e32 v22, 0x7c010000
	s_and_saveexec_b64 s[22:23], s[0:1]
	s_cbranch_execz .LBB219_98
; %bb.97:                               ;   in Loop: Header=BB219_51 Depth=1
	v_and_b32_e32 v17, 7, v6
	v_ffbh_u32_e32 v34, v17
	v_min_u32_e32 v34, 32, v34
	v_lshrrev_b32_e32 v22, 3, v16
	v_subrev_u32_e32 v40, 28, v34
	v_sub_u32_e32 v34, 29, v34
	v_cmp_gt_u32_e64 s[0:1], 8, v16
	v_lshlrev_b64 v[40:41], v40, v[6:7]
	v_lshlrev_b32_e32 v6, 8, v6
	v_cndmask_b32_e64 v16, v22, v34, s[0:1]
	v_lshl_add_u32 v16, v16, 10, v30
	v_and_b32_e32 v22, 7, v40
	v_and_or_b32 v6, v6, s47, v16
	v_cndmask_b32_e64 v17, v17, v22, s[0:1]
	v_lshlrev_b32_e32 v6, 16, v6
	v_lshl_or_b32 v22, v17, 23, v6
.LBB219_98:                             ;   in Loop: Header=BB219_51 Depth=1
	s_or_b64 exec, exec, s[22:23]
.LBB219_99:                             ;   in Loop: Header=BB219_51 Depth=1
	s_or_b64 exec, exec, s[20:21]
.LBB219_100:                            ;   in Loop: Header=BB219_51 Depth=1
	s_or_b64 exec, exec, s[2:3]
	v_cvt_f32_f16_sdwa v17, v1 dst_sel:DWORD dst_unused:UNUSED_PAD src0_sel:WORD_1
	v_cvt_f32_f16_sdwa v16, v18 dst_sel:DWORD dst_unused:UNUSED_PAD src0_sel:WORD_1
	v_or_b32_e32 v1, v1, v3
	v_or_b32_e32 v3, v18, v15
	v_cvt_f32_f16_e32 v40, v3
	v_cvt_f32_f16_e32 v41, v1
	s_waitcnt vmcnt(0)
	v_pk_mul_f32 v[16:17], v[14:15], v[16:17] op_sel_hi:[0,1]
	v_cvt_pk_f16_f32 v1, v16, v17
	v_or_b32_e32 v6, v21, v20
	v_pk_mul_f32 v[40:41], v[14:15], v[40:41] op_sel_hi:[0,1]
	v_or_b32_e32 v17, v22, v19
	v_and_b32_e32 v3, 0xffff0000, v1
	v_lshlrev_b32_e32 v16, 16, v1
	v_cvt_pk_f16_f32 v1, v40, v41
	v_cvt_f32_f16_e32 v40, v17
	v_cvt_f32_f16_e32 v41, v6
	v_cvt_f32_f16_sdwa v21, v21 dst_sel:DWORD dst_unused:UNUSED_PAD src0_sel:WORD_1
	v_cvt_f32_f16_sdwa v20, v22 dst_sel:DWORD dst_unused:UNUSED_PAD src0_sel:WORD_1
	v_lshrrev_b32_e32 v15, 16, v1
	v_pk_mul_f32 v[40:41], v[14:15], v[40:41] op_sel_hi:[0,1]
	v_cvt_pk_f16_f32 v22, v40, v41
	v_pk_mul_f32 v[20:21], v[14:15], v[20:21] op_sel_hi:[0,1]
	v_cvt_pk_f16_f32 v14, v20, v21
	v_and_b32_e32 v18, 0xffff, v1
	v_and_b32_e32 v17, 0xffff0000, v14
	v_lshlrev_b32_e32 v14, 16, v14
	v_lshrrev_b32_e32 v19, 16, v22
	v_and_b32_e32 v20, 0xffff, v22
	v_cmp_eq_u32_e64 s[2:3], s36, v23
	v_or_b32_e32 v1, v3, v15
	v_or_b32_e32 v6, v16, v18
	;; [unrolled: 1-line block ×4, first 2 shown]
	s_and_saveexec_b64 s[20:21], s[2:3]
	s_cbranch_execz .LBB219_102
; %bb.101:                              ;   in Loop: Header=BB219_51 Depth=1
	v_add_u32_e32 v21, 2, v24
	v_cmp_gt_i32_e64 s[0:1], s41, v24
	v_or_b32_e32 v1, 1, v24
	v_or_b32_e32 v6, 3, v24
	v_cndmask_b32_e64 v15, 0, v15, s[0:1]
	v_cmp_gt_i32_e64 s[0:1], s25, v21
	s_nop 1
	v_cndmask_b32_e64 v18, 0, v18, s[0:1]
	v_cmp_gt_i32_e64 s[0:1], s41, v1
	s_nop 1
	v_cndmask_b32_e64 v1, 0, v3, s[0:1]
	v_cmp_gt_i32_e64 s[0:1], s25, v6
	v_or_b32_e32 v1, v1, v15
	v_or_b32_e32 v15, 6, v24
	v_cndmask_b32_e64 v3, 0, v16, s[0:1]
	v_or_b32_e32 v6, v3, v18
	v_or_b32_e32 v3, 4, v24
	v_cmp_gt_i32_e64 s[0:1], s41, v3
	v_or_b32_e32 v16, 5, v24
	v_or_b32_e32 v18, 7, v24
	v_cndmask_b32_e64 v3, 0, v19, s[0:1]
	v_cmp_gt_i32_e64 s[0:1], s25, v15
	s_nop 1
	v_cndmask_b32_e64 v15, 0, v20, s[0:1]
	v_cmp_gt_i32_e64 s[0:1], s41, v16
	s_nop 1
	v_cndmask_b32_e64 v16, 0, v17, s[0:1]
	v_cmp_gt_i32_e64 s[0:1], s25, v18
	v_or_b32_e32 v21, v16, v3
	s_nop 0
	v_cndmask_b32_e64 v14, 0, v14, s[0:1]
	v_or_b32_e32 v22, v14, v15
.LBB219_102:                            ;   in Loop: Header=BB219_51 Depth=1
	s_or_b64 exec, exec, s[20:21]
	v_and_b32_e32 v3, 0xffff, v31
	v_lshl_or_b32 v34, v32, 16, v3
	v_and_b32_e32 v3, 0xffff, v33
	v_lshl_or_b32 v33, v35, 16, v3
	;; [unrolled: 2-line block ×3, first 2 shown]
	v_and_b32_e32 v3, 0xffff, v38
	;;#ASMSTART
	v_pk_mul_f16 v1, v34, v1;

	;;#ASMEND
	v_lshl_or_b32 v31, v39, 16, v3
	;;#ASMSTART
	v_pk_mul_f16 v3, v33, v6;

	;;#ASMEND
	;;#ASMSTART
	v_pk_mul_f16 v6, v32, v21;

	;;#ASMEND
	;; [unrolled: 4-line block ×3, first 2 shown]
	s_nop 0
	;;#ASMSTART
	v_pk_add_f16 v1, v1, v3;

	;;#ASMEND
	s_nop 0
	;;#ASMSTART
	v_pk_add_f16 v1, v1, v6;

	;;#ASMEND
	;; [unrolled: 5-line block ×3, first 2 shown]
	s_nop 0
	v_lshrrev_b32_e32 v3, 16, v1
	v_and_b32_e32 v1, 0xffff, v1
	;;#ASMSTART
	v_cvt_f32_f16 v21, v1;
	;;#ASMEND
	;;#ASMSTART
	v_cvt_f32_f16 v22, v3;
	;;#ASMEND
	s_and_saveexec_b64 s[20:21], vcc
	s_cbranch_execz .LBB219_49
; %bb.103:                              ;   in Loop: Header=BB219_51 Depth=1
	v_lshl_add_u64 v[12:13], v[12:13], 0, v[8:9]
	global_load_dwordx2 v[14:15], v[12:13], off
	v_mov_b32_e32 v1, 0
	global_load_dword v12, v1, s[14:15]
	v_mov_b32_e32 v3, 0
	s_waitcnt vmcnt(1)
	v_cmp_ne_u16_sdwa s[0:1], v14, v7 src0_sel:BYTE_0 src1_sel:DWORD
	s_and_saveexec_b64 s[22:23], s[0:1]
	s_cbranch_execz .LBB219_109
; %bb.104:                              ;   in Loop: Header=BB219_51 Depth=1
	v_cmp_ne_u16_sdwa s[0:1], v14, s42 src0_sel:BYTE_0 src1_sel:DWORD
	v_mov_b32_e32 v3, 0x8000
	s_and_saveexec_b64 s[30:31], s[0:1]
	s_cbranch_execz .LBB219_108
; %bb.105:                              ;   in Loop: Header=BB219_51 Depth=1
	v_and_b32_e32 v6, 0x7f, v14
	v_cmp_ne_u32_e64 s[0:1], s43, v6
	v_mov_b32_e32 v3, 0x7c01
	s_and_saveexec_b64 s[34:35], s[0:1]
	s_cbranch_execz .LBB219_107
; %bb.106:                              ;   in Loop: Header=BB219_51 Depth=1
	v_and_b32_e32 v3, 7, v14
	v_ffbh_u32_e32 v16, v3
	v_min_u32_e32 v18, 32, v16
	v_subrev_u32_e32 v16, 28, v18
	v_lshlrev_b64 v[16:17], v16, v[14:15]
	v_lshrrev_b32_e32 v13, 3, v6
	v_sub_u32_e32 v17, 29, v18
	v_cmp_gt_u32_e64 s[0:1], 8, v6
	v_and_b32_e32 v16, 7, v16
	s_nop 0
	v_cndmask_b32_e64 v6, v13, v17, s[0:1]
	v_lshl_add_u32 v6, v6, 10, v30
	v_lshlrev_b32_e32 v13, 8, v14
	v_and_b32_e32 v6, 0xfc00, v6
	v_cndmask_b32_e64 v3, v3, v16, s[0:1]
	v_and_or_b32 v6, v13, s47, v6
	v_lshl_or_b32 v3, v3, 7, v6
.LBB219_107:                            ;   in Loop: Header=BB219_51 Depth=1
	s_or_b64 exec, exec, s[34:35]
.LBB219_108:                            ;   in Loop: Header=BB219_51 Depth=1
	s_or_b64 exec, exec, s[30:31]
.LBB219_109:                            ;   in Loop: Header=BB219_51 Depth=1
	s_or_b64 exec, exec, s[22:23]
	v_lshrrev_b16_e32 v6, 8, v14
	v_cmp_ne_u16_e64 s[0:1], 0, v6
	s_and_saveexec_b64 s[22:23], s[0:1]
	s_cbranch_execz .LBB219_115
; %bb.110:                              ;   in Loop: Header=BB219_51 Depth=1
	v_cmp_ne_u16_e64 s[0:1], s42, v6
	v_bfrev_b32_e32 v1, 1
	s_and_saveexec_b64 s[30:31], s[0:1]
	s_cbranch_execz .LBB219_114
; %bb.111:                              ;   in Loop: Header=BB219_51 Depth=1
	v_and_b32_e32 v13, 0x7f, v6
	v_cmp_ne_u32_e64 s[0:1], s43, v13
	v_mov_b32_e32 v1, 0x7c010000
	s_and_saveexec_b64 s[34:35], s[0:1]
	s_cbranch_execz .LBB219_113
; %bb.112:                              ;   in Loop: Header=BB219_51 Depth=1
	v_and_b32_e32 v1, 7, v6
	v_ffbh_u32_e32 v16, v1
	v_min_u32_e32 v19, 32, v16
	v_subrev_u32_e32 v16, 28, v19
	v_lshlrev_b64 v[16:17], v16, v[6:7]
	v_lshrrev_b32_e32 v18, 3, v13
	v_sub_u32_e32 v17, 29, v19
	v_cmp_gt_u32_e64 s[0:1], 8, v13
	v_lshlrev_b32_e32 v6, 8, v6
	v_and_b32_e32 v16, 7, v16
	v_cndmask_b32_e64 v13, v18, v17, s[0:1]
	v_lshl_add_u32 v13, v13, 10, v30
	v_and_or_b32 v6, v6, s47, v13
	v_cndmask_b32_e64 v1, v1, v16, s[0:1]
	v_lshlrev_b32_e32 v6, 16, v6
	v_lshl_or_b32 v1, v1, 23, v6
.LBB219_113:                            ;   in Loop: Header=BB219_51 Depth=1
	s_or_b64 exec, exec, s[34:35]
.LBB219_114:                            ;   in Loop: Header=BB219_51 Depth=1
	s_or_b64 exec, exec, s[30:31]
.LBB219_115:                            ;   in Loop: Header=BB219_51 Depth=1
	s_or_b64 exec, exec, s[22:23]
	v_lshrrev_b32_e32 v6, 16, v14
	v_cmp_ne_u16_sdwa s[0:1], v6, v7 src0_sel:BYTE_0 src1_sel:DWORD
	v_mov_b32_e32 v16, 0
	v_mov_b32_e32 v13, 0
	s_and_saveexec_b64 s[22:23], s[0:1]
	s_cbranch_execz .LBB219_121
; %bb.116:                              ;   in Loop: Header=BB219_51 Depth=1
	v_cmp_ne_u16_sdwa s[0:1], v6, s42 src0_sel:BYTE_0 src1_sel:DWORD
	v_mov_b32_e32 v13, 0x8000
	s_and_saveexec_b64 s[30:31], s[0:1]
	s_cbranch_execz .LBB219_120
; %bb.117:                              ;   in Loop: Header=BB219_51 Depth=1
	v_bfe_u32 v17, v14, 16, 7
	v_cmp_ne_u32_e64 s[0:1], s43, v17
	v_mov_b32_e32 v13, 0x7c01
	s_and_saveexec_b64 s[34:35], s[0:1]
	s_cbranch_execz .LBB219_119
; %bb.118:                              ;   in Loop: Header=BB219_51 Depth=1
	v_and_b32_e32 v13, 7, v6
	v_ffbh_u32_e32 v18, v13
	v_min_u32_e32 v35, 32, v18
	v_subrev_u32_e32 v18, 28, v35
	v_lshlrev_b64 v[18:19], v18, v[6:7]
	v_lshrrev_b32_e32 v20, 3, v17
	v_sub_u32_e32 v19, 29, v35
	v_cmp_gt_u32_e64 s[0:1], 8, v17
	v_lshlrev_b32_e32 v6, 8, v6
	v_and_b32_e32 v18, 7, v18
	v_cndmask_b32_e64 v17, v20, v19, s[0:1]
	v_lshl_add_u32 v17, v17, 10, v30
	v_and_b32_e32 v17, 0xfc00, v17
	v_cndmask_b32_e64 v13, v13, v18, s[0:1]
	v_and_or_b32 v6, v6, s47, v17
	v_lshl_or_b32 v13, v13, 7, v6
.LBB219_119:                            ;   in Loop: Header=BB219_51 Depth=1
	s_or_b64 exec, exec, s[34:35]
.LBB219_120:                            ;   in Loop: Header=BB219_51 Depth=1
	s_or_b64 exec, exec, s[30:31]
.LBB219_121:                            ;   in Loop: Header=BB219_51 Depth=1
	s_or_b64 exec, exec, s[22:23]
	v_cmp_lt_u32_e64 s[0:1], s13, v14
	s_and_saveexec_b64 s[22:23], s[0:1]
	s_cbranch_execz .LBB219_127
; %bb.122:                              ;   in Loop: Header=BB219_51 Depth=1
	v_lshrrev_b32_e32 v6, 24, v14
	v_cmp_ne_u32_e64 s[0:1], s42, v6
	v_bfrev_b32_e32 v16, 1
	s_and_saveexec_b64 s[30:31], s[0:1]
	s_cbranch_execz .LBB219_126
; %bb.123:                              ;   in Loop: Header=BB219_51 Depth=1
	v_and_b32_e32 v17, 0x7f, v6
	v_cmp_ne_u32_e64 s[0:1], s43, v17
	v_mov_b32_e32 v16, 0x7c010000
	s_and_saveexec_b64 s[34:35], s[0:1]
	s_cbranch_execz .LBB219_125
; %bb.124:                              ;   in Loop: Header=BB219_51 Depth=1
	v_and_b32_e32 v16, 7, v6
	v_ffbh_u32_e32 v18, v16
	v_min_u32_e32 v35, 32, v18
	v_subrev_u32_e32 v18, 28, v35
	v_lshlrev_b64 v[18:19], v18, v[6:7]
	v_lshrrev_b32_e32 v20, 3, v17
	v_sub_u32_e32 v19, 29, v35
	v_cmp_gt_u32_e64 s[0:1], 8, v17
	v_lshlrev_b32_e32 v6, 8, v6
	v_and_b32_e32 v18, 7, v18
	v_cndmask_b32_e64 v17, v20, v19, s[0:1]
	v_lshl_add_u32 v17, v17, 10, v30
	v_and_or_b32 v6, v6, s47, v17
	v_cndmask_b32_e64 v16, v16, v18, s[0:1]
	v_lshlrev_b32_e32 v6, 16, v6
	v_lshl_or_b32 v16, v16, 23, v6
.LBB219_125:                            ;   in Loop: Header=BB219_51 Depth=1
	s_or_b64 exec, exec, s[34:35]
.LBB219_126:                            ;   in Loop: Header=BB219_51 Depth=1
	s_or_b64 exec, exec, s[30:31]
.LBB219_127:                            ;   in Loop: Header=BB219_51 Depth=1
	s_or_b64 exec, exec, s[22:23]
	v_mov_b32_e32 v6, v15
	v_cmp_ne_u16_sdwa s[0:1], v15, v7 src0_sel:BYTE_0 src1_sel:DWORD
	v_mov_b32_e32 v17, 0
	v_mov_b32_e32 v18, 0
	s_and_saveexec_b64 s[22:23], s[0:1]
	s_cbranch_execz .LBB219_133
; %bb.128:                              ;   in Loop: Header=BB219_51 Depth=1
	v_cmp_ne_u16_sdwa s[0:1], v15, s42 src0_sel:BYTE_0 src1_sel:DWORD
	v_mov_b32_e32 v18, 0x8000
	s_and_saveexec_b64 s[30:31], s[0:1]
	s_cbranch_execz .LBB219_132
; %bb.129:                              ;   in Loop: Header=BB219_51 Depth=1
	v_and_b32_e32 v19, 0x7f, v15
	v_cmp_ne_u32_e64 s[0:1], s43, v19
	v_mov_b32_e32 v18, 0x7c01
	s_and_saveexec_b64 s[34:35], s[0:1]
	s_cbranch_execz .LBB219_131
; %bb.130:                              ;   in Loop: Header=BB219_51 Depth=1
	v_and_b32_e32 v18, 7, v15
	v_ffbh_u32_e32 v35, v18
	v_min_u32_e32 v35, 32, v35
	v_lshrrev_b32_e32 v20, 3, v19
	v_subrev_u32_e32 v36, 28, v35
	v_sub_u32_e32 v35, 29, v35
	v_cmp_gt_u32_e64 s[0:1], 8, v19
	v_lshlrev_b64 v[36:37], v36, v[6:7]
	s_nop 0
	v_cndmask_b32_e64 v19, v20, v35, s[0:1]
	v_lshl_add_u32 v19, v19, 10, v30
	v_lshlrev_b32_e32 v20, 8, v15
	v_and_b32_e32 v35, 7, v36
	v_and_b32_e32 v19, 0xfc00, v19
	v_cndmask_b32_e64 v18, v18, v35, s[0:1]
	v_and_or_b32 v19, v20, s47, v19
	v_lshl_or_b32 v18, v18, 7, v19
.LBB219_131:                            ;   in Loop: Header=BB219_51 Depth=1
	s_or_b64 exec, exec, s[34:35]
.LBB219_132:                            ;   in Loop: Header=BB219_51 Depth=1
	s_or_b64 exec, exec, s[30:31]
.LBB219_133:                            ;   in Loop: Header=BB219_51 Depth=1
	s_or_b64 exec, exec, s[22:23]
	v_lshrrev_b16_e32 v6, 8, v6
	v_cmp_ne_u16_e64 s[0:1], 0, v6
	v_mov_b32_e32 v19, 0
	s_and_saveexec_b64 s[22:23], s[0:1]
	s_cbranch_execz .LBB219_139
; %bb.134:                              ;   in Loop: Header=BB219_51 Depth=1
	v_cmp_ne_u16_e64 s[0:1], s42, v6
	v_bfrev_b32_e32 v19, 1
	s_and_saveexec_b64 s[30:31], s[0:1]
	s_cbranch_execz .LBB219_138
; %bb.135:                              ;   in Loop: Header=BB219_51 Depth=1
	v_and_b32_e32 v20, 0x7f, v6
	v_cmp_ne_u32_e64 s[0:1], s43, v20
	v_mov_b32_e32 v19, 0x7c010000
	s_and_saveexec_b64 s[34:35], s[0:1]
	s_cbranch_execz .LBB219_137
; %bb.136:                              ;   in Loop: Header=BB219_51 Depth=1
	v_and_b32_e32 v19, 7, v6
	v_ffbh_u32_e32 v36, v19
	v_min_u32_e32 v38, 32, v36
	v_subrev_u32_e32 v36, 28, v38
	v_lshlrev_b64 v[36:37], v36, v[6:7]
	v_lshrrev_b32_e32 v35, 3, v20
	v_sub_u32_e32 v37, 29, v38
	v_cmp_gt_u32_e64 s[0:1], 8, v20
	v_lshlrev_b32_e32 v6, 8, v6
	s_nop 0
	v_cndmask_b32_e64 v20, v35, v37, s[0:1]
	v_lshl_add_u32 v20, v20, 10, v30
	v_and_b32_e32 v35, 7, v36
	v_and_or_b32 v6, v6, s47, v20
	v_cndmask_b32_e64 v19, v19, v35, s[0:1]
	v_lshlrev_b32_e32 v6, 16, v6
	v_lshl_or_b32 v19, v19, 23, v6
.LBB219_137:                            ;   in Loop: Header=BB219_51 Depth=1
	s_or_b64 exec, exec, s[34:35]
.LBB219_138:                            ;   in Loop: Header=BB219_51 Depth=1
	s_or_b64 exec, exec, s[30:31]
.LBB219_139:                            ;   in Loop: Header=BB219_51 Depth=1
	s_or_b64 exec, exec, s[22:23]
	v_lshrrev_b32_e32 v6, 16, v15
	v_cmp_ne_u16_sdwa s[0:1], v6, v7 src0_sel:BYTE_0 src1_sel:DWORD
	s_and_saveexec_b64 s[22:23], s[0:1]
	s_cbranch_execz .LBB219_145
; %bb.140:                              ;   in Loop: Header=BB219_51 Depth=1
	v_cmp_ne_u16_sdwa s[0:1], v6, s42 src0_sel:BYTE_0 src1_sel:DWORD
	v_mov_b32_e32 v17, 0x8000
	s_and_saveexec_b64 s[30:31], s[0:1]
	s_cbranch_execz .LBB219_144
; %bb.141:                              ;   in Loop: Header=BB219_51 Depth=1
	v_bfe_u32 v20, v15, 16, 7
	v_cmp_ne_u32_e64 s[0:1], s43, v20
	v_mov_b32_e32 v17, 0x7c01
	s_and_saveexec_b64 s[34:35], s[0:1]
	s_cbranch_execz .LBB219_143
; %bb.142:                              ;   in Loop: Header=BB219_51 Depth=1
	v_and_b32_e32 v17, 7, v6
	v_ffbh_u32_e32 v36, v17
	v_min_u32_e32 v38, 32, v36
	v_subrev_u32_e32 v36, 28, v38
	v_lshlrev_b64 v[36:37], v36, v[6:7]
	v_lshrrev_b32_e32 v35, 3, v20
	v_sub_u32_e32 v37, 29, v38
	v_cmp_gt_u32_e64 s[0:1], 8, v20
	v_lshlrev_b32_e32 v6, 8, v6
	s_nop 0
	v_cndmask_b32_e64 v20, v35, v37, s[0:1]
	v_lshl_add_u32 v20, v20, 10, v30
	v_and_b32_e32 v35, 7, v36
	v_and_b32_e32 v20, 0xfc00, v20
	v_cndmask_b32_e64 v17, v17, v35, s[0:1]
	v_and_or_b32 v6, v6, s47, v20
	v_lshl_or_b32 v17, v17, 7, v6
.LBB219_143:                            ;   in Loop: Header=BB219_51 Depth=1
	s_or_b64 exec, exec, s[34:35]
.LBB219_144:                            ;   in Loop: Header=BB219_51 Depth=1
	s_or_b64 exec, exec, s[30:31]
.LBB219_145:                            ;   in Loop: Header=BB219_51 Depth=1
	s_or_b64 exec, exec, s[22:23]
	v_cmp_lt_u64_e64 s[0:1], s[12:13], v[14:15]
	v_mov_b32_e32 v14, 0
	s_and_saveexec_b64 s[22:23], s[0:1]
	s_cbranch_execz .LBB219_151
; %bb.146:                              ;   in Loop: Header=BB219_51 Depth=1
	v_lshrrev_b32_e32 v6, 24, v15
	v_cmp_ne_u32_e64 s[0:1], s42, v6
	v_bfrev_b32_e32 v14, 1
	s_and_saveexec_b64 s[30:31], s[0:1]
	s_cbranch_execz .LBB219_150
; %bb.147:                              ;   in Loop: Header=BB219_51 Depth=1
	v_and_b32_e32 v15, 0x7f, v6
	v_cmp_ne_u32_e64 s[0:1], s43, v15
	v_mov_b32_e32 v14, 0x7c010000
	s_and_saveexec_b64 s[34:35], s[0:1]
	s_cbranch_execz .LBB219_149
; %bb.148:                              ;   in Loop: Header=BB219_51 Depth=1
	v_and_b32_e32 v14, 7, v6
	v_ffbh_u32_e32 v35, v14
	v_min_u32_e32 v35, 32, v35
	v_lshrrev_b32_e32 v20, 3, v15
	v_subrev_u32_e32 v36, 28, v35
	v_sub_u32_e32 v35, 29, v35
	v_cmp_gt_u32_e64 s[0:1], 8, v15
	v_lshlrev_b64 v[36:37], v36, v[6:7]
	v_lshlrev_b32_e32 v6, 8, v6
	v_cndmask_b32_e64 v15, v20, v35, s[0:1]
	v_lshl_add_u32 v15, v15, 10, v30
	v_and_b32_e32 v20, 7, v36
	v_and_or_b32 v6, v6, s47, v15
	v_cndmask_b32_e64 v14, v14, v20, s[0:1]
	v_lshlrev_b32_e32 v6, 16, v6
	v_lshl_or_b32 v14, v14, 23, v6
.LBB219_149:                            ;   in Loop: Header=BB219_51 Depth=1
	s_or_b64 exec, exec, s[34:35]
.LBB219_150:                            ;   in Loop: Header=BB219_51 Depth=1
	s_or_b64 exec, exec, s[30:31]
.LBB219_151:                            ;   in Loop: Header=BB219_51 Depth=1
	s_or_b64 exec, exec, s[22:23]
	v_cvt_f32_f16_sdwa v37, v1 dst_sel:DWORD dst_unused:UNUSED_PAD src0_sel:WORD_1
	v_cvt_f32_f16_sdwa v36, v16 dst_sel:DWORD dst_unused:UNUSED_PAD src0_sel:WORD_1
	v_or_b32_e32 v1, v1, v3
	v_or_b32_e32 v3, v16, v13
	v_cvt_f32_f16_e32 v38, v3
	v_cvt_f32_f16_e32 v39, v1
	s_waitcnt vmcnt(0)
	v_pk_mul_f32 v[36:37], v[12:13], v[36:37] op_sel_hi:[0,1]
	v_cvt_pk_f16_f32 v1, v36, v37
	v_or_b32_e32 v15, v19, v18
	v_pk_mul_f32 v[36:37], v[12:13], v[38:39] op_sel_hi:[0,1]
	v_or_b32_e32 v17, v14, v17
	v_and_b32_e32 v3, 0xffff0000, v1
	v_lshlrev_b32_e32 v6, 16, v1
	v_cvt_pk_f16_f32 v1, v36, v37
	v_cvt_f32_f16_e32 v36, v17
	v_cvt_f32_f16_e32 v37, v15
	v_cvt_f32_f16_sdwa v19, v19 dst_sel:DWORD dst_unused:UNUSED_PAD src0_sel:WORD_1
	v_cvt_f32_f16_sdwa v18, v14 dst_sel:DWORD dst_unused:UNUSED_PAD src0_sel:WORD_1
	v_lshrrev_b32_e32 v13, 16, v1
	v_pk_mul_f32 v[36:37], v[12:13], v[36:37] op_sel_hi:[0,1]
	v_cvt_pk_f16_f32 v20, v36, v37
	v_pk_mul_f32 v[18:19], v[12:13], v[18:19] op_sel_hi:[0,1]
	v_cvt_pk_f16_f32 v12, v18, v19
	v_and_b32_e32 v16, 0xffff, v1
	v_and_b32_e32 v15, 0xffff0000, v12
	v_lshlrev_b32_e32 v12, 16, v12
	v_lshrrev_b32_e32 v17, 16, v20
	v_and_b32_e32 v18, 0xffff, v20
	v_or_b32_e32 v1, v3, v13
	v_or_b32_e32 v14, v6, v16
	;; [unrolled: 1-line block ×4, first 2 shown]
	s_and_saveexec_b64 s[22:23], s[2:3]
	s_cbranch_execz .LBB219_48
; %bb.152:                              ;   in Loop: Header=BB219_51 Depth=1
	v_add_u32_e32 v19, 2, v24
	v_cmp_gt_i32_e64 s[0:1], s41, v24
	v_or_b32_e32 v1, 1, v24
	v_or_b32_e32 v14, 3, v24
	v_cndmask_b32_e64 v13, 0, v13, s[0:1]
	v_cmp_gt_i32_e64 s[0:1], s25, v19
	s_nop 1
	v_cndmask_b32_e64 v16, 0, v16, s[0:1]
	v_cmp_gt_i32_e64 s[0:1], s41, v1
	s_nop 1
	v_cndmask_b32_e64 v1, 0, v3, s[0:1]
	v_cmp_gt_i32_e64 s[0:1], s25, v14
	v_or_b32_e32 v1, v1, v13
	v_or_b32_e32 v13, 5, v24
	v_cndmask_b32_e64 v3, 0, v6, s[0:1]
	v_or_b32_e32 v14, v3, v16
	v_or_b32_e32 v3, 4, v24
	;; [unrolled: 1-line block ×3, first 2 shown]
	v_cmp_gt_i32_e64 s[0:1], s41, v3
	v_or_b32_e32 v16, 7, v24
	s_nop 0
	v_cndmask_b32_e64 v3, 0, v17, s[0:1]
	v_cmp_gt_i32_e64 s[0:1], s25, v6
	s_nop 1
	v_cndmask_b32_e64 v6, 0, v18, s[0:1]
	v_cmp_gt_i32_e64 s[0:1], s41, v13
	;; [unrolled: 3-line block ×3, first 2 shown]
	v_or_b32_e32 v19, v13, v3
	s_nop 0
	v_cndmask_b32_e64 v12, 0, v12, s[0:1]
	v_or_b32_e32 v20, v12, v6
	s_branch .LBB219_48
.LBB219_153:
	s_or_b64 exec, exec, s[16:17]
.LBB219_154:
	s_or_b64 exec, exec, s[8:9]
	v_and_b32_e32 v1, 0x3c0, v0
	v_cmp_eq_u32_e32 vcc, 64, v1
	s_barrier
	s_and_saveexec_b64 s[0:1], vcc
	s_cbranch_execz .LBB219_157
; %bb.155:
	v_mov_b32_e32 v1, 0xd0
	v_lshl_add_u32 v3, v25, 2, v1
	ds_write_b32 v3, v27
	s_and_b64 exec, exec, s[6:7]
; %bb.156:
	v_lshl_add_u32 v1, v0, 2, v1
	ds_write_b32 v1, v26
.LBB219_157:
	s_or_b64 exec, exec, s[0:1]
	v_cmp_gt_u32_e32 vcc, 64, v0
	v_or_b32_e32 v1, 64, v0
	s_waitcnt lgkmcnt(0)
	s_barrier
	s_and_saveexec_b64 s[2:3], vcc
	s_cbranch_execz .LBB219_161
; %bb.158:
	v_mov_b32_e32 v3, 0xd0
	v_lshl_add_u32 v3, v0, 2, v3
	ds_read_b32 v0, v3
	s_movk_i32 s0, 0x60
	v_cmp_gt_u32_e64 s[0:1], s0, v1
	s_and_saveexec_b64 s[6:7], s[0:1]
	s_cbranch_execz .LBB219_160
; %bb.159:
	ds_read_b32 v3, v3 offset:256
	s_waitcnt lgkmcnt(0)
	v_add_f32_e32 v26, v26, v3
.LBB219_160:
	s_or_b64 exec, exec, s[6:7]
	s_waitcnt lgkmcnt(0)
	v_add_f32_e32 v27, v27, v0
.LBB219_161:
	s_or_b64 exec, exec, s[2:3]
	s_barrier
	s_and_saveexec_b64 s[0:1], vcc
	s_cbranch_execz .LBB219_164
; %bb.162:
	s_mul_i32 s0, s24, s27
	s_mul_i32 s0, s0, s5
	s_mulk_i32 s0, 0x60
	s_ashr_i32 s1, s0, 31
	s_lshl_b64 s[0:1], s[0:1], 1
	s_add_u32 s3, s28, s0
	s_mul_i32 s0, s27, s26
	s_addc_u32 s5, s29, s1
	s_ashr_i32 s1, s0, 31
	s_lshl_b64 s[0:1], s[0:1], 1
	s_add_u32 s3, s3, s0
	s_mul_i32 s0, s4, 0x60
	s_addc_u32 s5, s5, s1
	s_ashr_i32 s1, s0, 31
	s_lshl_b64 s[0:1], s[0:1], 1
	s_movk_i32 s2, 0x60
	s_add_u32 s0, s3, s0
	s_addc_u32 s1, s5, s1
	v_cmp_gt_u32_e32 vcc, s2, v1
	;;#ASMSTART
	v_cvt_f16_f32 v0, v27;

	;;#ASMEND
	global_store_short v2, v0, s[0:1]
	s_and_b64 exec, exec, vcc
	s_cbranch_execz .LBB219_164
; %bb.163:
	v_mov_b32_e32 v3, 0
	v_lshl_add_u64 v[0:1], s[0:1], 0, v[2:3]
	;;#ASMSTART
	v_cvt_f16_f32 v2, v26;

	;;#ASMEND
	global_store_short v[0:1], v2, off offset:128
.LBB219_164:
	s_endpgm
	.section	.rodata,"a",@progbits
	.p2align	6, 0x0
	.amdhsa_kernel _ZN4vllm25paged_attention_v1_kernelIthLi96ELi8ELi128ELNS_18Fp8KVCacheDataTypeE1ELb1EEEvPT_PKS2_PKT0_S8_ifPKiSA_iPKfiiiSC_SC_iiiii
		.amdhsa_group_segment_fixed_size 208
		.amdhsa_private_segment_fixed_size 0
		.amdhsa_kernarg_size 384
		.amdhsa_user_sgpr_count 2
		.amdhsa_user_sgpr_dispatch_ptr 0
		.amdhsa_user_sgpr_queue_ptr 0
		.amdhsa_user_sgpr_kernarg_segment_ptr 1
		.amdhsa_user_sgpr_dispatch_id 0
		.amdhsa_user_sgpr_kernarg_preload_length 0
		.amdhsa_user_sgpr_kernarg_preload_offset 0
		.amdhsa_user_sgpr_private_segment_size 0
		.amdhsa_uses_dynamic_stack 0
		.amdhsa_enable_private_segment 0
		.amdhsa_system_sgpr_workgroup_id_x 1
		.amdhsa_system_sgpr_workgroup_id_y 1
		.amdhsa_system_sgpr_workgroup_id_z 1
		.amdhsa_system_sgpr_workgroup_info 0
		.amdhsa_system_vgpr_workitem_id 0
		.amdhsa_next_free_vgpr 49
		.amdhsa_next_free_sgpr 50
		.amdhsa_accum_offset 52
		.amdhsa_reserve_vcc 1
		.amdhsa_float_round_mode_32 0
		.amdhsa_float_round_mode_16_64 0
		.amdhsa_float_denorm_mode_32 3
		.amdhsa_float_denorm_mode_16_64 3
		.amdhsa_dx10_clamp 1
		.amdhsa_ieee_mode 1
		.amdhsa_fp16_overflow 0
		.amdhsa_tg_split 0
		.amdhsa_exception_fp_ieee_invalid_op 0
		.amdhsa_exception_fp_denorm_src 0
		.amdhsa_exception_fp_ieee_div_zero 0
		.amdhsa_exception_fp_ieee_overflow 0
		.amdhsa_exception_fp_ieee_underflow 0
		.amdhsa_exception_fp_ieee_inexact 0
		.amdhsa_exception_int_div_zero 0
	.end_amdhsa_kernel
	.section	.text._ZN4vllm25paged_attention_v1_kernelIthLi96ELi8ELi128ELNS_18Fp8KVCacheDataTypeE1ELb1EEEvPT_PKS2_PKT0_S8_ifPKiSA_iPKfiiiSC_SC_iiiii,"axG",@progbits,_ZN4vllm25paged_attention_v1_kernelIthLi96ELi8ELi128ELNS_18Fp8KVCacheDataTypeE1ELb1EEEvPT_PKS2_PKT0_S8_ifPKiSA_iPKfiiiSC_SC_iiiii,comdat
.Lfunc_end219:
	.size	_ZN4vllm25paged_attention_v1_kernelIthLi96ELi8ELi128ELNS_18Fp8KVCacheDataTypeE1ELb1EEEvPT_PKS2_PKT0_S8_ifPKiSA_iPKfiiiSC_SC_iiiii, .Lfunc_end219-_ZN4vllm25paged_attention_v1_kernelIthLi96ELi8ELi128ELNS_18Fp8KVCacheDataTypeE1ELb1EEEvPT_PKS2_PKT0_S8_ifPKiSA_iPKfiiiSC_SC_iiiii
                                        ; -- End function
	.set _ZN4vllm25paged_attention_v1_kernelIthLi96ELi8ELi128ELNS_18Fp8KVCacheDataTypeE1ELb1EEEvPT_PKS2_PKT0_S8_ifPKiSA_iPKfiiiSC_SC_iiiii.num_vgpr, 49
	.set _ZN4vllm25paged_attention_v1_kernelIthLi96ELi8ELi128ELNS_18Fp8KVCacheDataTypeE1ELb1EEEvPT_PKS2_PKT0_S8_ifPKiSA_iPKfiiiSC_SC_iiiii.num_agpr, 0
	.set _ZN4vllm25paged_attention_v1_kernelIthLi96ELi8ELi128ELNS_18Fp8KVCacheDataTypeE1ELb1EEEvPT_PKS2_PKT0_S8_ifPKiSA_iPKfiiiSC_SC_iiiii.numbered_sgpr, 50
	.set _ZN4vllm25paged_attention_v1_kernelIthLi96ELi8ELi128ELNS_18Fp8KVCacheDataTypeE1ELb1EEEvPT_PKS2_PKT0_S8_ifPKiSA_iPKfiiiSC_SC_iiiii.num_named_barrier, 0
	.set _ZN4vllm25paged_attention_v1_kernelIthLi96ELi8ELi128ELNS_18Fp8KVCacheDataTypeE1ELb1EEEvPT_PKS2_PKT0_S8_ifPKiSA_iPKfiiiSC_SC_iiiii.private_seg_size, 0
	.set _ZN4vllm25paged_attention_v1_kernelIthLi96ELi8ELi128ELNS_18Fp8KVCacheDataTypeE1ELb1EEEvPT_PKS2_PKT0_S8_ifPKiSA_iPKfiiiSC_SC_iiiii.uses_vcc, 1
	.set _ZN4vllm25paged_attention_v1_kernelIthLi96ELi8ELi128ELNS_18Fp8KVCacheDataTypeE1ELb1EEEvPT_PKS2_PKT0_S8_ifPKiSA_iPKfiiiSC_SC_iiiii.uses_flat_scratch, 0
	.set _ZN4vllm25paged_attention_v1_kernelIthLi96ELi8ELi128ELNS_18Fp8KVCacheDataTypeE1ELb1EEEvPT_PKS2_PKT0_S8_ifPKiSA_iPKfiiiSC_SC_iiiii.has_dyn_sized_stack, 0
	.set _ZN4vllm25paged_attention_v1_kernelIthLi96ELi8ELi128ELNS_18Fp8KVCacheDataTypeE1ELb1EEEvPT_PKS2_PKT0_S8_ifPKiSA_iPKfiiiSC_SC_iiiii.has_recursion, 0
	.set _ZN4vllm25paged_attention_v1_kernelIthLi96ELi8ELi128ELNS_18Fp8KVCacheDataTypeE1ELb1EEEvPT_PKS2_PKT0_S8_ifPKiSA_iPKfiiiSC_SC_iiiii.has_indirect_call, 0
	.section	.AMDGPU.csdata,"",@progbits
; Kernel info:
; codeLenInByte = 9108
; TotalNumSgprs: 56
; NumVgprs: 49
; NumAgprs: 0
; TotalNumVgprs: 49
; ScratchSize: 0
; MemoryBound: 0
; FloatMode: 240
; IeeeMode: 1
; LDSByteSize: 208 bytes/workgroup (compile time only)
; SGPRBlocks: 6
; VGPRBlocks: 6
; NumSGPRsForWavesPerEU: 56
; NumVGPRsForWavesPerEU: 49
; AccumOffset: 52
; Occupancy: 8
; WaveLimiterHint : 1
; COMPUTE_PGM_RSRC2:SCRATCH_EN: 0
; COMPUTE_PGM_RSRC2:USER_SGPR: 2
; COMPUTE_PGM_RSRC2:TRAP_HANDLER: 0
; COMPUTE_PGM_RSRC2:TGID_X_EN: 1
; COMPUTE_PGM_RSRC2:TGID_Y_EN: 1
; COMPUTE_PGM_RSRC2:TGID_Z_EN: 1
; COMPUTE_PGM_RSRC2:TIDIG_COMP_CNT: 0
; COMPUTE_PGM_RSRC3_GFX90A:ACCUM_OFFSET: 12
; COMPUTE_PGM_RSRC3_GFX90A:TG_SPLIT: 0
	.section	.text._ZN4vllm25paged_attention_v1_kernelIthLi112ELi8ELi128ELNS_18Fp8KVCacheDataTypeE1ELb1EEEvPT_PKS2_PKT0_S8_ifPKiSA_iPKfiiiSC_SC_iiiii,"axG",@progbits,_ZN4vllm25paged_attention_v1_kernelIthLi112ELi8ELi128ELNS_18Fp8KVCacheDataTypeE1ELb1EEEvPT_PKS2_PKT0_S8_ifPKiSA_iPKfiiiSC_SC_iiiii,comdat
	.protected	_ZN4vllm25paged_attention_v1_kernelIthLi112ELi8ELi128ELNS_18Fp8KVCacheDataTypeE1ELb1EEEvPT_PKS2_PKT0_S8_ifPKiSA_iPKfiiiSC_SC_iiiii ; -- Begin function _ZN4vllm25paged_attention_v1_kernelIthLi112ELi8ELi128ELNS_18Fp8KVCacheDataTypeE1ELb1EEEvPT_PKS2_PKT0_S8_ifPKiSA_iPKfiiiSC_SC_iiiii
	.globl	_ZN4vllm25paged_attention_v1_kernelIthLi112ELi8ELi128ELNS_18Fp8KVCacheDataTypeE1ELb1EEEvPT_PKS2_PKT0_S8_ifPKiSA_iPKfiiiSC_SC_iiiii
	.p2align	8
	.type	_ZN4vllm25paged_attention_v1_kernelIthLi112ELi8ELi128ELNS_18Fp8KVCacheDataTypeE1ELb1EEEvPT_PKS2_PKT0_S8_ifPKiSA_iPKfiiiSC_SC_iiiii,@function
_ZN4vllm25paged_attention_v1_kernelIthLi112ELi8ELi128ELNS_18Fp8KVCacheDataTypeE1ELb1EEEvPT_PKS2_PKT0_S8_ifPKiSA_iPKfiiiSC_SC_iiiii: ; @_ZN4vllm25paged_attention_v1_kernelIthLi112ELi8ELi128ELNS_18Fp8KVCacheDataTypeE1ELb1EEEvPT_PKS2_PKT0_S8_ifPKiSA_iPKfiiiSC_SC_iiiii
; %bb.0:
	s_load_dword s5, s[0:1], 0x80
	s_load_dwordx2 s[6:7], s[0:1], 0x30
	s_load_dwordx2 s[38:39], s[0:1], 0x20
	s_mov_b32 s24, s3
	s_ashr_i32 s25, s3, 31
	s_lshl_b64 s[8:9], s[24:25], 2
	s_waitcnt lgkmcnt(0)
	s_add_u32 s6, s6, s8
	s_addc_u32 s7, s7, s9
	s_abs_i32 s3, s38
	v_cvt_f32_u32_e32 v1, s3
	s_sub_i32 s10, 0, s3
	s_abs_i32 s9, s5
	s_xor_b32 s8, s5, s38
	v_rcp_iflag_f32_e32 v1, v1
	s_ashr_i32 s8, s8, 31
	s_mov_b32 s47, 0
	v_mul_f32_e32 v1, 0x4f7ffffe, v1
	v_cvt_u32_f32_e32 v1, v1
	s_nop 0
	v_readfirstlane_b32 s11, v1
	s_mul_i32 s10, s10, s11
	s_mul_hi_u32 s10, s11, s10
	s_add_i32 s11, s11, s10
	s_mul_hi_u32 s10, s9, s11
	s_mul_i32 s11, s10, s3
	s_sub_i32 s9, s9, s11
	s_add_i32 s11, s10, 1
	s_sub_i32 s12, s9, s3
	s_cmp_ge_u32 s9, s3
	s_cselect_b32 s10, s11, s10
	s_cselect_b32 s9, s12, s9
	s_add_i32 s11, s10, 1
	s_cmp_ge_u32 s9, s3
	s_cselect_b32 s3, s11, s10
	s_xor_b32 s3, s3, s8
	s_sub_i32 s14, s3, s8
	s_abs_i32 s10, s14
	v_cvt_f32_u32_e32 v1, s10
	s_load_dwordx2 s[8:9], s[0:1], 0x40
	s_sub_i32 s3, 0, s10
	s_abs_i32 s11, s2
	v_rcp_iflag_f32_e32 v1, v1
	s_nop 0
	v_mul_f32_e32 v1, 0x4f7ffffe, v1
	v_cvt_u32_f32_e32 v1, v1
	s_nop 0
	v_readfirstlane_b32 s12, v1
	s_mul_i32 s3, s3, s12
	s_mul_hi_u32 s3, s12, s3
	s_add_i32 s12, s12, s3
	s_waitcnt lgkmcnt(0)
	s_cmp_eq_u64 s[8:9], 0
	s_mul_hi_u32 s12, s11, s12
	s_cbranch_scc1 .LBB220_2
; %bb.1:
	s_ashr_i32 s3, s2, 31
	s_lshl_b64 s[16:17], s[2:3], 2
	s_add_u32 s8, s8, s16
	s_addc_u32 s9, s9, s17
	s_load_dword s47, s[8:9], 0x0
.LBB220_2:
	s_load_dword s25, s[6:7], 0x0
	s_load_dwordx4 s[16:19], s[0:1], 0x48
	s_movk_i32 s3, 0x70
	s_ashr_i32 s13, s2, 31
	s_ashr_i32 s14, s14, 31
	v_and_b32_e32 v6, 7, v0
	s_mul_i32 s26, s2, 0x70
	v_cmp_gt_u32_e64 s[6:7], s3, v0
	v_lshlrev_b32_e32 v2, 1, v0
	s_and_saveexec_b64 s[8:9], s[6:7]
	s_cbranch_execz .LBB220_4
; %bb.3:
	s_load_dwordx2 s[20:21], s[0:1], 0x8
	s_waitcnt lgkmcnt(0)
	s_mul_i32 s22, s16, s24
	s_ashr_i32 s23, s22, 31
	s_lshl_b64 s[22:23], s[22:23], 1
	v_lshrrev_b32_e32 v3, 2, v0
	s_add_u32 s3, s20, s22
	s_addc_u32 s15, s21, s23
	s_ashr_i32 s27, s26, 31
	s_lshl_b64 s[20:21], s[26:27], 1
	s_add_u32 s20, s3, s20
	s_addc_u32 s21, s15, s21
	global_load_ushort v1, v2, s[20:21]
	v_and_b32_e32 v3, 0xfe, v3
	v_mad_u32_u24 v3, v6, 28, v3
	s_waitcnt vmcnt(0)
	ds_write_b16 v3, v1
.LBB220_4:
	s_or_b64 exec, exec, s[8:9]
	s_mul_i32 s9, s12, s10
	s_sub_i32 s9, s11, s9
	s_xor_b32 s8, s13, s14
	s_add_i32 s11, s12, 1
	s_sub_i32 s13, s9, s10
	s_load_dwordx4 s[20:23], s[0:1], 0x68
	s_load_dword s3, s[0:1], 0x78
	s_cmp_ge_u32 s9, s10
	s_cselect_b32 s11, s11, s12
	s_cselect_b32 s9, s13, s9
	s_add_i32 s12, s11, 1
	s_cmp_ge_u32 s9, s10
	s_cselect_b32 s9, s12, s11
	s_waitcnt lgkmcnt(0)
	s_abs_i32 s33, s23
	v_cvt_f32_u32_e32 v1, s33
	s_xor_b32 s9, s9, s8
	s_sub_i32 s10, s9, s8
	s_sub_i32 s8, 0, s33
	v_rcp_iflag_f32_e32 v1, v1
	s_add_i32 s12, s25, -1
	s_abs_i32 s11, s12
	v_mul_f32_e32 v1, 0x4f7ffffe, v1
	v_cvt_u32_f32_e32 v1, v1
	s_barrier
	v_readfirstlane_b32 s44, v1
	s_mul_i32 s8, s8, s44
	s_mul_hi_u32 s8, s44, s8
	s_add_i32 s44, s44, s8
	s_cmp_lt_i32 s3, 0
	s_mul_hi_u32 s16, s11, s44
	s_cbranch_scc0 .LBB220_6
; %bb.5:
	s_mul_i32 s8, s20, s38
	s_add_i32 s8, s10, s8
	s_mul_i32 s8, s8, s3
	s_sub_i32 s38, 1, s8
	s_mov_b64 s[8:9], 0
	s_branch .LBB220_7
.LBB220_6:
	s_mov_b64 s[8:9], -1
                                        ; implicit-def: $sgpr38
.LBB220_7:
	s_load_dwordx2 s[30:31], s[0:1], 0x28
	s_ashr_i32 s19, s12, 31
	s_andn2_b64 vcc, exec, s[8:9]
	s_ashr_i32 s45, s23, 31
	s_cbranch_vccnz .LBB220_9
; %bb.8:
	s_mul_i32 s8, s5, s20
	s_add_i32 s2, s8, s2
	s_mul_i32 s2, s2, s3
	s_add_i32 s38, s2, 1
.LBB220_9:
	s_load_dword s2, s[0:1], 0x38
	s_load_dwordx2 s[28:29], s[0:1], 0x0
	s_load_dwordx2 s[36:37], s[0:1], 0x18
	s_load_dword s27, s[0:1], 0x88
	s_load_dwordx4 s[12:15], s[0:1], 0x58
	s_mul_i32 s3, s16, s33
	s_waitcnt lgkmcnt(0)
	s_mul_i32 s34, s2, s24
	s_sub_i32 s3, s11, s3
	s_ashr_i32 s35, s34, 31
	s_xor_b32 s2, s19, s45
	s_add_i32 s8, s16, 1
	s_sub_i32 s9, s3, s33
	s_cmp_ge_u32 s3, s33
	s_cselect_b32 s8, s8, s16
	s_cselect_b32 s3, s9, s3
	s_add_i32 s9, s8, 1
	s_cmp_ge_u32 s3, s33
	s_cselect_b32 s3, s9, s8
	s_xor_b32 s3, s3, s2
	s_sub_i32 s16, s3, s2
	s_add_i32 s2, s25, 7
	s_ashr_i32 s3, s2, 31
	s_lshr_b32 s3, s3, 29
	s_add_i32 s2, s2, s3
	s_ashr_i32 s46, s2, 3
	v_lshrrev_b32_e32 v23, 6, v0
	v_cmp_gt_i32_e64 s[2:3], s46, v23
	v_mov_b32_e32 v4, 0xff7fffff
	s_mul_i32 s20, s10, s18
	v_lshrrev_b32_e32 v1, 4, v0
	v_lshlrev_b32_e32 v24, 3, v23
	v_mbcnt_lo_u32_b32 v3, -1, 0
	s_and_saveexec_b64 s[18:19], s[2:3]
	s_cbranch_execz .LBB220_21
; %bb.10:
	s_load_dwordx2 s[0:1], s[0:1], 0x10
	s_sub_i32 s23, s16, s21
	s_ashr_i32 s9, s20, 31
	v_bfe_u32 v10, v0, 3, 3
	v_mov_b32_e32 v5, 0
	s_waitcnt lgkmcnt(0)
	s_add_u32 s8, s0, s20
	s_addc_u32 s9, s1, s9
	s_abs_i32 s48, s22
	v_cvt_f32_u32_e32 v4, s48
	v_cmp_eq_u32_e32 vcc, 0, v6
	v_mul_u32_u24_e32 v11, 28, v6
	v_mbcnt_hi_u32_b32 v17, -1, v3
	v_rcp_iflag_f32_e32 v7, v4
	v_lshlrev_b32_e32 v4, 4, v10
	v_lshl_add_u64 v[8:9], s[8:9], 0, v[4:5]
	s_sub_i32 s8, 0, s48
	v_mul_f32_e32 v7, 0x4f7ffffe, v7
	v_cvt_u32_f32_e32 v12, v7
	v_mov_b32_e32 v7, v5
	v_lshl_add_u64 v[6:7], v[8:9], 0, v[6:7]
	s_mov_b32 s49, s17
	v_mul_lo_u32 v4, s8, v12
	s_lshl_b64 s[8:9], s[34:35], 2
	v_mul_hi_u32 v4, v12, v4
	s_add_u32 s8, s30, s8
	v_add_u32_e32 v12, v12, v4
	v_and_b32_e32 v4, 60, v1
	s_addc_u32 s9, s31, s9
	v_lshl_add_u64 v[8:9], s[8:9], 0, v[4:5]
	v_subrev_u32_e32 v4, s25, v10
	v_add_u32_e32 v14, 1, v4
	v_lshlrev_b32_e32 v4, 2, v10
	v_lshl_or_b32 v4, v23, 5, v4
	v_add_u32_e32 v15, 0xf0, v4
	v_and_b32_e32 v4, 64, v17
	v_cmp_neq_f32_e64 s[0:1], s47, 0
	v_lshlrev_b32_e32 v13, 3, v23
	v_mov_b32_e32 v16, 0xff7fffff
	s_mov_b64 s[40:41], 0
	v_add_u32_e32 v18, 64, v4
	v_xor_b32_e32 v19, 4, v17
	v_xor_b32_e32 v20, 2, v17
	v_xor_b32_e32 v21, 1, v17
	v_mov_b32_e32 v4, 0xff7fffff
	v_mov_b32_e32 v22, v23
	s_branch .LBB220_13
.LBB220_11:                             ;   in Loop: Header=BB220_13 Depth=1
	s_or_b64 exec, exec, s[42:43]
.LBB220_12:                             ;   in Loop: Header=BB220_13 Depth=1
	s_or_b64 exec, exec, s[10:11]
	v_add_u32_e32 v22, 2, v22
	v_cmp_le_i32_e64 s[8:9], s46, v22
	v_lshl_add_u64 v[8:9], v[8:9], 0, 8
	v_add_u32_e32 v13, 16, v13
	s_or_b64 s[40:41], s[8:9], s[40:41]
	v_add_u32_e32 v15, 64, v15
	s_andn2_b64 exec, exec, s[40:41]
	s_cbranch_execz .LBB220_20
.LBB220_13:                             ; =>This Inner Loop Header: Depth=1
	v_mul_hi_u32 v25, v13, s44
	s_waitcnt lgkmcnt(0)
	v_mul_lo_u32 v26, v25, s33
	v_sub_u32_e32 v26, v13, v26
	v_add_u32_e32 v27, 1, v25
	v_cmp_le_u32_e64 s[8:9], s33, v26
	s_nop 1
	v_cndmask_b32_e64 v25, v25, v27, s[8:9]
	v_subrev_u32_e32 v27, s33, v26
	v_cndmask_b32_e64 v26, v26, v27, s[8:9]
	v_add_u32_e32 v27, 1, v25
	v_cmp_le_u32_e64 s[8:9], s33, v26
	s_nop 1
	v_cndmask_b32_e64 v25, v25, v27, s[8:9]
	v_xor_b32_e32 v25, s45, v25
	v_subrev_u32_e32 v25, s45, v25
	v_add_u32_e32 v26, s38, v25
	v_sub_u32_e32 v28, 0, v26
	v_ashrrev_i32_e32 v27, 31, v26
	v_max_i32_e32 v26, v26, v28
	v_mul_hi_u32 v28, v26, v12
	v_mul_lo_u32 v28, v28, s48
	v_sub_u32_e32 v26, v26, v28
	v_subrev_u32_e32 v28, s48, v26
	v_cmp_le_u32_e64 s[8:9], s48, v26
	v_cmp_ge_i32_e64 s[10:11], s23, v25
	s_nop 0
	v_cndmask_b32_e64 v26, v26, v28, s[8:9]
	v_subrev_u32_e32 v28, s48, v26
	v_cmp_le_u32_e64 s[8:9], s48, v26
	s_nop 1
	v_cndmask_b32_e64 v26, v26, v28, s[8:9]
	v_xor_b32_e32 v26, v26, v27
	v_sub_u32_e32 v26, v26, v27
	v_cmp_ne_u32_e64 s[8:9], 0, v26
	s_and_b64 s[8:9], s[8:9], s[10:11]
	s_and_saveexec_b64 s[10:11], s[8:9]
	s_xor_b64 s[8:9], exec, s[10:11]
	s_cbranch_execz .LBB220_17
; %bb.14:                               ;   in Loop: Header=BB220_13 Depth=1
	s_and_saveexec_b64 s[10:11], vcc
; %bb.15:                               ;   in Loop: Header=BB220_13 Depth=1
	ds_write_b32 v15, v16
; %bb.16:                               ;   in Loop: Header=BB220_13 Depth=1
	s_or_b64 exec, exec, s[10:11]
.LBB220_17:                             ;   in Loop: Header=BB220_13 Depth=1
	s_andn2_saveexec_b64 s[10:11], s[8:9]
	s_cbranch_execz .LBB220_12
; %bb.18:                               ;   in Loop: Header=BB220_13 Depth=1
	global_load_dword v25, v[8:9], off
	s_waitcnt vmcnt(0)
	v_mad_i64_i32 v[26:27], s[8:9], v25, s49, v[6:7]
	global_load_ubyte v25, v[26:27], off
	global_load_ubyte v28, v[26:27], off offset:8
	global_load_dword v29, v5, s[12:13]
	global_load_ubyte v30, v[26:27], off offset:128
	global_load_ubyte v31, v[26:27], off offset:136
	;; [unrolled: 1-line block ×12, first 2 shown]
	ds_read_u16 v27, v11
	s_waitcnt lgkmcnt(0)
	;;#ASMSTART
	v_cvt_f32_f16 v27, v27;
	;;#ASMEND
	v_cmp_lt_i32_e64 s[8:9], v19, v18
	s_waitcnt vmcnt(14)
	v_cvt_f32_fp8_e32 v25, v25
	s_waitcnt vmcnt(13)
	v_cvt_f32_fp8_e32 v28, v28
	v_cndmask_b32_e64 v26, v17, v19, s[8:9]
	s_waitcnt vmcnt(11)
	v_cvt_f32_fp8_e32 v30, v30
	v_fma_mixlo_f16 v25, v29, v25, 0
	s_waitcnt vmcnt(10)
	v_cvt_f32_fp8_e32 v31, v31
	v_and_b32_e32 v25, 0xffff, v25
	v_fma_mixlo_f16 v28, v29, v28, 0
	s_waitcnt vmcnt(9)
	v_cvt_f32_fp8_e32 v32, v32
	;;#ASMSTART
	v_cvt_f32_f16 v25, v25;
	;;#ASMEND
	ds_read_u16 v42, v11 offset:2
	v_and_b32_e32 v43, 0xffff, v28
	s_waitcnt lgkmcnt(0)
	;;#ASMSTART
	v_cvt_f32_f16 v28, v42;
	;;#ASMEND
	s_waitcnt vmcnt(8)
	v_cvt_f32_fp8_e32 v33, v33
	;;#ASMSTART
	v_cvt_f32_f16 v42, v43;
	;;#ASMEND
	v_fma_mixlo_f16 v30, v29, v30, 0
	s_waitcnt vmcnt(7)
	v_cvt_f32_fp8_e32 v34, v34
	v_mul_f32_e32 v28, v28, v42
	ds_read_u16 v43, v11 offset:4
	v_and_b32_e32 v44, 0xffff, v30
	v_fma_mixlo_f16 v31, v29, v31, 0
	s_waitcnt vmcnt(6)
	v_cvt_f32_fp8_e32 v35, v35
	v_fmac_f32_e32 v28, v27, v25
	s_waitcnt lgkmcnt(0)
	;;#ASMSTART
	v_cvt_f32_f16 v30, v43;
	;;#ASMEND
	;;#ASMSTART
	v_cvt_f32_f16 v43, v44;
	;;#ASMEND
	ds_read_u16 v44, v11 offset:6
	v_and_b32_e32 v45, 0xffff, v31
	v_fma_mixlo_f16 v32, v29, v32, 0
	v_fmac_f32_e32 v28, v30, v43
	s_waitcnt lgkmcnt(0)
	;;#ASMSTART
	v_cvt_f32_f16 v31, v44;
	;;#ASMEND
	;;#ASMSTART
	v_cvt_f32_f16 v44, v45;
	;;#ASMEND
	ds_read_u16 v45, v11 offset:8
	s_waitcnt vmcnt(5)
	v_cvt_f32_fp8_e32 v36, v36
	v_and_b32_e32 v46, 0xffff, v32
	v_fma_mixlo_f16 v33, v29, v33, 0
	v_fmac_f32_e32 v28, v31, v44
	s_waitcnt lgkmcnt(0)
	;;#ASMSTART
	v_cvt_f32_f16 v32, v45;
	;;#ASMEND
	;;#ASMSTART
	v_cvt_f32_f16 v45, v46;
	;;#ASMEND
	ds_read_u16 v46, v11 offset:10
	s_waitcnt vmcnt(4)
	v_cvt_f32_fp8_e32 v37, v37
	s_waitcnt vmcnt(3)
	v_cvt_f32_fp8_e32 v38, v38
	v_and_b32_e32 v47, 0xffff, v33
	v_fma_mixlo_f16 v34, v29, v34, 0
	v_fmac_f32_e32 v28, v32, v45
	s_waitcnt lgkmcnt(0)
	;;#ASMSTART
	v_cvt_f32_f16 v33, v46;
	;;#ASMEND
	;;#ASMSTART
	v_cvt_f32_f16 v46, v47;
	;;#ASMEND
	ds_read_u16 v47, v11 offset:12
	s_waitcnt vmcnt(2)
	v_cvt_f32_fp8_e32 v39, v39
	s_waitcnt vmcnt(1)
	v_cvt_f32_fp8_e32 v40, v40
	v_and_b32_e32 v48, 0xffff, v34
	s_waitcnt vmcnt(0)
	v_cvt_f32_fp8_e32 v41, v41
	v_fma_mixlo_f16 v35, v29, v35, 0
	v_fmac_f32_e32 v28, v33, v46
	s_waitcnt lgkmcnt(0)
	;;#ASMSTART
	v_cvt_f32_f16 v34, v47;
	;;#ASMEND
	;;#ASMSTART
	v_cvt_f32_f16 v47, v48;
	;;#ASMEND
	ds_read_u16 v48, v11 offset:14
	v_and_b32_e32 v49, 0xffff, v35
	v_fmac_f32_e32 v28, v34, v47
	v_fma_mixlo_f16 v36, v29, v36, 0
	s_waitcnt lgkmcnt(0)
	;;#ASMSTART
	v_cvt_f32_f16 v35, v48;
	;;#ASMEND
	;;#ASMSTART
	v_cvt_f32_f16 v48, v49;
	;;#ASMEND
	ds_read_u16 v49, v11 offset:16
	v_fmac_f32_e32 v28, v35, v48
	v_fma_mixlo_f16 v37, v29, v37, 0
	v_fma_mixlo_f16 v38, v29, v38, 0
	v_and_b32_e32 v50, 0xffff, v36
	s_waitcnt lgkmcnt(0)
	;;#ASMSTART
	v_cvt_f32_f16 v36, v49;
	;;#ASMEND
	;;#ASMSTART
	v_cvt_f32_f16 v49, v50;
	;;#ASMEND
	v_fma_mixlo_f16 v39, v29, v39, 0
	v_fmac_f32_e32 v28, v36, v49
	ds_read_u16 v50, v11 offset:18
	v_fma_mixlo_f16 v40, v29, v40, 0
	v_fma_mixlo_f16 v29, v29, v41, 0
	v_and_b32_e32 v41, 0xffff, v37
	v_and_b32_e32 v51, 0xffff, v38
	s_waitcnt lgkmcnt(0)
	;;#ASMSTART
	v_cvt_f32_f16 v37, v50;
	;;#ASMEND
	;;#ASMSTART
	v_cvt_f32_f16 v38, v41;
	;;#ASMEND
	ds_read_u16 v41, v11 offset:20
	v_fmac_f32_e32 v28, v37, v38
	v_and_b32_e32 v50, 0xffff, v39
	v_and_b32_e32 v52, 0xffff, v29
	s_waitcnt lgkmcnt(0)
	;;#ASMSTART
	v_cvt_f32_f16 v29, v41;
	;;#ASMEND
	;;#ASMSTART
	v_cvt_f32_f16 v39, v51;
	;;#ASMEND
	ds_read_u16 v41, v11 offset:22
	v_fmac_f32_e32 v28, v29, v39
	s_waitcnt lgkmcnt(0)
	;;#ASMSTART
	v_cvt_f32_f16 v25, v41;
	;;#ASMEND
	;;#ASMSTART
	v_cvt_f32_f16 v27, v50;
	;;#ASMEND
	ds_read_u16 v30, v11 offset:24
	v_fmac_f32_e32 v28, v25, v27
	v_and_b32_e32 v40, 0xffff, v40
	s_waitcnt lgkmcnt(0)
	;;#ASMSTART
	v_cvt_f32_f16 v30, v30;
	;;#ASMEND
	;;#ASMSTART
	v_cvt_f32_f16 v31, v40;
	;;#ASMEND
	v_lshlrev_b32_e32 v26, 2, v26
	v_fmac_f32_e32 v28, v30, v31
	ds_read_u16 v32, v11 offset:26
	s_waitcnt lgkmcnt(0)
	;;#ASMSTART
	v_cvt_f32_f16 v25, v32;
	;;#ASMEND
	;;#ASMSTART
	v_cvt_f32_f16 v27, v52;
	;;#ASMEND
	v_cmp_lt_i32_e64 s[8:9], v20, v18
	v_fmac_f32_e32 v28, v25, v27
	ds_bpermute_b32 v25, v26, v28
	v_cndmask_b32_e64 v26, v17, v20, s[8:9]
	v_lshlrev_b32_e32 v26, 2, v26
	v_cmp_lt_i32_e64 s[8:9], v21, v18
	s_waitcnt lgkmcnt(0)
	v_add_f32_e32 v25, v28, v25
	ds_bpermute_b32 v26, v26, v25
	v_cndmask_b32_e64 v27, v17, v21, s[8:9]
	s_waitcnt lgkmcnt(0)
	v_add_f32_e32 v25, v25, v26
	v_lshlrev_b32_e32 v26, 2, v27
	ds_bpermute_b32 v26, v26, v25
	s_and_saveexec_b64 s[42:43], vcc
	s_cbranch_execz .LBB220_11
; %bb.19:                               ;   in Loop: Header=BB220_13 Depth=1
	v_add_u32_e32 v27, v14, v13
	v_cvt_f32_i32_e32 v27, v27
	s_waitcnt lgkmcnt(0)
	v_add_f32_e32 v25, v25, v26
	v_add_u32_e32 v28, v10, v13
	v_cmp_gt_i32_e64 s[8:9], s25, v28
	v_mul_f32_e32 v26, s47, v27
	v_cndmask_b32_e64 v26, 0, v26, s[0:1]
	v_fmac_f32_e32 v26, s39, v25
	v_cndmask_b32_e64 v25, 0, v26, s[8:9]
	ds_write_b32 v15, v25
	v_max_f32_e32 v25, v4, v4
	v_max_f32_e32 v25, v25, v26
	v_cndmask_b32_e64 v4, v4, v25, s[8:9]
	s_branch .LBB220_11
.LBB220_20:
	s_or_b64 exec, exec, s[40:41]
.LBB220_21:
	s_or_b64 exec, exec, s[18:19]
	v_mbcnt_hi_u32_b32 v3, -1, v3
	v_and_b32_e32 v11, 64, v3
	v_add_u32_e32 v5, 64, v11
	v_xor_b32_e32 v6, 32, v3
	v_cmp_lt_i32_e32 vcc, v6, v5
	v_xor_b32_e32 v8, 16, v3
	v_xor_b32_e32 v9, 8, v3
	v_cndmask_b32_e32 v6, v3, v6, vcc
	v_lshlrev_b32_e32 v6, 2, v6
	ds_bpermute_b32 v7, v6, v4
	v_max_f32_e32 v4, v4, v4
	v_cmp_lt_i32_e32 vcc, v8, v5
	v_and_b32_e32 v25, 63, v0
	s_waitcnt lgkmcnt(0)
	v_max_f32_e32 v7, v7, v7
	v_max_f32_e32 v4, v4, v7
	v_cndmask_b32_e32 v7, v3, v8, vcc
	v_lshlrev_b32_e32 v8, 2, v7
	ds_bpermute_b32 v7, v8, v4
	v_cmp_lt_i32_e32 vcc, v9, v5
	s_waitcnt lgkmcnt(0)
	v_max_f32_e32 v7, v7, v7
	v_max_f32_e32 v7, v4, v7
	v_cndmask_b32_e32 v4, v3, v9, vcc
	v_lshlrev_b32_e32 v10, 2, v4
	ds_bpermute_b32 v9, v10, v7
	v_cmp_eq_u32_e32 vcc, 0, v25
	v_lshlrev_b32_e32 v4, 2, v23
	s_and_saveexec_b64 s[0:1], vcc
	s_cbranch_execz .LBB220_23
; %bb.22:
	s_waitcnt lgkmcnt(0)
	v_max_f32_e32 v9, v9, v9
	v_max_f32_e32 v7, v7, v7
	;; [unrolled: 1-line block ×3, first 2 shown]
	ds_write_b32 v4, v7 offset:224
.LBB220_23:
	s_or_b64 exec, exec, s[0:1]
	v_cmp_gt_u32_e64 s[0:1], 2, v25
	v_mov_b32_e32 v12, 0xff7fffff
	v_lshlrev_b32_e32 v7, 2, v25
	s_waitcnt lgkmcnt(0)
	s_barrier
	s_and_saveexec_b64 s[8:9], s[0:1]
; %bb.24:
	ds_read_b32 v12, v7 offset:224
; %bb.25:
	s_or_b64 exec, exec, s[8:9]
	v_xor_b32_e32 v9, 1, v3
	v_cmp_lt_i32_e64 s[8:9], v9, v5
	v_lshlrev_b32_e32 v11, 2, v11
	s_nop 0
	v_cndmask_b32_e64 v9, v3, v9, s[8:9]
	v_lshlrev_b32_e32 v9, 2, v9
	s_waitcnt lgkmcnt(0)
	ds_bpermute_b32 v13, v9, v12
	v_max_f32_e32 v12, v12, v12
	s_lshl_b32 s8, s46, 3
	s_min_i32 s23, s8, s25
	v_cmp_gt_i32_e64 s[8:9], s23, v0
	s_waitcnt lgkmcnt(0)
	v_max_f32_e32 v13, v13, v13
	v_max_f32_e32 v12, v12, v13
	ds_bpermute_b32 v12, v11, v12
	v_mov_b32_e32 v11, 0
	s_and_saveexec_b64 s[12:13], s[8:9]
	s_cbranch_execz .LBB220_29
; %bb.26:
	v_mov_b32_e32 v11, 0xf0
	v_lshl_add_u32 v13, v0, 2, v11
	v_mov_b32_e32 v11, 0
	s_mov_b64 s[18:19], 0
	v_mov_b32_e32 v14, v0
.LBB220_27:                             ; =>This Inner Loop Header: Depth=1
	ds_read_b32 v15, v13
	v_add_u32_e32 v14, 0x80, v14
	v_cmp_le_i32_e64 s[10:11], s23, v14
	s_or_b64 s[18:19], s[10:11], s[18:19]
	s_waitcnt lgkmcnt(0)
	v_sub_f32_e32 v15, v15, v12
	v_mul_f32_e32 v15, 0x3fb8aa3b, v15
	v_exp_f32_e32 v15, v15
	ds_write_b32 v13, v15
	v_add_f32_e32 v11, v11, v15
	v_add_u32_e32 v13, 0x200, v13
	s_andn2_b64 exec, exec, s[18:19]
	s_cbranch_execnz .LBB220_27
; %bb.28:
	s_or_b64 exec, exec, s[18:19]
.LBB220_29:
	s_or_b64 exec, exec, s[12:13]
	ds_bpermute_b32 v6, v6, v11
	s_waitcnt lgkmcnt(0)
	v_add_f32_e32 v6, v11, v6
	ds_bpermute_b32 v8, v8, v6
	s_waitcnt lgkmcnt(0)
	v_add_f32_e32 v6, v6, v8
	ds_bpermute_b32 v8, v10, v6
	v_xor_b32_e32 v10, 4, v3
	v_cmp_lt_i32_e64 s[10:11], v10, v5
	s_waitcnt lgkmcnt(0)
	v_add_f32_e32 v6, v6, v8
	v_cndmask_b32_e64 v10, v3, v10, s[10:11]
	v_lshlrev_b32_e32 v10, 2, v10
	ds_bpermute_b32 v8, v10, v6
	v_xor_b32_e32 v10, 2, v3
	v_cmp_lt_i32_e64 s[10:11], v10, v5
	s_waitcnt lgkmcnt(0)
	v_add_f32_e32 v6, v6, v8
	v_cndmask_b32_e64 v5, v3, v10, s[10:11]
	v_lshlrev_b32_e32 v5, 2, v5
	ds_bpermute_b32 v5, v5, v6
	s_waitcnt lgkmcnt(0)
	v_add_f32_e32 v5, v6, v5
	ds_bpermute_b32 v6, v9, v5
	s_waitcnt lgkmcnt(0)
	v_add_f32_e32 v5, v5, v6
	s_and_saveexec_b64 s[10:11], vcc
; %bb.30:
	ds_write_b32 v4, v5 offset:232
; %bb.31:
	s_or_b64 exec, exec, s[10:11]
	s_waitcnt lgkmcnt(0)
	s_barrier
	s_and_saveexec_b64 s[10:11], s[0:1]
; %bb.32:
	ds_read_b32 v5, v7 offset:232
; %bb.33:
	s_or_b64 exec, exec, s[10:11]
	s_waitcnt lgkmcnt(0)
	ds_bpermute_b32 v4, v9, v5
	v_lshlrev_b32_e32 v3, 2, v3
	v_and_b32_e32 v3, 0x100, v3
	s_waitcnt lgkmcnt(0)
	v_add_f32_e32 v4, v5, v4
	ds_bpermute_b32 v3, v3, v4
	s_and_saveexec_b64 s[0:1], s[8:9]
	s_cbranch_execz .LBB220_46
; %bb.34:
	s_waitcnt lgkmcnt(0)
	v_add_f32_e32 v3, 0x358637bd, v3
	v_div_scale_f32 v4, s[8:9], v3, v3, 1.0
	v_rcp_f32_e32 v5, v4
	v_div_scale_f32 v6, vcc, 1.0, v3, 1.0
	s_movk_i32 s8, 0x7f
	v_fma_f32 v7, -v4, v5, 1.0
	v_fmac_f32_e32 v5, v7, v5
	v_mul_f32_e32 v7, v6, v5
	v_fma_f32 v8, -v4, v7, v6
	v_fmac_f32_e32 v7, v8, v5
	v_fma_f32 v4, -v4, v7, v6
	v_div_fmas_f32 v4, v4, v5, v7
	v_xad_u32 v5, v0, -1, s23
	v_div_fixup_f32 v4, v4, v3, 1.0
	v_cmp_lt_u32_e32 vcc, s8, v5
	s_mov_b64 s[10:11], -1
	v_mov_b32_e32 v3, v0
	s_and_saveexec_b64 s[8:9], vcc
	s_cbranch_execz .LBB220_43
; %bb.35:
	v_lshrrev_b32_e32 v3, 7, v5
	v_add_u32_e32 v7, -1, v3
	v_lshrrev_b32_e32 v6, 1, v7
	v_mov_b32_e32 v5, v4
	v_add_u32_e32 v6, 1, v6
	v_cmp_lt_u32_e32 vcc, 13, v7
	v_mov_b32_e32 v9, 0
	s_and_saveexec_b64 s[10:11], vcc
	s_cbranch_execz .LBB220_39
; %bb.36:
	v_mov_b32_e32 v8, 0xf0
	v_and_b32_e32 v7, -8, v6
	v_lshl_add_u32 v8, v0, 2, v8
	s_mov_b32 s18, 0
	s_mov_b64 s[12:13], 0
.LBB220_37:                             ; =>This Inner Loop Header: Depth=1
	ds_read2st64_b32 v[10:11], v8 offset1:2
	ds_read2st64_b32 v[12:13], v8 offset0:4 offset1:6
	ds_read2st64_b32 v[14:15], v8 offset0:8 offset1:10
	;; [unrolled: 1-line block ×3, first 2 shown]
	v_add_u32_e32 v7, -8, v7
	s_waitcnt lgkmcnt(3)
	v_pk_mul_f32 v[10:11], v[4:5], v[10:11]
	s_waitcnt lgkmcnt(2)
	v_pk_mul_f32 v[12:13], v[4:5], v[12:13]
	ds_write2st64_b32 v8, v10, v11 offset1:2
	ds_write2st64_b32 v8, v12, v13 offset0:4 offset1:6
	ds_read2st64_b32 v[12:13], v8 offset0:16 offset1:18
	s_waitcnt lgkmcnt(4)
	v_pk_mul_f32 v[10:11], v[4:5], v[14:15]
	ds_write2st64_b32 v8, v10, v11 offset0:8 offset1:10
	s_waitcnt lgkmcnt(4)
	v_pk_mul_f32 v[10:11], v[4:5], v[16:17]
	ds_write2st64_b32 v8, v10, v11 offset0:12 offset1:14
	ds_read2st64_b32 v[10:11], v8 offset0:20 offset1:22
	s_waitcnt lgkmcnt(3)
	v_pk_mul_f32 v[12:13], v[4:5], v[12:13]
	ds_read2st64_b32 v[14:15], v8 offset0:24 offset1:26
	ds_write2st64_b32 v8, v12, v13 offset0:16 offset1:18
	ds_read2st64_b32 v[12:13], v8 offset0:28 offset1:30
	s_waitcnt lgkmcnt(3)
	v_pk_mul_f32 v[10:11], v[4:5], v[10:11]
	ds_write2st64_b32 v8, v10, v11 offset0:20 offset1:22
	s_waitcnt lgkmcnt(3)
	v_pk_mul_f32 v[10:11], v[4:5], v[14:15]
	ds_write2st64_b32 v8, v10, v11 offset0:24 offset1:26
	s_waitcnt lgkmcnt(2)
	v_pk_mul_f32 v[10:11], v[4:5], v[12:13]
	s_add_i32 s18, s18, 16
	v_cmp_eq_u32_e32 vcc, 0, v7
	ds_write2st64_b32 v8, v10, v11 offset0:28 offset1:30
	v_add_u32_e32 v8, 0x2000, v8
	s_or_b64 s[12:13], vcc, s[12:13]
	v_mov_b32_e32 v9, s18
	s_andn2_b64 exec, exec, s[12:13]
	s_cbranch_execnz .LBB220_37
; %bb.38:
	s_or_b64 exec, exec, s[12:13]
.LBB220_39:
	s_or_b64 exec, exec, s[10:11]
	v_and_b32_e32 v6, 7, v6
	v_cmp_ne_u32_e32 vcc, 0, v6
	s_and_saveexec_b64 s[10:11], vcc
	s_cbranch_execz .LBB220_42
; %bb.40:
	v_lshlrev_b32_e32 v7, 9, v9
	v_lshlrev_b32_e32 v8, 2, v0
	s_movk_i32 s12, 0xf0
	v_add3_u32 v7, v7, v8, s12
	s_mov_b64 s[12:13], 0
.LBB220_41:                             ; =>This Inner Loop Header: Depth=1
	ds_read2st64_b32 v[8:9], v7 offset1:2
	v_add_u32_e32 v6, -1, v6
	v_cmp_eq_u32_e32 vcc, 0, v6
	s_or_b64 s[12:13], vcc, s[12:13]
	s_waitcnt lgkmcnt(0)
	v_pk_mul_f32 v[8:9], v[4:5], v[8:9]
	ds_write2st64_b32 v7, v8, v9 offset1:2
	v_add_u32_e32 v7, 0x400, v7
	s_andn2_b64 exec, exec, s[12:13]
	s_cbranch_execnz .LBB220_41
.LBB220_42:
	s_or_b64 exec, exec, s[10:11]
	v_add_u32_e32 v5, 1, v3
	v_and_b32_e32 v6, 0x3fffffe, v5
	v_cmp_ne_u32_e32 vcc, v5, v6
	v_lshl_add_u32 v3, v6, 7, v0
	s_orn2_b64 s[10:11], vcc, exec
.LBB220_43:
	s_or_b64 exec, exec, s[8:9]
	s_and_b64 exec, exec, s[10:11]
	s_cbranch_execz .LBB220_46
; %bb.44:
	v_mov_b32_e32 v5, 0xf0
	v_lshl_add_u32 v5, v3, 2, v5
	s_mov_b64 s[8:9], 0
.LBB220_45:                             ; =>This Inner Loop Header: Depth=1
	ds_read_b32 v6, v5
	v_add_u32_e32 v3, 0x80, v3
	v_cmp_le_i32_e32 vcc, s23, v3
	s_or_b64 s[8:9], vcc, s[8:9]
	s_waitcnt lgkmcnt(0)
	v_mul_f32_e32 v6, v4, v6
	ds_write_b32 v5, v6
	v_add_u32_e32 v5, 0x200, v5
	s_andn2_b64 exec, exec, s[8:9]
	s_cbranch_execnz .LBB220_45
.LBB220_46:
	s_or_b64 exec, exec, s[0:1]
	v_mov_b32_e32 v27, 0
	v_mov_b32_e32 v26, 0
	s_waitcnt lgkmcnt(0)
	s_barrier
	s_and_saveexec_b64 s[8:9], s[2:3]
	s_cbranch_execz .LBB220_154
; %bb.47:
	s_sub_i32 s39, s16, s21
	s_ashr_i32 s0, s20, 31
	s_add_u32 s10, s36, s20
	s_addc_u32 s11, s37, s0
	s_abs_i32 s37, s22
	v_cvt_f32_u32_e32 v3, s37
	v_or_b32_e32 v6, 64, v25
	s_movk_i32 s0, 0x70
	v_cmp_gt_u32_e32 vcc, s0, v6
	v_rcp_iflag_f32_e32 v3, v3
	s_sub_i32 s0, 0, s37
	s_add_i32 s36, s46, -1
	v_lshlrev_b32_e32 v8, 3, v6
	v_mul_f32_e32 v3, 0x4f7ffffe, v3
	v_cvt_u32_f32_e32 v3, v3
	s_mov_b32 s12, -1
	v_mov_b32_e32 v7, 0
	s_mov_b32 s40, s17
	v_mul_lo_u32 v6, s0, v3
	s_lshl_b64 s[0:1], s[34:35], 2
	v_mul_hi_u32 v6, v3, v6
	s_add_u32 s0, s30, s0
	v_add_u32_e32 v28, v3, v6
	v_and_b32_e32 v6, 60, v1
	s_addc_u32 s1, s31, s1
	v_mov_b32_e32 v1, 0xf0
	s_mov_b32 s13, 0xffffff
	v_lshlrev_b32_e32 v4, 3, v25
	v_mov_b32_e32 v5, v7
	v_mov_b32_e32 v9, v7
	s_mov_b32 s41, s25
	v_lshl_add_u64 v[10:11], s[0:1], 0, v[6:7]
	v_lshl_add_u32 v29, v23, 5, v1
	s_mov_b64 s[16:17], 0
	s_movk_i32 s42, 0x80
	s_movk_i32 s43, 0x7f
	s_mov_b32 s47, 0x8000
	v_mov_b32_e32 v30, 0x2000
	v_mov_b32_e32 v26, 0
	;; [unrolled: 1-line block ×3, first 2 shown]
	s_branch .LBB220_51
.LBB220_48:                             ;   in Loop: Header=BB220_51 Depth=1
	s_or_b64 exec, exec, s[22:23]
	;;#ASMSTART
	v_pk_mul_f16 v1, v34, v1;

	;;#ASMEND
	;;#ASMSTART
	v_pk_mul_f16 v3, v33, v14;

	;;#ASMEND
	;;#ASMSTART
	v_pk_mul_f16 v6, v32, v19;

	;;#ASMEND
	;;#ASMSTART
	v_pk_mul_f16 v12, v31, v20;

	;;#ASMEND
	s_nop 0
	;;#ASMSTART
	v_pk_add_f16 v1, v1, v3;

	;;#ASMEND
	s_nop 0
	;;#ASMSTART
	v_pk_add_f16 v1, v1, v6;

	;;#ASMEND
	s_nop 0
	;;#ASMSTART
	v_pk_add_f16 v1, v1, v12;

	;;#ASMEND
	s_nop 0
	v_lshrrev_b32_e32 v3, 16, v1
	v_and_b32_e32 v1, 0xffff, v1
	;;#ASMSTART
	v_cvt_f32_f16 v1, v1;
	;;#ASMEND
	;;#ASMSTART
	v_cvt_f32_f16 v3, v3;
	;;#ASMEND
	s_nop 0
	v_add_f32_e32 v1, v1, v3
	v_add_f32_e32 v26, v26, v1
.LBB220_49:                             ;   in Loop: Header=BB220_51 Depth=1
	s_or_b64 exec, exec, s[20:21]
	v_add_f32_e32 v1, v21, v22
	v_add_f32_e32 v27, v27, v1
.LBB220_50:                             ;   in Loop: Header=BB220_51 Depth=1
	s_or_b64 exec, exec, s[18:19]
	v_add_u32_e32 v23, 2, v23
	v_cmp_le_i32_e64 s[0:1], s46, v23
	v_lshl_add_u64 v[10:11], v[10:11], 0, 8
	v_add_u32_e32 v24, 16, v24
	s_or_b64 s[16:17], s[0:1], s[16:17]
	v_add_u32_e32 v29, 64, v29
	s_andn2_b64 exec, exec, s[16:17]
	s_cbranch_execz .LBB220_153
.LBB220_51:                             ; =>This Inner Loop Header: Depth=1
	v_mul_hi_u32 v1, v24, s44
	v_mul_lo_u32 v3, v1, s33
	v_sub_u32_e32 v3, v24, v3
	v_add_u32_e32 v6, 1, v1
	v_cmp_le_u32_e64 s[0:1], s33, v3
	s_nop 1
	v_cndmask_b32_e64 v1, v1, v6, s[0:1]
	v_subrev_u32_e32 v6, s33, v3
	v_cndmask_b32_e64 v3, v3, v6, s[0:1]
	v_add_u32_e32 v6, 1, v1
	v_cmp_le_u32_e64 s[0:1], s33, v3
	s_nop 1
	v_cndmask_b32_e64 v1, v1, v6, s[0:1]
	v_xor_b32_e32 v1, s45, v1
	v_subrev_u32_e32 v1, s45, v1
	v_add_u32_e32 v3, s38, v1
	v_sub_u32_e32 v12, 0, v3
	v_ashrrev_i32_e32 v6, 31, v3
	v_max_i32_e32 v3, v3, v12
	v_mul_hi_u32 v12, v3, v28
	v_mul_lo_u32 v12, v12, s37
	v_sub_u32_e32 v3, v3, v12
	v_subrev_u32_e32 v12, s37, v3
	v_cmp_le_u32_e64 s[0:1], s37, v3
	v_cmp_lt_i32_e64 s[2:3], s39, v1
	s_nop 0
	v_cndmask_b32_e64 v3, v3, v12, s[0:1]
	v_subrev_u32_e32 v12, s37, v3
	v_cmp_le_u32_e64 s[0:1], s37, v3
	s_nop 1
	v_cndmask_b32_e64 v3, v3, v12, s[0:1]
	v_xor_b32_e32 v3, v3, v6
	v_sub_u32_e32 v3, v3, v6
	v_cmp_eq_u32_e64 s[0:1], 0, v3
	s_or_b64 s[0:1], s[0:1], s[2:3]
	s_and_saveexec_b64 s[18:19], s[0:1]
	s_cbranch_execz .LBB220_50
; %bb.52:                               ;   in Loop: Header=BB220_51 Depth=1
	global_load_dword v1, v[10:11], off
	ds_read2_b64 v[12:15], v29 offset1:1
	ds_read2_b64 v[16:19], v29 offset0:2 offset1:3
	v_mov_b64_e32 v[20:21], s[10:11]
	v_mov_b32_e32 v3, 0
	s_waitcnt lgkmcnt(1)
	;;#ASMSTART
	v_cvt_f16_f32 v31, v12;

	;;#ASMEND
	;;#ASMSTART
	v_cvt_f16_f32 v32, v13;

	;;#ASMEND
	;; [unrolled: 4-line block ×4, first 2 shown]
	s_waitcnt lgkmcnt(0)
	;;#ASMSTART
	v_cvt_f16_f32 v36, v16;

	;;#ASMEND
	;;#ASMSTART
	v_cvt_f16_f32 v37, v17;

	;;#ASMEND
	;; [unrolled: 4-line block ×4, first 2 shown]
	s_waitcnt vmcnt(0)
	v_mad_i64_i32 v[12:13], s[0:1], v1, s40, v[20:21]
	v_lshl_add_u64 v[14:15], v[12:13], 0, v[4:5]
	global_load_dwordx2 v[16:17], v[14:15], off
	v_mov_b32_e32 v1, 0
	global_load_dword v14, v1, s[14:15]
	s_waitcnt vmcnt(1)
	v_cmp_ne_u16_sdwa s[0:1], v16, v7 src0_sel:BYTE_0 src1_sel:DWORD
	s_and_saveexec_b64 s[2:3], s[0:1]
	s_cbranch_execz .LBB220_58
; %bb.53:                               ;   in Loop: Header=BB220_51 Depth=1
	v_cmp_ne_u16_sdwa s[0:1], v16, s42 src0_sel:BYTE_0 src1_sel:DWORD
	v_mov_b32_e32 v3, 0x8000
	s_and_saveexec_b64 s[20:21], s[0:1]
	s_cbranch_execz .LBB220_57
; %bb.54:                               ;   in Loop: Header=BB220_51 Depth=1
	v_and_b32_e32 v6, 0x7f, v16
	v_cmp_ne_u32_e64 s[0:1], s43, v6
	v_mov_b32_e32 v3, 0x7c01
	s_and_saveexec_b64 s[22:23], s[0:1]
	s_cbranch_execz .LBB220_56
; %bb.55:                               ;   in Loop: Header=BB220_51 Depth=1
	v_and_b32_e32 v3, 7, v16
	v_ffbh_u32_e32 v18, v3
	v_min_u32_e32 v20, 32, v18
	v_subrev_u32_e32 v18, 28, v20
	v_lshlrev_b64 v[18:19], v18, v[16:17]
	v_lshrrev_b32_e32 v15, 3, v6
	v_sub_u32_e32 v19, 29, v20
	v_cmp_gt_u32_e64 s[0:1], 8, v6
	v_and_b32_e32 v18, 7, v18
	s_nop 0
	v_cndmask_b32_e64 v6, v15, v19, s[0:1]
	v_lshl_add_u32 v6, v6, 10, v30
	v_lshlrev_b32_e32 v15, 8, v16
	v_and_b32_e32 v6, 0xfc00, v6
	v_cndmask_b32_e64 v3, v3, v18, s[0:1]
	v_and_or_b32 v6, v15, s47, v6
	v_lshl_or_b32 v3, v3, 7, v6
.LBB220_56:                             ;   in Loop: Header=BB220_51 Depth=1
	s_or_b64 exec, exec, s[22:23]
.LBB220_57:                             ;   in Loop: Header=BB220_51 Depth=1
	s_or_b64 exec, exec, s[20:21]
.LBB220_58:                             ;   in Loop: Header=BB220_51 Depth=1
	s_or_b64 exec, exec, s[2:3]
	v_lshrrev_b16_e32 v6, 8, v16
	v_cmp_ne_u16_e64 s[0:1], 0, v6
	s_and_saveexec_b64 s[2:3], s[0:1]
	s_cbranch_execz .LBB220_64
; %bb.59:                               ;   in Loop: Header=BB220_51 Depth=1
	v_cmp_ne_u16_e64 s[0:1], s42, v6
	v_bfrev_b32_e32 v1, 1
	s_and_saveexec_b64 s[20:21], s[0:1]
	s_cbranch_execz .LBB220_63
; %bb.60:                               ;   in Loop: Header=BB220_51 Depth=1
	v_and_b32_e32 v15, 0x7f, v6
	v_cmp_ne_u32_e64 s[0:1], s43, v15
	v_mov_b32_e32 v1, 0x7c010000
	s_and_saveexec_b64 s[22:23], s[0:1]
	s_cbranch_execz .LBB220_62
; %bb.61:                               ;   in Loop: Header=BB220_51 Depth=1
	v_and_b32_e32 v1, 7, v6
	v_ffbh_u32_e32 v18, v1
	v_min_u32_e32 v21, 32, v18
	v_subrev_u32_e32 v18, 28, v21
	v_lshlrev_b64 v[18:19], v18, v[6:7]
	v_lshrrev_b32_e32 v20, 3, v15
	v_sub_u32_e32 v19, 29, v21
	v_cmp_gt_u32_e64 s[0:1], 8, v15
	v_lshlrev_b32_e32 v6, 8, v6
	v_and_b32_e32 v18, 7, v18
	v_cndmask_b32_e64 v15, v20, v19, s[0:1]
	v_lshl_add_u32 v15, v15, 10, v30
	v_and_or_b32 v6, v6, s47, v15
	v_cndmask_b32_e64 v1, v1, v18, s[0:1]
	v_lshlrev_b32_e32 v6, 16, v6
	v_lshl_or_b32 v1, v1, 23, v6
.LBB220_62:                             ;   in Loop: Header=BB220_51 Depth=1
	s_or_b64 exec, exec, s[22:23]
.LBB220_63:                             ;   in Loop: Header=BB220_51 Depth=1
	s_or_b64 exec, exec, s[20:21]
.LBB220_64:                             ;   in Loop: Header=BB220_51 Depth=1
	s_or_b64 exec, exec, s[2:3]
	v_lshrrev_b32_e32 v6, 16, v16
	v_cmp_ne_u16_sdwa s[0:1], v6, v7 src0_sel:BYTE_0 src1_sel:DWORD
	v_mov_b32_e32 v18, 0
	v_mov_b32_e32 v15, 0
	s_and_saveexec_b64 s[2:3], s[0:1]
	s_cbranch_execz .LBB220_70
; %bb.65:                               ;   in Loop: Header=BB220_51 Depth=1
	v_cmp_ne_u16_sdwa s[0:1], v6, s42 src0_sel:BYTE_0 src1_sel:DWORD
	v_mov_b32_e32 v15, 0x8000
	s_and_saveexec_b64 s[20:21], s[0:1]
	s_cbranch_execz .LBB220_69
; %bb.66:                               ;   in Loop: Header=BB220_51 Depth=1
	v_bfe_u32 v19, v16, 16, 7
	v_cmp_ne_u32_e64 s[0:1], s43, v19
	v_mov_b32_e32 v15, 0x7c01
	s_and_saveexec_b64 s[22:23], s[0:1]
	s_cbranch_execz .LBB220_68
; %bb.67:                               ;   in Loop: Header=BB220_51 Depth=1
	v_and_b32_e32 v15, 7, v6
	v_ffbh_u32_e32 v20, v15
	v_min_u32_e32 v34, 32, v20
	v_subrev_u32_e32 v20, 28, v34
	v_lshlrev_b64 v[20:21], v20, v[6:7]
	v_lshrrev_b32_e32 v22, 3, v19
	v_sub_u32_e32 v21, 29, v34
	v_cmp_gt_u32_e64 s[0:1], 8, v19
	v_lshlrev_b32_e32 v6, 8, v6
	v_and_b32_e32 v20, 7, v20
	v_cndmask_b32_e64 v19, v22, v21, s[0:1]
	v_lshl_add_u32 v19, v19, 10, v30
	v_and_b32_e32 v19, 0xfc00, v19
	v_cndmask_b32_e64 v15, v15, v20, s[0:1]
	v_and_or_b32 v6, v6, s47, v19
	v_lshl_or_b32 v15, v15, 7, v6
.LBB220_68:                             ;   in Loop: Header=BB220_51 Depth=1
	s_or_b64 exec, exec, s[22:23]
.LBB220_69:                             ;   in Loop: Header=BB220_51 Depth=1
	s_or_b64 exec, exec, s[20:21]
.LBB220_70:                             ;   in Loop: Header=BB220_51 Depth=1
	s_or_b64 exec, exec, s[2:3]
	v_cmp_lt_u32_e64 s[0:1], s13, v16
	s_and_saveexec_b64 s[2:3], s[0:1]
	s_cbranch_execz .LBB220_76
; %bb.71:                               ;   in Loop: Header=BB220_51 Depth=1
	v_lshrrev_b32_e32 v6, 24, v16
	v_cmp_ne_u32_e64 s[0:1], s42, v6
	v_bfrev_b32_e32 v18, 1
	s_and_saveexec_b64 s[20:21], s[0:1]
	s_cbranch_execz .LBB220_75
; %bb.72:                               ;   in Loop: Header=BB220_51 Depth=1
	v_and_b32_e32 v19, 0x7f, v6
	v_cmp_ne_u32_e64 s[0:1], s43, v19
	v_mov_b32_e32 v18, 0x7c010000
	s_and_saveexec_b64 s[22:23], s[0:1]
	s_cbranch_execz .LBB220_74
; %bb.73:                               ;   in Loop: Header=BB220_51 Depth=1
	v_and_b32_e32 v18, 7, v6
	v_ffbh_u32_e32 v20, v18
	v_min_u32_e32 v34, 32, v20
	v_subrev_u32_e32 v20, 28, v34
	v_lshlrev_b64 v[20:21], v20, v[6:7]
	v_lshrrev_b32_e32 v22, 3, v19
	v_sub_u32_e32 v21, 29, v34
	v_cmp_gt_u32_e64 s[0:1], 8, v19
	v_lshlrev_b32_e32 v6, 8, v6
	v_and_b32_e32 v20, 7, v20
	v_cndmask_b32_e64 v19, v22, v21, s[0:1]
	v_lshl_add_u32 v19, v19, 10, v30
	v_and_or_b32 v6, v6, s47, v19
	v_cndmask_b32_e64 v18, v18, v20, s[0:1]
	v_lshlrev_b32_e32 v6, 16, v6
	v_lshl_or_b32 v18, v18, 23, v6
.LBB220_74:                             ;   in Loop: Header=BB220_51 Depth=1
	s_or_b64 exec, exec, s[22:23]
.LBB220_75:                             ;   in Loop: Header=BB220_51 Depth=1
	s_or_b64 exec, exec, s[20:21]
.LBB220_76:                             ;   in Loop: Header=BB220_51 Depth=1
	s_or_b64 exec, exec, s[2:3]
	v_mov_b32_e32 v6, v17
	v_cmp_ne_u16_sdwa s[0:1], v17, v7 src0_sel:BYTE_0 src1_sel:DWORD
	v_mov_b32_e32 v19, 0
	v_mov_b32_e32 v20, 0
	s_and_saveexec_b64 s[2:3], s[0:1]
	s_cbranch_execz .LBB220_82
; %bb.77:                               ;   in Loop: Header=BB220_51 Depth=1
	v_cmp_ne_u16_sdwa s[0:1], v17, s42 src0_sel:BYTE_0 src1_sel:DWORD
	v_mov_b32_e32 v20, 0x8000
	s_and_saveexec_b64 s[20:21], s[0:1]
	s_cbranch_execz .LBB220_81
; %bb.78:                               ;   in Loop: Header=BB220_51 Depth=1
	v_and_b32_e32 v21, 0x7f, v17
	v_cmp_ne_u32_e64 s[0:1], s43, v21
	v_mov_b32_e32 v20, 0x7c01
	s_and_saveexec_b64 s[22:23], s[0:1]
	s_cbranch_execz .LBB220_80
; %bb.79:                               ;   in Loop: Header=BB220_51 Depth=1
	v_and_b32_e32 v20, 7, v17
	v_ffbh_u32_e32 v34, v20
	v_min_u32_e32 v34, 32, v34
	v_lshrrev_b32_e32 v22, 3, v21
	v_subrev_u32_e32 v40, 28, v34
	v_sub_u32_e32 v34, 29, v34
	v_cmp_gt_u32_e64 s[0:1], 8, v21
	v_lshlrev_b64 v[40:41], v40, v[6:7]
	s_nop 0
	v_cndmask_b32_e64 v21, v22, v34, s[0:1]
	v_lshl_add_u32 v21, v21, 10, v30
	v_lshlrev_b32_e32 v22, 8, v17
	v_and_b32_e32 v34, 7, v40
	v_and_b32_e32 v21, 0xfc00, v21
	v_cndmask_b32_e64 v20, v20, v34, s[0:1]
	v_and_or_b32 v21, v22, s47, v21
	v_lshl_or_b32 v20, v20, 7, v21
.LBB220_80:                             ;   in Loop: Header=BB220_51 Depth=1
	s_or_b64 exec, exec, s[22:23]
.LBB220_81:                             ;   in Loop: Header=BB220_51 Depth=1
	s_or_b64 exec, exec, s[20:21]
.LBB220_82:                             ;   in Loop: Header=BB220_51 Depth=1
	s_or_b64 exec, exec, s[2:3]
	v_lshrrev_b16_e32 v6, 8, v6
	v_cmp_ne_u16_e64 s[0:1], 0, v6
	v_mov_b32_e32 v21, 0
	s_and_saveexec_b64 s[2:3], s[0:1]
	s_cbranch_execz .LBB220_88
; %bb.83:                               ;   in Loop: Header=BB220_51 Depth=1
	v_cmp_ne_u16_e64 s[0:1], s42, v6
	v_bfrev_b32_e32 v21, 1
	s_and_saveexec_b64 s[20:21], s[0:1]
	s_cbranch_execz .LBB220_87
; %bb.84:                               ;   in Loop: Header=BB220_51 Depth=1
	v_and_b32_e32 v22, 0x7f, v6
	v_cmp_ne_u32_e64 s[0:1], s43, v22
	v_mov_b32_e32 v21, 0x7c010000
	s_and_saveexec_b64 s[22:23], s[0:1]
	s_cbranch_execz .LBB220_86
; %bb.85:                               ;   in Loop: Header=BB220_51 Depth=1
	v_and_b32_e32 v21, 7, v6
	v_ffbh_u32_e32 v40, v21
	v_min_u32_e32 v42, 32, v40
	v_subrev_u32_e32 v40, 28, v42
	v_lshlrev_b64 v[40:41], v40, v[6:7]
	v_lshrrev_b32_e32 v34, 3, v22
	v_sub_u32_e32 v41, 29, v42
	v_cmp_gt_u32_e64 s[0:1], 8, v22
	v_lshlrev_b32_e32 v6, 8, v6
	s_nop 0
	v_cndmask_b32_e64 v22, v34, v41, s[0:1]
	v_lshl_add_u32 v22, v22, 10, v30
	v_and_b32_e32 v34, 7, v40
	v_and_or_b32 v6, v6, s47, v22
	v_cndmask_b32_e64 v21, v21, v34, s[0:1]
	v_lshlrev_b32_e32 v6, 16, v6
	v_lshl_or_b32 v21, v21, 23, v6
.LBB220_86:                             ;   in Loop: Header=BB220_51 Depth=1
	s_or_b64 exec, exec, s[22:23]
.LBB220_87:                             ;   in Loop: Header=BB220_51 Depth=1
	s_or_b64 exec, exec, s[20:21]
.LBB220_88:                             ;   in Loop: Header=BB220_51 Depth=1
	s_or_b64 exec, exec, s[2:3]
	v_lshrrev_b32_e32 v6, 16, v17
	v_cmp_ne_u16_sdwa s[0:1], v6, v7 src0_sel:BYTE_0 src1_sel:DWORD
	s_and_saveexec_b64 s[2:3], s[0:1]
	s_cbranch_execz .LBB220_94
; %bb.89:                               ;   in Loop: Header=BB220_51 Depth=1
	v_cmp_ne_u16_sdwa s[0:1], v6, s42 src0_sel:BYTE_0 src1_sel:DWORD
	v_mov_b32_e32 v19, 0x8000
	s_and_saveexec_b64 s[20:21], s[0:1]
	s_cbranch_execz .LBB220_93
; %bb.90:                               ;   in Loop: Header=BB220_51 Depth=1
	v_bfe_u32 v22, v17, 16, 7
	v_cmp_ne_u32_e64 s[0:1], s43, v22
	v_mov_b32_e32 v19, 0x7c01
	s_and_saveexec_b64 s[22:23], s[0:1]
	s_cbranch_execz .LBB220_92
; %bb.91:                               ;   in Loop: Header=BB220_51 Depth=1
	v_and_b32_e32 v19, 7, v6
	v_ffbh_u32_e32 v40, v19
	v_min_u32_e32 v42, 32, v40
	v_subrev_u32_e32 v40, 28, v42
	v_lshlrev_b64 v[40:41], v40, v[6:7]
	v_lshrrev_b32_e32 v34, 3, v22
	v_sub_u32_e32 v41, 29, v42
	v_cmp_gt_u32_e64 s[0:1], 8, v22
	v_lshlrev_b32_e32 v6, 8, v6
	s_nop 0
	v_cndmask_b32_e64 v22, v34, v41, s[0:1]
	v_lshl_add_u32 v22, v22, 10, v30
	v_and_b32_e32 v34, 7, v40
	v_and_b32_e32 v22, 0xfc00, v22
	v_cndmask_b32_e64 v19, v19, v34, s[0:1]
	v_and_or_b32 v6, v6, s47, v22
	v_lshl_or_b32 v19, v19, 7, v6
.LBB220_92:                             ;   in Loop: Header=BB220_51 Depth=1
	s_or_b64 exec, exec, s[22:23]
.LBB220_93:                             ;   in Loop: Header=BB220_51 Depth=1
	s_or_b64 exec, exec, s[20:21]
.LBB220_94:                             ;   in Loop: Header=BB220_51 Depth=1
	s_or_b64 exec, exec, s[2:3]
	v_cmp_lt_u64_e64 s[0:1], s[12:13], v[16:17]
	v_mov_b32_e32 v22, 0
	s_and_saveexec_b64 s[2:3], s[0:1]
	s_cbranch_execz .LBB220_100
; %bb.95:                               ;   in Loop: Header=BB220_51 Depth=1
	v_lshrrev_b32_e32 v6, 24, v17
	v_cmp_ne_u32_e64 s[0:1], s42, v6
	v_bfrev_b32_e32 v22, 1
	s_and_saveexec_b64 s[20:21], s[0:1]
	s_cbranch_execz .LBB220_99
; %bb.96:                               ;   in Loop: Header=BB220_51 Depth=1
	v_and_b32_e32 v16, 0x7f, v6
	v_cmp_ne_u32_e64 s[0:1], s43, v16
	v_mov_b32_e32 v22, 0x7c010000
	s_and_saveexec_b64 s[22:23], s[0:1]
	s_cbranch_execz .LBB220_98
; %bb.97:                               ;   in Loop: Header=BB220_51 Depth=1
	v_and_b32_e32 v17, 7, v6
	v_ffbh_u32_e32 v34, v17
	v_min_u32_e32 v34, 32, v34
	v_lshrrev_b32_e32 v22, 3, v16
	v_subrev_u32_e32 v40, 28, v34
	v_sub_u32_e32 v34, 29, v34
	v_cmp_gt_u32_e64 s[0:1], 8, v16
	v_lshlrev_b64 v[40:41], v40, v[6:7]
	v_lshlrev_b32_e32 v6, 8, v6
	v_cndmask_b32_e64 v16, v22, v34, s[0:1]
	v_lshl_add_u32 v16, v16, 10, v30
	v_and_b32_e32 v22, 7, v40
	v_and_or_b32 v6, v6, s47, v16
	v_cndmask_b32_e64 v17, v17, v22, s[0:1]
	v_lshlrev_b32_e32 v6, 16, v6
	v_lshl_or_b32 v22, v17, 23, v6
.LBB220_98:                             ;   in Loop: Header=BB220_51 Depth=1
	s_or_b64 exec, exec, s[22:23]
.LBB220_99:                             ;   in Loop: Header=BB220_51 Depth=1
	s_or_b64 exec, exec, s[20:21]
.LBB220_100:                            ;   in Loop: Header=BB220_51 Depth=1
	s_or_b64 exec, exec, s[2:3]
	v_cvt_f32_f16_sdwa v17, v1 dst_sel:DWORD dst_unused:UNUSED_PAD src0_sel:WORD_1
	v_cvt_f32_f16_sdwa v16, v18 dst_sel:DWORD dst_unused:UNUSED_PAD src0_sel:WORD_1
	v_or_b32_e32 v1, v1, v3
	v_or_b32_e32 v3, v18, v15
	v_cvt_f32_f16_e32 v40, v3
	v_cvt_f32_f16_e32 v41, v1
	s_waitcnt vmcnt(0)
	v_pk_mul_f32 v[16:17], v[14:15], v[16:17] op_sel_hi:[0,1]
	v_cvt_pk_f16_f32 v1, v16, v17
	v_or_b32_e32 v6, v21, v20
	v_pk_mul_f32 v[40:41], v[14:15], v[40:41] op_sel_hi:[0,1]
	v_or_b32_e32 v17, v22, v19
	v_and_b32_e32 v3, 0xffff0000, v1
	v_lshlrev_b32_e32 v16, 16, v1
	v_cvt_pk_f16_f32 v1, v40, v41
	v_cvt_f32_f16_e32 v40, v17
	v_cvt_f32_f16_e32 v41, v6
	v_cvt_f32_f16_sdwa v21, v21 dst_sel:DWORD dst_unused:UNUSED_PAD src0_sel:WORD_1
	v_cvt_f32_f16_sdwa v20, v22 dst_sel:DWORD dst_unused:UNUSED_PAD src0_sel:WORD_1
	v_lshrrev_b32_e32 v15, 16, v1
	v_pk_mul_f32 v[40:41], v[14:15], v[40:41] op_sel_hi:[0,1]
	v_cvt_pk_f16_f32 v22, v40, v41
	v_pk_mul_f32 v[20:21], v[14:15], v[20:21] op_sel_hi:[0,1]
	v_cvt_pk_f16_f32 v14, v20, v21
	v_and_b32_e32 v18, 0xffff, v1
	v_and_b32_e32 v17, 0xffff0000, v14
	v_lshlrev_b32_e32 v14, 16, v14
	v_lshrrev_b32_e32 v19, 16, v22
	v_and_b32_e32 v20, 0xffff, v22
	v_cmp_eq_u32_e64 s[2:3], s36, v23
	v_or_b32_e32 v1, v3, v15
	v_or_b32_e32 v6, v16, v18
	;; [unrolled: 1-line block ×4, first 2 shown]
	s_and_saveexec_b64 s[20:21], s[2:3]
	s_cbranch_execz .LBB220_102
; %bb.101:                              ;   in Loop: Header=BB220_51 Depth=1
	v_add_u32_e32 v21, 2, v24
	v_cmp_gt_i32_e64 s[0:1], s41, v24
	v_or_b32_e32 v1, 1, v24
	v_or_b32_e32 v6, 3, v24
	v_cndmask_b32_e64 v15, 0, v15, s[0:1]
	v_cmp_gt_i32_e64 s[0:1], s25, v21
	s_nop 1
	v_cndmask_b32_e64 v18, 0, v18, s[0:1]
	v_cmp_gt_i32_e64 s[0:1], s41, v1
	s_nop 1
	v_cndmask_b32_e64 v1, 0, v3, s[0:1]
	v_cmp_gt_i32_e64 s[0:1], s25, v6
	v_or_b32_e32 v1, v1, v15
	v_or_b32_e32 v15, 6, v24
	v_cndmask_b32_e64 v3, 0, v16, s[0:1]
	v_or_b32_e32 v6, v3, v18
	v_or_b32_e32 v3, 4, v24
	v_cmp_gt_i32_e64 s[0:1], s41, v3
	v_or_b32_e32 v16, 5, v24
	v_or_b32_e32 v18, 7, v24
	v_cndmask_b32_e64 v3, 0, v19, s[0:1]
	v_cmp_gt_i32_e64 s[0:1], s25, v15
	s_nop 1
	v_cndmask_b32_e64 v15, 0, v20, s[0:1]
	v_cmp_gt_i32_e64 s[0:1], s41, v16
	s_nop 1
	v_cndmask_b32_e64 v16, 0, v17, s[0:1]
	v_cmp_gt_i32_e64 s[0:1], s25, v18
	v_or_b32_e32 v21, v16, v3
	s_nop 0
	v_cndmask_b32_e64 v14, 0, v14, s[0:1]
	v_or_b32_e32 v22, v14, v15
.LBB220_102:                            ;   in Loop: Header=BB220_51 Depth=1
	s_or_b64 exec, exec, s[20:21]
	v_and_b32_e32 v3, 0xffff, v31
	v_lshl_or_b32 v34, v32, 16, v3
	v_and_b32_e32 v3, 0xffff, v33
	v_lshl_or_b32 v33, v35, 16, v3
	;; [unrolled: 2-line block ×3, first 2 shown]
	v_and_b32_e32 v3, 0xffff, v38
	;;#ASMSTART
	v_pk_mul_f16 v1, v34, v1;

	;;#ASMEND
	v_lshl_or_b32 v31, v39, 16, v3
	;;#ASMSTART
	v_pk_mul_f16 v3, v33, v6;

	;;#ASMEND
	;;#ASMSTART
	v_pk_mul_f16 v6, v32, v21;

	;;#ASMEND
	;;#ASMSTART
	v_pk_mul_f16 v14, v31, v22;

	;;#ASMEND
	s_nop 0
	;;#ASMSTART
	v_pk_add_f16 v1, v1, v3;

	;;#ASMEND
	s_nop 0
	;;#ASMSTART
	v_pk_add_f16 v1, v1, v6;

	;;#ASMEND
	;; [unrolled: 5-line block ×3, first 2 shown]
	s_nop 0
	v_lshrrev_b32_e32 v3, 16, v1
	v_and_b32_e32 v1, 0xffff, v1
	;;#ASMSTART
	v_cvt_f32_f16 v21, v1;
	;;#ASMEND
	;;#ASMSTART
	v_cvt_f32_f16 v22, v3;
	;;#ASMEND
	s_and_saveexec_b64 s[20:21], vcc
	s_cbranch_execz .LBB220_49
; %bb.103:                              ;   in Loop: Header=BB220_51 Depth=1
	v_lshl_add_u64 v[12:13], v[12:13], 0, v[8:9]
	global_load_dwordx2 v[14:15], v[12:13], off
	v_mov_b32_e32 v1, 0
	global_load_dword v12, v1, s[14:15]
	v_mov_b32_e32 v3, 0
	s_waitcnt vmcnt(1)
	v_cmp_ne_u16_sdwa s[0:1], v14, v7 src0_sel:BYTE_0 src1_sel:DWORD
	s_and_saveexec_b64 s[22:23], s[0:1]
	s_cbranch_execz .LBB220_109
; %bb.104:                              ;   in Loop: Header=BB220_51 Depth=1
	v_cmp_ne_u16_sdwa s[0:1], v14, s42 src0_sel:BYTE_0 src1_sel:DWORD
	v_mov_b32_e32 v3, 0x8000
	s_and_saveexec_b64 s[30:31], s[0:1]
	s_cbranch_execz .LBB220_108
; %bb.105:                              ;   in Loop: Header=BB220_51 Depth=1
	v_and_b32_e32 v6, 0x7f, v14
	v_cmp_ne_u32_e64 s[0:1], s43, v6
	v_mov_b32_e32 v3, 0x7c01
	s_and_saveexec_b64 s[34:35], s[0:1]
	s_cbranch_execz .LBB220_107
; %bb.106:                              ;   in Loop: Header=BB220_51 Depth=1
	v_and_b32_e32 v3, 7, v14
	v_ffbh_u32_e32 v16, v3
	v_min_u32_e32 v18, 32, v16
	v_subrev_u32_e32 v16, 28, v18
	v_lshlrev_b64 v[16:17], v16, v[14:15]
	v_lshrrev_b32_e32 v13, 3, v6
	v_sub_u32_e32 v17, 29, v18
	v_cmp_gt_u32_e64 s[0:1], 8, v6
	v_and_b32_e32 v16, 7, v16
	s_nop 0
	v_cndmask_b32_e64 v6, v13, v17, s[0:1]
	v_lshl_add_u32 v6, v6, 10, v30
	v_lshlrev_b32_e32 v13, 8, v14
	v_and_b32_e32 v6, 0xfc00, v6
	v_cndmask_b32_e64 v3, v3, v16, s[0:1]
	v_and_or_b32 v6, v13, s47, v6
	v_lshl_or_b32 v3, v3, 7, v6
.LBB220_107:                            ;   in Loop: Header=BB220_51 Depth=1
	s_or_b64 exec, exec, s[34:35]
.LBB220_108:                            ;   in Loop: Header=BB220_51 Depth=1
	s_or_b64 exec, exec, s[30:31]
.LBB220_109:                            ;   in Loop: Header=BB220_51 Depth=1
	s_or_b64 exec, exec, s[22:23]
	v_lshrrev_b16_e32 v6, 8, v14
	v_cmp_ne_u16_e64 s[0:1], 0, v6
	s_and_saveexec_b64 s[22:23], s[0:1]
	s_cbranch_execz .LBB220_115
; %bb.110:                              ;   in Loop: Header=BB220_51 Depth=1
	v_cmp_ne_u16_e64 s[0:1], s42, v6
	v_bfrev_b32_e32 v1, 1
	s_and_saveexec_b64 s[30:31], s[0:1]
	s_cbranch_execz .LBB220_114
; %bb.111:                              ;   in Loop: Header=BB220_51 Depth=1
	v_and_b32_e32 v13, 0x7f, v6
	v_cmp_ne_u32_e64 s[0:1], s43, v13
	v_mov_b32_e32 v1, 0x7c010000
	s_and_saveexec_b64 s[34:35], s[0:1]
	s_cbranch_execz .LBB220_113
; %bb.112:                              ;   in Loop: Header=BB220_51 Depth=1
	v_and_b32_e32 v1, 7, v6
	v_ffbh_u32_e32 v16, v1
	v_min_u32_e32 v19, 32, v16
	v_subrev_u32_e32 v16, 28, v19
	v_lshlrev_b64 v[16:17], v16, v[6:7]
	v_lshrrev_b32_e32 v18, 3, v13
	v_sub_u32_e32 v17, 29, v19
	v_cmp_gt_u32_e64 s[0:1], 8, v13
	v_lshlrev_b32_e32 v6, 8, v6
	v_and_b32_e32 v16, 7, v16
	v_cndmask_b32_e64 v13, v18, v17, s[0:1]
	v_lshl_add_u32 v13, v13, 10, v30
	v_and_or_b32 v6, v6, s47, v13
	v_cndmask_b32_e64 v1, v1, v16, s[0:1]
	v_lshlrev_b32_e32 v6, 16, v6
	v_lshl_or_b32 v1, v1, 23, v6
.LBB220_113:                            ;   in Loop: Header=BB220_51 Depth=1
	s_or_b64 exec, exec, s[34:35]
.LBB220_114:                            ;   in Loop: Header=BB220_51 Depth=1
	s_or_b64 exec, exec, s[30:31]
.LBB220_115:                            ;   in Loop: Header=BB220_51 Depth=1
	s_or_b64 exec, exec, s[22:23]
	v_lshrrev_b32_e32 v6, 16, v14
	v_cmp_ne_u16_sdwa s[0:1], v6, v7 src0_sel:BYTE_0 src1_sel:DWORD
	v_mov_b32_e32 v16, 0
	v_mov_b32_e32 v13, 0
	s_and_saveexec_b64 s[22:23], s[0:1]
	s_cbranch_execz .LBB220_121
; %bb.116:                              ;   in Loop: Header=BB220_51 Depth=1
	v_cmp_ne_u16_sdwa s[0:1], v6, s42 src0_sel:BYTE_0 src1_sel:DWORD
	v_mov_b32_e32 v13, 0x8000
	s_and_saveexec_b64 s[30:31], s[0:1]
	s_cbranch_execz .LBB220_120
; %bb.117:                              ;   in Loop: Header=BB220_51 Depth=1
	v_bfe_u32 v17, v14, 16, 7
	v_cmp_ne_u32_e64 s[0:1], s43, v17
	v_mov_b32_e32 v13, 0x7c01
	s_and_saveexec_b64 s[34:35], s[0:1]
	s_cbranch_execz .LBB220_119
; %bb.118:                              ;   in Loop: Header=BB220_51 Depth=1
	v_and_b32_e32 v13, 7, v6
	v_ffbh_u32_e32 v18, v13
	v_min_u32_e32 v35, 32, v18
	v_subrev_u32_e32 v18, 28, v35
	v_lshlrev_b64 v[18:19], v18, v[6:7]
	v_lshrrev_b32_e32 v20, 3, v17
	v_sub_u32_e32 v19, 29, v35
	v_cmp_gt_u32_e64 s[0:1], 8, v17
	v_lshlrev_b32_e32 v6, 8, v6
	v_and_b32_e32 v18, 7, v18
	v_cndmask_b32_e64 v17, v20, v19, s[0:1]
	v_lshl_add_u32 v17, v17, 10, v30
	v_and_b32_e32 v17, 0xfc00, v17
	v_cndmask_b32_e64 v13, v13, v18, s[0:1]
	v_and_or_b32 v6, v6, s47, v17
	v_lshl_or_b32 v13, v13, 7, v6
.LBB220_119:                            ;   in Loop: Header=BB220_51 Depth=1
	s_or_b64 exec, exec, s[34:35]
.LBB220_120:                            ;   in Loop: Header=BB220_51 Depth=1
	s_or_b64 exec, exec, s[30:31]
.LBB220_121:                            ;   in Loop: Header=BB220_51 Depth=1
	s_or_b64 exec, exec, s[22:23]
	v_cmp_lt_u32_e64 s[0:1], s13, v14
	s_and_saveexec_b64 s[22:23], s[0:1]
	s_cbranch_execz .LBB220_127
; %bb.122:                              ;   in Loop: Header=BB220_51 Depth=1
	v_lshrrev_b32_e32 v6, 24, v14
	v_cmp_ne_u32_e64 s[0:1], s42, v6
	v_bfrev_b32_e32 v16, 1
	s_and_saveexec_b64 s[30:31], s[0:1]
	s_cbranch_execz .LBB220_126
; %bb.123:                              ;   in Loop: Header=BB220_51 Depth=1
	v_and_b32_e32 v17, 0x7f, v6
	v_cmp_ne_u32_e64 s[0:1], s43, v17
	v_mov_b32_e32 v16, 0x7c010000
	s_and_saveexec_b64 s[34:35], s[0:1]
	s_cbranch_execz .LBB220_125
; %bb.124:                              ;   in Loop: Header=BB220_51 Depth=1
	v_and_b32_e32 v16, 7, v6
	v_ffbh_u32_e32 v18, v16
	v_min_u32_e32 v35, 32, v18
	v_subrev_u32_e32 v18, 28, v35
	v_lshlrev_b64 v[18:19], v18, v[6:7]
	v_lshrrev_b32_e32 v20, 3, v17
	v_sub_u32_e32 v19, 29, v35
	v_cmp_gt_u32_e64 s[0:1], 8, v17
	v_lshlrev_b32_e32 v6, 8, v6
	v_and_b32_e32 v18, 7, v18
	v_cndmask_b32_e64 v17, v20, v19, s[0:1]
	v_lshl_add_u32 v17, v17, 10, v30
	v_and_or_b32 v6, v6, s47, v17
	v_cndmask_b32_e64 v16, v16, v18, s[0:1]
	v_lshlrev_b32_e32 v6, 16, v6
	v_lshl_or_b32 v16, v16, 23, v6
.LBB220_125:                            ;   in Loop: Header=BB220_51 Depth=1
	s_or_b64 exec, exec, s[34:35]
.LBB220_126:                            ;   in Loop: Header=BB220_51 Depth=1
	s_or_b64 exec, exec, s[30:31]
.LBB220_127:                            ;   in Loop: Header=BB220_51 Depth=1
	s_or_b64 exec, exec, s[22:23]
	v_mov_b32_e32 v6, v15
	v_cmp_ne_u16_sdwa s[0:1], v15, v7 src0_sel:BYTE_0 src1_sel:DWORD
	v_mov_b32_e32 v17, 0
	v_mov_b32_e32 v18, 0
	s_and_saveexec_b64 s[22:23], s[0:1]
	s_cbranch_execz .LBB220_133
; %bb.128:                              ;   in Loop: Header=BB220_51 Depth=1
	v_cmp_ne_u16_sdwa s[0:1], v15, s42 src0_sel:BYTE_0 src1_sel:DWORD
	v_mov_b32_e32 v18, 0x8000
	s_and_saveexec_b64 s[30:31], s[0:1]
	s_cbranch_execz .LBB220_132
; %bb.129:                              ;   in Loop: Header=BB220_51 Depth=1
	v_and_b32_e32 v19, 0x7f, v15
	v_cmp_ne_u32_e64 s[0:1], s43, v19
	v_mov_b32_e32 v18, 0x7c01
	s_and_saveexec_b64 s[34:35], s[0:1]
	s_cbranch_execz .LBB220_131
; %bb.130:                              ;   in Loop: Header=BB220_51 Depth=1
	v_and_b32_e32 v18, 7, v15
	v_ffbh_u32_e32 v35, v18
	v_min_u32_e32 v35, 32, v35
	v_lshrrev_b32_e32 v20, 3, v19
	v_subrev_u32_e32 v36, 28, v35
	v_sub_u32_e32 v35, 29, v35
	v_cmp_gt_u32_e64 s[0:1], 8, v19
	v_lshlrev_b64 v[36:37], v36, v[6:7]
	s_nop 0
	v_cndmask_b32_e64 v19, v20, v35, s[0:1]
	v_lshl_add_u32 v19, v19, 10, v30
	v_lshlrev_b32_e32 v20, 8, v15
	v_and_b32_e32 v35, 7, v36
	v_and_b32_e32 v19, 0xfc00, v19
	v_cndmask_b32_e64 v18, v18, v35, s[0:1]
	v_and_or_b32 v19, v20, s47, v19
	v_lshl_or_b32 v18, v18, 7, v19
.LBB220_131:                            ;   in Loop: Header=BB220_51 Depth=1
	s_or_b64 exec, exec, s[34:35]
.LBB220_132:                            ;   in Loop: Header=BB220_51 Depth=1
	s_or_b64 exec, exec, s[30:31]
.LBB220_133:                            ;   in Loop: Header=BB220_51 Depth=1
	s_or_b64 exec, exec, s[22:23]
	v_lshrrev_b16_e32 v6, 8, v6
	v_cmp_ne_u16_e64 s[0:1], 0, v6
	v_mov_b32_e32 v19, 0
	s_and_saveexec_b64 s[22:23], s[0:1]
	s_cbranch_execz .LBB220_139
; %bb.134:                              ;   in Loop: Header=BB220_51 Depth=1
	v_cmp_ne_u16_e64 s[0:1], s42, v6
	v_bfrev_b32_e32 v19, 1
	s_and_saveexec_b64 s[30:31], s[0:1]
	s_cbranch_execz .LBB220_138
; %bb.135:                              ;   in Loop: Header=BB220_51 Depth=1
	v_and_b32_e32 v20, 0x7f, v6
	v_cmp_ne_u32_e64 s[0:1], s43, v20
	v_mov_b32_e32 v19, 0x7c010000
	s_and_saveexec_b64 s[34:35], s[0:1]
	s_cbranch_execz .LBB220_137
; %bb.136:                              ;   in Loop: Header=BB220_51 Depth=1
	v_and_b32_e32 v19, 7, v6
	v_ffbh_u32_e32 v36, v19
	v_min_u32_e32 v38, 32, v36
	v_subrev_u32_e32 v36, 28, v38
	v_lshlrev_b64 v[36:37], v36, v[6:7]
	v_lshrrev_b32_e32 v35, 3, v20
	v_sub_u32_e32 v37, 29, v38
	v_cmp_gt_u32_e64 s[0:1], 8, v20
	v_lshlrev_b32_e32 v6, 8, v6
	s_nop 0
	v_cndmask_b32_e64 v20, v35, v37, s[0:1]
	v_lshl_add_u32 v20, v20, 10, v30
	v_and_b32_e32 v35, 7, v36
	v_and_or_b32 v6, v6, s47, v20
	v_cndmask_b32_e64 v19, v19, v35, s[0:1]
	v_lshlrev_b32_e32 v6, 16, v6
	v_lshl_or_b32 v19, v19, 23, v6
.LBB220_137:                            ;   in Loop: Header=BB220_51 Depth=1
	s_or_b64 exec, exec, s[34:35]
.LBB220_138:                            ;   in Loop: Header=BB220_51 Depth=1
	s_or_b64 exec, exec, s[30:31]
.LBB220_139:                            ;   in Loop: Header=BB220_51 Depth=1
	s_or_b64 exec, exec, s[22:23]
	v_lshrrev_b32_e32 v6, 16, v15
	v_cmp_ne_u16_sdwa s[0:1], v6, v7 src0_sel:BYTE_0 src1_sel:DWORD
	s_and_saveexec_b64 s[22:23], s[0:1]
	s_cbranch_execz .LBB220_145
; %bb.140:                              ;   in Loop: Header=BB220_51 Depth=1
	v_cmp_ne_u16_sdwa s[0:1], v6, s42 src0_sel:BYTE_0 src1_sel:DWORD
	v_mov_b32_e32 v17, 0x8000
	s_and_saveexec_b64 s[30:31], s[0:1]
	s_cbranch_execz .LBB220_144
; %bb.141:                              ;   in Loop: Header=BB220_51 Depth=1
	v_bfe_u32 v20, v15, 16, 7
	v_cmp_ne_u32_e64 s[0:1], s43, v20
	v_mov_b32_e32 v17, 0x7c01
	s_and_saveexec_b64 s[34:35], s[0:1]
	s_cbranch_execz .LBB220_143
; %bb.142:                              ;   in Loop: Header=BB220_51 Depth=1
	v_and_b32_e32 v17, 7, v6
	v_ffbh_u32_e32 v36, v17
	v_min_u32_e32 v38, 32, v36
	v_subrev_u32_e32 v36, 28, v38
	v_lshlrev_b64 v[36:37], v36, v[6:7]
	v_lshrrev_b32_e32 v35, 3, v20
	v_sub_u32_e32 v37, 29, v38
	v_cmp_gt_u32_e64 s[0:1], 8, v20
	v_lshlrev_b32_e32 v6, 8, v6
	s_nop 0
	v_cndmask_b32_e64 v20, v35, v37, s[0:1]
	v_lshl_add_u32 v20, v20, 10, v30
	v_and_b32_e32 v35, 7, v36
	v_and_b32_e32 v20, 0xfc00, v20
	v_cndmask_b32_e64 v17, v17, v35, s[0:1]
	v_and_or_b32 v6, v6, s47, v20
	v_lshl_or_b32 v17, v17, 7, v6
.LBB220_143:                            ;   in Loop: Header=BB220_51 Depth=1
	s_or_b64 exec, exec, s[34:35]
.LBB220_144:                            ;   in Loop: Header=BB220_51 Depth=1
	s_or_b64 exec, exec, s[30:31]
.LBB220_145:                            ;   in Loop: Header=BB220_51 Depth=1
	s_or_b64 exec, exec, s[22:23]
	v_cmp_lt_u64_e64 s[0:1], s[12:13], v[14:15]
	v_mov_b32_e32 v14, 0
	s_and_saveexec_b64 s[22:23], s[0:1]
	s_cbranch_execz .LBB220_151
; %bb.146:                              ;   in Loop: Header=BB220_51 Depth=1
	v_lshrrev_b32_e32 v6, 24, v15
	v_cmp_ne_u32_e64 s[0:1], s42, v6
	v_bfrev_b32_e32 v14, 1
	s_and_saveexec_b64 s[30:31], s[0:1]
	s_cbranch_execz .LBB220_150
; %bb.147:                              ;   in Loop: Header=BB220_51 Depth=1
	v_and_b32_e32 v15, 0x7f, v6
	v_cmp_ne_u32_e64 s[0:1], s43, v15
	v_mov_b32_e32 v14, 0x7c010000
	s_and_saveexec_b64 s[34:35], s[0:1]
	s_cbranch_execz .LBB220_149
; %bb.148:                              ;   in Loop: Header=BB220_51 Depth=1
	v_and_b32_e32 v14, 7, v6
	v_ffbh_u32_e32 v35, v14
	v_min_u32_e32 v35, 32, v35
	v_lshrrev_b32_e32 v20, 3, v15
	v_subrev_u32_e32 v36, 28, v35
	v_sub_u32_e32 v35, 29, v35
	v_cmp_gt_u32_e64 s[0:1], 8, v15
	v_lshlrev_b64 v[36:37], v36, v[6:7]
	v_lshlrev_b32_e32 v6, 8, v6
	v_cndmask_b32_e64 v15, v20, v35, s[0:1]
	v_lshl_add_u32 v15, v15, 10, v30
	v_and_b32_e32 v20, 7, v36
	v_and_or_b32 v6, v6, s47, v15
	v_cndmask_b32_e64 v14, v14, v20, s[0:1]
	v_lshlrev_b32_e32 v6, 16, v6
	v_lshl_or_b32 v14, v14, 23, v6
.LBB220_149:                            ;   in Loop: Header=BB220_51 Depth=1
	s_or_b64 exec, exec, s[34:35]
.LBB220_150:                            ;   in Loop: Header=BB220_51 Depth=1
	s_or_b64 exec, exec, s[30:31]
.LBB220_151:                            ;   in Loop: Header=BB220_51 Depth=1
	s_or_b64 exec, exec, s[22:23]
	v_cvt_f32_f16_sdwa v37, v1 dst_sel:DWORD dst_unused:UNUSED_PAD src0_sel:WORD_1
	v_cvt_f32_f16_sdwa v36, v16 dst_sel:DWORD dst_unused:UNUSED_PAD src0_sel:WORD_1
	v_or_b32_e32 v1, v1, v3
	v_or_b32_e32 v3, v16, v13
	v_cvt_f32_f16_e32 v38, v3
	v_cvt_f32_f16_e32 v39, v1
	s_waitcnt vmcnt(0)
	v_pk_mul_f32 v[36:37], v[12:13], v[36:37] op_sel_hi:[0,1]
	v_cvt_pk_f16_f32 v1, v36, v37
	v_or_b32_e32 v15, v19, v18
	v_pk_mul_f32 v[36:37], v[12:13], v[38:39] op_sel_hi:[0,1]
	v_or_b32_e32 v17, v14, v17
	v_and_b32_e32 v3, 0xffff0000, v1
	v_lshlrev_b32_e32 v6, 16, v1
	v_cvt_pk_f16_f32 v1, v36, v37
	v_cvt_f32_f16_e32 v36, v17
	v_cvt_f32_f16_e32 v37, v15
	v_cvt_f32_f16_sdwa v19, v19 dst_sel:DWORD dst_unused:UNUSED_PAD src0_sel:WORD_1
	v_cvt_f32_f16_sdwa v18, v14 dst_sel:DWORD dst_unused:UNUSED_PAD src0_sel:WORD_1
	v_lshrrev_b32_e32 v13, 16, v1
	v_pk_mul_f32 v[36:37], v[12:13], v[36:37] op_sel_hi:[0,1]
	v_cvt_pk_f16_f32 v20, v36, v37
	v_pk_mul_f32 v[18:19], v[12:13], v[18:19] op_sel_hi:[0,1]
	v_cvt_pk_f16_f32 v12, v18, v19
	v_and_b32_e32 v16, 0xffff, v1
	v_and_b32_e32 v15, 0xffff0000, v12
	v_lshlrev_b32_e32 v12, 16, v12
	v_lshrrev_b32_e32 v17, 16, v20
	v_and_b32_e32 v18, 0xffff, v20
	v_or_b32_e32 v1, v3, v13
	v_or_b32_e32 v14, v6, v16
	;; [unrolled: 1-line block ×4, first 2 shown]
	s_and_saveexec_b64 s[22:23], s[2:3]
	s_cbranch_execz .LBB220_48
; %bb.152:                              ;   in Loop: Header=BB220_51 Depth=1
	v_add_u32_e32 v19, 2, v24
	v_cmp_gt_i32_e64 s[0:1], s41, v24
	v_or_b32_e32 v1, 1, v24
	v_or_b32_e32 v14, 3, v24
	v_cndmask_b32_e64 v13, 0, v13, s[0:1]
	v_cmp_gt_i32_e64 s[0:1], s25, v19
	s_nop 1
	v_cndmask_b32_e64 v16, 0, v16, s[0:1]
	v_cmp_gt_i32_e64 s[0:1], s41, v1
	s_nop 1
	v_cndmask_b32_e64 v1, 0, v3, s[0:1]
	v_cmp_gt_i32_e64 s[0:1], s25, v14
	v_or_b32_e32 v1, v1, v13
	v_or_b32_e32 v13, 5, v24
	v_cndmask_b32_e64 v3, 0, v6, s[0:1]
	v_or_b32_e32 v14, v3, v16
	v_or_b32_e32 v3, 4, v24
	v_or_b32_e32 v6, 6, v24
	v_cmp_gt_i32_e64 s[0:1], s41, v3
	v_or_b32_e32 v16, 7, v24
	s_nop 0
	v_cndmask_b32_e64 v3, 0, v17, s[0:1]
	v_cmp_gt_i32_e64 s[0:1], s25, v6
	s_nop 1
	v_cndmask_b32_e64 v6, 0, v18, s[0:1]
	v_cmp_gt_i32_e64 s[0:1], s41, v13
	;; [unrolled: 3-line block ×3, first 2 shown]
	v_or_b32_e32 v19, v13, v3
	s_nop 0
	v_cndmask_b32_e64 v12, 0, v12, s[0:1]
	v_or_b32_e32 v20, v12, v6
	s_branch .LBB220_48
.LBB220_153:
	s_or_b64 exec, exec, s[16:17]
.LBB220_154:
	s_or_b64 exec, exec, s[8:9]
	v_and_b32_e32 v1, 0x3c0, v0
	v_cmp_eq_u32_e32 vcc, 64, v1
	s_barrier
	s_and_saveexec_b64 s[0:1], vcc
	s_cbranch_execz .LBB220_157
; %bb.155:
	v_mov_b32_e32 v1, 0xf0
	v_lshl_add_u32 v3, v25, 2, v1
	ds_write_b32 v3, v27
	s_and_b64 exec, exec, s[6:7]
; %bb.156:
	v_lshl_add_u32 v1, v0, 2, v1
	ds_write_b32 v1, v26
.LBB220_157:
	s_or_b64 exec, exec, s[0:1]
	v_cmp_gt_u32_e32 vcc, 64, v0
	v_or_b32_e32 v1, 64, v0
	s_waitcnt lgkmcnt(0)
	s_barrier
	s_and_saveexec_b64 s[2:3], vcc
	s_cbranch_execz .LBB220_161
; %bb.158:
	v_mov_b32_e32 v3, 0xf0
	v_lshl_add_u32 v3, v0, 2, v3
	ds_read_b32 v0, v3
	s_movk_i32 s0, 0x70
	v_cmp_gt_u32_e64 s[0:1], s0, v1
	s_and_saveexec_b64 s[6:7], s[0:1]
	s_cbranch_execz .LBB220_160
; %bb.159:
	ds_read_b32 v3, v3 offset:256
	s_waitcnt lgkmcnt(0)
	v_add_f32_e32 v26, v26, v3
.LBB220_160:
	s_or_b64 exec, exec, s[6:7]
	s_waitcnt lgkmcnt(0)
	v_add_f32_e32 v27, v27, v0
.LBB220_161:
	s_or_b64 exec, exec, s[2:3]
	s_barrier
	s_and_saveexec_b64 s[0:1], vcc
	s_cbranch_execz .LBB220_164
; %bb.162:
	s_mul_i32 s0, s24, s27
	s_mul_i32 s0, s0, s5
	s_mulk_i32 s0, 0x70
	s_ashr_i32 s1, s0, 31
	s_lshl_b64 s[0:1], s[0:1], 1
	s_add_u32 s3, s28, s0
	s_mul_i32 s0, s27, s26
	s_addc_u32 s5, s29, s1
	s_ashr_i32 s1, s0, 31
	s_lshl_b64 s[0:1], s[0:1], 1
	s_add_u32 s3, s3, s0
	s_mul_i32 s0, s4, 0x70
	s_addc_u32 s5, s5, s1
	s_ashr_i32 s1, s0, 31
	s_lshl_b64 s[0:1], s[0:1], 1
	s_movk_i32 s2, 0x70
	s_add_u32 s0, s3, s0
	s_addc_u32 s1, s5, s1
	v_cmp_gt_u32_e32 vcc, s2, v1
	;;#ASMSTART
	v_cvt_f16_f32 v0, v27;

	;;#ASMEND
	global_store_short v2, v0, s[0:1]
	s_and_b64 exec, exec, vcc
	s_cbranch_execz .LBB220_164
; %bb.163:
	v_mov_b32_e32 v3, 0
	v_lshl_add_u64 v[0:1], s[0:1], 0, v[2:3]
	;;#ASMSTART
	v_cvt_f16_f32 v2, v26;

	;;#ASMEND
	global_store_short v[0:1], v2, off offset:128
.LBB220_164:
	s_endpgm
	.section	.rodata,"a",@progbits
	.p2align	6, 0x0
	.amdhsa_kernel _ZN4vllm25paged_attention_v1_kernelIthLi112ELi8ELi128ELNS_18Fp8KVCacheDataTypeE1ELb1EEEvPT_PKS2_PKT0_S8_ifPKiSA_iPKfiiiSC_SC_iiiii
		.amdhsa_group_segment_fixed_size 240
		.amdhsa_private_segment_fixed_size 0
		.amdhsa_kernarg_size 384
		.amdhsa_user_sgpr_count 2
		.amdhsa_user_sgpr_dispatch_ptr 0
		.amdhsa_user_sgpr_queue_ptr 0
		.amdhsa_user_sgpr_kernarg_segment_ptr 1
		.amdhsa_user_sgpr_dispatch_id 0
		.amdhsa_user_sgpr_kernarg_preload_length 0
		.amdhsa_user_sgpr_kernarg_preload_offset 0
		.amdhsa_user_sgpr_private_segment_size 0
		.amdhsa_uses_dynamic_stack 0
		.amdhsa_enable_private_segment 0
		.amdhsa_system_sgpr_workgroup_id_x 1
		.amdhsa_system_sgpr_workgroup_id_y 1
		.amdhsa_system_sgpr_workgroup_id_z 1
		.amdhsa_system_sgpr_workgroup_info 0
		.amdhsa_system_vgpr_workitem_id 0
		.amdhsa_next_free_vgpr 53
		.amdhsa_next_free_sgpr 50
		.amdhsa_accum_offset 56
		.amdhsa_reserve_vcc 1
		.amdhsa_float_round_mode_32 0
		.amdhsa_float_round_mode_16_64 0
		.amdhsa_float_denorm_mode_32 3
		.amdhsa_float_denorm_mode_16_64 3
		.amdhsa_dx10_clamp 1
		.amdhsa_ieee_mode 1
		.amdhsa_fp16_overflow 0
		.amdhsa_tg_split 0
		.amdhsa_exception_fp_ieee_invalid_op 0
		.amdhsa_exception_fp_denorm_src 0
		.amdhsa_exception_fp_ieee_div_zero 0
		.amdhsa_exception_fp_ieee_overflow 0
		.amdhsa_exception_fp_ieee_underflow 0
		.amdhsa_exception_fp_ieee_inexact 0
		.amdhsa_exception_int_div_zero 0
	.end_amdhsa_kernel
	.section	.text._ZN4vllm25paged_attention_v1_kernelIthLi112ELi8ELi128ELNS_18Fp8KVCacheDataTypeE1ELb1EEEvPT_PKS2_PKT0_S8_ifPKiSA_iPKfiiiSC_SC_iiiii,"axG",@progbits,_ZN4vllm25paged_attention_v1_kernelIthLi112ELi8ELi128ELNS_18Fp8KVCacheDataTypeE1ELb1EEEvPT_PKS2_PKT0_S8_ifPKiSA_iPKfiiiSC_SC_iiiii,comdat
.Lfunc_end220:
	.size	_ZN4vllm25paged_attention_v1_kernelIthLi112ELi8ELi128ELNS_18Fp8KVCacheDataTypeE1ELb1EEEvPT_PKS2_PKT0_S8_ifPKiSA_iPKfiiiSC_SC_iiiii, .Lfunc_end220-_ZN4vllm25paged_attention_v1_kernelIthLi112ELi8ELi128ELNS_18Fp8KVCacheDataTypeE1ELb1EEEvPT_PKS2_PKT0_S8_ifPKiSA_iPKfiiiSC_SC_iiiii
                                        ; -- End function
	.set _ZN4vllm25paged_attention_v1_kernelIthLi112ELi8ELi128ELNS_18Fp8KVCacheDataTypeE1ELb1EEEvPT_PKS2_PKT0_S8_ifPKiSA_iPKfiiiSC_SC_iiiii.num_vgpr, 53
	.set _ZN4vllm25paged_attention_v1_kernelIthLi112ELi8ELi128ELNS_18Fp8KVCacheDataTypeE1ELb1EEEvPT_PKS2_PKT0_S8_ifPKiSA_iPKfiiiSC_SC_iiiii.num_agpr, 0
	.set _ZN4vllm25paged_attention_v1_kernelIthLi112ELi8ELi128ELNS_18Fp8KVCacheDataTypeE1ELb1EEEvPT_PKS2_PKT0_S8_ifPKiSA_iPKfiiiSC_SC_iiiii.numbered_sgpr, 50
	.set _ZN4vllm25paged_attention_v1_kernelIthLi112ELi8ELi128ELNS_18Fp8KVCacheDataTypeE1ELb1EEEvPT_PKS2_PKT0_S8_ifPKiSA_iPKfiiiSC_SC_iiiii.num_named_barrier, 0
	.set _ZN4vllm25paged_attention_v1_kernelIthLi112ELi8ELi128ELNS_18Fp8KVCacheDataTypeE1ELb1EEEvPT_PKS2_PKT0_S8_ifPKiSA_iPKfiiiSC_SC_iiiii.private_seg_size, 0
	.set _ZN4vllm25paged_attention_v1_kernelIthLi112ELi8ELi128ELNS_18Fp8KVCacheDataTypeE1ELb1EEEvPT_PKS2_PKT0_S8_ifPKiSA_iPKfiiiSC_SC_iiiii.uses_vcc, 1
	.set _ZN4vllm25paged_attention_v1_kernelIthLi112ELi8ELi128ELNS_18Fp8KVCacheDataTypeE1ELb1EEEvPT_PKS2_PKT0_S8_ifPKiSA_iPKfiiiSC_SC_iiiii.uses_flat_scratch, 0
	.set _ZN4vllm25paged_attention_v1_kernelIthLi112ELi8ELi128ELNS_18Fp8KVCacheDataTypeE1ELb1EEEvPT_PKS2_PKT0_S8_ifPKiSA_iPKfiiiSC_SC_iiiii.has_dyn_sized_stack, 0
	.set _ZN4vllm25paged_attention_v1_kernelIthLi112ELi8ELi128ELNS_18Fp8KVCacheDataTypeE1ELb1EEEvPT_PKS2_PKT0_S8_ifPKiSA_iPKfiiiSC_SC_iiiii.has_recursion, 0
	.set _ZN4vllm25paged_attention_v1_kernelIthLi112ELi8ELi128ELNS_18Fp8KVCacheDataTypeE1ELb1EEEvPT_PKS2_PKT0_S8_ifPKiSA_iPKfiiiSC_SC_iiiii.has_indirect_call, 0
	.section	.AMDGPU.csdata,"",@progbits
; Kernel info:
; codeLenInByte = 9268
; TotalNumSgprs: 56
; NumVgprs: 53
; NumAgprs: 0
; TotalNumVgprs: 53
; ScratchSize: 0
; MemoryBound: 0
; FloatMode: 240
; IeeeMode: 1
; LDSByteSize: 240 bytes/workgroup (compile time only)
; SGPRBlocks: 6
; VGPRBlocks: 6
; NumSGPRsForWavesPerEU: 56
; NumVGPRsForWavesPerEU: 53
; AccumOffset: 56
; Occupancy: 8
; WaveLimiterHint : 1
; COMPUTE_PGM_RSRC2:SCRATCH_EN: 0
; COMPUTE_PGM_RSRC2:USER_SGPR: 2
; COMPUTE_PGM_RSRC2:TRAP_HANDLER: 0
; COMPUTE_PGM_RSRC2:TGID_X_EN: 1
; COMPUTE_PGM_RSRC2:TGID_Y_EN: 1
; COMPUTE_PGM_RSRC2:TGID_Z_EN: 1
; COMPUTE_PGM_RSRC2:TIDIG_COMP_CNT: 0
; COMPUTE_PGM_RSRC3_GFX90A:ACCUM_OFFSET: 13
; COMPUTE_PGM_RSRC3_GFX90A:TG_SPLIT: 0
	.section	.text._ZN4vllm25paged_attention_v1_kernelIthLi120ELi8ELi128ELNS_18Fp8KVCacheDataTypeE1ELb1EEEvPT_PKS2_PKT0_S8_ifPKiSA_iPKfiiiSC_SC_iiiii,"axG",@progbits,_ZN4vllm25paged_attention_v1_kernelIthLi120ELi8ELi128ELNS_18Fp8KVCacheDataTypeE1ELb1EEEvPT_PKS2_PKT0_S8_ifPKiSA_iPKfiiiSC_SC_iiiii,comdat
	.protected	_ZN4vllm25paged_attention_v1_kernelIthLi120ELi8ELi128ELNS_18Fp8KVCacheDataTypeE1ELb1EEEvPT_PKS2_PKT0_S8_ifPKiSA_iPKfiiiSC_SC_iiiii ; -- Begin function _ZN4vllm25paged_attention_v1_kernelIthLi120ELi8ELi128ELNS_18Fp8KVCacheDataTypeE1ELb1EEEvPT_PKS2_PKT0_S8_ifPKiSA_iPKfiiiSC_SC_iiiii
	.globl	_ZN4vllm25paged_attention_v1_kernelIthLi120ELi8ELi128ELNS_18Fp8KVCacheDataTypeE1ELb1EEEvPT_PKS2_PKT0_S8_ifPKiSA_iPKfiiiSC_SC_iiiii
	.p2align	8
	.type	_ZN4vllm25paged_attention_v1_kernelIthLi120ELi8ELi128ELNS_18Fp8KVCacheDataTypeE1ELb1EEEvPT_PKS2_PKT0_S8_ifPKiSA_iPKfiiiSC_SC_iiiii,@function
_ZN4vllm25paged_attention_v1_kernelIthLi120ELi8ELi128ELNS_18Fp8KVCacheDataTypeE1ELb1EEEvPT_PKS2_PKT0_S8_ifPKiSA_iPKfiiiSC_SC_iiiii: ; @_ZN4vllm25paged_attention_v1_kernelIthLi120ELi8ELi128ELNS_18Fp8KVCacheDataTypeE1ELb1EEEvPT_PKS2_PKT0_S8_ifPKiSA_iPKfiiiSC_SC_iiiii
; %bb.0:
	s_load_dword s5, s[0:1], 0x80
	s_load_dwordx2 s[6:7], s[0:1], 0x30
	s_load_dwordx2 s[38:39], s[0:1], 0x20
	s_mov_b32 s24, s3
	s_ashr_i32 s25, s3, 31
	s_lshl_b64 s[8:9], s[24:25], 2
	s_waitcnt lgkmcnt(0)
	s_add_u32 s6, s6, s8
	s_addc_u32 s7, s7, s9
	s_abs_i32 s3, s38
	v_cvt_f32_u32_e32 v1, s3
	s_sub_i32 s10, 0, s3
	s_abs_i32 s9, s5
	s_xor_b32 s8, s5, s38
	v_rcp_iflag_f32_e32 v1, v1
	s_ashr_i32 s8, s8, 31
	s_mov_b32 s47, 0
	v_mul_f32_e32 v1, 0x4f7ffffe, v1
	v_cvt_u32_f32_e32 v1, v1
	s_nop 0
	v_readfirstlane_b32 s11, v1
	s_mul_i32 s10, s10, s11
	s_mul_hi_u32 s10, s11, s10
	s_add_i32 s11, s11, s10
	s_mul_hi_u32 s10, s9, s11
	s_mul_i32 s11, s10, s3
	s_sub_i32 s9, s9, s11
	s_add_i32 s11, s10, 1
	s_sub_i32 s12, s9, s3
	s_cmp_ge_u32 s9, s3
	s_cselect_b32 s10, s11, s10
	s_cselect_b32 s9, s12, s9
	s_add_i32 s11, s10, 1
	s_cmp_ge_u32 s9, s3
	s_cselect_b32 s3, s11, s10
	s_xor_b32 s3, s3, s8
	s_sub_i32 s14, s3, s8
	s_abs_i32 s10, s14
	v_cvt_f32_u32_e32 v1, s10
	s_load_dwordx2 s[8:9], s[0:1], 0x40
	s_sub_i32 s3, 0, s10
	s_abs_i32 s11, s2
	v_rcp_iflag_f32_e32 v1, v1
	s_nop 0
	v_mul_f32_e32 v1, 0x4f7ffffe, v1
	v_cvt_u32_f32_e32 v1, v1
	s_nop 0
	v_readfirstlane_b32 s12, v1
	s_mul_i32 s3, s3, s12
	s_mul_hi_u32 s3, s12, s3
	s_add_i32 s12, s12, s3
	s_waitcnt lgkmcnt(0)
	s_cmp_eq_u64 s[8:9], 0
	s_mul_hi_u32 s12, s11, s12
	s_cbranch_scc1 .LBB221_2
; %bb.1:
	s_ashr_i32 s3, s2, 31
	s_lshl_b64 s[16:17], s[2:3], 2
	s_add_u32 s8, s8, s16
	s_addc_u32 s9, s9, s17
	s_load_dword s47, s[8:9], 0x0
.LBB221_2:
	s_load_dword s25, s[6:7], 0x0
	s_load_dwordx4 s[16:19], s[0:1], 0x48
	s_movk_i32 s3, 0x78
	s_ashr_i32 s13, s2, 31
	s_ashr_i32 s14, s14, 31
	v_and_b32_e32 v6, 7, v0
	s_mul_i32 s26, s2, 0x78
	v_cmp_gt_u32_e64 s[6:7], s3, v0
	v_lshlrev_b32_e32 v2, 1, v0
	s_and_saveexec_b64 s[8:9], s[6:7]
	s_cbranch_execz .LBB221_4
; %bb.3:
	s_load_dwordx2 s[20:21], s[0:1], 0x8
	s_waitcnt lgkmcnt(0)
	s_mul_i32 s22, s16, s24
	s_ashr_i32 s23, s22, 31
	s_lshl_b64 s[22:23], s[22:23], 1
	v_lshrrev_b32_e32 v3, 2, v0
	s_add_u32 s3, s20, s22
	s_addc_u32 s15, s21, s23
	s_ashr_i32 s27, s26, 31
	s_lshl_b64 s[20:21], s[26:27], 1
	s_add_u32 s20, s3, s20
	s_addc_u32 s21, s15, s21
	global_load_ushort v1, v2, s[20:21]
	v_and_b32_e32 v3, 0xfe, v3
	v_mad_u32_u24 v3, v6, 30, v3
	s_waitcnt vmcnt(0)
	ds_write_b16 v3, v1
.LBB221_4:
	s_or_b64 exec, exec, s[8:9]
	s_mul_i32 s9, s12, s10
	s_sub_i32 s9, s11, s9
	s_xor_b32 s8, s13, s14
	s_add_i32 s11, s12, 1
	s_sub_i32 s13, s9, s10
	s_load_dwordx4 s[20:23], s[0:1], 0x68
	s_load_dword s3, s[0:1], 0x78
	s_cmp_ge_u32 s9, s10
	s_cselect_b32 s11, s11, s12
	s_cselect_b32 s9, s13, s9
	s_add_i32 s12, s11, 1
	s_cmp_ge_u32 s9, s10
	s_cselect_b32 s9, s12, s11
	s_waitcnt lgkmcnt(0)
	s_abs_i32 s33, s23
	v_cvt_f32_u32_e32 v1, s33
	s_xor_b32 s9, s9, s8
	s_sub_i32 s10, s9, s8
	s_sub_i32 s8, 0, s33
	v_rcp_iflag_f32_e32 v1, v1
	s_add_i32 s12, s25, -1
	s_abs_i32 s11, s12
	v_mul_f32_e32 v1, 0x4f7ffffe, v1
	v_cvt_u32_f32_e32 v1, v1
	s_barrier
	v_readfirstlane_b32 s44, v1
	s_mul_i32 s8, s8, s44
	s_mul_hi_u32 s8, s44, s8
	s_add_i32 s44, s44, s8
	s_cmp_lt_i32 s3, 0
	s_mul_hi_u32 s16, s11, s44
	s_cbranch_scc0 .LBB221_6
; %bb.5:
	s_mul_i32 s8, s20, s38
	s_add_i32 s8, s10, s8
	s_mul_i32 s8, s8, s3
	s_sub_i32 s38, 1, s8
	s_mov_b64 s[8:9], 0
	s_branch .LBB221_7
.LBB221_6:
	s_mov_b64 s[8:9], -1
                                        ; implicit-def: $sgpr38
.LBB221_7:
	s_load_dwordx2 s[30:31], s[0:1], 0x28
	s_ashr_i32 s19, s12, 31
	s_andn2_b64 vcc, exec, s[8:9]
	s_ashr_i32 s45, s23, 31
	s_cbranch_vccnz .LBB221_9
; %bb.8:
	s_mul_i32 s8, s5, s20
	s_add_i32 s2, s8, s2
	s_mul_i32 s2, s2, s3
	s_add_i32 s38, s2, 1
.LBB221_9:
	s_load_dword s2, s[0:1], 0x38
	s_load_dwordx2 s[28:29], s[0:1], 0x0
	s_load_dwordx2 s[36:37], s[0:1], 0x18
	s_load_dword s27, s[0:1], 0x88
	s_load_dwordx4 s[12:15], s[0:1], 0x58
	s_mul_i32 s3, s16, s33
	s_waitcnt lgkmcnt(0)
	s_mul_i32 s34, s2, s24
	s_sub_i32 s3, s11, s3
	s_ashr_i32 s35, s34, 31
	s_xor_b32 s2, s19, s45
	s_add_i32 s8, s16, 1
	s_sub_i32 s9, s3, s33
	s_cmp_ge_u32 s3, s33
	s_cselect_b32 s8, s8, s16
	s_cselect_b32 s3, s9, s3
	s_add_i32 s9, s8, 1
	s_cmp_ge_u32 s3, s33
	s_cselect_b32 s3, s9, s8
	s_xor_b32 s3, s3, s2
	s_sub_i32 s16, s3, s2
	s_add_i32 s2, s25, 7
	s_ashr_i32 s3, s2, 31
	s_lshr_b32 s3, s3, 29
	s_add_i32 s2, s2, s3
	s_ashr_i32 s46, s2, 3
	v_lshrrev_b32_e32 v23, 6, v0
	v_cmp_gt_i32_e64 s[2:3], s46, v23
	v_mov_b32_e32 v4, 0xff7fffff
	s_mul_i32 s20, s10, s18
	v_lshrrev_b32_e32 v1, 4, v0
	v_lshlrev_b32_e32 v24, 3, v23
	v_mbcnt_lo_u32_b32 v3, -1, 0
	s_and_saveexec_b64 s[18:19], s[2:3]
	s_cbranch_execz .LBB221_21
; %bb.10:
	s_load_dwordx2 s[0:1], s[0:1], 0x10
	s_sub_i32 s23, s16, s21
	s_ashr_i32 s9, s20, 31
	v_bfe_u32 v10, v0, 3, 3
	v_mov_b32_e32 v5, 0
	s_waitcnt lgkmcnt(0)
	s_add_u32 s8, s0, s20
	s_addc_u32 s9, s1, s9
	s_abs_i32 s48, s22
	v_cvt_f32_u32_e32 v4, s48
	v_cmp_eq_u32_e32 vcc, 0, v6
	v_mul_u32_u24_e32 v11, 30, v6
	v_mbcnt_hi_u32_b32 v17, -1, v3
	v_rcp_iflag_f32_e32 v7, v4
	v_lshlrev_b32_e32 v4, 4, v10
	v_lshl_add_u64 v[8:9], s[8:9], 0, v[4:5]
	s_sub_i32 s8, 0, s48
	v_mul_f32_e32 v7, 0x4f7ffffe, v7
	v_cvt_u32_f32_e32 v12, v7
	v_mov_b32_e32 v7, v5
	v_lshl_add_u64 v[6:7], v[8:9], 0, v[6:7]
	s_mov_b32 s49, s17
	v_mul_lo_u32 v4, s8, v12
	s_lshl_b64 s[8:9], s[34:35], 2
	v_mul_hi_u32 v4, v12, v4
	s_add_u32 s8, s30, s8
	v_add_u32_e32 v12, v12, v4
	v_and_b32_e32 v4, 60, v1
	s_addc_u32 s9, s31, s9
	v_lshl_add_u64 v[8:9], s[8:9], 0, v[4:5]
	v_subrev_u32_e32 v4, s25, v10
	v_add_u32_e32 v14, 1, v4
	v_lshlrev_b32_e32 v4, 2, v10
	v_lshl_or_b32 v4, v23, 5, v4
	v_add_u32_e32 v15, 0x100, v4
	v_and_b32_e32 v4, 64, v17
	v_cmp_neq_f32_e64 s[0:1], s47, 0
	v_lshlrev_b32_e32 v13, 3, v23
	v_mov_b32_e32 v16, 0xff7fffff
	s_mov_b64 s[40:41], 0
	v_add_u32_e32 v18, 64, v4
	v_xor_b32_e32 v19, 4, v17
	v_xor_b32_e32 v20, 2, v17
	;; [unrolled: 1-line block ×3, first 2 shown]
	v_mov_b32_e32 v4, 0xff7fffff
	v_mov_b32_e32 v22, v23
	s_branch .LBB221_13
.LBB221_11:                             ;   in Loop: Header=BB221_13 Depth=1
	s_or_b64 exec, exec, s[42:43]
.LBB221_12:                             ;   in Loop: Header=BB221_13 Depth=1
	s_or_b64 exec, exec, s[10:11]
	v_add_u32_e32 v22, 2, v22
	v_cmp_le_i32_e64 s[8:9], s46, v22
	v_lshl_add_u64 v[8:9], v[8:9], 0, 8
	v_add_u32_e32 v13, 16, v13
	s_or_b64 s[40:41], s[8:9], s[40:41]
	v_add_u32_e32 v15, 64, v15
	s_andn2_b64 exec, exec, s[40:41]
	s_cbranch_execz .LBB221_20
.LBB221_13:                             ; =>This Inner Loop Header: Depth=1
	v_mul_hi_u32 v25, v13, s44
	s_waitcnt lgkmcnt(0)
	v_mul_lo_u32 v26, v25, s33
	v_sub_u32_e32 v26, v13, v26
	v_add_u32_e32 v27, 1, v25
	v_cmp_le_u32_e64 s[8:9], s33, v26
	s_nop 1
	v_cndmask_b32_e64 v25, v25, v27, s[8:9]
	v_subrev_u32_e32 v27, s33, v26
	v_cndmask_b32_e64 v26, v26, v27, s[8:9]
	v_add_u32_e32 v27, 1, v25
	v_cmp_le_u32_e64 s[8:9], s33, v26
	s_nop 1
	v_cndmask_b32_e64 v25, v25, v27, s[8:9]
	v_xor_b32_e32 v25, s45, v25
	v_subrev_u32_e32 v25, s45, v25
	v_add_u32_e32 v26, s38, v25
	v_sub_u32_e32 v28, 0, v26
	v_ashrrev_i32_e32 v27, 31, v26
	v_max_i32_e32 v26, v26, v28
	v_mul_hi_u32 v28, v26, v12
	v_mul_lo_u32 v28, v28, s48
	v_sub_u32_e32 v26, v26, v28
	v_subrev_u32_e32 v28, s48, v26
	v_cmp_le_u32_e64 s[8:9], s48, v26
	v_cmp_ge_i32_e64 s[10:11], s23, v25
	s_nop 0
	v_cndmask_b32_e64 v26, v26, v28, s[8:9]
	v_subrev_u32_e32 v28, s48, v26
	v_cmp_le_u32_e64 s[8:9], s48, v26
	s_nop 1
	v_cndmask_b32_e64 v26, v26, v28, s[8:9]
	v_xor_b32_e32 v26, v26, v27
	v_sub_u32_e32 v26, v26, v27
	v_cmp_ne_u32_e64 s[8:9], 0, v26
	s_and_b64 s[8:9], s[8:9], s[10:11]
	s_and_saveexec_b64 s[10:11], s[8:9]
	s_xor_b64 s[8:9], exec, s[10:11]
	s_cbranch_execz .LBB221_17
; %bb.14:                               ;   in Loop: Header=BB221_13 Depth=1
	s_and_saveexec_b64 s[10:11], vcc
; %bb.15:                               ;   in Loop: Header=BB221_13 Depth=1
	ds_write_b32 v15, v16
; %bb.16:                               ;   in Loop: Header=BB221_13 Depth=1
	s_or_b64 exec, exec, s[10:11]
.LBB221_17:                             ;   in Loop: Header=BB221_13 Depth=1
	s_andn2_saveexec_b64 s[10:11], s[8:9]
	s_cbranch_execz .LBB221_12
; %bb.18:                               ;   in Loop: Header=BB221_13 Depth=1
	global_load_dword v25, v[8:9], off
	s_waitcnt vmcnt(0)
	v_mad_i64_i32 v[26:27], s[8:9], v25, s49, v[6:7]
	global_load_ubyte v25, v[26:27], off
	global_load_ubyte v28, v[26:27], off offset:8
	global_load_dword v29, v5, s[12:13]
	global_load_ubyte v30, v[26:27], off offset:128
	global_load_ubyte v31, v[26:27], off offset:136
	;; [unrolled: 1-line block ×12, first 2 shown]
	s_nop 0
	global_load_ubyte v26, v[26:27], off offset:896
	ds_read_u16 v42, v11
	s_waitcnt lgkmcnt(0)
	;;#ASMSTART
	v_cvt_f32_f16 v42, v42;
	;;#ASMEND
	v_cmp_lt_i32_e64 s[8:9], v19, v18
	s_waitcnt vmcnt(15)
	v_cvt_f32_fp8_e32 v25, v25
	s_waitcnt vmcnt(14)
	v_cvt_f32_fp8_e32 v28, v28
	v_cndmask_b32_e64 v27, v17, v19, s[8:9]
	s_waitcnt vmcnt(12)
	v_cvt_f32_fp8_e32 v30, v30
	v_fma_mixlo_f16 v25, v29, v25, 0
	s_waitcnt vmcnt(11)
	v_cvt_f32_fp8_e32 v31, v31
	v_and_b32_e32 v25, 0xffff, v25
	s_waitcnt vmcnt(10)
	v_cvt_f32_fp8_e32 v32, v32
	;;#ASMSTART
	v_cvt_f32_f16 v25, v25;
	;;#ASMEND
	ds_read_u16 v43, v11 offset:2
	v_fma_mixlo_f16 v28, v29, v28, 0
	s_waitcnt vmcnt(9)
	v_cvt_f32_fp8_e32 v33, v33
	v_and_b32_e32 v44, 0xffff, v28
	s_waitcnt lgkmcnt(0)
	;;#ASMSTART
	v_cvt_f32_f16 v28, v43;
	;;#ASMEND
	;;#ASMSTART
	v_cvt_f32_f16 v43, v44;
	;;#ASMEND
	s_waitcnt vmcnt(0)
	v_cvt_f32_fp8_e32 v26, v26
	v_fma_mixlo_f16 v30, v29, v30, 0
	v_cvt_f32_fp8_e32 v34, v34
	ds_read_u16 v44, v11 offset:4
	v_fma_mixlo_f16 v26, v29, v26, 0
	v_and_b32_e32 v53, 0xffff, v26
	v_mul_f32_e32 v26, v28, v43
	v_and_b32_e32 v45, 0xffff, v30
	v_fma_mixlo_f16 v31, v29, v31, 0
	v_cvt_f32_fp8_e32 v35, v35
	v_fmac_f32_e32 v26, v42, v25
	s_waitcnt lgkmcnt(0)
	;;#ASMSTART
	v_cvt_f32_f16 v30, v44;
	;;#ASMEND
	;;#ASMSTART
	v_cvt_f32_f16 v44, v45;
	;;#ASMEND
	ds_read_u16 v45, v11 offset:6
	v_and_b32_e32 v46, 0xffff, v31
	v_cvt_f32_fp8_e32 v36, v36
	v_fma_mixlo_f16 v32, v29, v32, 0
	v_fmac_f32_e32 v26, v30, v44
	s_waitcnt lgkmcnt(0)
	;;#ASMSTART
	v_cvt_f32_f16 v31, v45;
	;;#ASMEND
	;;#ASMSTART
	v_cvt_f32_f16 v45, v46;
	;;#ASMEND
	ds_read_u16 v46, v11 offset:8
	v_and_b32_e32 v47, 0xffff, v32
	v_fma_mixlo_f16 v33, v29, v33, 0
	v_fmac_f32_e32 v26, v31, v45
	s_waitcnt lgkmcnt(0)
	;;#ASMSTART
	v_cvt_f32_f16 v32, v46;
	;;#ASMEND
	;;#ASMSTART
	v_cvt_f32_f16 v46, v47;
	;;#ASMEND
	ds_read_u16 v47, v11 offset:10
	v_cvt_f32_fp8_e32 v37, v37
	v_cvt_f32_fp8_e32 v38, v38
	v_and_b32_e32 v48, 0xffff, v33
	v_fma_mixlo_f16 v34, v29, v34, 0
	v_fmac_f32_e32 v26, v32, v46
	s_waitcnt lgkmcnt(0)
	;;#ASMSTART
	v_cvt_f32_f16 v33, v47;
	;;#ASMEND
	;;#ASMSTART
	v_cvt_f32_f16 v47, v48;
	;;#ASMEND
	ds_read_u16 v48, v11 offset:12
	v_and_b32_e32 v49, 0xffff, v34
	v_fma_mixlo_f16 v35, v29, v35, 0
	v_fmac_f32_e32 v26, v33, v47
	v_cvt_f32_fp8_e32 v39, v39
	v_cvt_f32_fp8_e32 v40, v40
	s_waitcnt lgkmcnt(0)
	;;#ASMSTART
	v_cvt_f32_f16 v34, v48;
	;;#ASMEND
	;;#ASMSTART
	v_cvt_f32_f16 v48, v49;
	;;#ASMEND
	ds_read_u16 v49, v11 offset:14
	v_cvt_f32_fp8_e32 v41, v41
	v_and_b32_e32 v50, 0xffff, v35
	v_fma_mixlo_f16 v36, v29, v36, 0
	v_fmac_f32_e32 v26, v34, v48
	s_waitcnt lgkmcnt(0)
	;;#ASMSTART
	v_cvt_f32_f16 v35, v49;
	;;#ASMEND
	;;#ASMSTART
	v_cvt_f32_f16 v49, v50;
	;;#ASMEND
	ds_read_u16 v50, v11 offset:16
	v_and_b32_e32 v51, 0xffff, v36
	v_fmac_f32_e32 v26, v35, v49
	v_fma_mixlo_f16 v37, v29, v37, 0
	v_fma_mixlo_f16 v38, v29, v38, 0
	s_waitcnt lgkmcnt(0)
	;;#ASMSTART
	v_cvt_f32_f16 v36, v50;
	;;#ASMEND
	;;#ASMSTART
	v_cvt_f32_f16 v50, v51;
	;;#ASMEND
	ds_read_u16 v51, v11 offset:18
	v_fmac_f32_e32 v26, v36, v50
	v_and_b32_e32 v52, 0xffff, v37
	s_waitcnt lgkmcnt(0)
	;;#ASMSTART
	v_cvt_f32_f16 v37, v51;
	;;#ASMEND
	;;#ASMSTART
	v_cvt_f32_f16 v51, v52;
	;;#ASMEND
	v_and_b32_e32 v38, 0xffff, v38
	v_fmac_f32_e32 v26, v37, v51
	v_fma_mixlo_f16 v39, v29, v39, 0
	v_fma_mixlo_f16 v40, v29, v40, 0
	;; [unrolled: 1-line block ×3, first 2 shown]
	ds_read_u16 v52, v11 offset:20
	s_waitcnt lgkmcnt(0)
	;;#ASMSTART
	v_cvt_f32_f16 v29, v52;
	;;#ASMEND
	;;#ASMSTART
	v_cvt_f32_f16 v38, v38;
	;;#ASMEND
	v_and_b32_e32 v39, 0xffff, v39
	v_fmac_f32_e32 v26, v29, v38
	ds_read_u16 v52, v11 offset:22
	s_waitcnt lgkmcnt(0)
	;;#ASMSTART
	v_cvt_f32_f16 v25, v52;
	;;#ASMEND
	;;#ASMSTART
	v_cvt_f32_f16 v28, v39;
	;;#ASMEND
	v_and_b32_e32 v40, 0xffff, v40
	v_fmac_f32_e32 v26, v25, v28
	ds_read_u16 v39, v11 offset:24
	s_waitcnt lgkmcnt(0)
	;;#ASMSTART
	v_cvt_f32_f16 v30, v39;
	;;#ASMEND
	;;#ASMSTART
	v_cvt_f32_f16 v31, v40;
	;;#ASMEND
	ds_read_u16 v32, v11 offset:26
	v_fmac_f32_e32 v26, v30, v31
	v_and_b32_e32 v41, 0xffff, v41
	s_waitcnt lgkmcnt(0)
	;;#ASMSTART
	v_cvt_f32_f16 v32, v32;
	;;#ASMEND
	;;#ASMSTART
	v_cvt_f32_f16 v33, v41;
	;;#ASMEND
	v_lshlrev_b32_e32 v27, 2, v27
	v_fmac_f32_e32 v26, v32, v33
	ds_read_u16 v34, v11 offset:28
	s_waitcnt lgkmcnt(0)
	;;#ASMSTART
	v_cvt_f32_f16 v25, v34;
	;;#ASMEND
	;;#ASMSTART
	v_cvt_f32_f16 v28, v53;
	;;#ASMEND
	v_cmp_lt_i32_e64 s[8:9], v20, v18
	v_fmac_f32_e32 v26, v25, v28
	ds_bpermute_b32 v25, v27, v26
	v_cndmask_b32_e64 v27, v17, v20, s[8:9]
	v_lshlrev_b32_e32 v27, 2, v27
	v_cmp_lt_i32_e64 s[8:9], v21, v18
	s_waitcnt lgkmcnt(0)
	v_add_f32_e32 v25, v26, v25
	ds_bpermute_b32 v26, v27, v25
	v_cndmask_b32_e64 v27, v17, v21, s[8:9]
	s_waitcnt lgkmcnt(0)
	v_add_f32_e32 v25, v25, v26
	v_lshlrev_b32_e32 v26, 2, v27
	ds_bpermute_b32 v26, v26, v25
	s_and_saveexec_b64 s[42:43], vcc
	s_cbranch_execz .LBB221_11
; %bb.19:                               ;   in Loop: Header=BB221_13 Depth=1
	v_add_u32_e32 v27, v14, v13
	v_cvt_f32_i32_e32 v27, v27
	s_waitcnt lgkmcnt(0)
	v_add_f32_e32 v25, v25, v26
	v_add_u32_e32 v28, v10, v13
	v_cmp_gt_i32_e64 s[8:9], s25, v28
	v_mul_f32_e32 v26, s47, v27
	v_cndmask_b32_e64 v26, 0, v26, s[0:1]
	v_fmac_f32_e32 v26, s39, v25
	v_cndmask_b32_e64 v25, 0, v26, s[8:9]
	ds_write_b32 v15, v25
	v_max_f32_e32 v25, v4, v4
	v_max_f32_e32 v25, v25, v26
	v_cndmask_b32_e64 v4, v4, v25, s[8:9]
	s_branch .LBB221_11
.LBB221_20:
	s_or_b64 exec, exec, s[40:41]
.LBB221_21:
	s_or_b64 exec, exec, s[18:19]
	v_mbcnt_hi_u32_b32 v3, -1, v3
	v_and_b32_e32 v11, 64, v3
	v_add_u32_e32 v5, 64, v11
	v_xor_b32_e32 v6, 32, v3
	v_cmp_lt_i32_e32 vcc, v6, v5
	v_xor_b32_e32 v8, 16, v3
	v_xor_b32_e32 v9, 8, v3
	v_cndmask_b32_e32 v6, v3, v6, vcc
	v_lshlrev_b32_e32 v6, 2, v6
	ds_bpermute_b32 v7, v6, v4
	v_max_f32_e32 v4, v4, v4
	v_cmp_lt_i32_e32 vcc, v8, v5
	v_and_b32_e32 v25, 63, v0
	s_waitcnt lgkmcnt(0)
	v_max_f32_e32 v7, v7, v7
	v_max_f32_e32 v4, v4, v7
	v_cndmask_b32_e32 v7, v3, v8, vcc
	v_lshlrev_b32_e32 v8, 2, v7
	ds_bpermute_b32 v7, v8, v4
	v_cmp_lt_i32_e32 vcc, v9, v5
	s_waitcnt lgkmcnt(0)
	v_max_f32_e32 v7, v7, v7
	v_max_f32_e32 v7, v4, v7
	v_cndmask_b32_e32 v4, v3, v9, vcc
	v_lshlrev_b32_e32 v10, 2, v4
	ds_bpermute_b32 v9, v10, v7
	v_cmp_eq_u32_e32 vcc, 0, v25
	v_lshlrev_b32_e32 v4, 2, v23
	s_and_saveexec_b64 s[0:1], vcc
	s_cbranch_execz .LBB221_23
; %bb.22:
	s_waitcnt lgkmcnt(0)
	v_max_f32_e32 v9, v9, v9
	v_max_f32_e32 v7, v7, v7
	;; [unrolled: 1-line block ×3, first 2 shown]
	ds_write_b32 v4, v7 offset:240
.LBB221_23:
	s_or_b64 exec, exec, s[0:1]
	v_cmp_gt_u32_e64 s[0:1], 2, v25
	v_mov_b32_e32 v12, 0xff7fffff
	v_lshlrev_b32_e32 v7, 2, v25
	s_waitcnt lgkmcnt(0)
	s_barrier
	s_and_saveexec_b64 s[8:9], s[0:1]
; %bb.24:
	ds_read_b32 v12, v7 offset:240
; %bb.25:
	s_or_b64 exec, exec, s[8:9]
	v_xor_b32_e32 v9, 1, v3
	v_cmp_lt_i32_e64 s[8:9], v9, v5
	v_lshlrev_b32_e32 v11, 2, v11
	s_nop 0
	v_cndmask_b32_e64 v9, v3, v9, s[8:9]
	v_lshlrev_b32_e32 v9, 2, v9
	s_waitcnt lgkmcnt(0)
	ds_bpermute_b32 v13, v9, v12
	v_max_f32_e32 v12, v12, v12
	s_lshl_b32 s8, s46, 3
	s_min_i32 s23, s8, s25
	v_cmp_gt_i32_e64 s[8:9], s23, v0
	s_waitcnt lgkmcnt(0)
	v_max_f32_e32 v13, v13, v13
	v_max_f32_e32 v12, v12, v13
	ds_bpermute_b32 v12, v11, v12
	v_mov_b32_e32 v11, 0
	s_and_saveexec_b64 s[12:13], s[8:9]
	s_cbranch_execz .LBB221_29
; %bb.26:
	v_mov_b32_e32 v11, 0x100
	v_lshl_add_u32 v13, v0, 2, v11
	v_mov_b32_e32 v11, 0
	s_mov_b64 s[18:19], 0
	v_mov_b32_e32 v14, v0
.LBB221_27:                             ; =>This Inner Loop Header: Depth=1
	ds_read_b32 v15, v13
	v_add_u32_e32 v14, 0x80, v14
	v_cmp_le_i32_e64 s[10:11], s23, v14
	s_or_b64 s[18:19], s[10:11], s[18:19]
	s_waitcnt lgkmcnt(0)
	v_sub_f32_e32 v15, v15, v12
	v_mul_f32_e32 v15, 0x3fb8aa3b, v15
	v_exp_f32_e32 v15, v15
	ds_write_b32 v13, v15
	v_add_f32_e32 v11, v11, v15
	v_add_u32_e32 v13, 0x200, v13
	s_andn2_b64 exec, exec, s[18:19]
	s_cbranch_execnz .LBB221_27
; %bb.28:
	s_or_b64 exec, exec, s[18:19]
.LBB221_29:
	s_or_b64 exec, exec, s[12:13]
	ds_bpermute_b32 v6, v6, v11
	s_waitcnt lgkmcnt(0)
	v_add_f32_e32 v6, v11, v6
	ds_bpermute_b32 v8, v8, v6
	s_waitcnt lgkmcnt(0)
	v_add_f32_e32 v6, v6, v8
	ds_bpermute_b32 v8, v10, v6
	v_xor_b32_e32 v10, 4, v3
	v_cmp_lt_i32_e64 s[10:11], v10, v5
	s_waitcnt lgkmcnt(0)
	v_add_f32_e32 v6, v6, v8
	v_cndmask_b32_e64 v10, v3, v10, s[10:11]
	v_lshlrev_b32_e32 v10, 2, v10
	ds_bpermute_b32 v8, v10, v6
	v_xor_b32_e32 v10, 2, v3
	v_cmp_lt_i32_e64 s[10:11], v10, v5
	s_waitcnt lgkmcnt(0)
	v_add_f32_e32 v6, v6, v8
	v_cndmask_b32_e64 v5, v3, v10, s[10:11]
	v_lshlrev_b32_e32 v5, 2, v5
	ds_bpermute_b32 v5, v5, v6
	s_waitcnt lgkmcnt(0)
	v_add_f32_e32 v5, v6, v5
	ds_bpermute_b32 v6, v9, v5
	s_waitcnt lgkmcnt(0)
	v_add_f32_e32 v5, v5, v6
	s_and_saveexec_b64 s[10:11], vcc
; %bb.30:
	ds_write_b32 v4, v5 offset:248
; %bb.31:
	s_or_b64 exec, exec, s[10:11]
	s_waitcnt lgkmcnt(0)
	s_barrier
	s_and_saveexec_b64 s[10:11], s[0:1]
; %bb.32:
	ds_read_b32 v5, v7 offset:248
; %bb.33:
	s_or_b64 exec, exec, s[10:11]
	s_waitcnt lgkmcnt(0)
	ds_bpermute_b32 v4, v9, v5
	v_lshlrev_b32_e32 v3, 2, v3
	v_and_b32_e32 v3, 0x100, v3
	s_waitcnt lgkmcnt(0)
	v_add_f32_e32 v4, v5, v4
	ds_bpermute_b32 v3, v3, v4
	s_and_saveexec_b64 s[0:1], s[8:9]
	s_cbranch_execz .LBB221_46
; %bb.34:
	s_waitcnt lgkmcnt(0)
	v_add_f32_e32 v3, 0x358637bd, v3
	v_div_scale_f32 v4, s[8:9], v3, v3, 1.0
	v_rcp_f32_e32 v5, v4
	v_div_scale_f32 v6, vcc, 1.0, v3, 1.0
	s_movk_i32 s8, 0x7f
	v_fma_f32 v7, -v4, v5, 1.0
	v_fmac_f32_e32 v5, v7, v5
	v_mul_f32_e32 v7, v6, v5
	v_fma_f32 v8, -v4, v7, v6
	v_fmac_f32_e32 v7, v8, v5
	v_fma_f32 v4, -v4, v7, v6
	v_div_fmas_f32 v4, v4, v5, v7
	v_xad_u32 v5, v0, -1, s23
	v_div_fixup_f32 v4, v4, v3, 1.0
	v_cmp_lt_u32_e32 vcc, s8, v5
	s_mov_b64 s[10:11], -1
	v_mov_b32_e32 v3, v0
	s_and_saveexec_b64 s[8:9], vcc
	s_cbranch_execz .LBB221_43
; %bb.35:
	v_lshrrev_b32_e32 v3, 7, v5
	v_add_u32_e32 v7, -1, v3
	v_lshrrev_b32_e32 v6, 1, v7
	v_mov_b32_e32 v5, v4
	v_add_u32_e32 v6, 1, v6
	v_cmp_lt_u32_e32 vcc, 13, v7
	v_mov_b32_e32 v9, 0
	s_and_saveexec_b64 s[10:11], vcc
	s_cbranch_execz .LBB221_39
; %bb.36:
	v_mov_b32_e32 v8, 0x100
	v_and_b32_e32 v7, -8, v6
	v_lshl_add_u32 v8, v0, 2, v8
	s_mov_b32 s18, 0
	s_mov_b64 s[12:13], 0
.LBB221_37:                             ; =>This Inner Loop Header: Depth=1
	ds_read2st64_b32 v[10:11], v8 offset1:2
	ds_read2st64_b32 v[12:13], v8 offset0:4 offset1:6
	ds_read2st64_b32 v[14:15], v8 offset0:8 offset1:10
	;; [unrolled: 1-line block ×3, first 2 shown]
	v_add_u32_e32 v7, -8, v7
	s_waitcnt lgkmcnt(3)
	v_pk_mul_f32 v[10:11], v[4:5], v[10:11]
	s_waitcnt lgkmcnt(2)
	v_pk_mul_f32 v[12:13], v[4:5], v[12:13]
	ds_write2st64_b32 v8, v10, v11 offset1:2
	ds_write2st64_b32 v8, v12, v13 offset0:4 offset1:6
	ds_read2st64_b32 v[12:13], v8 offset0:16 offset1:18
	s_waitcnt lgkmcnt(4)
	v_pk_mul_f32 v[10:11], v[4:5], v[14:15]
	ds_write2st64_b32 v8, v10, v11 offset0:8 offset1:10
	s_waitcnt lgkmcnt(4)
	v_pk_mul_f32 v[10:11], v[4:5], v[16:17]
	ds_write2st64_b32 v8, v10, v11 offset0:12 offset1:14
	ds_read2st64_b32 v[10:11], v8 offset0:20 offset1:22
	s_waitcnt lgkmcnt(3)
	v_pk_mul_f32 v[12:13], v[4:5], v[12:13]
	ds_read2st64_b32 v[14:15], v8 offset0:24 offset1:26
	ds_write2st64_b32 v8, v12, v13 offset0:16 offset1:18
	ds_read2st64_b32 v[12:13], v8 offset0:28 offset1:30
	s_waitcnt lgkmcnt(3)
	v_pk_mul_f32 v[10:11], v[4:5], v[10:11]
	ds_write2st64_b32 v8, v10, v11 offset0:20 offset1:22
	s_waitcnt lgkmcnt(3)
	v_pk_mul_f32 v[10:11], v[4:5], v[14:15]
	ds_write2st64_b32 v8, v10, v11 offset0:24 offset1:26
	s_waitcnt lgkmcnt(2)
	v_pk_mul_f32 v[10:11], v[4:5], v[12:13]
	s_add_i32 s18, s18, 16
	v_cmp_eq_u32_e32 vcc, 0, v7
	ds_write2st64_b32 v8, v10, v11 offset0:28 offset1:30
	v_add_u32_e32 v8, 0x2000, v8
	s_or_b64 s[12:13], vcc, s[12:13]
	v_mov_b32_e32 v9, s18
	s_andn2_b64 exec, exec, s[12:13]
	s_cbranch_execnz .LBB221_37
; %bb.38:
	s_or_b64 exec, exec, s[12:13]
.LBB221_39:
	s_or_b64 exec, exec, s[10:11]
	v_and_b32_e32 v6, 7, v6
	v_cmp_ne_u32_e32 vcc, 0, v6
	s_and_saveexec_b64 s[10:11], vcc
	s_cbranch_execz .LBB221_42
; %bb.40:
	v_lshlrev_b32_e32 v7, 9, v9
	v_lshlrev_b32_e32 v8, 2, v0
	s_movk_i32 s12, 0x100
	v_add3_u32 v7, v7, v8, s12
	s_mov_b64 s[12:13], 0
.LBB221_41:                             ; =>This Inner Loop Header: Depth=1
	ds_read2st64_b32 v[8:9], v7 offset1:2
	v_add_u32_e32 v6, -1, v6
	v_cmp_eq_u32_e32 vcc, 0, v6
	s_or_b64 s[12:13], vcc, s[12:13]
	s_waitcnt lgkmcnt(0)
	v_pk_mul_f32 v[8:9], v[4:5], v[8:9]
	ds_write2st64_b32 v7, v8, v9 offset1:2
	v_add_u32_e32 v7, 0x400, v7
	s_andn2_b64 exec, exec, s[12:13]
	s_cbranch_execnz .LBB221_41
.LBB221_42:
	s_or_b64 exec, exec, s[10:11]
	v_add_u32_e32 v5, 1, v3
	v_and_b32_e32 v6, 0x3fffffe, v5
	v_cmp_ne_u32_e32 vcc, v5, v6
	v_lshl_add_u32 v3, v6, 7, v0
	s_orn2_b64 s[10:11], vcc, exec
.LBB221_43:
	s_or_b64 exec, exec, s[8:9]
	s_and_b64 exec, exec, s[10:11]
	s_cbranch_execz .LBB221_46
; %bb.44:
	v_mov_b32_e32 v5, 0x100
	v_lshl_add_u32 v5, v3, 2, v5
	s_mov_b64 s[8:9], 0
.LBB221_45:                             ; =>This Inner Loop Header: Depth=1
	ds_read_b32 v6, v5
	v_add_u32_e32 v3, 0x80, v3
	v_cmp_le_i32_e32 vcc, s23, v3
	s_or_b64 s[8:9], vcc, s[8:9]
	s_waitcnt lgkmcnt(0)
	v_mul_f32_e32 v6, v4, v6
	ds_write_b32 v5, v6
	v_add_u32_e32 v5, 0x200, v5
	s_andn2_b64 exec, exec, s[8:9]
	s_cbranch_execnz .LBB221_45
.LBB221_46:
	s_or_b64 exec, exec, s[0:1]
	v_mov_b32_e32 v27, 0
	v_mov_b32_e32 v26, 0
	s_waitcnt lgkmcnt(0)
	s_barrier
	s_and_saveexec_b64 s[8:9], s[2:3]
	s_cbranch_execz .LBB221_154
; %bb.47:
	s_sub_i32 s39, s16, s21
	s_ashr_i32 s0, s20, 31
	s_add_u32 s10, s36, s20
	s_addc_u32 s11, s37, s0
	s_abs_i32 s37, s22
	v_cvt_f32_u32_e32 v3, s37
	v_or_b32_e32 v6, 64, v25
	s_movk_i32 s0, 0x78
	v_cmp_gt_u32_e32 vcc, s0, v6
	v_rcp_iflag_f32_e32 v3, v3
	s_sub_i32 s0, 0, s37
	s_add_i32 s36, s46, -1
	v_lshlrev_b32_e32 v8, 3, v6
	v_mul_f32_e32 v3, 0x4f7ffffe, v3
	v_cvt_u32_f32_e32 v3, v3
	s_mov_b32 s12, -1
	v_mov_b32_e32 v7, 0
	s_mov_b32 s40, s17
	v_mul_lo_u32 v6, s0, v3
	s_lshl_b64 s[0:1], s[34:35], 2
	v_mul_hi_u32 v6, v3, v6
	s_add_u32 s0, s30, s0
	v_add_u32_e32 v28, v3, v6
	v_and_b32_e32 v6, 60, v1
	s_addc_u32 s1, s31, s1
	v_mov_b32_e32 v1, 0x100
	s_mov_b32 s13, 0xffffff
	v_lshlrev_b32_e32 v4, 3, v25
	v_mov_b32_e32 v5, v7
	v_mov_b32_e32 v9, v7
	s_mov_b32 s41, s25
	v_lshl_add_u64 v[10:11], s[0:1], 0, v[6:7]
	v_lshl_add_u32 v29, v23, 5, v1
	s_mov_b64 s[16:17], 0
	s_movk_i32 s42, 0x80
	s_movk_i32 s43, 0x7f
	s_mov_b32 s47, 0x8000
	v_mov_b32_e32 v30, 0x2000
	v_mov_b32_e32 v26, 0
	;; [unrolled: 1-line block ×3, first 2 shown]
	s_branch .LBB221_51
.LBB221_48:                             ;   in Loop: Header=BB221_51 Depth=1
	s_or_b64 exec, exec, s[22:23]
	;;#ASMSTART
	v_pk_mul_f16 v1, v34, v1;

	;;#ASMEND
	;;#ASMSTART
	v_pk_mul_f16 v3, v33, v14;

	;;#ASMEND
	;; [unrolled: 4-line block ×4, first 2 shown]
	s_nop 0
	;;#ASMSTART
	v_pk_add_f16 v1, v1, v3;

	;;#ASMEND
	s_nop 0
	;;#ASMSTART
	v_pk_add_f16 v1, v1, v6;

	;;#ASMEND
	;; [unrolled: 5-line block ×3, first 2 shown]
	s_nop 0
	v_lshrrev_b32_e32 v3, 16, v1
	v_and_b32_e32 v1, 0xffff, v1
	;;#ASMSTART
	v_cvt_f32_f16 v1, v1;
	;;#ASMEND
	;;#ASMSTART
	v_cvt_f32_f16 v3, v3;
	;;#ASMEND
	s_nop 0
	v_add_f32_e32 v1, v1, v3
	v_add_f32_e32 v26, v26, v1
.LBB221_49:                             ;   in Loop: Header=BB221_51 Depth=1
	s_or_b64 exec, exec, s[20:21]
	v_add_f32_e32 v1, v21, v22
	v_add_f32_e32 v27, v27, v1
.LBB221_50:                             ;   in Loop: Header=BB221_51 Depth=1
	s_or_b64 exec, exec, s[18:19]
	v_add_u32_e32 v23, 2, v23
	v_cmp_le_i32_e64 s[0:1], s46, v23
	v_lshl_add_u64 v[10:11], v[10:11], 0, 8
	v_add_u32_e32 v24, 16, v24
	s_or_b64 s[16:17], s[0:1], s[16:17]
	v_add_u32_e32 v29, 64, v29
	s_andn2_b64 exec, exec, s[16:17]
	s_cbranch_execz .LBB221_153
.LBB221_51:                             ; =>This Inner Loop Header: Depth=1
	v_mul_hi_u32 v1, v24, s44
	v_mul_lo_u32 v3, v1, s33
	v_sub_u32_e32 v3, v24, v3
	v_add_u32_e32 v6, 1, v1
	v_cmp_le_u32_e64 s[0:1], s33, v3
	s_nop 1
	v_cndmask_b32_e64 v1, v1, v6, s[0:1]
	v_subrev_u32_e32 v6, s33, v3
	v_cndmask_b32_e64 v3, v3, v6, s[0:1]
	v_add_u32_e32 v6, 1, v1
	v_cmp_le_u32_e64 s[0:1], s33, v3
	s_nop 1
	v_cndmask_b32_e64 v1, v1, v6, s[0:1]
	v_xor_b32_e32 v1, s45, v1
	v_subrev_u32_e32 v1, s45, v1
	v_add_u32_e32 v3, s38, v1
	v_sub_u32_e32 v12, 0, v3
	v_ashrrev_i32_e32 v6, 31, v3
	v_max_i32_e32 v3, v3, v12
	v_mul_hi_u32 v12, v3, v28
	v_mul_lo_u32 v12, v12, s37
	v_sub_u32_e32 v3, v3, v12
	v_subrev_u32_e32 v12, s37, v3
	v_cmp_le_u32_e64 s[0:1], s37, v3
	v_cmp_lt_i32_e64 s[2:3], s39, v1
	s_nop 0
	v_cndmask_b32_e64 v3, v3, v12, s[0:1]
	v_subrev_u32_e32 v12, s37, v3
	v_cmp_le_u32_e64 s[0:1], s37, v3
	s_nop 1
	v_cndmask_b32_e64 v3, v3, v12, s[0:1]
	v_xor_b32_e32 v3, v3, v6
	v_sub_u32_e32 v3, v3, v6
	v_cmp_eq_u32_e64 s[0:1], 0, v3
	s_or_b64 s[0:1], s[0:1], s[2:3]
	s_and_saveexec_b64 s[18:19], s[0:1]
	s_cbranch_execz .LBB221_50
; %bb.52:                               ;   in Loop: Header=BB221_51 Depth=1
	global_load_dword v1, v[10:11], off
	ds_read2_b64 v[12:15], v29 offset1:1
	ds_read2_b64 v[16:19], v29 offset0:2 offset1:3
	v_mov_b64_e32 v[20:21], s[10:11]
	v_mov_b32_e32 v3, 0
	s_waitcnt lgkmcnt(1)
	;;#ASMSTART
	v_cvt_f16_f32 v31, v12;

	;;#ASMEND
	;;#ASMSTART
	v_cvt_f16_f32 v32, v13;

	;;#ASMEND
	;; [unrolled: 4-line block ×4, first 2 shown]
	s_waitcnt lgkmcnt(0)
	;;#ASMSTART
	v_cvt_f16_f32 v36, v16;

	;;#ASMEND
	;;#ASMSTART
	v_cvt_f16_f32 v37, v17;

	;;#ASMEND
	;; [unrolled: 4-line block ×4, first 2 shown]
	s_waitcnt vmcnt(0)
	v_mad_i64_i32 v[12:13], s[0:1], v1, s40, v[20:21]
	v_lshl_add_u64 v[14:15], v[12:13], 0, v[4:5]
	global_load_dwordx2 v[16:17], v[14:15], off
	v_mov_b32_e32 v1, 0
	global_load_dword v14, v1, s[14:15]
	s_waitcnt vmcnt(1)
	v_cmp_ne_u16_sdwa s[0:1], v16, v7 src0_sel:BYTE_0 src1_sel:DWORD
	s_and_saveexec_b64 s[2:3], s[0:1]
	s_cbranch_execz .LBB221_58
; %bb.53:                               ;   in Loop: Header=BB221_51 Depth=1
	v_cmp_ne_u16_sdwa s[0:1], v16, s42 src0_sel:BYTE_0 src1_sel:DWORD
	v_mov_b32_e32 v3, 0x8000
	s_and_saveexec_b64 s[20:21], s[0:1]
	s_cbranch_execz .LBB221_57
; %bb.54:                               ;   in Loop: Header=BB221_51 Depth=1
	v_and_b32_e32 v6, 0x7f, v16
	v_cmp_ne_u32_e64 s[0:1], s43, v6
	v_mov_b32_e32 v3, 0x7c01
	s_and_saveexec_b64 s[22:23], s[0:1]
	s_cbranch_execz .LBB221_56
; %bb.55:                               ;   in Loop: Header=BB221_51 Depth=1
	v_and_b32_e32 v3, 7, v16
	v_ffbh_u32_e32 v18, v3
	v_min_u32_e32 v20, 32, v18
	v_subrev_u32_e32 v18, 28, v20
	v_lshlrev_b64 v[18:19], v18, v[16:17]
	v_lshrrev_b32_e32 v15, 3, v6
	v_sub_u32_e32 v19, 29, v20
	v_cmp_gt_u32_e64 s[0:1], 8, v6
	v_and_b32_e32 v18, 7, v18
	s_nop 0
	v_cndmask_b32_e64 v6, v15, v19, s[0:1]
	v_lshl_add_u32 v6, v6, 10, v30
	v_lshlrev_b32_e32 v15, 8, v16
	v_and_b32_e32 v6, 0xfc00, v6
	v_cndmask_b32_e64 v3, v3, v18, s[0:1]
	v_and_or_b32 v6, v15, s47, v6
	v_lshl_or_b32 v3, v3, 7, v6
.LBB221_56:                             ;   in Loop: Header=BB221_51 Depth=1
	s_or_b64 exec, exec, s[22:23]
.LBB221_57:                             ;   in Loop: Header=BB221_51 Depth=1
	s_or_b64 exec, exec, s[20:21]
.LBB221_58:                             ;   in Loop: Header=BB221_51 Depth=1
	s_or_b64 exec, exec, s[2:3]
	v_lshrrev_b16_e32 v6, 8, v16
	v_cmp_ne_u16_e64 s[0:1], 0, v6
	s_and_saveexec_b64 s[2:3], s[0:1]
	s_cbranch_execz .LBB221_64
; %bb.59:                               ;   in Loop: Header=BB221_51 Depth=1
	v_cmp_ne_u16_e64 s[0:1], s42, v6
	v_bfrev_b32_e32 v1, 1
	s_and_saveexec_b64 s[20:21], s[0:1]
	s_cbranch_execz .LBB221_63
; %bb.60:                               ;   in Loop: Header=BB221_51 Depth=1
	v_and_b32_e32 v15, 0x7f, v6
	v_cmp_ne_u32_e64 s[0:1], s43, v15
	v_mov_b32_e32 v1, 0x7c010000
	s_and_saveexec_b64 s[22:23], s[0:1]
	s_cbranch_execz .LBB221_62
; %bb.61:                               ;   in Loop: Header=BB221_51 Depth=1
	v_and_b32_e32 v1, 7, v6
	v_ffbh_u32_e32 v18, v1
	v_min_u32_e32 v21, 32, v18
	v_subrev_u32_e32 v18, 28, v21
	v_lshlrev_b64 v[18:19], v18, v[6:7]
	v_lshrrev_b32_e32 v20, 3, v15
	v_sub_u32_e32 v19, 29, v21
	v_cmp_gt_u32_e64 s[0:1], 8, v15
	v_lshlrev_b32_e32 v6, 8, v6
	v_and_b32_e32 v18, 7, v18
	v_cndmask_b32_e64 v15, v20, v19, s[0:1]
	v_lshl_add_u32 v15, v15, 10, v30
	v_and_or_b32 v6, v6, s47, v15
	v_cndmask_b32_e64 v1, v1, v18, s[0:1]
	v_lshlrev_b32_e32 v6, 16, v6
	v_lshl_or_b32 v1, v1, 23, v6
.LBB221_62:                             ;   in Loop: Header=BB221_51 Depth=1
	s_or_b64 exec, exec, s[22:23]
.LBB221_63:                             ;   in Loop: Header=BB221_51 Depth=1
	s_or_b64 exec, exec, s[20:21]
.LBB221_64:                             ;   in Loop: Header=BB221_51 Depth=1
	s_or_b64 exec, exec, s[2:3]
	v_lshrrev_b32_e32 v6, 16, v16
	v_cmp_ne_u16_sdwa s[0:1], v6, v7 src0_sel:BYTE_0 src1_sel:DWORD
	v_mov_b32_e32 v18, 0
	v_mov_b32_e32 v15, 0
	s_and_saveexec_b64 s[2:3], s[0:1]
	s_cbranch_execz .LBB221_70
; %bb.65:                               ;   in Loop: Header=BB221_51 Depth=1
	v_cmp_ne_u16_sdwa s[0:1], v6, s42 src0_sel:BYTE_0 src1_sel:DWORD
	v_mov_b32_e32 v15, 0x8000
	s_and_saveexec_b64 s[20:21], s[0:1]
	s_cbranch_execz .LBB221_69
; %bb.66:                               ;   in Loop: Header=BB221_51 Depth=1
	v_bfe_u32 v19, v16, 16, 7
	v_cmp_ne_u32_e64 s[0:1], s43, v19
	v_mov_b32_e32 v15, 0x7c01
	s_and_saveexec_b64 s[22:23], s[0:1]
	s_cbranch_execz .LBB221_68
; %bb.67:                               ;   in Loop: Header=BB221_51 Depth=1
	v_and_b32_e32 v15, 7, v6
	v_ffbh_u32_e32 v20, v15
	v_min_u32_e32 v34, 32, v20
	v_subrev_u32_e32 v20, 28, v34
	v_lshlrev_b64 v[20:21], v20, v[6:7]
	v_lshrrev_b32_e32 v22, 3, v19
	v_sub_u32_e32 v21, 29, v34
	v_cmp_gt_u32_e64 s[0:1], 8, v19
	v_lshlrev_b32_e32 v6, 8, v6
	v_and_b32_e32 v20, 7, v20
	v_cndmask_b32_e64 v19, v22, v21, s[0:1]
	v_lshl_add_u32 v19, v19, 10, v30
	v_and_b32_e32 v19, 0xfc00, v19
	v_cndmask_b32_e64 v15, v15, v20, s[0:1]
	v_and_or_b32 v6, v6, s47, v19
	v_lshl_or_b32 v15, v15, 7, v6
.LBB221_68:                             ;   in Loop: Header=BB221_51 Depth=1
	s_or_b64 exec, exec, s[22:23]
.LBB221_69:                             ;   in Loop: Header=BB221_51 Depth=1
	s_or_b64 exec, exec, s[20:21]
.LBB221_70:                             ;   in Loop: Header=BB221_51 Depth=1
	s_or_b64 exec, exec, s[2:3]
	v_cmp_lt_u32_e64 s[0:1], s13, v16
	s_and_saveexec_b64 s[2:3], s[0:1]
	s_cbranch_execz .LBB221_76
; %bb.71:                               ;   in Loop: Header=BB221_51 Depth=1
	v_lshrrev_b32_e32 v6, 24, v16
	v_cmp_ne_u32_e64 s[0:1], s42, v6
	v_bfrev_b32_e32 v18, 1
	s_and_saveexec_b64 s[20:21], s[0:1]
	s_cbranch_execz .LBB221_75
; %bb.72:                               ;   in Loop: Header=BB221_51 Depth=1
	v_and_b32_e32 v19, 0x7f, v6
	v_cmp_ne_u32_e64 s[0:1], s43, v19
	v_mov_b32_e32 v18, 0x7c010000
	s_and_saveexec_b64 s[22:23], s[0:1]
	s_cbranch_execz .LBB221_74
; %bb.73:                               ;   in Loop: Header=BB221_51 Depth=1
	v_and_b32_e32 v18, 7, v6
	v_ffbh_u32_e32 v20, v18
	v_min_u32_e32 v34, 32, v20
	v_subrev_u32_e32 v20, 28, v34
	v_lshlrev_b64 v[20:21], v20, v[6:7]
	v_lshrrev_b32_e32 v22, 3, v19
	v_sub_u32_e32 v21, 29, v34
	v_cmp_gt_u32_e64 s[0:1], 8, v19
	v_lshlrev_b32_e32 v6, 8, v6
	v_and_b32_e32 v20, 7, v20
	v_cndmask_b32_e64 v19, v22, v21, s[0:1]
	v_lshl_add_u32 v19, v19, 10, v30
	v_and_or_b32 v6, v6, s47, v19
	v_cndmask_b32_e64 v18, v18, v20, s[0:1]
	v_lshlrev_b32_e32 v6, 16, v6
	v_lshl_or_b32 v18, v18, 23, v6
.LBB221_74:                             ;   in Loop: Header=BB221_51 Depth=1
	s_or_b64 exec, exec, s[22:23]
.LBB221_75:                             ;   in Loop: Header=BB221_51 Depth=1
	s_or_b64 exec, exec, s[20:21]
.LBB221_76:                             ;   in Loop: Header=BB221_51 Depth=1
	s_or_b64 exec, exec, s[2:3]
	v_mov_b32_e32 v6, v17
	v_cmp_ne_u16_sdwa s[0:1], v17, v7 src0_sel:BYTE_0 src1_sel:DWORD
	v_mov_b32_e32 v19, 0
	v_mov_b32_e32 v20, 0
	s_and_saveexec_b64 s[2:3], s[0:1]
	s_cbranch_execz .LBB221_82
; %bb.77:                               ;   in Loop: Header=BB221_51 Depth=1
	v_cmp_ne_u16_sdwa s[0:1], v17, s42 src0_sel:BYTE_0 src1_sel:DWORD
	v_mov_b32_e32 v20, 0x8000
	s_and_saveexec_b64 s[20:21], s[0:1]
	s_cbranch_execz .LBB221_81
; %bb.78:                               ;   in Loop: Header=BB221_51 Depth=1
	v_and_b32_e32 v21, 0x7f, v17
	v_cmp_ne_u32_e64 s[0:1], s43, v21
	v_mov_b32_e32 v20, 0x7c01
	s_and_saveexec_b64 s[22:23], s[0:1]
	s_cbranch_execz .LBB221_80
; %bb.79:                               ;   in Loop: Header=BB221_51 Depth=1
	v_and_b32_e32 v20, 7, v17
	v_ffbh_u32_e32 v34, v20
	v_min_u32_e32 v34, 32, v34
	v_lshrrev_b32_e32 v22, 3, v21
	v_subrev_u32_e32 v40, 28, v34
	v_sub_u32_e32 v34, 29, v34
	v_cmp_gt_u32_e64 s[0:1], 8, v21
	v_lshlrev_b64 v[40:41], v40, v[6:7]
	s_nop 0
	v_cndmask_b32_e64 v21, v22, v34, s[0:1]
	v_lshl_add_u32 v21, v21, 10, v30
	v_lshlrev_b32_e32 v22, 8, v17
	v_and_b32_e32 v34, 7, v40
	v_and_b32_e32 v21, 0xfc00, v21
	v_cndmask_b32_e64 v20, v20, v34, s[0:1]
	v_and_or_b32 v21, v22, s47, v21
	v_lshl_or_b32 v20, v20, 7, v21
.LBB221_80:                             ;   in Loop: Header=BB221_51 Depth=1
	s_or_b64 exec, exec, s[22:23]
.LBB221_81:                             ;   in Loop: Header=BB221_51 Depth=1
	s_or_b64 exec, exec, s[20:21]
.LBB221_82:                             ;   in Loop: Header=BB221_51 Depth=1
	s_or_b64 exec, exec, s[2:3]
	v_lshrrev_b16_e32 v6, 8, v6
	v_cmp_ne_u16_e64 s[0:1], 0, v6
	v_mov_b32_e32 v21, 0
	s_and_saveexec_b64 s[2:3], s[0:1]
	s_cbranch_execz .LBB221_88
; %bb.83:                               ;   in Loop: Header=BB221_51 Depth=1
	v_cmp_ne_u16_e64 s[0:1], s42, v6
	v_bfrev_b32_e32 v21, 1
	s_and_saveexec_b64 s[20:21], s[0:1]
	s_cbranch_execz .LBB221_87
; %bb.84:                               ;   in Loop: Header=BB221_51 Depth=1
	v_and_b32_e32 v22, 0x7f, v6
	v_cmp_ne_u32_e64 s[0:1], s43, v22
	v_mov_b32_e32 v21, 0x7c010000
	s_and_saveexec_b64 s[22:23], s[0:1]
	s_cbranch_execz .LBB221_86
; %bb.85:                               ;   in Loop: Header=BB221_51 Depth=1
	v_and_b32_e32 v21, 7, v6
	v_ffbh_u32_e32 v40, v21
	v_min_u32_e32 v42, 32, v40
	v_subrev_u32_e32 v40, 28, v42
	v_lshlrev_b64 v[40:41], v40, v[6:7]
	v_lshrrev_b32_e32 v34, 3, v22
	v_sub_u32_e32 v41, 29, v42
	v_cmp_gt_u32_e64 s[0:1], 8, v22
	v_lshlrev_b32_e32 v6, 8, v6
	s_nop 0
	v_cndmask_b32_e64 v22, v34, v41, s[0:1]
	v_lshl_add_u32 v22, v22, 10, v30
	v_and_b32_e32 v34, 7, v40
	v_and_or_b32 v6, v6, s47, v22
	v_cndmask_b32_e64 v21, v21, v34, s[0:1]
	v_lshlrev_b32_e32 v6, 16, v6
	v_lshl_or_b32 v21, v21, 23, v6
.LBB221_86:                             ;   in Loop: Header=BB221_51 Depth=1
	s_or_b64 exec, exec, s[22:23]
.LBB221_87:                             ;   in Loop: Header=BB221_51 Depth=1
	s_or_b64 exec, exec, s[20:21]
.LBB221_88:                             ;   in Loop: Header=BB221_51 Depth=1
	s_or_b64 exec, exec, s[2:3]
	v_lshrrev_b32_e32 v6, 16, v17
	v_cmp_ne_u16_sdwa s[0:1], v6, v7 src0_sel:BYTE_0 src1_sel:DWORD
	s_and_saveexec_b64 s[2:3], s[0:1]
	s_cbranch_execz .LBB221_94
; %bb.89:                               ;   in Loop: Header=BB221_51 Depth=1
	v_cmp_ne_u16_sdwa s[0:1], v6, s42 src0_sel:BYTE_0 src1_sel:DWORD
	v_mov_b32_e32 v19, 0x8000
	s_and_saveexec_b64 s[20:21], s[0:1]
	s_cbranch_execz .LBB221_93
; %bb.90:                               ;   in Loop: Header=BB221_51 Depth=1
	v_bfe_u32 v22, v17, 16, 7
	v_cmp_ne_u32_e64 s[0:1], s43, v22
	v_mov_b32_e32 v19, 0x7c01
	s_and_saveexec_b64 s[22:23], s[0:1]
	s_cbranch_execz .LBB221_92
; %bb.91:                               ;   in Loop: Header=BB221_51 Depth=1
	v_and_b32_e32 v19, 7, v6
	v_ffbh_u32_e32 v40, v19
	v_min_u32_e32 v42, 32, v40
	v_subrev_u32_e32 v40, 28, v42
	v_lshlrev_b64 v[40:41], v40, v[6:7]
	v_lshrrev_b32_e32 v34, 3, v22
	v_sub_u32_e32 v41, 29, v42
	v_cmp_gt_u32_e64 s[0:1], 8, v22
	v_lshlrev_b32_e32 v6, 8, v6
	s_nop 0
	v_cndmask_b32_e64 v22, v34, v41, s[0:1]
	v_lshl_add_u32 v22, v22, 10, v30
	v_and_b32_e32 v34, 7, v40
	v_and_b32_e32 v22, 0xfc00, v22
	v_cndmask_b32_e64 v19, v19, v34, s[0:1]
	v_and_or_b32 v6, v6, s47, v22
	v_lshl_or_b32 v19, v19, 7, v6
.LBB221_92:                             ;   in Loop: Header=BB221_51 Depth=1
	s_or_b64 exec, exec, s[22:23]
.LBB221_93:                             ;   in Loop: Header=BB221_51 Depth=1
	s_or_b64 exec, exec, s[20:21]
.LBB221_94:                             ;   in Loop: Header=BB221_51 Depth=1
	s_or_b64 exec, exec, s[2:3]
	v_cmp_lt_u64_e64 s[0:1], s[12:13], v[16:17]
	v_mov_b32_e32 v22, 0
	s_and_saveexec_b64 s[2:3], s[0:1]
	s_cbranch_execz .LBB221_100
; %bb.95:                               ;   in Loop: Header=BB221_51 Depth=1
	v_lshrrev_b32_e32 v6, 24, v17
	v_cmp_ne_u32_e64 s[0:1], s42, v6
	v_bfrev_b32_e32 v22, 1
	s_and_saveexec_b64 s[20:21], s[0:1]
	s_cbranch_execz .LBB221_99
; %bb.96:                               ;   in Loop: Header=BB221_51 Depth=1
	v_and_b32_e32 v16, 0x7f, v6
	v_cmp_ne_u32_e64 s[0:1], s43, v16
	v_mov_b32_e32 v22, 0x7c010000
	s_and_saveexec_b64 s[22:23], s[0:1]
	s_cbranch_execz .LBB221_98
; %bb.97:                               ;   in Loop: Header=BB221_51 Depth=1
	v_and_b32_e32 v17, 7, v6
	v_ffbh_u32_e32 v34, v17
	v_min_u32_e32 v34, 32, v34
	v_lshrrev_b32_e32 v22, 3, v16
	v_subrev_u32_e32 v40, 28, v34
	v_sub_u32_e32 v34, 29, v34
	v_cmp_gt_u32_e64 s[0:1], 8, v16
	v_lshlrev_b64 v[40:41], v40, v[6:7]
	v_lshlrev_b32_e32 v6, 8, v6
	v_cndmask_b32_e64 v16, v22, v34, s[0:1]
	v_lshl_add_u32 v16, v16, 10, v30
	v_and_b32_e32 v22, 7, v40
	v_and_or_b32 v6, v6, s47, v16
	v_cndmask_b32_e64 v17, v17, v22, s[0:1]
	v_lshlrev_b32_e32 v6, 16, v6
	v_lshl_or_b32 v22, v17, 23, v6
.LBB221_98:                             ;   in Loop: Header=BB221_51 Depth=1
	s_or_b64 exec, exec, s[22:23]
.LBB221_99:                             ;   in Loop: Header=BB221_51 Depth=1
	s_or_b64 exec, exec, s[20:21]
.LBB221_100:                            ;   in Loop: Header=BB221_51 Depth=1
	s_or_b64 exec, exec, s[2:3]
	v_cvt_f32_f16_sdwa v17, v1 dst_sel:DWORD dst_unused:UNUSED_PAD src0_sel:WORD_1
	v_cvt_f32_f16_sdwa v16, v18 dst_sel:DWORD dst_unused:UNUSED_PAD src0_sel:WORD_1
	v_or_b32_e32 v1, v1, v3
	v_or_b32_e32 v3, v18, v15
	v_cvt_f32_f16_e32 v40, v3
	v_cvt_f32_f16_e32 v41, v1
	s_waitcnt vmcnt(0)
	v_pk_mul_f32 v[16:17], v[14:15], v[16:17] op_sel_hi:[0,1]
	v_cvt_pk_f16_f32 v1, v16, v17
	v_or_b32_e32 v6, v21, v20
	v_pk_mul_f32 v[40:41], v[14:15], v[40:41] op_sel_hi:[0,1]
	v_or_b32_e32 v17, v22, v19
	v_and_b32_e32 v3, 0xffff0000, v1
	v_lshlrev_b32_e32 v16, 16, v1
	v_cvt_pk_f16_f32 v1, v40, v41
	v_cvt_f32_f16_e32 v40, v17
	v_cvt_f32_f16_e32 v41, v6
	v_cvt_f32_f16_sdwa v21, v21 dst_sel:DWORD dst_unused:UNUSED_PAD src0_sel:WORD_1
	v_cvt_f32_f16_sdwa v20, v22 dst_sel:DWORD dst_unused:UNUSED_PAD src0_sel:WORD_1
	v_lshrrev_b32_e32 v15, 16, v1
	v_pk_mul_f32 v[40:41], v[14:15], v[40:41] op_sel_hi:[0,1]
	v_cvt_pk_f16_f32 v22, v40, v41
	v_pk_mul_f32 v[20:21], v[14:15], v[20:21] op_sel_hi:[0,1]
	v_cvt_pk_f16_f32 v14, v20, v21
	v_and_b32_e32 v18, 0xffff, v1
	v_and_b32_e32 v17, 0xffff0000, v14
	v_lshlrev_b32_e32 v14, 16, v14
	v_lshrrev_b32_e32 v19, 16, v22
	v_and_b32_e32 v20, 0xffff, v22
	v_cmp_eq_u32_e64 s[2:3], s36, v23
	v_or_b32_e32 v1, v3, v15
	v_or_b32_e32 v6, v16, v18
	;; [unrolled: 1-line block ×4, first 2 shown]
	s_and_saveexec_b64 s[20:21], s[2:3]
	s_cbranch_execz .LBB221_102
; %bb.101:                              ;   in Loop: Header=BB221_51 Depth=1
	v_add_u32_e32 v21, 2, v24
	v_cmp_gt_i32_e64 s[0:1], s41, v24
	v_or_b32_e32 v1, 1, v24
	v_or_b32_e32 v6, 3, v24
	v_cndmask_b32_e64 v15, 0, v15, s[0:1]
	v_cmp_gt_i32_e64 s[0:1], s25, v21
	s_nop 1
	v_cndmask_b32_e64 v18, 0, v18, s[0:1]
	v_cmp_gt_i32_e64 s[0:1], s41, v1
	s_nop 1
	v_cndmask_b32_e64 v1, 0, v3, s[0:1]
	v_cmp_gt_i32_e64 s[0:1], s25, v6
	v_or_b32_e32 v1, v1, v15
	v_or_b32_e32 v15, 6, v24
	v_cndmask_b32_e64 v3, 0, v16, s[0:1]
	v_or_b32_e32 v6, v3, v18
	v_or_b32_e32 v3, 4, v24
	v_cmp_gt_i32_e64 s[0:1], s41, v3
	v_or_b32_e32 v16, 5, v24
	v_or_b32_e32 v18, 7, v24
	v_cndmask_b32_e64 v3, 0, v19, s[0:1]
	v_cmp_gt_i32_e64 s[0:1], s25, v15
	s_nop 1
	v_cndmask_b32_e64 v15, 0, v20, s[0:1]
	v_cmp_gt_i32_e64 s[0:1], s41, v16
	s_nop 1
	v_cndmask_b32_e64 v16, 0, v17, s[0:1]
	v_cmp_gt_i32_e64 s[0:1], s25, v18
	v_or_b32_e32 v21, v16, v3
	s_nop 0
	v_cndmask_b32_e64 v14, 0, v14, s[0:1]
	v_or_b32_e32 v22, v14, v15
.LBB221_102:                            ;   in Loop: Header=BB221_51 Depth=1
	s_or_b64 exec, exec, s[20:21]
	v_and_b32_e32 v3, 0xffff, v31
	v_lshl_or_b32 v34, v32, 16, v3
	v_and_b32_e32 v3, 0xffff, v33
	v_lshl_or_b32 v33, v35, 16, v3
	v_and_b32_e32 v3, 0xffff, v36
	v_lshl_or_b32 v32, v37, 16, v3
	v_and_b32_e32 v3, 0xffff, v38
	;;#ASMSTART
	v_pk_mul_f16 v1, v34, v1;

	;;#ASMEND
	v_lshl_or_b32 v31, v39, 16, v3
	;;#ASMSTART
	v_pk_mul_f16 v3, v33, v6;

	;;#ASMEND
	;;#ASMSTART
	v_pk_mul_f16 v6, v32, v21;

	;;#ASMEND
	;; [unrolled: 4-line block ×3, first 2 shown]
	s_nop 0
	;;#ASMSTART
	v_pk_add_f16 v1, v1, v3;

	;;#ASMEND
	s_nop 0
	;;#ASMSTART
	v_pk_add_f16 v1, v1, v6;

	;;#ASMEND
	;; [unrolled: 5-line block ×3, first 2 shown]
	s_nop 0
	v_lshrrev_b32_e32 v3, 16, v1
	v_and_b32_e32 v1, 0xffff, v1
	;;#ASMSTART
	v_cvt_f32_f16 v21, v1;
	;;#ASMEND
	;;#ASMSTART
	v_cvt_f32_f16 v22, v3;
	;;#ASMEND
	s_and_saveexec_b64 s[20:21], vcc
	s_cbranch_execz .LBB221_49
; %bb.103:                              ;   in Loop: Header=BB221_51 Depth=1
	v_lshl_add_u64 v[12:13], v[12:13], 0, v[8:9]
	global_load_dwordx2 v[14:15], v[12:13], off
	v_mov_b32_e32 v1, 0
	global_load_dword v12, v1, s[14:15]
	v_mov_b32_e32 v3, 0
	s_waitcnt vmcnt(1)
	v_cmp_ne_u16_sdwa s[0:1], v14, v7 src0_sel:BYTE_0 src1_sel:DWORD
	s_and_saveexec_b64 s[22:23], s[0:1]
	s_cbranch_execz .LBB221_109
; %bb.104:                              ;   in Loop: Header=BB221_51 Depth=1
	v_cmp_ne_u16_sdwa s[0:1], v14, s42 src0_sel:BYTE_0 src1_sel:DWORD
	v_mov_b32_e32 v3, 0x8000
	s_and_saveexec_b64 s[30:31], s[0:1]
	s_cbranch_execz .LBB221_108
; %bb.105:                              ;   in Loop: Header=BB221_51 Depth=1
	v_and_b32_e32 v6, 0x7f, v14
	v_cmp_ne_u32_e64 s[0:1], s43, v6
	v_mov_b32_e32 v3, 0x7c01
	s_and_saveexec_b64 s[34:35], s[0:1]
	s_cbranch_execz .LBB221_107
; %bb.106:                              ;   in Loop: Header=BB221_51 Depth=1
	v_and_b32_e32 v3, 7, v14
	v_ffbh_u32_e32 v16, v3
	v_min_u32_e32 v18, 32, v16
	v_subrev_u32_e32 v16, 28, v18
	v_lshlrev_b64 v[16:17], v16, v[14:15]
	v_lshrrev_b32_e32 v13, 3, v6
	v_sub_u32_e32 v17, 29, v18
	v_cmp_gt_u32_e64 s[0:1], 8, v6
	v_and_b32_e32 v16, 7, v16
	s_nop 0
	v_cndmask_b32_e64 v6, v13, v17, s[0:1]
	v_lshl_add_u32 v6, v6, 10, v30
	v_lshlrev_b32_e32 v13, 8, v14
	v_and_b32_e32 v6, 0xfc00, v6
	v_cndmask_b32_e64 v3, v3, v16, s[0:1]
	v_and_or_b32 v6, v13, s47, v6
	v_lshl_or_b32 v3, v3, 7, v6
.LBB221_107:                            ;   in Loop: Header=BB221_51 Depth=1
	s_or_b64 exec, exec, s[34:35]
.LBB221_108:                            ;   in Loop: Header=BB221_51 Depth=1
	s_or_b64 exec, exec, s[30:31]
.LBB221_109:                            ;   in Loop: Header=BB221_51 Depth=1
	s_or_b64 exec, exec, s[22:23]
	v_lshrrev_b16_e32 v6, 8, v14
	v_cmp_ne_u16_e64 s[0:1], 0, v6
	s_and_saveexec_b64 s[22:23], s[0:1]
	s_cbranch_execz .LBB221_115
; %bb.110:                              ;   in Loop: Header=BB221_51 Depth=1
	v_cmp_ne_u16_e64 s[0:1], s42, v6
	v_bfrev_b32_e32 v1, 1
	s_and_saveexec_b64 s[30:31], s[0:1]
	s_cbranch_execz .LBB221_114
; %bb.111:                              ;   in Loop: Header=BB221_51 Depth=1
	v_and_b32_e32 v13, 0x7f, v6
	v_cmp_ne_u32_e64 s[0:1], s43, v13
	v_mov_b32_e32 v1, 0x7c010000
	s_and_saveexec_b64 s[34:35], s[0:1]
	s_cbranch_execz .LBB221_113
; %bb.112:                              ;   in Loop: Header=BB221_51 Depth=1
	v_and_b32_e32 v1, 7, v6
	v_ffbh_u32_e32 v16, v1
	v_min_u32_e32 v19, 32, v16
	v_subrev_u32_e32 v16, 28, v19
	v_lshlrev_b64 v[16:17], v16, v[6:7]
	v_lshrrev_b32_e32 v18, 3, v13
	v_sub_u32_e32 v17, 29, v19
	v_cmp_gt_u32_e64 s[0:1], 8, v13
	v_lshlrev_b32_e32 v6, 8, v6
	v_and_b32_e32 v16, 7, v16
	v_cndmask_b32_e64 v13, v18, v17, s[0:1]
	v_lshl_add_u32 v13, v13, 10, v30
	v_and_or_b32 v6, v6, s47, v13
	v_cndmask_b32_e64 v1, v1, v16, s[0:1]
	v_lshlrev_b32_e32 v6, 16, v6
	v_lshl_or_b32 v1, v1, 23, v6
.LBB221_113:                            ;   in Loop: Header=BB221_51 Depth=1
	s_or_b64 exec, exec, s[34:35]
.LBB221_114:                            ;   in Loop: Header=BB221_51 Depth=1
	s_or_b64 exec, exec, s[30:31]
.LBB221_115:                            ;   in Loop: Header=BB221_51 Depth=1
	s_or_b64 exec, exec, s[22:23]
	v_lshrrev_b32_e32 v6, 16, v14
	v_cmp_ne_u16_sdwa s[0:1], v6, v7 src0_sel:BYTE_0 src1_sel:DWORD
	v_mov_b32_e32 v16, 0
	v_mov_b32_e32 v13, 0
	s_and_saveexec_b64 s[22:23], s[0:1]
	s_cbranch_execz .LBB221_121
; %bb.116:                              ;   in Loop: Header=BB221_51 Depth=1
	v_cmp_ne_u16_sdwa s[0:1], v6, s42 src0_sel:BYTE_0 src1_sel:DWORD
	v_mov_b32_e32 v13, 0x8000
	s_and_saveexec_b64 s[30:31], s[0:1]
	s_cbranch_execz .LBB221_120
; %bb.117:                              ;   in Loop: Header=BB221_51 Depth=1
	v_bfe_u32 v17, v14, 16, 7
	v_cmp_ne_u32_e64 s[0:1], s43, v17
	v_mov_b32_e32 v13, 0x7c01
	s_and_saveexec_b64 s[34:35], s[0:1]
	s_cbranch_execz .LBB221_119
; %bb.118:                              ;   in Loop: Header=BB221_51 Depth=1
	v_and_b32_e32 v13, 7, v6
	v_ffbh_u32_e32 v18, v13
	v_min_u32_e32 v35, 32, v18
	v_subrev_u32_e32 v18, 28, v35
	v_lshlrev_b64 v[18:19], v18, v[6:7]
	v_lshrrev_b32_e32 v20, 3, v17
	v_sub_u32_e32 v19, 29, v35
	v_cmp_gt_u32_e64 s[0:1], 8, v17
	v_lshlrev_b32_e32 v6, 8, v6
	v_and_b32_e32 v18, 7, v18
	v_cndmask_b32_e64 v17, v20, v19, s[0:1]
	v_lshl_add_u32 v17, v17, 10, v30
	v_and_b32_e32 v17, 0xfc00, v17
	v_cndmask_b32_e64 v13, v13, v18, s[0:1]
	v_and_or_b32 v6, v6, s47, v17
	v_lshl_or_b32 v13, v13, 7, v6
.LBB221_119:                            ;   in Loop: Header=BB221_51 Depth=1
	s_or_b64 exec, exec, s[34:35]
.LBB221_120:                            ;   in Loop: Header=BB221_51 Depth=1
	s_or_b64 exec, exec, s[30:31]
.LBB221_121:                            ;   in Loop: Header=BB221_51 Depth=1
	s_or_b64 exec, exec, s[22:23]
	v_cmp_lt_u32_e64 s[0:1], s13, v14
	s_and_saveexec_b64 s[22:23], s[0:1]
	s_cbranch_execz .LBB221_127
; %bb.122:                              ;   in Loop: Header=BB221_51 Depth=1
	v_lshrrev_b32_e32 v6, 24, v14
	v_cmp_ne_u32_e64 s[0:1], s42, v6
	v_bfrev_b32_e32 v16, 1
	s_and_saveexec_b64 s[30:31], s[0:1]
	s_cbranch_execz .LBB221_126
; %bb.123:                              ;   in Loop: Header=BB221_51 Depth=1
	v_and_b32_e32 v17, 0x7f, v6
	v_cmp_ne_u32_e64 s[0:1], s43, v17
	v_mov_b32_e32 v16, 0x7c010000
	s_and_saveexec_b64 s[34:35], s[0:1]
	s_cbranch_execz .LBB221_125
; %bb.124:                              ;   in Loop: Header=BB221_51 Depth=1
	v_and_b32_e32 v16, 7, v6
	v_ffbh_u32_e32 v18, v16
	v_min_u32_e32 v35, 32, v18
	v_subrev_u32_e32 v18, 28, v35
	v_lshlrev_b64 v[18:19], v18, v[6:7]
	v_lshrrev_b32_e32 v20, 3, v17
	v_sub_u32_e32 v19, 29, v35
	v_cmp_gt_u32_e64 s[0:1], 8, v17
	v_lshlrev_b32_e32 v6, 8, v6
	v_and_b32_e32 v18, 7, v18
	v_cndmask_b32_e64 v17, v20, v19, s[0:1]
	v_lshl_add_u32 v17, v17, 10, v30
	v_and_or_b32 v6, v6, s47, v17
	v_cndmask_b32_e64 v16, v16, v18, s[0:1]
	v_lshlrev_b32_e32 v6, 16, v6
	v_lshl_or_b32 v16, v16, 23, v6
.LBB221_125:                            ;   in Loop: Header=BB221_51 Depth=1
	s_or_b64 exec, exec, s[34:35]
.LBB221_126:                            ;   in Loop: Header=BB221_51 Depth=1
	s_or_b64 exec, exec, s[30:31]
.LBB221_127:                            ;   in Loop: Header=BB221_51 Depth=1
	s_or_b64 exec, exec, s[22:23]
	v_mov_b32_e32 v6, v15
	v_cmp_ne_u16_sdwa s[0:1], v15, v7 src0_sel:BYTE_0 src1_sel:DWORD
	v_mov_b32_e32 v17, 0
	v_mov_b32_e32 v18, 0
	s_and_saveexec_b64 s[22:23], s[0:1]
	s_cbranch_execz .LBB221_133
; %bb.128:                              ;   in Loop: Header=BB221_51 Depth=1
	v_cmp_ne_u16_sdwa s[0:1], v15, s42 src0_sel:BYTE_0 src1_sel:DWORD
	v_mov_b32_e32 v18, 0x8000
	s_and_saveexec_b64 s[30:31], s[0:1]
	s_cbranch_execz .LBB221_132
; %bb.129:                              ;   in Loop: Header=BB221_51 Depth=1
	v_and_b32_e32 v19, 0x7f, v15
	v_cmp_ne_u32_e64 s[0:1], s43, v19
	v_mov_b32_e32 v18, 0x7c01
	s_and_saveexec_b64 s[34:35], s[0:1]
	s_cbranch_execz .LBB221_131
; %bb.130:                              ;   in Loop: Header=BB221_51 Depth=1
	v_and_b32_e32 v18, 7, v15
	v_ffbh_u32_e32 v35, v18
	v_min_u32_e32 v35, 32, v35
	v_lshrrev_b32_e32 v20, 3, v19
	v_subrev_u32_e32 v36, 28, v35
	v_sub_u32_e32 v35, 29, v35
	v_cmp_gt_u32_e64 s[0:1], 8, v19
	v_lshlrev_b64 v[36:37], v36, v[6:7]
	s_nop 0
	v_cndmask_b32_e64 v19, v20, v35, s[0:1]
	v_lshl_add_u32 v19, v19, 10, v30
	v_lshlrev_b32_e32 v20, 8, v15
	v_and_b32_e32 v35, 7, v36
	v_and_b32_e32 v19, 0xfc00, v19
	v_cndmask_b32_e64 v18, v18, v35, s[0:1]
	v_and_or_b32 v19, v20, s47, v19
	v_lshl_or_b32 v18, v18, 7, v19
.LBB221_131:                            ;   in Loop: Header=BB221_51 Depth=1
	s_or_b64 exec, exec, s[34:35]
.LBB221_132:                            ;   in Loop: Header=BB221_51 Depth=1
	s_or_b64 exec, exec, s[30:31]
.LBB221_133:                            ;   in Loop: Header=BB221_51 Depth=1
	s_or_b64 exec, exec, s[22:23]
	v_lshrrev_b16_e32 v6, 8, v6
	v_cmp_ne_u16_e64 s[0:1], 0, v6
	v_mov_b32_e32 v19, 0
	s_and_saveexec_b64 s[22:23], s[0:1]
	s_cbranch_execz .LBB221_139
; %bb.134:                              ;   in Loop: Header=BB221_51 Depth=1
	v_cmp_ne_u16_e64 s[0:1], s42, v6
	v_bfrev_b32_e32 v19, 1
	s_and_saveexec_b64 s[30:31], s[0:1]
	s_cbranch_execz .LBB221_138
; %bb.135:                              ;   in Loop: Header=BB221_51 Depth=1
	v_and_b32_e32 v20, 0x7f, v6
	v_cmp_ne_u32_e64 s[0:1], s43, v20
	v_mov_b32_e32 v19, 0x7c010000
	s_and_saveexec_b64 s[34:35], s[0:1]
	s_cbranch_execz .LBB221_137
; %bb.136:                              ;   in Loop: Header=BB221_51 Depth=1
	v_and_b32_e32 v19, 7, v6
	v_ffbh_u32_e32 v36, v19
	v_min_u32_e32 v38, 32, v36
	v_subrev_u32_e32 v36, 28, v38
	v_lshlrev_b64 v[36:37], v36, v[6:7]
	v_lshrrev_b32_e32 v35, 3, v20
	v_sub_u32_e32 v37, 29, v38
	v_cmp_gt_u32_e64 s[0:1], 8, v20
	v_lshlrev_b32_e32 v6, 8, v6
	s_nop 0
	v_cndmask_b32_e64 v20, v35, v37, s[0:1]
	v_lshl_add_u32 v20, v20, 10, v30
	v_and_b32_e32 v35, 7, v36
	v_and_or_b32 v6, v6, s47, v20
	v_cndmask_b32_e64 v19, v19, v35, s[0:1]
	v_lshlrev_b32_e32 v6, 16, v6
	v_lshl_or_b32 v19, v19, 23, v6
.LBB221_137:                            ;   in Loop: Header=BB221_51 Depth=1
	s_or_b64 exec, exec, s[34:35]
.LBB221_138:                            ;   in Loop: Header=BB221_51 Depth=1
	s_or_b64 exec, exec, s[30:31]
.LBB221_139:                            ;   in Loop: Header=BB221_51 Depth=1
	s_or_b64 exec, exec, s[22:23]
	v_lshrrev_b32_e32 v6, 16, v15
	v_cmp_ne_u16_sdwa s[0:1], v6, v7 src0_sel:BYTE_0 src1_sel:DWORD
	s_and_saveexec_b64 s[22:23], s[0:1]
	s_cbranch_execz .LBB221_145
; %bb.140:                              ;   in Loop: Header=BB221_51 Depth=1
	v_cmp_ne_u16_sdwa s[0:1], v6, s42 src0_sel:BYTE_0 src1_sel:DWORD
	v_mov_b32_e32 v17, 0x8000
	s_and_saveexec_b64 s[30:31], s[0:1]
	s_cbranch_execz .LBB221_144
; %bb.141:                              ;   in Loop: Header=BB221_51 Depth=1
	v_bfe_u32 v20, v15, 16, 7
	v_cmp_ne_u32_e64 s[0:1], s43, v20
	v_mov_b32_e32 v17, 0x7c01
	s_and_saveexec_b64 s[34:35], s[0:1]
	s_cbranch_execz .LBB221_143
; %bb.142:                              ;   in Loop: Header=BB221_51 Depth=1
	v_and_b32_e32 v17, 7, v6
	v_ffbh_u32_e32 v36, v17
	v_min_u32_e32 v38, 32, v36
	v_subrev_u32_e32 v36, 28, v38
	v_lshlrev_b64 v[36:37], v36, v[6:7]
	v_lshrrev_b32_e32 v35, 3, v20
	v_sub_u32_e32 v37, 29, v38
	v_cmp_gt_u32_e64 s[0:1], 8, v20
	v_lshlrev_b32_e32 v6, 8, v6
	s_nop 0
	v_cndmask_b32_e64 v20, v35, v37, s[0:1]
	v_lshl_add_u32 v20, v20, 10, v30
	v_and_b32_e32 v35, 7, v36
	v_and_b32_e32 v20, 0xfc00, v20
	v_cndmask_b32_e64 v17, v17, v35, s[0:1]
	v_and_or_b32 v6, v6, s47, v20
	v_lshl_or_b32 v17, v17, 7, v6
.LBB221_143:                            ;   in Loop: Header=BB221_51 Depth=1
	s_or_b64 exec, exec, s[34:35]
.LBB221_144:                            ;   in Loop: Header=BB221_51 Depth=1
	s_or_b64 exec, exec, s[30:31]
.LBB221_145:                            ;   in Loop: Header=BB221_51 Depth=1
	s_or_b64 exec, exec, s[22:23]
	v_cmp_lt_u64_e64 s[0:1], s[12:13], v[14:15]
	v_mov_b32_e32 v14, 0
	s_and_saveexec_b64 s[22:23], s[0:1]
	s_cbranch_execz .LBB221_151
; %bb.146:                              ;   in Loop: Header=BB221_51 Depth=1
	v_lshrrev_b32_e32 v6, 24, v15
	v_cmp_ne_u32_e64 s[0:1], s42, v6
	v_bfrev_b32_e32 v14, 1
	s_and_saveexec_b64 s[30:31], s[0:1]
	s_cbranch_execz .LBB221_150
; %bb.147:                              ;   in Loop: Header=BB221_51 Depth=1
	v_and_b32_e32 v15, 0x7f, v6
	v_cmp_ne_u32_e64 s[0:1], s43, v15
	v_mov_b32_e32 v14, 0x7c010000
	s_and_saveexec_b64 s[34:35], s[0:1]
	s_cbranch_execz .LBB221_149
; %bb.148:                              ;   in Loop: Header=BB221_51 Depth=1
	v_and_b32_e32 v14, 7, v6
	v_ffbh_u32_e32 v35, v14
	v_min_u32_e32 v35, 32, v35
	v_lshrrev_b32_e32 v20, 3, v15
	v_subrev_u32_e32 v36, 28, v35
	v_sub_u32_e32 v35, 29, v35
	v_cmp_gt_u32_e64 s[0:1], 8, v15
	v_lshlrev_b64 v[36:37], v36, v[6:7]
	v_lshlrev_b32_e32 v6, 8, v6
	v_cndmask_b32_e64 v15, v20, v35, s[0:1]
	v_lshl_add_u32 v15, v15, 10, v30
	v_and_b32_e32 v20, 7, v36
	v_and_or_b32 v6, v6, s47, v15
	v_cndmask_b32_e64 v14, v14, v20, s[0:1]
	v_lshlrev_b32_e32 v6, 16, v6
	v_lshl_or_b32 v14, v14, 23, v6
.LBB221_149:                            ;   in Loop: Header=BB221_51 Depth=1
	s_or_b64 exec, exec, s[34:35]
.LBB221_150:                            ;   in Loop: Header=BB221_51 Depth=1
	s_or_b64 exec, exec, s[30:31]
.LBB221_151:                            ;   in Loop: Header=BB221_51 Depth=1
	s_or_b64 exec, exec, s[22:23]
	v_cvt_f32_f16_sdwa v37, v1 dst_sel:DWORD dst_unused:UNUSED_PAD src0_sel:WORD_1
	v_cvt_f32_f16_sdwa v36, v16 dst_sel:DWORD dst_unused:UNUSED_PAD src0_sel:WORD_1
	v_or_b32_e32 v1, v1, v3
	v_or_b32_e32 v3, v16, v13
	v_cvt_f32_f16_e32 v38, v3
	v_cvt_f32_f16_e32 v39, v1
	s_waitcnt vmcnt(0)
	v_pk_mul_f32 v[36:37], v[12:13], v[36:37] op_sel_hi:[0,1]
	v_cvt_pk_f16_f32 v1, v36, v37
	v_or_b32_e32 v15, v19, v18
	v_pk_mul_f32 v[36:37], v[12:13], v[38:39] op_sel_hi:[0,1]
	v_or_b32_e32 v17, v14, v17
	v_and_b32_e32 v3, 0xffff0000, v1
	v_lshlrev_b32_e32 v6, 16, v1
	v_cvt_pk_f16_f32 v1, v36, v37
	v_cvt_f32_f16_e32 v36, v17
	v_cvt_f32_f16_e32 v37, v15
	v_cvt_f32_f16_sdwa v19, v19 dst_sel:DWORD dst_unused:UNUSED_PAD src0_sel:WORD_1
	v_cvt_f32_f16_sdwa v18, v14 dst_sel:DWORD dst_unused:UNUSED_PAD src0_sel:WORD_1
	v_lshrrev_b32_e32 v13, 16, v1
	v_pk_mul_f32 v[36:37], v[12:13], v[36:37] op_sel_hi:[0,1]
	v_cvt_pk_f16_f32 v20, v36, v37
	v_pk_mul_f32 v[18:19], v[12:13], v[18:19] op_sel_hi:[0,1]
	v_cvt_pk_f16_f32 v12, v18, v19
	v_and_b32_e32 v16, 0xffff, v1
	v_and_b32_e32 v15, 0xffff0000, v12
	v_lshlrev_b32_e32 v12, 16, v12
	v_lshrrev_b32_e32 v17, 16, v20
	v_and_b32_e32 v18, 0xffff, v20
	v_or_b32_e32 v1, v3, v13
	v_or_b32_e32 v14, v6, v16
	;; [unrolled: 1-line block ×4, first 2 shown]
	s_and_saveexec_b64 s[22:23], s[2:3]
	s_cbranch_execz .LBB221_48
; %bb.152:                              ;   in Loop: Header=BB221_51 Depth=1
	v_add_u32_e32 v19, 2, v24
	v_cmp_gt_i32_e64 s[0:1], s41, v24
	v_or_b32_e32 v1, 1, v24
	v_or_b32_e32 v14, 3, v24
	v_cndmask_b32_e64 v13, 0, v13, s[0:1]
	v_cmp_gt_i32_e64 s[0:1], s25, v19
	s_nop 1
	v_cndmask_b32_e64 v16, 0, v16, s[0:1]
	v_cmp_gt_i32_e64 s[0:1], s41, v1
	s_nop 1
	v_cndmask_b32_e64 v1, 0, v3, s[0:1]
	v_cmp_gt_i32_e64 s[0:1], s25, v14
	v_or_b32_e32 v1, v1, v13
	v_or_b32_e32 v13, 5, v24
	v_cndmask_b32_e64 v3, 0, v6, s[0:1]
	v_or_b32_e32 v14, v3, v16
	v_or_b32_e32 v3, 4, v24
	;; [unrolled: 1-line block ×3, first 2 shown]
	v_cmp_gt_i32_e64 s[0:1], s41, v3
	v_or_b32_e32 v16, 7, v24
	s_nop 0
	v_cndmask_b32_e64 v3, 0, v17, s[0:1]
	v_cmp_gt_i32_e64 s[0:1], s25, v6
	s_nop 1
	v_cndmask_b32_e64 v6, 0, v18, s[0:1]
	v_cmp_gt_i32_e64 s[0:1], s41, v13
	;; [unrolled: 3-line block ×3, first 2 shown]
	v_or_b32_e32 v19, v13, v3
	s_nop 0
	v_cndmask_b32_e64 v12, 0, v12, s[0:1]
	v_or_b32_e32 v20, v12, v6
	s_branch .LBB221_48
.LBB221_153:
	s_or_b64 exec, exec, s[16:17]
.LBB221_154:
	s_or_b64 exec, exec, s[8:9]
	v_and_b32_e32 v1, 0x3c0, v0
	v_cmp_eq_u32_e32 vcc, 64, v1
	s_barrier
	s_and_saveexec_b64 s[0:1], vcc
	s_cbranch_execz .LBB221_157
; %bb.155:
	v_mov_b32_e32 v1, 0x100
	v_lshl_add_u32 v3, v25, 2, v1
	ds_write_b32 v3, v27
	s_and_b64 exec, exec, s[6:7]
; %bb.156:
	v_lshl_add_u32 v1, v0, 2, v1
	ds_write_b32 v1, v26
.LBB221_157:
	s_or_b64 exec, exec, s[0:1]
	v_cmp_gt_u32_e32 vcc, 64, v0
	v_or_b32_e32 v1, 64, v0
	s_waitcnt lgkmcnt(0)
	s_barrier
	s_and_saveexec_b64 s[2:3], vcc
	s_cbranch_execz .LBB221_161
; %bb.158:
	v_mov_b32_e32 v3, 0x100
	v_lshl_add_u32 v3, v0, 2, v3
	ds_read_b32 v0, v3
	s_movk_i32 s0, 0x78
	v_cmp_gt_u32_e64 s[0:1], s0, v1
	s_and_saveexec_b64 s[6:7], s[0:1]
	s_cbranch_execz .LBB221_160
; %bb.159:
	ds_read_b32 v3, v3 offset:256
	s_waitcnt lgkmcnt(0)
	v_add_f32_e32 v26, v26, v3
.LBB221_160:
	s_or_b64 exec, exec, s[6:7]
	s_waitcnt lgkmcnt(0)
	v_add_f32_e32 v27, v27, v0
.LBB221_161:
	s_or_b64 exec, exec, s[2:3]
	s_barrier
	s_and_saveexec_b64 s[0:1], vcc
	s_cbranch_execz .LBB221_164
; %bb.162:
	s_mul_i32 s0, s24, s27
	s_mul_i32 s0, s0, s5
	s_mulk_i32 s0, 0x78
	s_ashr_i32 s1, s0, 31
	s_lshl_b64 s[0:1], s[0:1], 1
	s_add_u32 s3, s28, s0
	s_mul_i32 s0, s27, s26
	s_addc_u32 s5, s29, s1
	s_ashr_i32 s1, s0, 31
	s_lshl_b64 s[0:1], s[0:1], 1
	s_add_u32 s3, s3, s0
	s_mul_i32 s0, s4, 0x78
	s_addc_u32 s5, s5, s1
	s_ashr_i32 s1, s0, 31
	s_lshl_b64 s[0:1], s[0:1], 1
	s_movk_i32 s2, 0x78
	s_add_u32 s0, s3, s0
	s_addc_u32 s1, s5, s1
	v_cmp_gt_u32_e32 vcc, s2, v1
	;;#ASMSTART
	v_cvt_f16_f32 v0, v27;

	;;#ASMEND
	global_store_short v2, v0, s[0:1]
	s_and_b64 exec, exec, vcc
	s_cbranch_execz .LBB221_164
; %bb.163:
	v_mov_b32_e32 v3, 0
	v_lshl_add_u64 v[0:1], s[0:1], 0, v[2:3]
	;;#ASMSTART
	v_cvt_f16_f32 v2, v26;

	;;#ASMEND
	global_store_short v[0:1], v2, off offset:128
.LBB221_164:
	s_endpgm
	.section	.rodata,"a",@progbits
	.p2align	6, 0x0
	.amdhsa_kernel _ZN4vllm25paged_attention_v1_kernelIthLi120ELi8ELi128ELNS_18Fp8KVCacheDataTypeE1ELb1EEEvPT_PKS2_PKT0_S8_ifPKiSA_iPKfiiiSC_SC_iiiii
		.amdhsa_group_segment_fixed_size 256
		.amdhsa_private_segment_fixed_size 0
		.amdhsa_kernarg_size 384
		.amdhsa_user_sgpr_count 2
		.amdhsa_user_sgpr_dispatch_ptr 0
		.amdhsa_user_sgpr_queue_ptr 0
		.amdhsa_user_sgpr_kernarg_segment_ptr 1
		.amdhsa_user_sgpr_dispatch_id 0
		.amdhsa_user_sgpr_kernarg_preload_length 0
		.amdhsa_user_sgpr_kernarg_preload_offset 0
		.amdhsa_user_sgpr_private_segment_size 0
		.amdhsa_uses_dynamic_stack 0
		.amdhsa_enable_private_segment 0
		.amdhsa_system_sgpr_workgroup_id_x 1
		.amdhsa_system_sgpr_workgroup_id_y 1
		.amdhsa_system_sgpr_workgroup_id_z 1
		.amdhsa_system_sgpr_workgroup_info 0
		.amdhsa_system_vgpr_workitem_id 0
		.amdhsa_next_free_vgpr 54
		.amdhsa_next_free_sgpr 50
		.amdhsa_accum_offset 56
		.amdhsa_reserve_vcc 1
		.amdhsa_float_round_mode_32 0
		.amdhsa_float_round_mode_16_64 0
		.amdhsa_float_denorm_mode_32 3
		.amdhsa_float_denorm_mode_16_64 3
		.amdhsa_dx10_clamp 1
		.amdhsa_ieee_mode 1
		.amdhsa_fp16_overflow 0
		.amdhsa_tg_split 0
		.amdhsa_exception_fp_ieee_invalid_op 0
		.amdhsa_exception_fp_denorm_src 0
		.amdhsa_exception_fp_ieee_div_zero 0
		.amdhsa_exception_fp_ieee_overflow 0
		.amdhsa_exception_fp_ieee_underflow 0
		.amdhsa_exception_fp_ieee_inexact 0
		.amdhsa_exception_int_div_zero 0
	.end_amdhsa_kernel
	.section	.text._ZN4vllm25paged_attention_v1_kernelIthLi120ELi8ELi128ELNS_18Fp8KVCacheDataTypeE1ELb1EEEvPT_PKS2_PKT0_S8_ifPKiSA_iPKfiiiSC_SC_iiiii,"axG",@progbits,_ZN4vllm25paged_attention_v1_kernelIthLi120ELi8ELi128ELNS_18Fp8KVCacheDataTypeE1ELb1EEEvPT_PKS2_PKT0_S8_ifPKiSA_iPKfiiiSC_SC_iiiii,comdat
.Lfunc_end221:
	.size	_ZN4vllm25paged_attention_v1_kernelIthLi120ELi8ELi128ELNS_18Fp8KVCacheDataTypeE1ELb1EEEvPT_PKS2_PKT0_S8_ifPKiSA_iPKfiiiSC_SC_iiiii, .Lfunc_end221-_ZN4vllm25paged_attention_v1_kernelIthLi120ELi8ELi128ELNS_18Fp8KVCacheDataTypeE1ELb1EEEvPT_PKS2_PKT0_S8_ifPKiSA_iPKfiiiSC_SC_iiiii
                                        ; -- End function
	.set _ZN4vllm25paged_attention_v1_kernelIthLi120ELi8ELi128ELNS_18Fp8KVCacheDataTypeE1ELb1EEEvPT_PKS2_PKT0_S8_ifPKiSA_iPKfiiiSC_SC_iiiii.num_vgpr, 54
	.set _ZN4vllm25paged_attention_v1_kernelIthLi120ELi8ELi128ELNS_18Fp8KVCacheDataTypeE1ELb1EEEvPT_PKS2_PKT0_S8_ifPKiSA_iPKfiiiSC_SC_iiiii.num_agpr, 0
	.set _ZN4vllm25paged_attention_v1_kernelIthLi120ELi8ELi128ELNS_18Fp8KVCacheDataTypeE1ELb1EEEvPT_PKS2_PKT0_S8_ifPKiSA_iPKfiiiSC_SC_iiiii.numbered_sgpr, 50
	.set _ZN4vllm25paged_attention_v1_kernelIthLi120ELi8ELi128ELNS_18Fp8KVCacheDataTypeE1ELb1EEEvPT_PKS2_PKT0_S8_ifPKiSA_iPKfiiiSC_SC_iiiii.num_named_barrier, 0
	.set _ZN4vllm25paged_attention_v1_kernelIthLi120ELi8ELi128ELNS_18Fp8KVCacheDataTypeE1ELb1EEEvPT_PKS2_PKT0_S8_ifPKiSA_iPKfiiiSC_SC_iiiii.private_seg_size, 0
	.set _ZN4vllm25paged_attention_v1_kernelIthLi120ELi8ELi128ELNS_18Fp8KVCacheDataTypeE1ELb1EEEvPT_PKS2_PKT0_S8_ifPKiSA_iPKfiiiSC_SC_iiiii.uses_vcc, 1
	.set _ZN4vllm25paged_attention_v1_kernelIthLi120ELi8ELi128ELNS_18Fp8KVCacheDataTypeE1ELb1EEEvPT_PKS2_PKT0_S8_ifPKiSA_iPKfiiiSC_SC_iiiii.uses_flat_scratch, 0
	.set _ZN4vllm25paged_attention_v1_kernelIthLi120ELi8ELi128ELNS_18Fp8KVCacheDataTypeE1ELb1EEEvPT_PKS2_PKT0_S8_ifPKiSA_iPKfiiiSC_SC_iiiii.has_dyn_sized_stack, 0
	.set _ZN4vllm25paged_attention_v1_kernelIthLi120ELi8ELi128ELNS_18Fp8KVCacheDataTypeE1ELb1EEEvPT_PKS2_PKT0_S8_ifPKiSA_iPKfiiiSC_SC_iiiii.has_recursion, 0
	.set _ZN4vllm25paged_attention_v1_kernelIthLi120ELi8ELi128ELNS_18Fp8KVCacheDataTypeE1ELb1EEEvPT_PKS2_PKT0_S8_ifPKiSA_iPKfiiiSC_SC_iiiii.has_indirect_call, 0
	.section	.AMDGPU.csdata,"",@progbits
; Kernel info:
; codeLenInByte = 9320
; TotalNumSgprs: 56
; NumVgprs: 54
; NumAgprs: 0
; TotalNumVgprs: 54
; ScratchSize: 0
; MemoryBound: 0
; FloatMode: 240
; IeeeMode: 1
; LDSByteSize: 256 bytes/workgroup (compile time only)
; SGPRBlocks: 6
; VGPRBlocks: 6
; NumSGPRsForWavesPerEU: 56
; NumVGPRsForWavesPerEU: 54
; AccumOffset: 56
; Occupancy: 8
; WaveLimiterHint : 1
; COMPUTE_PGM_RSRC2:SCRATCH_EN: 0
; COMPUTE_PGM_RSRC2:USER_SGPR: 2
; COMPUTE_PGM_RSRC2:TRAP_HANDLER: 0
; COMPUTE_PGM_RSRC2:TGID_X_EN: 1
; COMPUTE_PGM_RSRC2:TGID_Y_EN: 1
; COMPUTE_PGM_RSRC2:TGID_Z_EN: 1
; COMPUTE_PGM_RSRC2:TIDIG_COMP_CNT: 0
; COMPUTE_PGM_RSRC3_GFX90A:ACCUM_OFFSET: 13
; COMPUTE_PGM_RSRC3_GFX90A:TG_SPLIT: 0
	.section	.text._ZN4vllm25paged_attention_v1_kernelIthLi128ELi8ELi128ELNS_18Fp8KVCacheDataTypeE1ELb1EEEvPT_PKS2_PKT0_S8_ifPKiSA_iPKfiiiSC_SC_iiiii,"axG",@progbits,_ZN4vllm25paged_attention_v1_kernelIthLi128ELi8ELi128ELNS_18Fp8KVCacheDataTypeE1ELb1EEEvPT_PKS2_PKT0_S8_ifPKiSA_iPKfiiiSC_SC_iiiii,comdat
	.protected	_ZN4vllm25paged_attention_v1_kernelIthLi128ELi8ELi128ELNS_18Fp8KVCacheDataTypeE1ELb1EEEvPT_PKS2_PKT0_S8_ifPKiSA_iPKfiiiSC_SC_iiiii ; -- Begin function _ZN4vllm25paged_attention_v1_kernelIthLi128ELi8ELi128ELNS_18Fp8KVCacheDataTypeE1ELb1EEEvPT_PKS2_PKT0_S8_ifPKiSA_iPKfiiiSC_SC_iiiii
	.globl	_ZN4vllm25paged_attention_v1_kernelIthLi128ELi8ELi128ELNS_18Fp8KVCacheDataTypeE1ELb1EEEvPT_PKS2_PKT0_S8_ifPKiSA_iPKfiiiSC_SC_iiiii
	.p2align	8
	.type	_ZN4vllm25paged_attention_v1_kernelIthLi128ELi8ELi128ELNS_18Fp8KVCacheDataTypeE1ELb1EEEvPT_PKS2_PKT0_S8_ifPKiSA_iPKfiiiSC_SC_iiiii,@function
_ZN4vllm25paged_attention_v1_kernelIthLi128ELi8ELi128ELNS_18Fp8KVCacheDataTypeE1ELb1EEEvPT_PKS2_PKT0_S8_ifPKiSA_iPKfiiiSC_SC_iiiii: ; @_ZN4vllm25paged_attention_v1_kernelIthLi128ELi8ELi128ELNS_18Fp8KVCacheDataTypeE1ELb1EEEvPT_PKS2_PKT0_S8_ifPKiSA_iPKfiiiSC_SC_iiiii
; %bb.0:
	s_load_dword s5, s[0:1], 0x80
	s_load_dwordx2 s[6:7], s[0:1], 0x30
	s_load_dwordx2 s[36:37], s[0:1], 0x20
	s_mov_b32 s10, s3
	s_ashr_i32 s11, s3, 31
	s_lshl_b64 s[8:9], s[10:11], 2
	s_waitcnt lgkmcnt(0)
	s_add_u32 s6, s6, s8
	s_addc_u32 s7, s7, s9
	s_abs_i32 s3, s36
	v_cvt_f32_u32_e32 v1, s3
	s_sub_i32 s11, 0, s3
	s_abs_i32 s9, s5
	s_xor_b32 s8, s5, s36
	v_rcp_iflag_f32_e32 v1, v1
	s_ashr_i32 s8, s8, 31
	s_mov_b32 s44, 0
	v_mul_f32_e32 v1, 0x4f7ffffe, v1
	v_cvt_u32_f32_e32 v1, v1
	s_nop 0
	v_readfirstlane_b32 s12, v1
	s_mul_i32 s11, s11, s12
	s_mul_hi_u32 s11, s12, s11
	s_add_i32 s12, s12, s11
	s_mul_hi_u32 s11, s9, s12
	s_mul_i32 s12, s11, s3
	s_sub_i32 s9, s9, s12
	s_add_i32 s12, s11, 1
	s_sub_i32 s13, s9, s3
	s_cmp_ge_u32 s9, s3
	s_cselect_b32 s11, s12, s11
	s_cselect_b32 s9, s13, s9
	s_add_i32 s12, s11, 1
	s_cmp_ge_u32 s9, s3
	s_cselect_b32 s3, s12, s11
	s_xor_b32 s3, s3, s8
	s_sub_i32 s15, s3, s8
	s_abs_i32 s12, s15
	v_cvt_f32_u32_e32 v1, s12
	s_load_dwordx2 s[8:9], s[0:1], 0x40
	s_sub_i32 s3, 0, s12
	s_abs_i32 s13, s2
	v_rcp_iflag_f32_e32 v1, v1
	s_nop 0
	v_mul_f32_e32 v1, 0x4f7ffffe, v1
	v_cvt_u32_f32_e32 v1, v1
	s_nop 0
	v_readfirstlane_b32 s11, v1
	s_mul_i32 s3, s3, s11
	s_mul_hi_u32 s3, s11, s3
	s_add_i32 s11, s11, s3
	s_waitcnt lgkmcnt(0)
	s_cmp_eq_u64 s[8:9], 0
	s_mul_hi_u32 s14, s13, s11
	s_cbranch_scc1 .LBB222_2
; %bb.1:
	s_ashr_i32 s3, s2, 31
	s_lshl_b64 s[16:17], s[2:3], 2
	s_add_u32 s8, s8, s16
	s_addc_u32 s9, s9, s17
	s_load_dword s44, s[8:9], 0x0
.LBB222_2:
	s_load_dword s11, s[6:7], 0x0
	s_load_dwordx4 s[16:19], s[0:1], 0x48
	s_movk_i32 s6, 0x80
	s_ashr_i32 s3, s2, 31
	s_ashr_i32 s9, s15, 31
	v_and_b32_e32 v4, 7, v0
	s_lshl_b32 s24, s2, 7
	v_cmp_gt_u32_e32 vcc, s6, v0
	v_lshlrev_b32_e32 v22, 1, v0
	s_and_saveexec_b64 s[6:7], vcc
	s_cbranch_execz .LBB222_4
; %bb.3:
	s_load_dwordx2 s[20:21], s[0:1], 0x8
	s_waitcnt lgkmcnt(0)
	s_mul_i32 s22, s16, s10
	s_ashr_i32 s23, s22, 31
	s_lshl_b64 s[22:23], s[22:23], 1
	v_lshrrev_b32_e32 v2, 2, v0
	s_add_u32 s8, s20, s22
	s_addc_u32 s15, s21, s23
	s_ashr_i32 s25, s24, 31
	s_lshl_b64 s[20:21], s[24:25], 1
	s_add_u32 s20, s8, s20
	s_addc_u32 s21, s15, s21
	global_load_ushort v1, v22, s[20:21]
	v_and_b32_e32 v2, 0xfe, v2
	v_lshl_add_u32 v2, v4, 5, v2
	s_waitcnt vmcnt(0)
	ds_write_b16 v2, v1
.LBB222_4:
	s_or_b64 exec, exec, s[6:7]
	s_mul_i32 s6, s14, s12
	s_sub_i32 s6, s13, s6
	s_xor_b32 s3, s3, s9
	s_add_i32 s7, s14, 1
	s_sub_i32 s9, s6, s12
	s_load_dwordx4 s[20:23], s[0:1], 0x68
	s_load_dword s8, s[0:1], 0x78
	s_cmp_ge_u32 s6, s12
	s_cselect_b32 s7, s7, s14
	s_cselect_b32 s6, s9, s6
	s_add_i32 s9, s7, 1
	s_cmp_ge_u32 s6, s12
	s_cselect_b32 s6, s9, s7
	s_waitcnt lgkmcnt(0)
	s_abs_i32 s25, s23
	v_cvt_f32_u32_e32 v1, s25
	s_xor_b32 s6, s6, s3
	s_sub_i32 s3, s6, s3
	s_sub_i32 s6, 0, s25
	v_rcp_iflag_f32_e32 v1, v1
	s_add_i32 s12, s11, -1
	s_abs_i32 s9, s12
	v_mul_f32_e32 v1, 0x4f7ffffe, v1
	v_cvt_u32_f32_e32 v1, v1
	s_barrier
	v_readfirstlane_b32 s33, v1
	s_mul_i32 s6, s6, s33
	s_mul_hi_u32 s6, s33, s6
	s_add_i32 s33, s33, s6
	s_cmp_lt_i32 s8, 0
	s_mul_hi_u32 s16, s9, s33
	s_cbranch_scc0 .LBB222_6
; %bb.5:
	s_mul_i32 s6, s20, s36
	s_add_i32 s6, s3, s6
	s_mul_i32 s6, s6, s8
	s_sub_i32 s36, 1, s6
	s_mov_b64 s[6:7], 0
	s_branch .LBB222_7
.LBB222_6:
	s_mov_b64 s[6:7], -1
                                        ; implicit-def: $sgpr36
.LBB222_7:
	s_load_dwordx2 s[28:29], s[0:1], 0x28
	s_ashr_i32 s19, s12, 31
	s_andn2_b64 vcc, exec, s[6:7]
	s_ashr_i32 s42, s23, 31
	s_cbranch_vccnz .LBB222_9
; %bb.8:
	s_mul_i32 s6, s5, s20
	s_add_i32 s2, s6, s2
	s_mul_i32 s2, s2, s8
	s_add_i32 s36, s2, 1
.LBB222_9:
	s_load_dword s2, s[0:1], 0x38
	s_load_dwordx2 s[26:27], s[0:1], 0x0
	s_load_dwordx2 s[34:35], s[0:1], 0x18
	s_load_dword s23, s[0:1], 0x88
	s_load_dwordx4 s[12:15], s[0:1], 0x58
	s_mul_i32 s6, s16, s25
	s_waitcnt lgkmcnt(0)
	s_mul_i32 s30, s2, s10
	s_sub_i32 s6, s9, s6
	s_ashr_i32 s31, s30, 31
	s_xor_b32 s2, s19, s42
	s_add_i32 s7, s16, 1
	s_sub_i32 s8, s6, s25
	s_cmp_ge_u32 s6, s25
	s_cselect_b32 s7, s7, s16
	s_cselect_b32 s6, s8, s6
	s_add_i32 s8, s7, 1
	s_cmp_ge_u32 s6, s25
	s_cselect_b32 s6, s8, s7
	s_xor_b32 s6, s6, s2
	s_sub_i32 s16, s6, s2
	s_add_i32 s2, s11, 7
	s_ashr_i32 s6, s2, 31
	s_lshr_b32 s6, s6, 29
	s_add_i32 s2, s2, s6
	s_ashr_i32 s43, s2, 3
	v_lshrrev_b32_e32 v23, 6, v0
	v_cmp_gt_i32_e64 s[6:7], s43, v23
	v_mov_b32_e32 v2, 0xff7fffff
	s_mul_i32 s20, s3, s18
	v_lshrrev_b32_e32 v1, 4, v0
	v_lshlrev_b32_e32 v24, 3, v23
	v_mbcnt_lo_u32_b32 v8, -1, 0
	s_and_saveexec_b64 s[18:19], s[6:7]
	s_cbranch_execz .LBB222_21
; %bb.10:
	s_load_dwordx2 s[0:1], s[0:1], 0x10
	s_sub_i32 s45, s16, s21
	s_ashr_i32 s2, s20, 31
	v_bfe_u32 v9, v0, 3, 3
	v_mov_b32_e32 v3, 0
	s_waitcnt lgkmcnt(0)
	s_add_u32 s0, s0, s20
	s_addc_u32 s1, s1, s2
	s_abs_i32 s46, s22
	v_cvt_f32_u32_e32 v2, s46
	v_cmp_eq_u32_e32 vcc, 0, v4
	v_lshlrev_b32_e32 v10, 5, v4
	v_mbcnt_hi_u32_b32 v16, -1, v8
	v_rcp_iflag_f32_e32 v5, v2
	v_lshlrev_b32_e32 v2, 4, v9
	v_lshl_add_u64 v[6:7], s[0:1], 0, v[2:3]
	s_sub_i32 s0, 0, s46
	v_mul_f32_e32 v5, 0x4f7ffffe, v5
	v_cvt_u32_f32_e32 v11, v5
	v_mov_b32_e32 v5, v3
	v_lshl_add_u64 v[4:5], v[6:7], 0, v[4:5]
	s_mov_b32 s47, s17
	v_mul_lo_u32 v2, s0, v11
	s_lshl_b64 s[0:1], s[30:31], 2
	v_mul_hi_u32 v2, v11, v2
	s_add_u32 s0, s28, s0
	v_add_u32_e32 v11, v11, v2
	v_and_b32_e32 v2, 60, v1
	s_addc_u32 s1, s29, s1
	v_lshl_add_u64 v[6:7], s[0:1], 0, v[2:3]
	v_subrev_u32_e32 v2, s11, v9
	v_add_u32_e32 v13, 1, v2
	v_lshlrev_b32_e32 v2, 2, v9
	v_lshl_or_b32 v2, v23, 5, v2
	v_add_u32_e32 v14, 0x110, v2
	v_and_b32_e32 v2, 64, v16
	v_cmp_neq_f32_e64 s[2:3], s44, 0
	v_lshlrev_b32_e32 v12, 3, v23
	v_mov_b32_e32 v15, 0xff7fffff
	s_mov_b64 s[38:39], 0
	v_add_u32_e32 v17, 64, v2
	v_xor_b32_e32 v18, 4, v16
	v_xor_b32_e32 v19, 2, v16
	;; [unrolled: 1-line block ×3, first 2 shown]
	v_mov_b32_e32 v2, 0xff7fffff
	v_mov_b32_e32 v21, v23
	s_branch .LBB222_13
.LBB222_11:                             ;   in Loop: Header=BB222_13 Depth=1
	s_or_b64 exec, exec, s[40:41]
.LBB222_12:                             ;   in Loop: Header=BB222_13 Depth=1
	s_or_b64 exec, exec, s[8:9]
	v_add_u32_e32 v21, 2, v21
	v_cmp_le_i32_e64 s[0:1], s43, v21
	v_lshl_add_u64 v[6:7], v[6:7], 0, 8
	v_add_u32_e32 v12, 16, v12
	s_or_b64 s[38:39], s[0:1], s[38:39]
	v_add_u32_e32 v14, 64, v14
	s_andn2_b64 exec, exec, s[38:39]
	s_cbranch_execz .LBB222_20
.LBB222_13:                             ; =>This Inner Loop Header: Depth=1
	v_mul_hi_u32 v25, v12, s33
	s_waitcnt lgkmcnt(0)
	v_mul_lo_u32 v26, v25, s25
	v_sub_u32_e32 v26, v12, v26
	v_add_u32_e32 v27, 1, v25
	v_cmp_le_u32_e64 s[0:1], s25, v26
	s_nop 1
	v_cndmask_b32_e64 v25, v25, v27, s[0:1]
	v_subrev_u32_e32 v27, s25, v26
	v_cndmask_b32_e64 v26, v26, v27, s[0:1]
	v_add_u32_e32 v27, 1, v25
	v_cmp_le_u32_e64 s[0:1], s25, v26
	s_nop 1
	v_cndmask_b32_e64 v25, v25, v27, s[0:1]
	v_xor_b32_e32 v25, s42, v25
	v_subrev_u32_e32 v25, s42, v25
	v_add_u32_e32 v26, s36, v25
	v_sub_u32_e32 v28, 0, v26
	v_ashrrev_i32_e32 v27, 31, v26
	v_max_i32_e32 v26, v26, v28
	v_mul_hi_u32 v28, v26, v11
	v_mul_lo_u32 v28, v28, s46
	v_sub_u32_e32 v26, v26, v28
	v_subrev_u32_e32 v28, s46, v26
	v_cmp_le_u32_e64 s[0:1], s46, v26
	v_cmp_ge_i32_e64 s[8:9], s45, v25
	s_nop 0
	v_cndmask_b32_e64 v26, v26, v28, s[0:1]
	v_subrev_u32_e32 v28, s46, v26
	v_cmp_le_u32_e64 s[0:1], s46, v26
	s_nop 1
	v_cndmask_b32_e64 v26, v26, v28, s[0:1]
	v_xor_b32_e32 v26, v26, v27
	v_sub_u32_e32 v26, v26, v27
	v_cmp_ne_u32_e64 s[0:1], 0, v26
	s_and_b64 s[0:1], s[0:1], s[8:9]
	s_and_saveexec_b64 s[8:9], s[0:1]
	s_xor_b64 s[0:1], exec, s[8:9]
	s_cbranch_execz .LBB222_17
; %bb.14:                               ;   in Loop: Header=BB222_13 Depth=1
	s_and_saveexec_b64 s[8:9], vcc
; %bb.15:                               ;   in Loop: Header=BB222_13 Depth=1
	ds_write_b32 v14, v15
; %bb.16:                               ;   in Loop: Header=BB222_13 Depth=1
	s_or_b64 exec, exec, s[8:9]
.LBB222_17:                             ;   in Loop: Header=BB222_13 Depth=1
	s_andn2_saveexec_b64 s[8:9], s[0:1]
	s_cbranch_execz .LBB222_12
; %bb.18:                               ;   in Loop: Header=BB222_13 Depth=1
	global_load_dword v25, v[6:7], off
	s_waitcnt vmcnt(0)
	v_mad_i64_i32 v[26:27], s[0:1], v25, s47, v[4:5]
	global_load_ubyte v25, v[26:27], off
	global_load_ubyte v28, v[26:27], off offset:8
	global_load_dword v29, v3, s[12:13]
	global_load_ubyte v30, v[26:27], off offset:128
	global_load_ubyte v31, v[26:27], off offset:136
	;; [unrolled: 1-line block ×14, first 2 shown]
	ds_read_u16 v27, v10
	s_waitcnt lgkmcnt(0)
	;;#ASMSTART
	v_cvt_f32_f16 v27, v27;
	;;#ASMEND
	v_cmp_lt_i32_e64 s[0:1], v18, v17
	s_waitcnt vmcnt(16)
	v_cvt_f32_fp8_e32 v25, v25
	s_waitcnt vmcnt(15)
	v_cvt_f32_fp8_e32 v28, v28
	v_cndmask_b32_e64 v26, v16, v18, s[0:1]
	s_waitcnt vmcnt(13)
	v_cvt_f32_fp8_e32 v30, v30
	v_fma_mixlo_f16 v25, v29, v25, 0
	s_waitcnt vmcnt(12)
	v_cvt_f32_fp8_e32 v31, v31
	v_and_b32_e32 v25, 0xffff, v25
	v_fma_mixlo_f16 v28, v29, v28, 0
	s_waitcnt vmcnt(11)
	v_cvt_f32_fp8_e32 v32, v32
	;;#ASMSTART
	v_cvt_f32_f16 v25, v25;
	;;#ASMEND
	ds_read_u16 v44, v10 offset:2
	v_and_b32_e32 v45, 0xffff, v28
	s_waitcnt lgkmcnt(0)
	;;#ASMSTART
	v_cvt_f32_f16 v28, v44;
	;;#ASMEND
	s_waitcnt vmcnt(10)
	v_cvt_f32_fp8_e32 v33, v33
	;;#ASMSTART
	v_cvt_f32_f16 v44, v45;
	;;#ASMEND
	v_fma_mixlo_f16 v30, v29, v30, 0
	s_waitcnt vmcnt(9)
	v_cvt_f32_fp8_e32 v34, v34
	v_mul_f32_e32 v28, v28, v44
	ds_read_u16 v45, v10 offset:4
	v_and_b32_e32 v46, 0xffff, v30
	v_fma_mixlo_f16 v31, v29, v31, 0
	s_waitcnt vmcnt(8)
	v_cvt_f32_fp8_e32 v35, v35
	v_fmac_f32_e32 v28, v27, v25
	s_waitcnt lgkmcnt(0)
	;;#ASMSTART
	v_cvt_f32_f16 v30, v45;
	;;#ASMEND
	;;#ASMSTART
	v_cvt_f32_f16 v45, v46;
	;;#ASMEND
	ds_read_u16 v46, v10 offset:6
	v_and_b32_e32 v47, 0xffff, v31
	s_waitcnt vmcnt(7)
	v_cvt_f32_fp8_e32 v36, v36
	v_fma_mixlo_f16 v32, v29, v32, 0
	v_fmac_f32_e32 v28, v30, v45
	s_waitcnt lgkmcnt(0)
	;;#ASMSTART
	v_cvt_f32_f16 v31, v46;
	;;#ASMEND
	;;#ASMSTART
	v_cvt_f32_f16 v46, v47;
	;;#ASMEND
	ds_read_u16 v47, v10 offset:8
	v_and_b32_e32 v48, 0xffff, v32
	v_fma_mixlo_f16 v33, v29, v33, 0
	v_fmac_f32_e32 v28, v31, v46
	s_waitcnt lgkmcnt(0)
	;;#ASMSTART
	v_cvt_f32_f16 v32, v47;
	;;#ASMEND
	;;#ASMSTART
	v_cvt_f32_f16 v47, v48;
	;;#ASMEND
	ds_read_u16 v48, v10 offset:10
	s_waitcnt vmcnt(6)
	v_cvt_f32_fp8_e32 v37, v37
	s_waitcnt vmcnt(5)
	v_cvt_f32_fp8_e32 v38, v38
	v_and_b32_e32 v49, 0xffff, v33
	v_fma_mixlo_f16 v34, v29, v34, 0
	v_fmac_f32_e32 v28, v32, v47
	s_waitcnt lgkmcnt(0)
	;;#ASMSTART
	v_cvt_f32_f16 v33, v48;
	;;#ASMEND
	;;#ASMSTART
	v_cvt_f32_f16 v48, v49;
	;;#ASMEND
	ds_read_u16 v49, v10 offset:12
	s_waitcnt vmcnt(4)
	v_cvt_f32_fp8_e32 v39, v39
	s_waitcnt vmcnt(3)
	v_cvt_f32_fp8_e32 v40, v40
	v_and_b32_e32 v50, 0xffff, v34
	s_waitcnt vmcnt(2)
	v_cvt_f32_fp8_e32 v41, v41
	s_waitcnt vmcnt(1)
	v_cvt_f32_fp8_e32 v42, v42
	v_fma_mixlo_f16 v35, v29, v35, 0
	s_waitcnt vmcnt(0)
	v_cvt_f32_fp8_e32 v43, v43
	v_fmac_f32_e32 v28, v33, v48
	s_waitcnt lgkmcnt(0)
	;;#ASMSTART
	v_cvt_f32_f16 v34, v49;
	;;#ASMEND
	;;#ASMSTART
	v_cvt_f32_f16 v49, v50;
	;;#ASMEND
	ds_read_u16 v50, v10 offset:14
	v_and_b32_e32 v51, 0xffff, v35
	v_fma_mixlo_f16 v36, v29, v36, 0
	v_fmac_f32_e32 v28, v34, v49
	s_waitcnt lgkmcnt(0)
	;;#ASMSTART
	v_cvt_f32_f16 v35, v50;
	;;#ASMEND
	;;#ASMSTART
	v_cvt_f32_f16 v50, v51;
	;;#ASMEND
	ds_read_u16 v51, v10 offset:16
	v_and_b32_e32 v52, 0xffff, v36
	v_fmac_f32_e32 v28, v35, v50
	v_fma_mixlo_f16 v37, v29, v37, 0
	s_waitcnt lgkmcnt(0)
	;;#ASMSTART
	v_cvt_f32_f16 v36, v51;
	;;#ASMEND
	;;#ASMSTART
	v_cvt_f32_f16 v51, v52;
	;;#ASMEND
	ds_read_u16 v52, v10 offset:18
	v_fma_mixlo_f16 v38, v29, v38, 0
	v_fmac_f32_e32 v28, v36, v51
	v_fma_mixlo_f16 v39, v29, v39, 0
	v_fma_mixlo_f16 v40, v29, v40, 0
	v_and_b32_e32 v53, 0xffff, v37
	s_waitcnt lgkmcnt(0)
	;;#ASMSTART
	v_cvt_f32_f16 v37, v52;
	;;#ASMEND
	;;#ASMSTART
	v_cvt_f32_f16 v52, v53;
	;;#ASMEND
	v_fma_mixlo_f16 v41, v29, v41, 0
	v_fma_mixlo_f16 v42, v29, v42, 0
	;; [unrolled: 1-line block ×3, first 2 shown]
	v_and_b32_e32 v43, 0xffff, v38
	v_fmac_f32_e32 v28, v37, v52
	ds_read_u16 v53, v10 offset:20
	s_waitcnt lgkmcnt(0)
	;;#ASMSTART
	v_cvt_f32_f16 v38, v53;
	;;#ASMEND
	;;#ASMSTART
	v_cvt_f32_f16 v43, v43;
	;;#ASMEND
	ds_read_u16 v53, v10 offset:22
	v_fmac_f32_e32 v28, v38, v43
	v_and_b32_e32 v54, 0xffff, v39
	v_and_b32_e32 v55, 0xffff, v40
	s_waitcnt lgkmcnt(0)
	;;#ASMSTART
	v_cvt_f32_f16 v39, v53;
	;;#ASMEND
	;;#ASMSTART
	v_cvt_f32_f16 v40, v54;
	;;#ASMEND
	ds_read_u16 v53, v10 offset:24
	v_fmac_f32_e32 v28, v39, v40
	v_and_b32_e32 v54, 0xffff, v29
	s_waitcnt lgkmcnt(0)
	;;#ASMSTART
	v_cvt_f32_f16 v25, v53;
	;;#ASMEND
	;;#ASMSTART
	v_cvt_f32_f16 v27, v55;
	;;#ASMEND
	ds_read_u16 v29, v10 offset:26
	v_fmac_f32_e32 v28, v25, v27
	;; [unrolled: 10-line block ×3, first 2 shown]
	v_and_b32_e32 v42, 0xffff, v42
	s_waitcnt lgkmcnt(0)
	;;#ASMSTART
	v_cvt_f32_f16 v31, v31;
	;;#ASMEND
	;;#ASMSTART
	v_cvt_f32_f16 v32, v42;
	;;#ASMEND
	v_lshlrev_b32_e32 v26, 2, v26
	v_fmac_f32_e32 v28, v31, v32
	ds_read_u16 v33, v10 offset:30
	s_waitcnt lgkmcnt(0)
	;;#ASMSTART
	v_cvt_f32_f16 v25, v33;
	;;#ASMEND
	;;#ASMSTART
	v_cvt_f32_f16 v27, v54;
	;;#ASMEND
	v_cmp_lt_i32_e64 s[0:1], v19, v17
	v_fmac_f32_e32 v28, v25, v27
	ds_bpermute_b32 v25, v26, v28
	v_cndmask_b32_e64 v26, v16, v19, s[0:1]
	v_lshlrev_b32_e32 v26, 2, v26
	v_cmp_lt_i32_e64 s[0:1], v20, v17
	s_waitcnt lgkmcnt(0)
	v_add_f32_e32 v25, v28, v25
	ds_bpermute_b32 v26, v26, v25
	v_cndmask_b32_e64 v27, v16, v20, s[0:1]
	s_waitcnt lgkmcnt(0)
	v_add_f32_e32 v25, v25, v26
	v_lshlrev_b32_e32 v26, 2, v27
	ds_bpermute_b32 v26, v26, v25
	s_and_saveexec_b64 s[40:41], vcc
	s_cbranch_execz .LBB222_11
; %bb.19:                               ;   in Loop: Header=BB222_13 Depth=1
	v_add_u32_e32 v27, v13, v12
	v_cvt_f32_i32_e32 v27, v27
	s_waitcnt lgkmcnt(0)
	v_add_f32_e32 v25, v25, v26
	v_add_u32_e32 v28, v9, v12
	v_cmp_gt_i32_e64 s[0:1], s11, v28
	v_mul_f32_e32 v26, s44, v27
	v_cndmask_b32_e64 v26, 0, v26, s[2:3]
	v_fmac_f32_e32 v26, s37, v25
	v_cndmask_b32_e64 v25, 0, v26, s[0:1]
	ds_write_b32 v14, v25
	v_max_f32_e32 v25, v2, v2
	v_max_f32_e32 v25, v25, v26
	v_cndmask_b32_e64 v2, v2, v25, s[0:1]
	s_branch .LBB222_11
.LBB222_20:
	s_or_b64 exec, exec, s[38:39]
.LBB222_21:
	s_or_b64 exec, exec, s[18:19]
	v_mbcnt_hi_u32_b32 v3, -1, v8
	v_and_b32_e32 v10, 64, v3
	v_add_u32_e32 v4, 64, v10
	v_xor_b32_e32 v5, 32, v3
	v_cmp_lt_i32_e32 vcc, v5, v4
	v_xor_b32_e32 v7, 16, v3
	v_xor_b32_e32 v8, 8, v3
	v_cndmask_b32_e32 v5, v3, v5, vcc
	v_lshlrev_b32_e32 v5, 2, v5
	ds_bpermute_b32 v6, v5, v2
	v_max_f32_e32 v2, v2, v2
	v_cmp_lt_i32_e32 vcc, v7, v4
	v_and_b32_e32 v25, 63, v0
	s_waitcnt lgkmcnt(0)
	v_max_f32_e32 v6, v6, v6
	v_max_f32_e32 v2, v2, v6
	v_cndmask_b32_e32 v6, v3, v7, vcc
	v_lshlrev_b32_e32 v7, 2, v6
	ds_bpermute_b32 v6, v7, v2
	v_cmp_lt_i32_e32 vcc, v8, v4
	s_waitcnt lgkmcnt(0)
	v_max_f32_e32 v6, v6, v6
	v_max_f32_e32 v6, v2, v6
	v_cndmask_b32_e32 v2, v3, v8, vcc
	v_lshlrev_b32_e32 v9, 2, v2
	ds_bpermute_b32 v8, v9, v6
	v_cmp_eq_u32_e32 vcc, 0, v25
	v_lshlrev_b32_e32 v2, 2, v23
	s_and_saveexec_b64 s[0:1], vcc
	s_cbranch_execz .LBB222_23
; %bb.22:
	s_waitcnt lgkmcnt(0)
	v_max_f32_e32 v8, v8, v8
	v_max_f32_e32 v6, v6, v6
	;; [unrolled: 1-line block ×3, first 2 shown]
	ds_write_b32 v2, v6 offset:256
.LBB222_23:
	s_or_b64 exec, exec, s[0:1]
	v_cmp_gt_u32_e64 s[0:1], 2, v25
	v_mov_b32_e32 v11, 0xff7fffff
	v_lshlrev_b32_e32 v6, 2, v25
	s_waitcnt lgkmcnt(0)
	s_barrier
	s_and_saveexec_b64 s[2:3], s[0:1]
; %bb.24:
	ds_read_b32 v11, v6 offset:256
; %bb.25:
	s_or_b64 exec, exec, s[2:3]
	v_xor_b32_e32 v8, 1, v3
	v_cmp_lt_i32_e64 s[2:3], v8, v4
	v_lshlrev_b32_e32 v10, 2, v10
	s_nop 0
	v_cndmask_b32_e64 v8, v3, v8, s[2:3]
	v_lshlrev_b32_e32 v8, 2, v8
	s_waitcnt lgkmcnt(0)
	ds_bpermute_b32 v12, v8, v11
	v_max_f32_e32 v11, v11, v11
	s_lshl_b32 s2, s43, 3
	s_min_i32 s37, s2, s11
	v_cmp_gt_i32_e64 s[2:3], s37, v0
	s_waitcnt lgkmcnt(0)
	v_max_f32_e32 v12, v12, v12
	v_max_f32_e32 v11, v11, v12
	ds_bpermute_b32 v11, v10, v11
	v_mov_b32_e32 v10, 0
	s_and_saveexec_b64 s[12:13], s[2:3]
	s_cbranch_execz .LBB222_29
; %bb.26:
	v_mov_b32_e32 v10, 0x110
	v_lshl_add_u32 v12, v0, 2, v10
	v_mov_b32_e32 v10, 0
	s_mov_b64 s[18:19], 0
	v_mov_b32_e32 v13, v0
.LBB222_27:                             ; =>This Inner Loop Header: Depth=1
	ds_read_b32 v14, v12
	v_add_u32_e32 v13, 0x80, v13
	v_cmp_le_i32_e64 s[8:9], s37, v13
	s_or_b64 s[18:19], s[8:9], s[18:19]
	s_waitcnt lgkmcnt(0)
	v_sub_f32_e32 v14, v14, v11
	v_mul_f32_e32 v14, 0x3fb8aa3b, v14
	v_exp_f32_e32 v14, v14
	ds_write_b32 v12, v14
	v_add_f32_e32 v10, v10, v14
	v_add_u32_e32 v12, 0x200, v12
	s_andn2_b64 exec, exec, s[18:19]
	s_cbranch_execnz .LBB222_27
; %bb.28:
	s_or_b64 exec, exec, s[18:19]
.LBB222_29:
	s_or_b64 exec, exec, s[12:13]
	ds_bpermute_b32 v5, v5, v10
	s_waitcnt lgkmcnt(0)
	v_add_f32_e32 v5, v10, v5
	ds_bpermute_b32 v7, v7, v5
	s_waitcnt lgkmcnt(0)
	v_add_f32_e32 v5, v5, v7
	ds_bpermute_b32 v7, v9, v5
	v_xor_b32_e32 v9, 4, v3
	v_cmp_lt_i32_e64 s[8:9], v9, v4
	s_waitcnt lgkmcnt(0)
	v_add_f32_e32 v5, v5, v7
	v_cndmask_b32_e64 v9, v3, v9, s[8:9]
	v_lshlrev_b32_e32 v9, 2, v9
	ds_bpermute_b32 v7, v9, v5
	v_xor_b32_e32 v9, 2, v3
	v_cmp_lt_i32_e64 s[8:9], v9, v4
	s_waitcnt lgkmcnt(0)
	v_add_f32_e32 v5, v5, v7
	v_cndmask_b32_e64 v4, v3, v9, s[8:9]
	v_lshlrev_b32_e32 v4, 2, v4
	ds_bpermute_b32 v4, v4, v5
	s_waitcnt lgkmcnt(0)
	v_add_f32_e32 v4, v5, v4
	ds_bpermute_b32 v5, v8, v4
	s_waitcnt lgkmcnt(0)
	v_add_f32_e32 v4, v4, v5
	s_and_saveexec_b64 s[8:9], vcc
; %bb.30:
	ds_write_b32 v2, v4 offset:264
; %bb.31:
	s_or_b64 exec, exec, s[8:9]
	s_waitcnt lgkmcnt(0)
	s_barrier
	s_and_saveexec_b64 s[8:9], s[0:1]
; %bb.32:
	ds_read_b32 v4, v6 offset:264
; %bb.33:
	s_or_b64 exec, exec, s[8:9]
	s_waitcnt lgkmcnt(0)
	ds_bpermute_b32 v2, v8, v4
	v_lshlrev_b32_e32 v3, 2, v3
	v_and_b32_e32 v3, 0x100, v3
	s_waitcnt lgkmcnt(0)
	v_add_f32_e32 v2, v4, v2
	ds_bpermute_b32 v2, v3, v2
	s_and_saveexec_b64 s[0:1], s[2:3]
	s_cbranch_execz .LBB222_46
; %bb.34:
	s_waitcnt lgkmcnt(0)
	v_add_f32_e32 v2, 0x358637bd, v2
	v_div_scale_f32 v3, s[2:3], v2, v2, 1.0
	v_rcp_f32_e32 v4, v3
	v_div_scale_f32 v5, vcc, 1.0, v2, 1.0
	s_movk_i32 s2, 0x7f
	v_fma_f32 v6, -v3, v4, 1.0
	v_fmac_f32_e32 v4, v6, v4
	v_mul_f32_e32 v6, v5, v4
	v_fma_f32 v7, -v3, v6, v5
	v_fmac_f32_e32 v6, v7, v4
	v_fma_f32 v3, -v3, v6, v5
	v_div_fmas_f32 v3, v3, v4, v6
	v_xad_u32 v4, v0, -1, s37
	v_div_fixup_f32 v2, v3, v2, 1.0
	v_cmp_lt_u32_e32 vcc, s2, v4
	s_mov_b64 s[8:9], -1
	v_mov_b32_e32 v3, v0
	s_and_saveexec_b64 s[2:3], vcc
	s_cbranch_execz .LBB222_43
; %bb.35:
	v_lshrrev_b32_e32 v4, 7, v4
	v_add_u32_e32 v6, -1, v4
	v_lshrrev_b32_e32 v5, 1, v6
	v_mov_b32_e32 v3, v2
	v_add_u32_e32 v5, 1, v5
	v_cmp_lt_u32_e32 vcc, 13, v6
	v_mov_b32_e32 v8, 0
	s_and_saveexec_b64 s[8:9], vcc
	s_cbranch_execz .LBB222_39
; %bb.36:
	v_mov_b32_e32 v7, 0x110
	v_and_b32_e32 v6, -8, v5
	v_lshl_add_u32 v7, v0, 2, v7
	s_mov_b32 s18, 0
	s_mov_b64 s[12:13], 0
.LBB222_37:                             ; =>This Inner Loop Header: Depth=1
	ds_read2st64_b32 v[8:9], v7 offset1:2
	ds_read2st64_b32 v[10:11], v7 offset0:4 offset1:6
	ds_read2st64_b32 v[12:13], v7 offset0:8 offset1:10
	;; [unrolled: 1-line block ×3, first 2 shown]
	v_add_u32_e32 v6, -8, v6
	s_waitcnt lgkmcnt(3)
	v_pk_mul_f32 v[8:9], v[2:3], v[8:9]
	s_waitcnt lgkmcnt(2)
	v_pk_mul_f32 v[10:11], v[2:3], v[10:11]
	ds_write2st64_b32 v7, v8, v9 offset1:2
	ds_write2st64_b32 v7, v10, v11 offset0:4 offset1:6
	ds_read2st64_b32 v[10:11], v7 offset0:16 offset1:18
	s_waitcnt lgkmcnt(4)
	v_pk_mul_f32 v[8:9], v[2:3], v[12:13]
	ds_write2st64_b32 v7, v8, v9 offset0:8 offset1:10
	s_waitcnt lgkmcnt(4)
	v_pk_mul_f32 v[8:9], v[2:3], v[14:15]
	ds_write2st64_b32 v7, v8, v9 offset0:12 offset1:14
	ds_read2st64_b32 v[8:9], v7 offset0:20 offset1:22
	s_waitcnt lgkmcnt(3)
	v_pk_mul_f32 v[10:11], v[2:3], v[10:11]
	ds_read2st64_b32 v[12:13], v7 offset0:24 offset1:26
	ds_write2st64_b32 v7, v10, v11 offset0:16 offset1:18
	ds_read2st64_b32 v[10:11], v7 offset0:28 offset1:30
	s_waitcnt lgkmcnt(3)
	v_pk_mul_f32 v[8:9], v[2:3], v[8:9]
	ds_write2st64_b32 v7, v8, v9 offset0:20 offset1:22
	s_waitcnt lgkmcnt(3)
	v_pk_mul_f32 v[8:9], v[2:3], v[12:13]
	ds_write2st64_b32 v7, v8, v9 offset0:24 offset1:26
	s_waitcnt lgkmcnt(2)
	v_pk_mul_f32 v[8:9], v[2:3], v[10:11]
	s_add_i32 s18, s18, 16
	v_cmp_eq_u32_e32 vcc, 0, v6
	ds_write2st64_b32 v7, v8, v9 offset0:28 offset1:30
	v_add_u32_e32 v7, 0x2000, v7
	s_or_b64 s[12:13], vcc, s[12:13]
	v_mov_b32_e32 v8, s18
	s_andn2_b64 exec, exec, s[12:13]
	s_cbranch_execnz .LBB222_37
; %bb.38:
	s_or_b64 exec, exec, s[12:13]
.LBB222_39:
	s_or_b64 exec, exec, s[8:9]
	v_and_b32_e32 v5, 7, v5
	v_cmp_ne_u32_e32 vcc, 0, v5
	s_and_saveexec_b64 s[8:9], vcc
	s_cbranch_execz .LBB222_42
; %bb.40:
	v_lshlrev_b32_e32 v6, 9, v8
	v_lshlrev_b32_e32 v7, 2, v0
	s_movk_i32 s12, 0x110
	v_add3_u32 v6, v6, v7, s12
	s_mov_b64 s[12:13], 0
.LBB222_41:                             ; =>This Inner Loop Header: Depth=1
	ds_read2st64_b32 v[8:9], v6 offset1:2
	v_add_u32_e32 v5, -1, v5
	v_cmp_eq_u32_e32 vcc, 0, v5
	s_or_b64 s[12:13], vcc, s[12:13]
	s_waitcnt lgkmcnt(0)
	v_pk_mul_f32 v[8:9], v[2:3], v[8:9]
	ds_write2st64_b32 v6, v8, v9 offset1:2
	v_add_u32_e32 v6, 0x400, v6
	s_andn2_b64 exec, exec, s[12:13]
	s_cbranch_execnz .LBB222_41
.LBB222_42:
	s_or_b64 exec, exec, s[8:9]
	v_add_u32_e32 v4, 1, v4
	v_and_b32_e32 v5, 0x3fffffe, v4
	v_cmp_ne_u32_e32 vcc, v4, v5
	v_lshl_add_u32 v3, v5, 7, v0
	s_orn2_b64 s[8:9], vcc, exec
.LBB222_43:
	s_or_b64 exec, exec, s[2:3]
	s_and_b64 exec, exec, s[8:9]
	s_cbranch_execz .LBB222_46
; %bb.44:
	v_mov_b32_e32 v4, 0x110
	v_lshl_add_u32 v4, v3, 2, v4
	s_mov_b64 s[2:3], 0
.LBB222_45:                             ; =>This Inner Loop Header: Depth=1
	ds_read_b32 v5, v4
	v_add_u32_e32 v3, 0x80, v3
	v_cmp_le_i32_e32 vcc, s37, v3
	s_or_b64 s[2:3], vcc, s[2:3]
	s_waitcnt lgkmcnt(0)
	v_mul_f32_e32 v5, v2, v5
	ds_write_b32 v4, v5
	v_add_u32_e32 v4, 0x200, v4
	s_andn2_b64 exec, exec, s[2:3]
	s_cbranch_execnz .LBB222_45
.LBB222_46:
	s_or_b64 exec, exec, s[0:1]
	v_mov_b32_e32 v3, 0
	s_waitcnt lgkmcnt(0)
	v_mov_b32_e32 v2, 0
	s_barrier
	s_and_saveexec_b64 s[2:3], s[6:7]
	s_cbranch_execz .LBB222_152
; %bb.47:
	s_sub_i32 s37, s16, s21
	s_ashr_i32 s1, s20, 31
	s_add_u32 s0, s34, s20
	s_addc_u32 s1, s35, s1
	s_abs_i32 s22, s22
	v_cvt_f32_u32_e32 v2, s22
	v_lshlrev_b32_e32 v4, 3, v25
	v_mov_b32_e32 v5, 0
	v_lshl_add_u64 v[6:7], s[0:1], 0, v[4:5]
	v_rcp_iflag_f32_e32 v2, v2
	s_sub_i32 s0, 0, s22
	s_add_i32 s35, s43, -1
	s_mov_b32 s6, -1
	v_mul_f32_e32 v2, 0x4f7ffffe, v2
	v_cvt_u32_f32_e32 v2, v2
	v_and_b32_e32 v4, 60, v1
	v_mov_b32_e32 v1, 0x110
	s_mov_b32 s34, s17
	v_mul_lo_u32 v3, s0, v2
	s_lshl_b64 s[0:1], s[30:31], 2
	s_add_u32 s0, s28, s0
	v_mul_hi_u32 v3, v2, v3
	s_addc_u32 s1, s29, s1
	s_mov_b32 s7, 0xffffff
	s_mov_b32 s38, s11
	v_add_u32_e32 v26, v2, v3
	v_lshl_add_u64 v[8:9], s[0:1], 0, v[4:5]
	v_lshl_add_u32 v27, v23, 5, v1
	s_mov_b64 s[8:9], 0
	s_movk_i32 s28, 0x80
	s_movk_i32 s29, 0x7f
	s_mov_b32 s30, 0x8000
	v_mov_b32_e32 v28, 0x2000
	v_mov_b32_e32 v2, 0
	;; [unrolled: 1-line block ×3, first 2 shown]
	s_branch .LBB222_50
.LBB222_48:                             ;   in Loop: Header=BB222_50 Depth=1
	s_or_b64 exec, exec, s[0:1]
	v_add_f32_e32 v4, v38, v39
	;;#ASMSTART
	v_pk_mul_f16 v1, v37, v1;

	;;#ASMEND
	v_add_f32_e32 v2, v2, v4
	;;#ASMSTART
	v_pk_mul_f16 v4, v36, v12;

	;;#ASMEND
	;;#ASMSTART
	v_pk_mul_f16 v10, v21, v19;

	;;#ASMEND
	;; [unrolled: 4-line block ×3, first 2 shown]
	s_nop 0
	;;#ASMSTART
	v_pk_add_f16 v1, v1, v4;

	;;#ASMEND
	s_nop 0
	;;#ASMSTART
	v_pk_add_f16 v1, v1, v10;

	;;#ASMEND
	;; [unrolled: 5-line block ×3, first 2 shown]
	s_nop 0
	v_lshrrev_b32_e32 v4, 16, v1
	v_and_b32_e32 v1, 0xffff, v1
	;;#ASMSTART
	v_cvt_f32_f16 v1, v1;
	;;#ASMEND
	;;#ASMSTART
	v_cvt_f32_f16 v4, v4;
	;;#ASMEND
	s_nop 0
	v_add_f32_e32 v1, v1, v4
	v_add_f32_e32 v3, v3, v1
.LBB222_49:                             ;   in Loop: Header=BB222_50 Depth=1
	s_or_b64 exec, exec, s[12:13]
	v_add_u32_e32 v23, 2, v23
	v_cmp_le_i32_e32 vcc, s43, v23
	v_lshl_add_u64 v[8:9], v[8:9], 0, 8
	v_add_u32_e32 v24, 16, v24
	s_or_b64 s[8:9], vcc, s[8:9]
	v_add_u32_e32 v27, 64, v27
	s_andn2_b64 exec, exec, s[8:9]
	s_cbranch_execz .LBB222_151
.LBB222_50:                             ; =>This Inner Loop Header: Depth=1
	v_mul_hi_u32 v1, v24, s33
	v_mul_lo_u32 v4, v1, s25
	v_sub_u32_e32 v4, v24, v4
	v_add_u32_e32 v10, 1, v1
	v_cmp_le_u32_e32 vcc, s25, v4
	s_nop 1
	v_cndmask_b32_e32 v1, v1, v10, vcc
	v_subrev_u32_e32 v10, s25, v4
	v_cndmask_b32_e32 v4, v4, v10, vcc
	v_add_u32_e32 v10, 1, v1
	v_cmp_le_u32_e32 vcc, s25, v4
	s_nop 1
	v_cndmask_b32_e32 v1, v1, v10, vcc
	v_xor_b32_e32 v1, s42, v1
	v_subrev_u32_e32 v1, s42, v1
	v_add_u32_e32 v4, s36, v1
	v_sub_u32_e32 v11, 0, v4
	v_ashrrev_i32_e32 v10, 31, v4
	v_max_i32_e32 v4, v4, v11
	v_mul_hi_u32 v11, v4, v26
	v_mul_lo_u32 v11, v11, s22
	v_sub_u32_e32 v4, v4, v11
	v_subrev_u32_e32 v11, s22, v4
	v_cmp_le_u32_e32 vcc, s22, v4
	v_cmp_lt_i32_e64 s[0:1], s37, v1
	s_nop 0
	v_cndmask_b32_e32 v4, v4, v11, vcc
	v_subrev_u32_e32 v11, s22, v4
	v_cmp_le_u32_e32 vcc, s22, v4
	s_nop 1
	v_cndmask_b32_e32 v4, v4, v11, vcc
	v_xor_b32_e32 v4, v4, v10
	v_sub_u32_e32 v4, v4, v10
	v_cmp_eq_u32_e32 vcc, 0, v4
	s_or_b64 s[0:1], vcc, s[0:1]
	s_and_saveexec_b64 s[12:13], s[0:1]
	s_cbranch_execz .LBB222_49
; %bb.51:                               ;   in Loop: Header=BB222_50 Depth=1
	global_load_dword v1, v[8:9], off
	ds_read2_b64 v[10:13], v27 offset1:1
	ds_read2_b64 v[14:17], v27 offset0:2 offset1:3
	s_waitcnt lgkmcnt(1)
	;;#ASMSTART
	v_cvt_f16_f32 v36, v10;

	;;#ASMEND
	;;#ASMSTART
	v_cvt_f16_f32 v37, v11;

	;;#ASMEND
	;; [unrolled: 4-line block ×4, first 2 shown]
	s_waitcnt lgkmcnt(0)
	;;#ASMSTART
	v_cvt_f16_f32 v40, v14;

	;;#ASMEND
	;;#ASMSTART
	v_cvt_f16_f32 v41, v15;

	;;#ASMEND
	;; [unrolled: 4-line block ×4, first 2 shown]
	v_mov_b32_e32 v13, 0
	s_waitcnt vmcnt(0)
	v_mad_i64_i32 v[10:11], s[0:1], v1, s34, v[6:7]
	global_load_dwordx2 v[14:15], v[10:11], off
	v_mov_b32_e32 v1, 0
	global_load_dword v12, v1, s[14:15]
	s_waitcnt vmcnt(1)
	v_cmp_ne_u16_sdwa s[16:17], v14, v5 src0_sel:BYTE_0 src1_sel:DWORD
	s_and_saveexec_b64 s[0:1], s[16:17]
	s_cbranch_execz .LBB222_57
; %bb.52:                               ;   in Loop: Header=BB222_50 Depth=1
	v_cmp_ne_u16_sdwa s[18:19], v14, s28 src0_sel:BYTE_0 src1_sel:DWORD
	v_mov_b32_e32 v13, 0x8000
	s_and_saveexec_b64 s[16:17], s[18:19]
	s_cbranch_execz .LBB222_56
; %bb.53:                               ;   in Loop: Header=BB222_50 Depth=1
	v_and_b32_e32 v4, 0x7f, v14
	v_cmp_ne_u32_e32 vcc, s29, v4
	v_mov_b32_e32 v13, 0x7c01
	s_and_saveexec_b64 s[18:19], vcc
	s_cbranch_execz .LBB222_55
; %bb.54:                               ;   in Loop: Header=BB222_50 Depth=1
	v_and_b32_e32 v13, 7, v14
	v_ffbh_u32_e32 v16, v13
	v_min_u32_e32 v19, 32, v16
	v_subrev_u32_e32 v16, 28, v19
	v_lshlrev_b64 v[16:17], v16, v[14:15]
	v_lshrrev_b32_e32 v18, 3, v4
	v_sub_u32_e32 v17, 29, v19
	v_cmp_gt_u32_e32 vcc, 8, v4
	v_and_b32_e32 v16, 7, v16
	s_nop 0
	v_cndmask_b32_e32 v4, v18, v17, vcc
	v_lshl_add_u32 v4, v4, 10, v28
	v_lshlrev_b32_e32 v17, 8, v14
	v_and_b32_e32 v4, 0xfc00, v4
	v_cndmask_b32_e32 v13, v13, v16, vcc
	v_and_or_b32 v4, v17, s30, v4
	v_lshl_or_b32 v13, v13, 7, v4
.LBB222_55:                             ;   in Loop: Header=BB222_50 Depth=1
	s_or_b64 exec, exec, s[18:19]
.LBB222_56:                             ;   in Loop: Header=BB222_50 Depth=1
	s_or_b64 exec, exec, s[16:17]
.LBB222_57:                             ;   in Loop: Header=BB222_50 Depth=1
	s_or_b64 exec, exec, s[0:1]
	v_lshrrev_b16_e32 v4, 8, v14
	v_cmp_ne_u16_e32 vcc, 0, v4
	s_and_saveexec_b64 s[0:1], vcc
	s_cbranch_execz .LBB222_63
; %bb.58:                               ;   in Loop: Header=BB222_50 Depth=1
	v_cmp_ne_u16_e32 vcc, s28, v4
	v_bfrev_b32_e32 v1, 1
	s_and_saveexec_b64 s[16:17], vcc
	s_cbranch_execz .LBB222_62
; %bb.59:                               ;   in Loop: Header=BB222_50 Depth=1
	v_and_b32_e32 v16, 0x7f, v4
	v_cmp_ne_u32_e32 vcc, s29, v16
	v_mov_b32_e32 v1, 0x7c010000
	s_and_saveexec_b64 s[18:19], vcc
	s_cbranch_execz .LBB222_61
; %bb.60:                               ;   in Loop: Header=BB222_50 Depth=1
	v_and_b32_e32 v1, 7, v4
	v_ffbh_u32_e32 v18, v1
	v_min_u32_e32 v20, 32, v18
	v_subrev_u32_e32 v18, 28, v20
	v_lshlrev_b64 v[18:19], v18, v[4:5]
	v_lshrrev_b32_e32 v17, 3, v16
	v_sub_u32_e32 v19, 29, v20
	v_cmp_gt_u32_e32 vcc, 8, v16
	v_lshlrev_b32_e32 v4, 8, v4
	s_nop 0
	v_cndmask_b32_e32 v16, v17, v19, vcc
	v_lshl_add_u32 v16, v16, 10, v28
	v_and_b32_e32 v17, 7, v18
	v_and_or_b32 v4, v4, s30, v16
	v_cndmask_b32_e32 v1, v1, v17, vcc
	v_lshlrev_b32_e32 v4, 16, v4
	v_lshl_or_b32 v1, v1, 23, v4
.LBB222_61:                             ;   in Loop: Header=BB222_50 Depth=1
	s_or_b64 exec, exec, s[18:19]
.LBB222_62:                             ;   in Loop: Header=BB222_50 Depth=1
	s_or_b64 exec, exec, s[16:17]
.LBB222_63:                             ;   in Loop: Header=BB222_50 Depth=1
	s_or_b64 exec, exec, s[0:1]
	v_lshrrev_b32_e32 v4, 16, v14
	v_cmp_ne_u16_sdwa s[16:17], v4, v5 src0_sel:BYTE_0 src1_sel:DWORD
	v_mov_b32_e32 v17, 0
	v_mov_b32_e32 v16, 0
	s_and_saveexec_b64 s[0:1], s[16:17]
	s_cbranch_execz .LBB222_69
; %bb.64:                               ;   in Loop: Header=BB222_50 Depth=1
	v_cmp_ne_u16_sdwa s[18:19], v4, s28 src0_sel:BYTE_0 src1_sel:DWORD
	v_mov_b32_e32 v16, 0x8000
	s_and_saveexec_b64 s[16:17], s[18:19]
	s_cbranch_execz .LBB222_68
; %bb.65:                               ;   in Loop: Header=BB222_50 Depth=1
	v_bfe_u32 v18, v14, 16, 7
	v_cmp_ne_u32_e32 vcc, s29, v18
	v_mov_b32_e32 v16, 0x7c01
	s_and_saveexec_b64 s[18:19], vcc
	s_cbranch_execz .LBB222_67
; %bb.66:                               ;   in Loop: Header=BB222_50 Depth=1
	v_and_b32_e32 v16, 7, v4
	v_ffbh_u32_e32 v20, v16
	v_min_u32_e32 v29, 32, v20
	v_subrev_u32_e32 v20, 28, v29
	v_lshlrev_b64 v[20:21], v20, v[4:5]
	v_lshrrev_b32_e32 v19, 3, v18
	v_sub_u32_e32 v21, 29, v29
	v_cmp_gt_u32_e32 vcc, 8, v18
	v_lshlrev_b32_e32 v4, 8, v4
	s_nop 0
	v_cndmask_b32_e32 v18, v19, v21, vcc
	v_lshl_add_u32 v18, v18, 10, v28
	v_and_b32_e32 v19, 7, v20
	v_and_b32_e32 v18, 0xfc00, v18
	v_cndmask_b32_e32 v16, v16, v19, vcc
	v_and_or_b32 v4, v4, s30, v18
	v_lshl_or_b32 v16, v16, 7, v4
.LBB222_67:                             ;   in Loop: Header=BB222_50 Depth=1
	s_or_b64 exec, exec, s[18:19]
.LBB222_68:                             ;   in Loop: Header=BB222_50 Depth=1
	s_or_b64 exec, exec, s[16:17]
.LBB222_69:                             ;   in Loop: Header=BB222_50 Depth=1
	s_or_b64 exec, exec, s[0:1]
	v_cmp_lt_u32_e32 vcc, s7, v14
	s_and_saveexec_b64 s[0:1], vcc
	s_cbranch_execz .LBB222_75
; %bb.70:                               ;   in Loop: Header=BB222_50 Depth=1
	v_lshrrev_b32_e32 v4, 24, v14
	v_cmp_ne_u32_e32 vcc, s28, v4
	v_bfrev_b32_e32 v17, 1
	s_and_saveexec_b64 s[16:17], vcc
	s_cbranch_execz .LBB222_74
; %bb.71:                               ;   in Loop: Header=BB222_50 Depth=1
	v_and_b32_e32 v18, 0x7f, v4
	v_cmp_ne_u32_e32 vcc, s29, v18
	v_mov_b32_e32 v17, 0x7c010000
	s_and_saveexec_b64 s[18:19], vcc
	s_cbranch_execz .LBB222_73
; %bb.72:                               ;   in Loop: Header=BB222_50 Depth=1
	v_and_b32_e32 v17, 7, v4
	v_ffbh_u32_e32 v20, v17
	v_min_u32_e32 v29, 32, v20
	v_subrev_u32_e32 v20, 28, v29
	v_lshlrev_b64 v[20:21], v20, v[4:5]
	v_lshrrev_b32_e32 v19, 3, v18
	v_sub_u32_e32 v21, 29, v29
	v_cmp_gt_u32_e32 vcc, 8, v18
	v_lshlrev_b32_e32 v4, 8, v4
	s_nop 0
	v_cndmask_b32_e32 v18, v19, v21, vcc
	v_lshl_add_u32 v18, v18, 10, v28
	v_and_b32_e32 v19, 7, v20
	v_and_or_b32 v4, v4, s30, v18
	v_cndmask_b32_e32 v17, v17, v19, vcc
	v_lshlrev_b32_e32 v4, 16, v4
	v_lshl_or_b32 v17, v17, 23, v4
.LBB222_73:                             ;   in Loop: Header=BB222_50 Depth=1
	s_or_b64 exec, exec, s[18:19]
.LBB222_74:                             ;   in Loop: Header=BB222_50 Depth=1
	s_or_b64 exec, exec, s[16:17]
.LBB222_75:                             ;   in Loop: Header=BB222_50 Depth=1
	s_or_b64 exec, exec, s[0:1]
	v_mov_b32_e32 v4, v15
	v_cmp_ne_u16_sdwa s[16:17], v15, v5 src0_sel:BYTE_0 src1_sel:DWORD
	v_mov_b32_e32 v18, 0
	v_mov_b32_e32 v19, 0
	s_and_saveexec_b64 s[0:1], s[16:17]
	s_cbranch_execz .LBB222_81
; %bb.76:                               ;   in Loop: Header=BB222_50 Depth=1
	v_cmp_ne_u16_sdwa s[18:19], v15, s28 src0_sel:BYTE_0 src1_sel:DWORD
	v_mov_b32_e32 v19, 0x8000
	s_and_saveexec_b64 s[16:17], s[18:19]
	s_cbranch_execz .LBB222_80
; %bb.77:                               ;   in Loop: Header=BB222_50 Depth=1
	v_and_b32_e32 v20, 0x7f, v15
	v_cmp_ne_u32_e32 vcc, s29, v20
	v_mov_b32_e32 v19, 0x7c01
	s_and_saveexec_b64 s[18:19], vcc
	s_cbranch_execz .LBB222_79
; %bb.78:                               ;   in Loop: Header=BB222_50 Depth=1
	v_and_b32_e32 v19, 7, v15
	v_ffbh_u32_e32 v29, v19
	v_min_u32_e32 v29, 32, v29
	v_lshrrev_b32_e32 v21, 3, v20
	v_subrev_u32_e32 v30, 28, v29
	v_sub_u32_e32 v29, 29, v29
	v_cmp_gt_u32_e32 vcc, 8, v20
	v_lshlrev_b64 v[30:31], v30, v[4:5]
	s_nop 0
	v_cndmask_b32_e32 v20, v21, v29, vcc
	v_lshl_add_u32 v20, v20, 10, v28
	v_lshlrev_b32_e32 v21, 8, v15
	v_and_b32_e32 v29, 7, v30
	v_and_b32_e32 v20, 0xfc00, v20
	v_cndmask_b32_e32 v19, v19, v29, vcc
	v_and_or_b32 v20, v21, s30, v20
	v_lshl_or_b32 v19, v19, 7, v20
.LBB222_79:                             ;   in Loop: Header=BB222_50 Depth=1
	s_or_b64 exec, exec, s[18:19]
.LBB222_80:                             ;   in Loop: Header=BB222_50 Depth=1
	s_or_b64 exec, exec, s[16:17]
.LBB222_81:                             ;   in Loop: Header=BB222_50 Depth=1
	s_or_b64 exec, exec, s[0:1]
	v_lshrrev_b16_e32 v4, 8, v4
	v_cmp_ne_u16_e32 vcc, 0, v4
	v_mov_b32_e32 v20, 0
	s_and_saveexec_b64 s[0:1], vcc
	s_cbranch_execz .LBB222_87
; %bb.82:                               ;   in Loop: Header=BB222_50 Depth=1
	v_cmp_ne_u16_e32 vcc, s28, v4
	v_bfrev_b32_e32 v20, 1
	s_and_saveexec_b64 s[16:17], vcc
	s_cbranch_execz .LBB222_86
; %bb.83:                               ;   in Loop: Header=BB222_50 Depth=1
	v_and_b32_e32 v21, 0x7f, v4
	v_cmp_ne_u32_e32 vcc, s29, v21
	v_mov_b32_e32 v20, 0x7c010000
	s_and_saveexec_b64 s[18:19], vcc
	s_cbranch_execz .LBB222_85
; %bb.84:                               ;   in Loop: Header=BB222_50 Depth=1
	v_and_b32_e32 v20, 7, v4
	v_ffbh_u32_e32 v30, v20
	v_min_u32_e32 v32, 32, v30
	v_subrev_u32_e32 v30, 28, v32
	v_lshlrev_b64 v[30:31], v30, v[4:5]
	v_lshrrev_b32_e32 v29, 3, v21
	v_sub_u32_e32 v31, 29, v32
	v_cmp_gt_u32_e32 vcc, 8, v21
	v_lshlrev_b32_e32 v4, 8, v4
	s_nop 0
	v_cndmask_b32_e32 v21, v29, v31, vcc
	v_lshl_add_u32 v21, v21, 10, v28
	v_and_b32_e32 v29, 7, v30
	v_and_or_b32 v4, v4, s30, v21
	v_cndmask_b32_e32 v20, v20, v29, vcc
	v_lshlrev_b32_e32 v4, 16, v4
	v_lshl_or_b32 v20, v20, 23, v4
.LBB222_85:                             ;   in Loop: Header=BB222_50 Depth=1
	s_or_b64 exec, exec, s[18:19]
.LBB222_86:                             ;   in Loop: Header=BB222_50 Depth=1
	s_or_b64 exec, exec, s[16:17]
.LBB222_87:                             ;   in Loop: Header=BB222_50 Depth=1
	s_or_b64 exec, exec, s[0:1]
	v_lshrrev_b32_e32 v4, 16, v15
	v_cmp_ne_u16_sdwa s[16:17], v4, v5 src0_sel:BYTE_0 src1_sel:DWORD
	s_and_saveexec_b64 s[0:1], s[16:17]
	s_cbranch_execz .LBB222_93
; %bb.88:                               ;   in Loop: Header=BB222_50 Depth=1
	v_cmp_ne_u16_sdwa s[18:19], v4, s28 src0_sel:BYTE_0 src1_sel:DWORD
	v_mov_b32_e32 v18, 0x8000
	s_and_saveexec_b64 s[16:17], s[18:19]
	s_cbranch_execz .LBB222_92
; %bb.89:                               ;   in Loop: Header=BB222_50 Depth=1
	v_bfe_u32 v21, v15, 16, 7
	v_cmp_ne_u32_e32 vcc, s29, v21
	v_mov_b32_e32 v18, 0x7c01
	s_and_saveexec_b64 s[18:19], vcc
	s_cbranch_execz .LBB222_91
; %bb.90:                               ;   in Loop: Header=BB222_50 Depth=1
	v_and_b32_e32 v18, 7, v4
	v_ffbh_u32_e32 v30, v18
	v_min_u32_e32 v32, 32, v30
	v_subrev_u32_e32 v30, 28, v32
	v_lshlrev_b64 v[30:31], v30, v[4:5]
	v_lshrrev_b32_e32 v29, 3, v21
	v_sub_u32_e32 v31, 29, v32
	v_cmp_gt_u32_e32 vcc, 8, v21
	v_lshlrev_b32_e32 v4, 8, v4
	s_nop 0
	v_cndmask_b32_e32 v21, v29, v31, vcc
	v_lshl_add_u32 v21, v21, 10, v28
	v_and_b32_e32 v29, 7, v30
	v_and_b32_e32 v21, 0xfc00, v21
	v_cndmask_b32_e32 v18, v18, v29, vcc
	v_and_or_b32 v4, v4, s30, v21
	v_lshl_or_b32 v18, v18, 7, v4
.LBB222_91:                             ;   in Loop: Header=BB222_50 Depth=1
	s_or_b64 exec, exec, s[18:19]
.LBB222_92:                             ;   in Loop: Header=BB222_50 Depth=1
	s_or_b64 exec, exec, s[16:17]
.LBB222_93:                             ;   in Loop: Header=BB222_50 Depth=1
	s_or_b64 exec, exec, s[0:1]
	v_cmp_lt_u64_e32 vcc, s[6:7], v[14:15]
	v_mov_b32_e32 v21, 0
	s_and_saveexec_b64 s[0:1], vcc
	s_cbranch_execz .LBB222_99
; %bb.94:                               ;   in Loop: Header=BB222_50 Depth=1
	v_lshrrev_b32_e32 v4, 24, v15
	v_cmp_ne_u32_e32 vcc, s28, v4
	v_bfrev_b32_e32 v21, 1
	s_and_saveexec_b64 s[16:17], vcc
	s_cbranch_execz .LBB222_98
; %bb.95:                               ;   in Loop: Header=BB222_50 Depth=1
	v_and_b32_e32 v14, 0x7f, v4
	v_cmp_ne_u32_e32 vcc, s29, v14
	v_mov_b32_e32 v21, 0x7c010000
	s_and_saveexec_b64 s[18:19], vcc
	s_cbranch_execz .LBB222_97
; %bb.96:                               ;   in Loop: Header=BB222_50 Depth=1
	v_and_b32_e32 v15, 7, v4
	v_ffbh_u32_e32 v29, v15
	v_min_u32_e32 v29, 32, v29
	v_lshrrev_b32_e32 v21, 3, v14
	v_subrev_u32_e32 v30, 28, v29
	v_sub_u32_e32 v29, 29, v29
	v_cmp_gt_u32_e32 vcc, 8, v14
	v_lshlrev_b64 v[30:31], v30, v[4:5]
	v_lshlrev_b32_e32 v4, 8, v4
	v_cndmask_b32_e32 v14, v21, v29, vcc
	v_lshl_add_u32 v14, v14, 10, v28
	v_and_b32_e32 v21, 7, v30
	v_and_or_b32 v4, v4, s30, v14
	v_cndmask_b32_e32 v15, v15, v21, vcc
	v_lshlrev_b32_e32 v4, 16, v4
	v_lshl_or_b32 v21, v15, 23, v4
.LBB222_97:                             ;   in Loop: Header=BB222_50 Depth=1
	s_or_b64 exec, exec, s[18:19]
.LBB222_98:                             ;   in Loop: Header=BB222_50 Depth=1
	s_or_b64 exec, exec, s[16:17]
.LBB222_99:                             ;   in Loop: Header=BB222_50 Depth=1
	s_or_b64 exec, exec, s[0:1]
	v_cvt_f32_f16_sdwa v15, v1 dst_sel:DWORD dst_unused:UNUSED_PAD src0_sel:WORD_1
	v_cvt_f32_f16_sdwa v14, v17 dst_sel:DWORD dst_unused:UNUSED_PAD src0_sel:WORD_1
	v_or_b32_e32 v1, v1, v13
	v_or_b32_e32 v4, v17, v16
	v_cvt_f32_f16_e32 v16, v4
	v_cvt_f32_f16_e32 v17, v1
	s_waitcnt vmcnt(0)
	v_pk_mul_f32 v[14:15], v[12:13], v[14:15] op_sel_hi:[0,1]
	v_cvt_pk_f16_f32 v1, v14, v15
	v_and_b32_e32 v13, 0xffff0000, v1
	v_pk_mul_f32 v[16:17], v[12:13], v[16:17] op_sel_hi:[0,1]
	v_lshlrev_b32_e32 v14, 16, v1
	v_cvt_pk_f16_f32 v1, v16, v17
	v_or_b32_e32 v4, v20, v19
	v_or_b32_e32 v17, v21, v18
	v_cvt_f32_f16_e32 v18, v17
	v_cvt_f32_f16_e32 v19, v4
	v_cvt_f32_f16_sdwa v31, v20 dst_sel:DWORD dst_unused:UNUSED_PAD src0_sel:WORD_1
	v_cvt_f32_f16_sdwa v30, v21 dst_sel:DWORD dst_unused:UNUSED_PAD src0_sel:WORD_1
	v_lshrrev_b32_e32 v15, 16, v1
	v_pk_mul_f32 v[18:19], v[12:13], v[18:19] op_sel_hi:[0,1]
	v_cvt_pk_f16_f32 v20, v18, v19
	v_pk_mul_f32 v[18:19], v[12:13], v[30:31] op_sel_hi:[0,1]
	v_cvt_pk_f16_f32 v12, v18, v19
	v_and_b32_e32 v16, 0xffff, v1
	v_and_b32_e32 v17, 0xffff0000, v12
	v_lshlrev_b32_e32 v12, 16, v12
	v_lshrrev_b32_e32 v21, 16, v20
	v_and_b32_e32 v20, 0xffff, v20
	v_cmp_eq_u32_e32 vcc, s35, v23
	v_or_b32_e32 v1, v13, v15
	v_or_b32_e32 v4, v14, v16
	v_or_b32_e32 v19, v17, v21
	v_or_b32_e32 v18, v12, v20
	v_add_u32_e32 v35, 2, v24
	v_or_b32_e32 v34, 1, v24
	v_or_b32_e32 v33, 3, v24
	;; [unrolled: 1-line block ×6, first 2 shown]
	s_and_saveexec_b64 s[16:17], vcc
	s_cbranch_execz .LBB222_101
; %bb.100:                              ;   in Loop: Header=BB222_50 Depth=1
	v_cmp_gt_i32_e64 s[0:1], s38, v24
	s_nop 1
	v_cndmask_b32_e64 v1, 0, v15, s[0:1]
	v_cmp_gt_i32_e64 s[0:1], s11, v35
	s_nop 1
	v_cndmask_b32_e64 v4, 0, v16, s[0:1]
	;; [unrolled: 3-line block ×3, first 2 shown]
	v_cmp_gt_i32_e64 s[0:1], s11, v33
	v_or_b32_e32 v1, v13, v1
	s_nop 0
	v_cndmask_b32_e64 v14, 0, v14, s[0:1]
	v_cmp_gt_i32_e64 s[0:1], s38, v32
	v_or_b32_e32 v4, v14, v4
	s_nop 0
	v_cndmask_b32_e64 v13, 0, v21, s[0:1]
	v_cmp_gt_i32_e64 s[0:1], s11, v31
	s_nop 1
	v_cndmask_b32_e64 v14, 0, v20, s[0:1]
	v_cmp_gt_i32_e64 s[0:1], s38, v30
	;; [unrolled: 3-line block ×3, first 2 shown]
	v_or_b32_e32 v19, v15, v13
	s_nop 0
	v_cndmask_b32_e64 v12, 0, v12, s[0:1]
	v_or_b32_e32 v18, v12, v14
.LBB222_101:                            ;   in Loop: Header=BB222_50 Depth=1
	s_or_b64 exec, exec, s[16:17]
	v_and_b32_e32 v12, 0xffff, v36
	v_lshl_or_b32 v37, v37, 16, v12
	v_and_b32_e32 v12, 0xffff, v38
	v_lshl_or_b32 v36, v39, 16, v12
	;; [unrolled: 2-line block ×3, first 2 shown]
	v_and_b32_e32 v12, 0xffff, v42
	;;#ASMSTART
	v_pk_mul_f16 v1, v37, v1;

	;;#ASMEND
	v_lshl_or_b32 v20, v43, 16, v12
	;;#ASMSTART
	v_pk_mul_f16 v4, v36, v4;

	;;#ASMEND
	;;#ASMSTART
	v_pk_mul_f16 v12, v21, v19;

	;;#ASMEND
	;; [unrolled: 4-line block ×3, first 2 shown]
	s_nop 0
	;;#ASMSTART
	v_pk_add_f16 v1, v1, v4;

	;;#ASMEND
	s_nop 0
	;;#ASMSTART
	v_pk_add_f16 v1, v1, v12;

	;;#ASMEND
	;; [unrolled: 5-line block ×3, first 2 shown]
	s_nop 0
	v_lshrrev_b32_e32 v4, 16, v1
	v_and_b32_e32 v1, 0xffff, v1
	;;#ASMSTART
	v_cvt_f32_f16 v38, v1;
	;;#ASMEND
	;;#ASMSTART
	v_cvt_f32_f16 v39, v4;
	;;#ASMEND
	global_load_dwordx2 v[12:13], v[10:11], off offset:512
	v_mov_b32_e32 v1, 0
	global_load_dword v10, v1, s[14:15]
	v_mov_b32_e32 v11, 0
	s_waitcnt vmcnt(1)
	v_cmp_ne_u16_sdwa s[0:1], v12, v5 src0_sel:BYTE_0 src1_sel:DWORD
	s_and_saveexec_b64 s[16:17], s[0:1]
	s_cbranch_execz .LBB222_107
; %bb.102:                              ;   in Loop: Header=BB222_50 Depth=1
	v_cmp_ne_u16_sdwa s[0:1], v12, s28 src0_sel:BYTE_0 src1_sel:DWORD
	v_mov_b32_e32 v11, 0x8000
	s_and_saveexec_b64 s[18:19], s[0:1]
	s_cbranch_execz .LBB222_106
; %bb.103:                              ;   in Loop: Header=BB222_50 Depth=1
	v_and_b32_e32 v4, 0x7f, v12
	v_cmp_ne_u32_e64 s[0:1], s29, v4
	v_mov_b32_e32 v11, 0x7c01
	s_and_saveexec_b64 s[20:21], s[0:1]
	s_cbranch_execz .LBB222_105
; %bb.104:                              ;   in Loop: Header=BB222_50 Depth=1
	v_and_b32_e32 v11, 7, v12
	v_ffbh_u32_e32 v14, v11
	v_min_u32_e32 v17, 32, v14
	v_subrev_u32_e32 v14, 28, v17
	v_lshlrev_b64 v[14:15], v14, v[12:13]
	v_lshrrev_b32_e32 v16, 3, v4
	v_sub_u32_e32 v15, 29, v17
	v_cmp_gt_u32_e64 s[0:1], 8, v4
	v_and_b32_e32 v14, 7, v14
	s_nop 0
	v_cndmask_b32_e64 v4, v16, v15, s[0:1]
	v_lshl_add_u32 v4, v4, 10, v28
	v_lshlrev_b32_e32 v15, 8, v12
	v_and_b32_e32 v4, 0xfc00, v4
	v_cndmask_b32_e64 v11, v11, v14, s[0:1]
	v_and_or_b32 v4, v15, s30, v4
	v_lshl_or_b32 v11, v11, 7, v4
.LBB222_105:                            ;   in Loop: Header=BB222_50 Depth=1
	s_or_b64 exec, exec, s[20:21]
.LBB222_106:                            ;   in Loop: Header=BB222_50 Depth=1
	s_or_b64 exec, exec, s[18:19]
.LBB222_107:                            ;   in Loop: Header=BB222_50 Depth=1
	s_or_b64 exec, exec, s[16:17]
	v_lshrrev_b16_e32 v4, 8, v12
	v_cmp_ne_u16_e64 s[0:1], 0, v4
	s_and_saveexec_b64 s[16:17], s[0:1]
	s_cbranch_execz .LBB222_113
; %bb.108:                              ;   in Loop: Header=BB222_50 Depth=1
	v_cmp_ne_u16_e64 s[0:1], s28, v4
	v_bfrev_b32_e32 v1, 1
	s_and_saveexec_b64 s[18:19], s[0:1]
	s_cbranch_execz .LBB222_112
; %bb.109:                              ;   in Loop: Header=BB222_50 Depth=1
	v_and_b32_e32 v14, 0x7f, v4
	v_cmp_ne_u32_e64 s[0:1], s29, v14
	v_mov_b32_e32 v1, 0x7c010000
	s_and_saveexec_b64 s[20:21], s[0:1]
	s_cbranch_execz .LBB222_111
; %bb.110:                              ;   in Loop: Header=BB222_50 Depth=1
	v_and_b32_e32 v1, 7, v4
	v_ffbh_u32_e32 v16, v1
	v_min_u32_e32 v18, 32, v16
	v_subrev_u32_e32 v16, 28, v18
	v_lshlrev_b64 v[16:17], v16, v[4:5]
	v_lshrrev_b32_e32 v15, 3, v14
	v_sub_u32_e32 v17, 29, v18
	v_cmp_gt_u32_e64 s[0:1], 8, v14
	v_lshlrev_b32_e32 v4, 8, v4
	s_nop 0
	v_cndmask_b32_e64 v14, v15, v17, s[0:1]
	v_lshl_add_u32 v14, v14, 10, v28
	v_and_b32_e32 v15, 7, v16
	v_and_or_b32 v4, v4, s30, v14
	v_cndmask_b32_e64 v1, v1, v15, s[0:1]
	v_lshlrev_b32_e32 v4, 16, v4
	v_lshl_or_b32 v1, v1, 23, v4
.LBB222_111:                            ;   in Loop: Header=BB222_50 Depth=1
	s_or_b64 exec, exec, s[20:21]
.LBB222_112:                            ;   in Loop: Header=BB222_50 Depth=1
	s_or_b64 exec, exec, s[18:19]
.LBB222_113:                            ;   in Loop: Header=BB222_50 Depth=1
	s_or_b64 exec, exec, s[16:17]
	v_lshrrev_b32_e32 v4, 16, v12
	v_cmp_ne_u16_sdwa s[0:1], v4, v5 src0_sel:BYTE_0 src1_sel:DWORD
	v_mov_b32_e32 v15, 0
	v_mov_b32_e32 v14, 0
	s_and_saveexec_b64 s[16:17], s[0:1]
	s_cbranch_execz .LBB222_119
; %bb.114:                              ;   in Loop: Header=BB222_50 Depth=1
	v_cmp_ne_u16_sdwa s[0:1], v4, s28 src0_sel:BYTE_0 src1_sel:DWORD
	v_mov_b32_e32 v14, 0x8000
	s_and_saveexec_b64 s[18:19], s[0:1]
	s_cbranch_execz .LBB222_118
; %bb.115:                              ;   in Loop: Header=BB222_50 Depth=1
	v_bfe_u32 v16, v12, 16, 7
	v_cmp_ne_u32_e64 s[0:1], s29, v16
	v_mov_b32_e32 v14, 0x7c01
	s_and_saveexec_b64 s[20:21], s[0:1]
	s_cbranch_execz .LBB222_117
; %bb.116:                              ;   in Loop: Header=BB222_50 Depth=1
	v_and_b32_e32 v14, 7, v4
	v_ffbh_u32_e32 v18, v14
	v_min_u32_e32 v40, 32, v18
	v_subrev_u32_e32 v18, 28, v40
	v_lshlrev_b64 v[18:19], v18, v[4:5]
	v_lshrrev_b32_e32 v17, 3, v16
	v_sub_u32_e32 v19, 29, v40
	v_cmp_gt_u32_e64 s[0:1], 8, v16
	v_lshlrev_b32_e32 v4, 8, v4
	s_nop 0
	v_cndmask_b32_e64 v16, v17, v19, s[0:1]
	v_lshl_add_u32 v16, v16, 10, v28
	v_and_b32_e32 v17, 7, v18
	v_and_b32_e32 v16, 0xfc00, v16
	v_cndmask_b32_e64 v14, v14, v17, s[0:1]
	v_and_or_b32 v4, v4, s30, v16
	v_lshl_or_b32 v14, v14, 7, v4
.LBB222_117:                            ;   in Loop: Header=BB222_50 Depth=1
	s_or_b64 exec, exec, s[20:21]
.LBB222_118:                            ;   in Loop: Header=BB222_50 Depth=1
	s_or_b64 exec, exec, s[18:19]
.LBB222_119:                            ;   in Loop: Header=BB222_50 Depth=1
	s_or_b64 exec, exec, s[16:17]
	v_cmp_lt_u32_e64 s[0:1], s7, v12
	s_and_saveexec_b64 s[16:17], s[0:1]
	s_cbranch_execz .LBB222_125
; %bb.120:                              ;   in Loop: Header=BB222_50 Depth=1
	v_lshrrev_b32_e32 v4, 24, v12
	v_cmp_ne_u32_e64 s[0:1], s28, v4
	v_bfrev_b32_e32 v15, 1
	s_and_saveexec_b64 s[18:19], s[0:1]
	s_cbranch_execz .LBB222_124
; %bb.121:                              ;   in Loop: Header=BB222_50 Depth=1
	v_and_b32_e32 v16, 0x7f, v4
	v_cmp_ne_u32_e64 s[0:1], s29, v16
	v_mov_b32_e32 v15, 0x7c010000
	s_and_saveexec_b64 s[20:21], s[0:1]
	s_cbranch_execz .LBB222_123
; %bb.122:                              ;   in Loop: Header=BB222_50 Depth=1
	v_and_b32_e32 v15, 7, v4
	v_ffbh_u32_e32 v18, v15
	v_min_u32_e32 v40, 32, v18
	v_subrev_u32_e32 v18, 28, v40
	v_lshlrev_b64 v[18:19], v18, v[4:5]
	v_lshrrev_b32_e32 v17, 3, v16
	v_sub_u32_e32 v19, 29, v40
	v_cmp_gt_u32_e64 s[0:1], 8, v16
	v_lshlrev_b32_e32 v4, 8, v4
	s_nop 0
	v_cndmask_b32_e64 v16, v17, v19, s[0:1]
	v_lshl_add_u32 v16, v16, 10, v28
	v_and_b32_e32 v17, 7, v18
	v_and_or_b32 v4, v4, s30, v16
	v_cndmask_b32_e64 v15, v15, v17, s[0:1]
	v_lshlrev_b32_e32 v4, 16, v4
	v_lshl_or_b32 v15, v15, 23, v4
.LBB222_123:                            ;   in Loop: Header=BB222_50 Depth=1
	s_or_b64 exec, exec, s[20:21]
.LBB222_124:                            ;   in Loop: Header=BB222_50 Depth=1
	s_or_b64 exec, exec, s[18:19]
.LBB222_125:                            ;   in Loop: Header=BB222_50 Depth=1
	s_or_b64 exec, exec, s[16:17]
	v_mov_b32_e32 v4, v13
	v_cmp_ne_u16_sdwa s[0:1], v13, v5 src0_sel:BYTE_0 src1_sel:DWORD
	v_mov_b32_e32 v16, 0
	v_mov_b32_e32 v17, 0
	s_and_saveexec_b64 s[16:17], s[0:1]
	s_cbranch_execz .LBB222_131
; %bb.126:                              ;   in Loop: Header=BB222_50 Depth=1
	v_cmp_ne_u16_sdwa s[0:1], v13, s28 src0_sel:BYTE_0 src1_sel:DWORD
	v_mov_b32_e32 v17, 0x8000
	s_and_saveexec_b64 s[18:19], s[0:1]
	s_cbranch_execz .LBB222_130
; %bb.127:                              ;   in Loop: Header=BB222_50 Depth=1
	v_and_b32_e32 v18, 0x7f, v13
	v_cmp_ne_u32_e64 s[0:1], s29, v18
	v_mov_b32_e32 v17, 0x7c01
	s_and_saveexec_b64 s[20:21], s[0:1]
	s_cbranch_execz .LBB222_129
; %bb.128:                              ;   in Loop: Header=BB222_50 Depth=1
	v_and_b32_e32 v17, 7, v13
	v_ffbh_u32_e32 v40, v17
	v_min_u32_e32 v42, 32, v40
	v_subrev_u32_e32 v40, 28, v42
	v_lshlrev_b64 v[40:41], v40, v[4:5]
	v_lshrrev_b32_e32 v19, 3, v18
	v_sub_u32_e32 v41, 29, v42
	v_cmp_gt_u32_e64 s[0:1], 8, v18
	v_and_b32_e32 v40, 7, v40
	s_nop 0
	v_cndmask_b32_e64 v18, v19, v41, s[0:1]
	v_lshl_add_u32 v18, v18, 10, v28
	v_lshlrev_b32_e32 v19, 8, v13
	v_and_b32_e32 v18, 0xfc00, v18
	v_cndmask_b32_e64 v17, v17, v40, s[0:1]
	v_and_or_b32 v18, v19, s30, v18
	v_lshl_or_b32 v17, v17, 7, v18
.LBB222_129:                            ;   in Loop: Header=BB222_50 Depth=1
	s_or_b64 exec, exec, s[20:21]
.LBB222_130:                            ;   in Loop: Header=BB222_50 Depth=1
	s_or_b64 exec, exec, s[18:19]
.LBB222_131:                            ;   in Loop: Header=BB222_50 Depth=1
	s_or_b64 exec, exec, s[16:17]
	v_lshrrev_b16_e32 v4, 8, v4
	v_cmp_ne_u16_e64 s[0:1], 0, v4
	v_mov_b32_e32 v18, 0
	s_and_saveexec_b64 s[16:17], s[0:1]
	s_cbranch_execz .LBB222_137
; %bb.132:                              ;   in Loop: Header=BB222_50 Depth=1
	v_cmp_ne_u16_e64 s[0:1], s28, v4
	v_bfrev_b32_e32 v18, 1
	s_and_saveexec_b64 s[18:19], s[0:1]
	s_cbranch_execz .LBB222_136
; %bb.133:                              ;   in Loop: Header=BB222_50 Depth=1
	v_and_b32_e32 v19, 0x7f, v4
	v_cmp_ne_u32_e64 s[0:1], s29, v19
	v_mov_b32_e32 v18, 0x7c010000
	s_and_saveexec_b64 s[20:21], s[0:1]
	s_cbranch_execz .LBB222_135
; %bb.134:                              ;   in Loop: Header=BB222_50 Depth=1
	v_and_b32_e32 v18, 7, v4
	v_ffbh_u32_e32 v40, v18
	v_min_u32_e32 v43, 32, v40
	v_subrev_u32_e32 v40, 28, v43
	v_lshlrev_b64 v[40:41], v40, v[4:5]
	v_lshrrev_b32_e32 v42, 3, v19
	v_sub_u32_e32 v41, 29, v43
	v_cmp_gt_u32_e64 s[0:1], 8, v19
	v_lshlrev_b32_e32 v4, 8, v4
	v_and_b32_e32 v40, 7, v40
	v_cndmask_b32_e64 v19, v42, v41, s[0:1]
	v_lshl_add_u32 v19, v19, 10, v28
	v_and_or_b32 v4, v4, s30, v19
	v_cndmask_b32_e64 v18, v18, v40, s[0:1]
	v_lshlrev_b32_e32 v4, 16, v4
	v_lshl_or_b32 v18, v18, 23, v4
.LBB222_135:                            ;   in Loop: Header=BB222_50 Depth=1
	s_or_b64 exec, exec, s[20:21]
.LBB222_136:                            ;   in Loop: Header=BB222_50 Depth=1
	s_or_b64 exec, exec, s[18:19]
.LBB222_137:                            ;   in Loop: Header=BB222_50 Depth=1
	s_or_b64 exec, exec, s[16:17]
	v_lshrrev_b32_e32 v4, 16, v13
	v_cmp_ne_u16_sdwa s[0:1], v4, v5 src0_sel:BYTE_0 src1_sel:DWORD
	s_and_saveexec_b64 s[16:17], s[0:1]
	s_cbranch_execz .LBB222_143
; %bb.138:                              ;   in Loop: Header=BB222_50 Depth=1
	v_cmp_ne_u16_sdwa s[0:1], v4, s28 src0_sel:BYTE_0 src1_sel:DWORD
	v_mov_b32_e32 v16, 0x8000
	s_and_saveexec_b64 s[18:19], s[0:1]
	s_cbranch_execz .LBB222_142
; %bb.139:                              ;   in Loop: Header=BB222_50 Depth=1
	v_bfe_u32 v19, v13, 16, 7
	v_cmp_ne_u32_e64 s[0:1], s29, v19
	v_mov_b32_e32 v16, 0x7c01
	s_and_saveexec_b64 s[20:21], s[0:1]
	s_cbranch_execz .LBB222_141
; %bb.140:                              ;   in Loop: Header=BB222_50 Depth=1
	v_and_b32_e32 v16, 7, v4
	v_ffbh_u32_e32 v40, v16
	v_min_u32_e32 v43, 32, v40
	v_subrev_u32_e32 v40, 28, v43
	v_lshlrev_b64 v[40:41], v40, v[4:5]
	v_lshrrev_b32_e32 v42, 3, v19
	v_sub_u32_e32 v41, 29, v43
	v_cmp_gt_u32_e64 s[0:1], 8, v19
	v_lshlrev_b32_e32 v4, 8, v4
	v_and_b32_e32 v40, 7, v40
	v_cndmask_b32_e64 v19, v42, v41, s[0:1]
	v_lshl_add_u32 v19, v19, 10, v28
	v_and_b32_e32 v19, 0xfc00, v19
	v_cndmask_b32_e64 v16, v16, v40, s[0:1]
	v_and_or_b32 v4, v4, s30, v19
	v_lshl_or_b32 v16, v16, 7, v4
.LBB222_141:                            ;   in Loop: Header=BB222_50 Depth=1
	s_or_b64 exec, exec, s[20:21]
.LBB222_142:                            ;   in Loop: Header=BB222_50 Depth=1
	s_or_b64 exec, exec, s[18:19]
.LBB222_143:                            ;   in Loop: Header=BB222_50 Depth=1
	s_or_b64 exec, exec, s[16:17]
	v_cmp_lt_u64_e64 s[0:1], s[6:7], v[12:13]
	v_mov_b32_e32 v12, 0
	s_and_saveexec_b64 s[16:17], s[0:1]
	s_cbranch_execz .LBB222_149
; %bb.144:                              ;   in Loop: Header=BB222_50 Depth=1
	v_lshrrev_b32_e32 v4, 24, v13
	v_cmp_ne_u32_e64 s[0:1], s28, v4
	v_bfrev_b32_e32 v12, 1
	s_and_saveexec_b64 s[18:19], s[0:1]
	s_cbranch_execz .LBB222_148
; %bb.145:                              ;   in Loop: Header=BB222_50 Depth=1
	v_and_b32_e32 v13, 0x7f, v4
	v_cmp_ne_u32_e64 s[0:1], s29, v13
	v_mov_b32_e32 v12, 0x7c010000
	s_and_saveexec_b64 s[20:21], s[0:1]
	s_cbranch_execz .LBB222_147
; %bb.146:                              ;   in Loop: Header=BB222_50 Depth=1
	v_and_b32_e32 v12, 7, v4
	v_ffbh_u32_e32 v40, v12
	v_min_u32_e32 v42, 32, v40
	v_subrev_u32_e32 v40, 28, v42
	v_lshlrev_b64 v[40:41], v40, v[4:5]
	v_lshrrev_b32_e32 v19, 3, v13
	v_sub_u32_e32 v41, 29, v42
	v_cmp_gt_u32_e64 s[0:1], 8, v13
	v_lshlrev_b32_e32 v4, 8, v4
	s_nop 0
	v_cndmask_b32_e64 v13, v19, v41, s[0:1]
	v_lshl_add_u32 v13, v13, 10, v28
	v_and_b32_e32 v19, 7, v40
	v_and_or_b32 v4, v4, s30, v13
	v_cndmask_b32_e64 v12, v12, v19, s[0:1]
	v_lshlrev_b32_e32 v4, 16, v4
	v_lshl_or_b32 v12, v12, 23, v4
.LBB222_147:                            ;   in Loop: Header=BB222_50 Depth=1
	s_or_b64 exec, exec, s[20:21]
.LBB222_148:                            ;   in Loop: Header=BB222_50 Depth=1
	s_or_b64 exec, exec, s[18:19]
.LBB222_149:                            ;   in Loop: Header=BB222_50 Depth=1
	s_or_b64 exec, exec, s[16:17]
	v_cvt_f32_f16_sdwa v41, v1 dst_sel:DWORD dst_unused:UNUSED_PAD src0_sel:WORD_1
	v_cvt_f32_f16_sdwa v40, v15 dst_sel:DWORD dst_unused:UNUSED_PAD src0_sel:WORD_1
	v_or_b32_e32 v1, v1, v11
	v_or_b32_e32 v4, v15, v14
	;; [unrolled: 1-line block ×3, first 2 shown]
	s_waitcnt vmcnt(0)
	v_pk_mul_f32 v[14:15], v[10:11], v[40:41] op_sel_hi:[0,1]
	v_cvt_f32_f16_e32 v40, v4
	v_cvt_f32_f16_e32 v41, v1
	v_cvt_pk_f16_f32 v1, v14, v15
	v_and_b32_e32 v11, 0xffff0000, v1
	v_lshlrev_b32_e32 v4, 16, v1
	v_pk_mul_f32 v[14:15], v[10:11], v[40:41] op_sel_hi:[0,1]
	v_cvt_pk_f16_f32 v1, v14, v15
	v_or_b32_e32 v15, v18, v17
	v_cvt_f32_f16_e32 v16, v16
	v_cvt_f32_f16_e32 v17, v15
	v_cvt_f32_f16_sdwa v19, v18 dst_sel:DWORD dst_unused:UNUSED_PAD src0_sel:WORD_1
	v_cvt_f32_f16_sdwa v18, v12 dst_sel:DWORD dst_unused:UNUSED_PAD src0_sel:WORD_1
	v_lshrrev_b32_e32 v13, 16, v1
	v_pk_mul_f32 v[16:17], v[10:11], v[16:17] op_sel_hi:[0,1]
	v_cvt_pk_f16_f32 v40, v16, v17
	v_pk_mul_f32 v[16:17], v[10:11], v[18:19] op_sel_hi:[0,1]
	v_cvt_pk_f16_f32 v10, v16, v17
	v_and_b32_e32 v14, 0xffff, v1
	v_and_b32_e32 v15, 0xffff0000, v10
	v_lshlrev_b32_e32 v10, 16, v10
	v_lshrrev_b32_e32 v17, 16, v40
	v_and_b32_e32 v16, 0xffff, v40
	v_or_b32_e32 v1, v11, v13
	v_or_b32_e32 v12, v4, v14
	;; [unrolled: 1-line block ×4, first 2 shown]
	s_and_saveexec_b64 s[0:1], vcc
	s_cbranch_execz .LBB222_48
; %bb.150:                              ;   in Loop: Header=BB222_50 Depth=1
	v_cmp_gt_i32_e32 vcc, s38, v24
	s_nop 1
	v_cndmask_b32_e32 v1, 0, v13, vcc
	v_cmp_gt_i32_e32 vcc, s11, v35
	s_nop 1
	v_cndmask_b32_e32 v12, 0, v14, vcc
	;; [unrolled: 3-line block ×3, first 2 shown]
	v_cmp_gt_i32_e32 vcc, s11, v33
	v_or_b32_e32 v1, v11, v1
	s_nop 0
	v_cndmask_b32_e32 v4, 0, v4, vcc
	v_cmp_gt_i32_e32 vcc, s38, v32
	v_or_b32_e32 v12, v4, v12
	s_nop 0
	v_cndmask_b32_e32 v4, 0, v17, vcc
	v_cmp_gt_i32_e32 vcc, s11, v31
	s_nop 1
	v_cndmask_b32_e32 v11, 0, v16, vcc
	v_cmp_gt_i32_e32 vcc, s38, v30
	;; [unrolled: 3-line block ×3, first 2 shown]
	v_or_b32_e32 v19, v13, v4
	s_nop 0
	v_cndmask_b32_e32 v10, 0, v10, vcc
	v_or_b32_e32 v18, v10, v11
	s_branch .LBB222_48
.LBB222_151:
	s_or_b64 exec, exec, s[8:9]
.LBB222_152:
	s_or_b64 exec, exec, s[2:3]
	v_and_b32_e32 v1, 0x3c0, v0
	v_cmp_eq_u32_e32 vcc, 64, v1
	s_barrier
	s_and_saveexec_b64 s[0:1], vcc
; %bb.153:
	v_mov_b32_e32 v1, 0x110
	v_lshl_add_u32 v1, v25, 2, v1
	ds_write2st64_b32 v1, v2, v3 offset1:1
; %bb.154:
	s_or_b64 exec, exec, s[0:1]
	v_cmp_gt_u32_e32 vcc, 64, v0
	s_waitcnt lgkmcnt(0)
	s_barrier
	s_and_saveexec_b64 s[0:1], vcc
	s_cbranch_execz .LBB222_156
; %bb.155:
	v_mov_b32_e32 v1, 0x110
	v_lshl_add_u32 v0, v0, 2, v1
	ds_read2st64_b32 v[0:1], v0 offset1:1
	s_waitcnt lgkmcnt(0)
	v_pk_add_f32 v[2:3], v[2:3], v[0:1]
.LBB222_156:
	s_or_b64 exec, exec, s[0:1]
	s_barrier
	s_and_saveexec_b64 s[0:1], vcc
	s_cbranch_execz .LBB222_158
; %bb.157:
	s_mul_i32 s0, s10, s23
	s_mul_i32 s0, s0, s5
	s_lshl_b32 s0, s0, 7
	s_ashr_i32 s1, s0, 31
	s_lshl_b64 s[0:1], s[0:1], 1
	s_add_u32 s2, s26, s0
	s_mul_i32 s0, s23, s24
	s_addc_u32 s3, s27, s1
	s_ashr_i32 s1, s0, 31
	s_lshl_b64 s[0:1], s[0:1], 1
	s_add_u32 s2, s2, s0
	s_addc_u32 s3, s3, s1
	s_lshl_b32 s0, s4, 7
	s_ashr_i32 s1, s0, 31
	s_lshl_b64 s[0:1], s[0:1], 1
	s_add_u32 s0, s2, s0
	s_addc_u32 s1, s3, s1
	;;#ASMSTART
	v_cvt_f16_f32 v0, v2;

	;;#ASMEND
	global_store_short v22, v0, s[0:1]
	;;#ASMSTART
	v_cvt_f16_f32 v0, v3;

	;;#ASMEND
	global_store_short v22, v0, s[0:1] offset:128
.LBB222_158:
	s_endpgm
	.section	.rodata,"a",@progbits
	.p2align	6, 0x0
	.amdhsa_kernel _ZN4vllm25paged_attention_v1_kernelIthLi128ELi8ELi128ELNS_18Fp8KVCacheDataTypeE1ELb1EEEvPT_PKS2_PKT0_S8_ifPKiSA_iPKfiiiSC_SC_iiiii
		.amdhsa_group_segment_fixed_size 272
		.amdhsa_private_segment_fixed_size 0
		.amdhsa_kernarg_size 384
		.amdhsa_user_sgpr_count 2
		.amdhsa_user_sgpr_dispatch_ptr 0
		.amdhsa_user_sgpr_queue_ptr 0
		.amdhsa_user_sgpr_kernarg_segment_ptr 1
		.amdhsa_user_sgpr_dispatch_id 0
		.amdhsa_user_sgpr_kernarg_preload_length 0
		.amdhsa_user_sgpr_kernarg_preload_offset 0
		.amdhsa_user_sgpr_private_segment_size 0
		.amdhsa_uses_dynamic_stack 0
		.amdhsa_enable_private_segment 0
		.amdhsa_system_sgpr_workgroup_id_x 1
		.amdhsa_system_sgpr_workgroup_id_y 1
		.amdhsa_system_sgpr_workgroup_id_z 1
		.amdhsa_system_sgpr_workgroup_info 0
		.amdhsa_system_vgpr_workitem_id 0
		.amdhsa_next_free_vgpr 56
		.amdhsa_next_free_sgpr 48
		.amdhsa_accum_offset 56
		.amdhsa_reserve_vcc 1
		.amdhsa_float_round_mode_32 0
		.amdhsa_float_round_mode_16_64 0
		.amdhsa_float_denorm_mode_32 3
		.amdhsa_float_denorm_mode_16_64 3
		.amdhsa_dx10_clamp 1
		.amdhsa_ieee_mode 1
		.amdhsa_fp16_overflow 0
		.amdhsa_tg_split 0
		.amdhsa_exception_fp_ieee_invalid_op 0
		.amdhsa_exception_fp_denorm_src 0
		.amdhsa_exception_fp_ieee_div_zero 0
		.amdhsa_exception_fp_ieee_overflow 0
		.amdhsa_exception_fp_ieee_underflow 0
		.amdhsa_exception_fp_ieee_inexact 0
		.amdhsa_exception_int_div_zero 0
	.end_amdhsa_kernel
	.section	.text._ZN4vllm25paged_attention_v1_kernelIthLi128ELi8ELi128ELNS_18Fp8KVCacheDataTypeE1ELb1EEEvPT_PKS2_PKT0_S8_ifPKiSA_iPKfiiiSC_SC_iiiii,"axG",@progbits,_ZN4vllm25paged_attention_v1_kernelIthLi128ELi8ELi128ELNS_18Fp8KVCacheDataTypeE1ELb1EEEvPT_PKS2_PKT0_S8_ifPKiSA_iPKfiiiSC_SC_iiiii,comdat
.Lfunc_end222:
	.size	_ZN4vllm25paged_attention_v1_kernelIthLi128ELi8ELi128ELNS_18Fp8KVCacheDataTypeE1ELb1EEEvPT_PKS2_PKT0_S8_ifPKiSA_iPKfiiiSC_SC_iiiii, .Lfunc_end222-_ZN4vllm25paged_attention_v1_kernelIthLi128ELi8ELi128ELNS_18Fp8KVCacheDataTypeE1ELb1EEEvPT_PKS2_PKT0_S8_ifPKiSA_iPKfiiiSC_SC_iiiii
                                        ; -- End function
	.set _ZN4vllm25paged_attention_v1_kernelIthLi128ELi8ELi128ELNS_18Fp8KVCacheDataTypeE1ELb1EEEvPT_PKS2_PKT0_S8_ifPKiSA_iPKfiiiSC_SC_iiiii.num_vgpr, 56
	.set _ZN4vllm25paged_attention_v1_kernelIthLi128ELi8ELi128ELNS_18Fp8KVCacheDataTypeE1ELb1EEEvPT_PKS2_PKT0_S8_ifPKiSA_iPKfiiiSC_SC_iiiii.num_agpr, 0
	.set _ZN4vllm25paged_attention_v1_kernelIthLi128ELi8ELi128ELNS_18Fp8KVCacheDataTypeE1ELb1EEEvPT_PKS2_PKT0_S8_ifPKiSA_iPKfiiiSC_SC_iiiii.numbered_sgpr, 48
	.set _ZN4vllm25paged_attention_v1_kernelIthLi128ELi8ELi128ELNS_18Fp8KVCacheDataTypeE1ELb1EEEvPT_PKS2_PKT0_S8_ifPKiSA_iPKfiiiSC_SC_iiiii.num_named_barrier, 0
	.set _ZN4vllm25paged_attention_v1_kernelIthLi128ELi8ELi128ELNS_18Fp8KVCacheDataTypeE1ELb1EEEvPT_PKS2_PKT0_S8_ifPKiSA_iPKfiiiSC_SC_iiiii.private_seg_size, 0
	.set _ZN4vllm25paged_attention_v1_kernelIthLi128ELi8ELi128ELNS_18Fp8KVCacheDataTypeE1ELb1EEEvPT_PKS2_PKT0_S8_ifPKiSA_iPKfiiiSC_SC_iiiii.uses_vcc, 1
	.set _ZN4vllm25paged_attention_v1_kernelIthLi128ELi8ELi128ELNS_18Fp8KVCacheDataTypeE1ELb1EEEvPT_PKS2_PKT0_S8_ifPKiSA_iPKfiiiSC_SC_iiiii.uses_flat_scratch, 0
	.set _ZN4vllm25paged_attention_v1_kernelIthLi128ELi8ELi128ELNS_18Fp8KVCacheDataTypeE1ELb1EEEvPT_PKS2_PKT0_S8_ifPKiSA_iPKfiiiSC_SC_iiiii.has_dyn_sized_stack, 0
	.set _ZN4vllm25paged_attention_v1_kernelIthLi128ELi8ELi128ELNS_18Fp8KVCacheDataTypeE1ELb1EEEvPT_PKS2_PKT0_S8_ifPKiSA_iPKfiiiSC_SC_iiiii.has_recursion, 0
	.set _ZN4vllm25paged_attention_v1_kernelIthLi128ELi8ELi128ELNS_18Fp8KVCacheDataTypeE1ELb1EEEvPT_PKS2_PKT0_S8_ifPKiSA_iPKfiiiSC_SC_iiiii.has_indirect_call, 0
	.section	.AMDGPU.csdata,"",@progbits
; Kernel info:
; codeLenInByte = 9016
; TotalNumSgprs: 54
; NumVgprs: 56
; NumAgprs: 0
; TotalNumVgprs: 56
; ScratchSize: 0
; MemoryBound: 0
; FloatMode: 240
; IeeeMode: 1
; LDSByteSize: 272 bytes/workgroup (compile time only)
; SGPRBlocks: 6
; VGPRBlocks: 6
; NumSGPRsForWavesPerEU: 54
; NumVGPRsForWavesPerEU: 56
; AccumOffset: 56
; Occupancy: 8
; WaveLimiterHint : 1
; COMPUTE_PGM_RSRC2:SCRATCH_EN: 0
; COMPUTE_PGM_RSRC2:USER_SGPR: 2
; COMPUTE_PGM_RSRC2:TRAP_HANDLER: 0
; COMPUTE_PGM_RSRC2:TGID_X_EN: 1
; COMPUTE_PGM_RSRC2:TGID_Y_EN: 1
; COMPUTE_PGM_RSRC2:TGID_Z_EN: 1
; COMPUTE_PGM_RSRC2:TIDIG_COMP_CNT: 0
; COMPUTE_PGM_RSRC3_GFX90A:ACCUM_OFFSET: 13
; COMPUTE_PGM_RSRC3_GFX90A:TG_SPLIT: 0
	.section	.text._ZN4vllm25paged_attention_v1_kernelIthLi192ELi8ELi128ELNS_18Fp8KVCacheDataTypeE1ELb1EEEvPT_PKS2_PKT0_S8_ifPKiSA_iPKfiiiSC_SC_iiiii,"axG",@progbits,_ZN4vllm25paged_attention_v1_kernelIthLi192ELi8ELi128ELNS_18Fp8KVCacheDataTypeE1ELb1EEEvPT_PKS2_PKT0_S8_ifPKiSA_iPKfiiiSC_SC_iiiii,comdat
	.protected	_ZN4vllm25paged_attention_v1_kernelIthLi192ELi8ELi128ELNS_18Fp8KVCacheDataTypeE1ELb1EEEvPT_PKS2_PKT0_S8_ifPKiSA_iPKfiiiSC_SC_iiiii ; -- Begin function _ZN4vllm25paged_attention_v1_kernelIthLi192ELi8ELi128ELNS_18Fp8KVCacheDataTypeE1ELb1EEEvPT_PKS2_PKT0_S8_ifPKiSA_iPKfiiiSC_SC_iiiii
	.globl	_ZN4vllm25paged_attention_v1_kernelIthLi192ELi8ELi128ELNS_18Fp8KVCacheDataTypeE1ELb1EEEvPT_PKS2_PKT0_S8_ifPKiSA_iPKfiiiSC_SC_iiiii
	.p2align	8
	.type	_ZN4vllm25paged_attention_v1_kernelIthLi192ELi8ELi128ELNS_18Fp8KVCacheDataTypeE1ELb1EEEvPT_PKS2_PKT0_S8_ifPKiSA_iPKfiiiSC_SC_iiiii,@function
_ZN4vllm25paged_attention_v1_kernelIthLi192ELi8ELi128ELNS_18Fp8KVCacheDataTypeE1ELb1EEEvPT_PKS2_PKT0_S8_ifPKiSA_iPKfiiiSC_SC_iiiii: ; @_ZN4vllm25paged_attention_v1_kernelIthLi192ELi8ELi128ELNS_18Fp8KVCacheDataTypeE1ELb1EEEvPT_PKS2_PKT0_S8_ifPKiSA_iPKfiiiSC_SC_iiiii
; %bb.0:
	s_load_dword s5, s[0:1], 0x80
	s_load_dwordx2 s[6:7], s[0:1], 0x30
	s_load_dwordx2 s[36:37], s[0:1], 0x20
	s_mov_b32 s10, s3
	s_ashr_i32 s11, s3, 31
	s_lshl_b64 s[8:9], s[10:11], 2
	s_waitcnt lgkmcnt(0)
	s_add_u32 s6, s6, s8
	s_addc_u32 s7, s7, s9
	s_abs_i32 s3, s36
	v_cvt_f32_u32_e32 v1, s3
	s_sub_i32 s11, 0, s3
	s_abs_i32 s9, s5
	s_xor_b32 s8, s5, s36
	v_rcp_iflag_f32_e32 v1, v1
	s_ashr_i32 s8, s8, 31
	s_mov_b32 s44, 0
	v_mul_f32_e32 v1, 0x4f7ffffe, v1
	v_cvt_u32_f32_e32 v1, v1
	s_nop 0
	v_readfirstlane_b32 s12, v1
	s_mul_i32 s11, s11, s12
	s_mul_hi_u32 s11, s12, s11
	s_add_i32 s12, s12, s11
	s_mul_hi_u32 s11, s9, s12
	s_mul_i32 s12, s11, s3
	s_sub_i32 s9, s9, s12
	s_add_i32 s12, s11, 1
	s_sub_i32 s13, s9, s3
	s_cmp_ge_u32 s9, s3
	s_cselect_b32 s11, s12, s11
	s_cselect_b32 s9, s13, s9
	s_add_i32 s12, s11, 1
	s_cmp_ge_u32 s9, s3
	s_cselect_b32 s3, s12, s11
	s_xor_b32 s3, s3, s8
	s_sub_i32 s11, s3, s8
	s_abs_i32 s12, s11
	v_cvt_f32_u32_e32 v1, s12
	s_load_dwordx2 s[8:9], s[0:1], 0x40
	s_sub_i32 s3, 0, s12
	s_abs_i32 s13, s2
	v_rcp_iflag_f32_e32 v1, v1
	s_nop 0
	v_mul_f32_e32 v1, 0x4f7ffffe, v1
	v_cvt_u32_f32_e32 v1, v1
	s_nop 0
	v_readfirstlane_b32 s14, v1
	s_mul_i32 s3, s3, s14
	s_mul_hi_u32 s3, s14, s3
	s_add_i32 s14, s14, s3
	s_waitcnt lgkmcnt(0)
	s_cmp_eq_u64 s[8:9], 0
	s_mul_hi_u32 s14, s13, s14
	s_cbranch_scc1 .LBB223_2
; %bb.1:
	s_ashr_i32 s3, s2, 31
	s_lshl_b64 s[16:17], s[2:3], 2
	s_add_u32 s8, s8, s16
	s_addc_u32 s9, s9, s17
	s_load_dword s44, s[8:9], 0x0
.LBB223_2:
	s_load_dword s33, s[6:7], 0x0
	s_ashr_i32 s15, s11, 31
	s_load_dword s11, s[0:1], 0x88
	s_load_dwordx4 s[16:19], s[0:1], 0x48
	s_movk_i32 s6, 0xc0
	s_ashr_i32 s3, s2, 31
	v_and_b32_e32 v4, 7, v0
	s_mul_i32 s24, s2, 0xc0
	v_cmp_gt_u32_e32 vcc, s6, v0
	v_lshlrev_b32_e32 v22, 1, v0
	s_and_saveexec_b64 s[6:7], vcc
	s_cbranch_execz .LBB223_5
; %bb.3:
	s_load_dwordx2 s[8:9], s[0:1], 0x8
	s_waitcnt lgkmcnt(0)
	s_mul_i32 s20, s16, s10
	s_ashr_i32 s21, s20, 31
	s_lshl_b64 s[20:21], s[20:21], 1
	v_lshrrev_b32_e32 v2, 3, v0
	s_add_u32 s16, s8, s20
	s_addc_u32 s19, s9, s21
	s_ashr_i32 s25, s24, 31
	s_lshl_b64 s[8:9], s[24:25], 1
	s_add_u32 s8, s16, s8
	s_addc_u32 s9, s19, s9
	global_load_ushort v3, v22, s[8:9]
	v_lshlrev_b32_e32 v1, 1, v2
	v_mad_u32_u24 v1, v4, 48, v1
	v_cmp_gt_u32_e32 vcc, 64, v0
	s_waitcnt vmcnt(0)
	ds_write_b16 v1, v3
	s_and_b64 exec, exec, vcc
	s_cbranch_execz .LBB223_5
; %bb.4:
	v_lshlrev_b32_e32 v2, 4, v2
	v_lshlrev_b32_e32 v3, 1, v4
	s_movk_i32 s16, 0x100
	v_or3_b32 v2, v2, v3, s16
	global_load_ushort v2, v2, s[8:9]
	s_waitcnt vmcnt(0)
	ds_write_b16 v1, v2 offset:32
.LBB223_5:
	s_or_b64 exec, exec, s[6:7]
	s_mul_i32 s6, s14, s12
	s_sub_i32 s6, s13, s6
	s_xor_b32 s3, s3, s15
	s_add_i32 s7, s14, 1
	s_sub_i32 s9, s6, s12
	s_load_dwordx4 s[20:23], s[0:1], 0x68
	s_load_dword s8, s[0:1], 0x78
	s_cmp_ge_u32 s6, s12
	s_cselect_b32 s7, s7, s14
	s_cselect_b32 s6, s9, s6
	s_add_i32 s9, s7, 1
	s_cmp_ge_u32 s6, s12
	s_cselect_b32 s6, s9, s7
	s_waitcnt lgkmcnt(0)
	s_abs_i32 s25, s23
	v_cvt_f32_u32_e32 v1, s25
	s_xor_b32 s6, s6, s3
	s_sub_i32 s3, s6, s3
	s_sub_i32 s6, 0, s25
	v_rcp_iflag_f32_e32 v1, v1
	s_add_i32 s12, s33, -1
	s_abs_i32 s9, s12
	v_mul_f32_e32 v1, 0x4f7ffffe, v1
	v_cvt_u32_f32_e32 v1, v1
	s_barrier
	v_readfirstlane_b32 s42, v1
	s_mul_i32 s6, s6, s42
	s_mul_hi_u32 s6, s42, s6
	s_add_i32 s42, s42, s6
	s_cmp_lt_i32 s8, 0
	s_mul_hi_u32 s16, s9, s42
	s_cbranch_scc0 .LBB223_7
; %bb.6:
	s_mul_i32 s6, s20, s36
	s_add_i32 s6, s3, s6
	s_mul_i32 s6, s6, s8
	s_sub_i32 s36, 1, s6
	s_mov_b64 s[6:7], 0
	s_branch .LBB223_8
.LBB223_7:
	s_mov_b64 s[6:7], -1
                                        ; implicit-def: $sgpr36
.LBB223_8:
	s_load_dwordx2 s[28:29], s[0:1], 0x28
	s_ashr_i32 s19, s12, 31
	s_andn2_b64 vcc, exec, s[6:7]
	s_ashr_i32 s23, s23, 31
	s_cbranch_vccnz .LBB223_10
; %bb.9:
	s_mul_i32 s6, s5, s20
	s_add_i32 s2, s6, s2
	s_mul_i32 s2, s2, s8
	s_add_i32 s36, s2, 1
.LBB223_10:
	s_load_dword s2, s[0:1], 0x38
	s_load_dwordx2 s[26:27], s[0:1], 0x0
	s_load_dwordx2 s[34:35], s[0:1], 0x18
	s_load_dwordx4 s[12:15], s[0:1], 0x58
	s_xor_b32 s6, s19, s23
	s_waitcnt lgkmcnt(0)
	s_mul_i32 s30, s2, s10
	s_mul_i32 s2, s16, s25
	s_sub_i32 s2, s9, s2
	s_ashr_i32 s31, s30, 31
	s_add_i32 s7, s16, 1
	s_sub_i32 s8, s2, s25
	s_cmp_ge_u32 s2, s25
	s_cselect_b32 s7, s7, s16
	s_cselect_b32 s2, s8, s2
	s_add_i32 s8, s7, 1
	s_cmp_ge_u32 s2, s25
	s_cselect_b32 s2, s8, s7
	s_xor_b32 s2, s2, s6
	s_sub_i32 s16, s2, s6
	s_add_i32 s2, s33, 7
	s_ashr_i32 s6, s2, 31
	s_lshr_b32 s6, s6, 29
	s_add_i32 s2, s2, s6
	s_ashr_i32 s43, s2, 3
	v_lshrrev_b32_e32 v23, 6, v0
	v_cmp_gt_i32_e64 s[6:7], s43, v23
	v_mov_b32_e32 v2, 0xff7fffff
	s_mul_i32 s20, s3, s18
	v_lshrrev_b32_e32 v1, 4, v0
	v_lshlrev_b32_e32 v24, 3, v23
	v_mbcnt_lo_u32_b32 v10, -1, 0
	s_and_saveexec_b64 s[18:19], s[6:7]
	s_cbranch_execz .LBB223_22
; %bb.11:
	s_load_dwordx2 s[0:1], s[0:1], 0x10
	s_sub_i32 s45, s16, s21
	s_ashr_i32 s2, s20, 31
	v_bfe_u32 v11, v0, 3, 3
	v_mov_b32_e32 v3, 0
	s_waitcnt lgkmcnt(0)
	s_add_u32 s0, s0, s20
	s_addc_u32 s1, s1, s2
	s_abs_i32 s46, s22
	v_cvt_f32_u32_e32 v2, s46
	v_cmp_eq_u32_e32 vcc, 0, v4
	v_mul_u32_u24_e32 v12, 48, v4
	v_mbcnt_hi_u32_b32 v18, -1, v10
	v_rcp_iflag_f32_e32 v5, v2
	v_lshlrev_b32_e32 v2, 4, v11
	v_lshl_add_u64 v[6:7], s[0:1], 0, v[2:3]
	s_sub_i32 s0, 0, s46
	v_mul_f32_e32 v5, 0x4f7ffffe, v5
	v_cvt_u32_f32_e32 v8, v5
	v_mov_b32_e32 v5, v3
	v_lshl_add_u64 v[4:5], v[6:7], 0, v[4:5]
	s_mov_b32 s47, s17
	v_mul_lo_u32 v2, s0, v8
	s_lshl_b64 s[0:1], s[30:31], 2
	v_mul_hi_u32 v2, v8, v2
	s_add_u32 s0, s28, s0
	v_add_u32_e32 v13, v8, v2
	v_and_b32_e32 v2, 60, v1
	s_addc_u32 s1, s29, s1
	v_lshl_add_u64 v[6:7], s[0:1], 0, v[2:3]
	v_subrev_u32_e32 v2, s33, v11
	v_add_u32_e32 v15, 1, v2
	v_lshlrev_b32_e32 v2, 2, v11
	v_lshl_or_b32 v2, v23, 5, v2
	v_add_u32_e32 v16, 0x190, v2
	v_and_b32_e32 v2, 64, v18
	v_cmp_neq_f32_e64 s[2:3], s44, 0
	v_lshlrev_b32_e32 v14, 3, v23
	v_mov_b32_e32 v17, 0xff7fffff
	s_mov_b64 s[38:39], 0
	v_add_u32_e32 v19, 64, v2
	v_xor_b32_e32 v20, 4, v18
	v_xor_b32_e32 v21, 2, v18
	;; [unrolled: 1-line block ×3, first 2 shown]
	v_mov_b32_e32 v2, 0xff7fffff
	v_mov_b32_e32 v26, v23
	s_branch .LBB223_14
.LBB223_12:                             ;   in Loop: Header=BB223_14 Depth=1
	s_or_b64 exec, exec, s[40:41]
.LBB223_13:                             ;   in Loop: Header=BB223_14 Depth=1
	s_or_b64 exec, exec, s[8:9]
	v_add_u32_e32 v26, 2, v26
	v_cmp_le_i32_e64 s[0:1], s43, v26
	v_lshl_add_u64 v[6:7], v[6:7], 0, 8
	v_add_u32_e32 v14, 16, v14
	s_or_b64 s[38:39], s[0:1], s[38:39]
	v_add_u32_e32 v16, 64, v16
	s_andn2_b64 exec, exec, s[38:39]
	s_cbranch_execz .LBB223_21
.LBB223_14:                             ; =>This Inner Loop Header: Depth=1
	v_mul_hi_u32 v8, v14, s42
	s_waitcnt lgkmcnt(0)
	v_mul_lo_u32 v9, v8, s25
	v_sub_u32_e32 v9, v14, v9
	v_add_u32_e32 v27, 1, v8
	v_cmp_le_u32_e64 s[0:1], s25, v9
	s_nop 1
	v_cndmask_b32_e64 v8, v8, v27, s[0:1]
	v_subrev_u32_e32 v27, s25, v9
	v_cndmask_b32_e64 v9, v9, v27, s[0:1]
	v_add_u32_e32 v27, 1, v8
	v_cmp_le_u32_e64 s[0:1], s25, v9
	s_nop 1
	v_cndmask_b32_e64 v8, v8, v27, s[0:1]
	v_xor_b32_e32 v8, s23, v8
	v_subrev_u32_e32 v8, s23, v8
	v_add_u32_e32 v9, s36, v8
	v_sub_u32_e32 v28, 0, v9
	v_ashrrev_i32_e32 v27, 31, v9
	v_max_i32_e32 v9, v9, v28
	v_mul_hi_u32 v28, v9, v13
	v_mul_lo_u32 v28, v28, s46
	v_sub_u32_e32 v9, v9, v28
	v_subrev_u32_e32 v28, s46, v9
	v_cmp_le_u32_e64 s[0:1], s46, v9
	v_cmp_ge_i32_e64 s[8:9], s45, v8
	s_nop 0
	v_cndmask_b32_e64 v9, v9, v28, s[0:1]
	v_subrev_u32_e32 v28, s46, v9
	v_cmp_le_u32_e64 s[0:1], s46, v9
	s_nop 1
	v_cndmask_b32_e64 v9, v9, v28, s[0:1]
	v_xor_b32_e32 v9, v9, v27
	v_sub_u32_e32 v9, v9, v27
	v_cmp_ne_u32_e64 s[0:1], 0, v9
	s_and_b64 s[0:1], s[0:1], s[8:9]
	s_and_saveexec_b64 s[8:9], s[0:1]
	s_xor_b64 s[0:1], exec, s[8:9]
	s_cbranch_execz .LBB223_18
; %bb.15:                               ;   in Loop: Header=BB223_14 Depth=1
	s_and_saveexec_b64 s[8:9], vcc
; %bb.16:                               ;   in Loop: Header=BB223_14 Depth=1
	ds_write_b32 v16, v17
; %bb.17:                               ;   in Loop: Header=BB223_14 Depth=1
	s_or_b64 exec, exec, s[8:9]
.LBB223_18:                             ;   in Loop: Header=BB223_14 Depth=1
	s_andn2_saveexec_b64 s[8:9], s[0:1]
	s_cbranch_execz .LBB223_13
; %bb.19:                               ;   in Loop: Header=BB223_14 Depth=1
	global_load_dword v8, v[6:7], off
	s_waitcnt vmcnt(0)
	v_mad_i64_i32 v[8:9], s[0:1], v8, s47, v[4:5]
	global_load_ubyte v47, v[8:9], off
	global_load_ubyte v48, v[8:9], off offset:8
	global_load_dword v27, v3, s[12:13]
	global_load_ubyte v46, v[8:9], off offset:128
	global_load_ubyte v42, v[8:9], off offset:136
	global_load_ubyte v45, v[8:9], off offset:256
	global_load_ubyte v40, v[8:9], off offset:264
	global_load_ubyte v44, v[8:9], off offset:384
	global_load_ubyte v38, v[8:9], off offset:392
	global_load_ubyte v43, v[8:9], off offset:512
	global_load_ubyte v36, v[8:9], off offset:520
	global_load_ubyte v41, v[8:9], off offset:640
	global_load_ubyte v34, v[8:9], off offset:648
	global_load_ubyte v39, v[8:9], off offset:768
	global_load_ubyte v32, v[8:9], off offset:776
	global_load_ubyte v37, v[8:9], off offset:896
	global_load_ubyte v30, v[8:9], off offset:904
	global_load_ubyte v35, v[8:9], off offset:1024
	global_load_ubyte v29, v[8:9], off offset:1032
	global_load_ubyte v33, v[8:9], off offset:1152
	global_load_ubyte v28, v[8:9], off offset:1160
	global_load_ubyte v31, v[8:9], off offset:1280
	ds_read_u16 v52, v12
	global_load_ubyte v50, v[8:9], off offset:1288
	global_load_ubyte v51, v[8:9], off offset:1408
	v_cmp_lt_i32_e64 s[0:1], v20, v19
	global_load_ubyte v8, v[8:9], off offset:1416
	s_waitcnt lgkmcnt(0)
	;;#ASMSTART
	v_cvt_f32_f16 v9, v52;
	;;#ASMEND
	s_waitcnt vmcnt(24)
	v_cvt_f32_fp8_e32 v47, v47
	s_waitcnt vmcnt(23)
	v_cvt_f32_fp8_e32 v48, v48
	v_cndmask_b32_e64 v49, v18, v20, s[0:1]
	s_waitcnt vmcnt(21)
	v_cvt_f32_fp8_e32 v46, v46
	s_waitcnt vmcnt(20)
	v_cvt_f32_fp8_e32 v42, v42
	v_fma_mixlo_f16 v47, v27, v47, 0
	s_waitcnt vmcnt(19)
	v_cvt_f32_fp8_e32 v45, v45
	v_and_b32_e32 v47, 0xffff, v47
	v_fma_mixlo_f16 v48, v27, v48, 0
	s_waitcnt vmcnt(18)
	v_cvt_f32_fp8_e32 v40, v40
	;;#ASMSTART
	v_cvt_f32_f16 v47, v47;
	;;#ASMEND
	ds_read_u16 v52, v12 offset:2
	v_and_b32_e32 v53, 0xffff, v48
	v_fma_mixlo_f16 v46, v27, v46, 0
	s_waitcnt vmcnt(17)
	v_cvt_f32_fp8_e32 v44, v44
	s_waitcnt lgkmcnt(0)
	;;#ASMSTART
	v_cvt_f32_f16 v48, v52;
	;;#ASMEND
	;;#ASMSTART
	v_cvt_f32_f16 v52, v53;
	;;#ASMEND
	ds_read_u16 v53, v12 offset:4
	v_and_b32_e32 v54, 0xffff, v46
	v_fma_mixlo_f16 v42, v27, v42, 0
	s_waitcnt vmcnt(16)
	v_cvt_f32_fp8_e32 v38, v38
	s_waitcnt lgkmcnt(0)
	;;#ASMSTART
	v_cvt_f32_f16 v46, v53;
	;;#ASMEND
	;;#ASMSTART
	v_cvt_f32_f16 v53, v54;
	;;#ASMEND
	ds_read_u16 v54, v12 offset:6
	v_and_b32_e32 v55, 0xffff, v42
	s_waitcnt vmcnt(15)
	v_cvt_f32_fp8_e32 v43, v43
	v_fma_mixlo_f16 v45, v27, v45, 0
	s_waitcnt lgkmcnt(0)
	;;#ASMSTART
	v_cvt_f32_f16 v42, v54;
	;;#ASMEND
	;;#ASMSTART
	v_cvt_f32_f16 v54, v55;
	;;#ASMEND
	ds_read_u16 v55, v12 offset:8
	v_and_b32_e32 v56, 0xffff, v45
	s_waitcnt vmcnt(14)
	v_cvt_f32_fp8_e32 v36, v36
	v_fma_mixlo_f16 v40, v27, v40, 0
	s_waitcnt lgkmcnt(0)
	;;#ASMSTART
	v_cvt_f32_f16 v45, v55;
	;;#ASMEND
	;;#ASMSTART
	v_cvt_f32_f16 v55, v56;
	;;#ASMEND
	ds_read_u16 v56, v12 offset:10
	s_waitcnt vmcnt(13)
	v_cvt_f32_fp8_e32 v41, v41
	v_and_b32_e32 v57, 0xffff, v40
	v_fma_mixlo_f16 v44, v27, v44, 0
	s_waitcnt lgkmcnt(0)
	;;#ASMSTART
	v_cvt_f32_f16 v40, v56;
	;;#ASMEND
	;;#ASMSTART
	v_cvt_f32_f16 v56, v57;
	;;#ASMEND
	ds_read_u16 v57, v12 offset:12
	s_waitcnt vmcnt(12)
	v_cvt_f32_fp8_e32 v34, v34
	v_and_b32_e32 v58, 0xffff, v44
	v_fma_mixlo_f16 v38, v27, v38, 0
	s_waitcnt vmcnt(11)
	v_cvt_f32_fp8_e32 v39, v39
	s_waitcnt lgkmcnt(0)
	;;#ASMSTART
	v_cvt_f32_f16 v44, v57;
	;;#ASMEND
	;;#ASMSTART
	v_cvt_f32_f16 v57, v58;
	;;#ASMEND
	ds_read_u16 v58, v12 offset:14
	v_and_b32_e32 v59, 0xffff, v38
	v_fma_mixlo_f16 v43, v27, v43, 0
	s_waitcnt vmcnt(10)
	v_cvt_f32_fp8_e32 v32, v32
	s_waitcnt lgkmcnt(0)
	;;#ASMSTART
	v_cvt_f32_f16 v38, v58;
	;;#ASMEND
	;;#ASMSTART
	v_cvt_f32_f16 v58, v59;
	;;#ASMEND
	ds_read_u16 v59, v12 offset:16
	;; [unrolled: 12-line block ×4, first 2 shown]
	v_and_b32_e32 v62, 0xffff, v41
	v_fma_mixlo_f16 v34, v27, v34, 0
	s_waitcnt vmcnt(7)
	v_cvt_f32_fp8_e32 v35, v35
	s_waitcnt vmcnt(6)
	v_cvt_f32_fp8_e32 v29, v29
	s_waitcnt lgkmcnt(0)
	;;#ASMSTART
	v_cvt_f32_f16 v41, v61;
	;;#ASMEND
	;;#ASMSTART
	v_cvt_f32_f16 v61, v62;
	;;#ASMEND
	ds_read_u16 v62, v12 offset:22
	v_and_b32_e32 v63, 0xffff, v34
	v_fma_mixlo_f16 v39, v27, v39, 0
	s_waitcnt vmcnt(4)
	v_cvt_f32_fp8_e32 v28, v28
	s_waitcnt vmcnt(3)
	v_cvt_f32_fp8_e32 v31, v31
	s_waitcnt lgkmcnt(0)
	;;#ASMSTART
	v_cvt_f32_f16 v34, v62;
	;;#ASMEND
	;;#ASMSTART
	v_cvt_f32_f16 v62, v63;
	;;#ASMEND
	ds_read_u16 v63, v12 offset:24
	s_waitcnt vmcnt(0)
	v_cvt_f32_fp8_e32 v8, v8
	v_fma_mixlo_f16 v32, v27, v32, 0
	v_and_b32_e32 v64, 0xffff, v39
	v_cvt_f32_fp8_e32 v33, v33
	v_cvt_f32_fp8_e32 v50, v50
	;; [unrolled: 1-line block ×3, first 2 shown]
	s_waitcnt lgkmcnt(0)
	;;#ASMSTART
	v_cvt_f32_f16 v39, v63;
	;;#ASMEND
	;;#ASMSTART
	v_cvt_f32_f16 v63, v64;
	;;#ASMEND
	ds_read_u16 v64, v12 offset:26
	v_fma_mixlo_f16 v37, v27, v37, 0
	v_and_b32_e32 v65, 0xffff, v32
	v_fma_mixlo_f16 v30, v27, v30, 0
	s_waitcnt lgkmcnt(0)
	;;#ASMSTART
	v_cvt_f32_f16 v32, v64;
	;;#ASMEND
	;;#ASMSTART
	v_cvt_f32_f16 v64, v65;
	;;#ASMEND
	ds_read_u16 v65, v12 offset:28
	v_and_b32_e32 v66, 0xffff, v37
	v_fma_mixlo_f16 v35, v27, v35, 0
	v_fma_mixlo_f16 v29, v27, v29, 0
	s_waitcnt lgkmcnt(0)
	;;#ASMSTART
	v_cvt_f32_f16 v37, v65;
	;;#ASMEND
	;;#ASMSTART
	v_cvt_f32_f16 v65, v66;
	;;#ASMEND
	ds_read_u16 v66, v12 offset:30
	v_and_b32_e32 v67, 0xffff, v30
	v_fma_mixlo_f16 v28, v27, v28, 0
	v_fma_mixlo_f16 v31, v27, v31, 0
	s_waitcnt lgkmcnt(0)
	;;#ASMSTART
	v_cvt_f32_f16 v30, v66;
	;;#ASMEND
	;;#ASMSTART
	v_cvt_f32_f16 v66, v67;
	;;#ASMEND
	ds_read_u16 v67, v12 offset:32
	v_fma_mixlo_f16 v8, v27, v8, 0
	v_and_b32_e32 v35, 0xffff, v35
	v_and_b32_e32 v68, 0xffff, v29
	v_fma_mixlo_f16 v33, v27, v33, 0
	v_fma_mixlo_f16 v50, v27, v50, 0
	;; [unrolled: 1-line block ×3, first 2 shown]
	s_waitcnt lgkmcnt(0)
	;;#ASMSTART
	v_cvt_f32_f16 v27, v67;
	;;#ASMEND
	;;#ASMSTART
	v_cvt_f32_f16 v29, v35;
	;;#ASMEND
	ds_read_u16 v35, v12 offset:34
	v_and_b32_e32 v67, 0xffff, v28
	v_and_b32_e32 v69, 0xffff, v31
	s_waitcnt lgkmcnt(0)
	;;#ASMSTART
	v_cvt_f32_f16 v28, v35;
	;;#ASMEND
	;;#ASMSTART
	v_cvt_f32_f16 v31, v68;
	;;#ASMEND
	v_and_b32_e32 v68, 0xffff, v8
	v_mul_f32_e32 v8, v48, v52
	v_fmac_f32_e32 v8, v9, v47
	v_fmac_f32_e32 v8, v46, v53
	;; [unrolled: 1-line block ×16, first 2 shown]
	v_and_b32_e32 v33, 0xffff, v33
	ds_read_u16 v35, v12 offset:36
	v_fmac_f32_e32 v8, v28, v31
	s_waitcnt lgkmcnt(0)
	;;#ASMSTART
	v_cvt_f32_f16 v9, v35;
	;;#ASMEND
	;;#ASMSTART
	v_cvt_f32_f16 v33, v33;
	;;#ASMEND
	ds_read_u16 v35, v12 offset:38
	v_fmac_f32_e32 v8, v9, v33
	s_waitcnt lgkmcnt(0)
	;;#ASMSTART
	v_cvt_f32_f16 v35, v35;
	;;#ASMEND
	;;#ASMSTART
	v_cvt_f32_f16 v40, v67;
	;;#ASMEND
	;; [unrolled: 9-line block ×3, first 2 shown]
	v_and_b32_e32 v50, 0xffff, v50
	v_fmac_f32_e32 v8, v36, v38
	ds_read_u16 v41, v12 offset:42
	s_waitcnt lgkmcnt(0)
	;;#ASMSTART
	v_cvt_f32_f16 v32, v41;
	;;#ASMEND
	;;#ASMSTART
	v_cvt_f32_f16 v34, v50;
	;;#ASMEND
	v_and_b32_e32 v51, 0xffff, v51
	v_fmac_f32_e32 v8, v32, v34
	ds_read_u16 v37, v12 offset:44
	s_waitcnt lgkmcnt(0)
	;;#ASMSTART
	v_cvt_f32_f16 v9, v37;
	;;#ASMEND
	;;#ASMSTART
	v_cvt_f32_f16 v27, v51;
	;;#ASMEND
	v_lshlrev_b32_e32 v49, 2, v49
	v_fmac_f32_e32 v8, v9, v27
	ds_read_u16 v28, v12 offset:46
	s_waitcnt lgkmcnt(0)
	;;#ASMSTART
	v_cvt_f32_f16 v9, v28;
	;;#ASMEND
	;;#ASMSTART
	v_cvt_f32_f16 v27, v68;
	;;#ASMEND
	v_cmp_lt_i32_e64 s[0:1], v21, v19
	v_fmac_f32_e32 v8, v9, v27
	ds_bpermute_b32 v9, v49, v8
	v_cndmask_b32_e64 v27, v18, v21, s[0:1]
	v_lshlrev_b32_e32 v27, 2, v27
	v_cmp_lt_i32_e64 s[0:1], v25, v19
	s_waitcnt lgkmcnt(0)
	v_add_f32_e32 v8, v8, v9
	ds_bpermute_b32 v9, v27, v8
	v_cndmask_b32_e64 v27, v18, v25, s[0:1]
	s_waitcnt lgkmcnt(0)
	v_add_f32_e32 v8, v8, v9
	v_lshlrev_b32_e32 v9, 2, v27
	ds_bpermute_b32 v9, v9, v8
	s_and_saveexec_b64 s[40:41], vcc
	s_cbranch_execz .LBB223_12
; %bb.20:                               ;   in Loop: Header=BB223_14 Depth=1
	v_add_u32_e32 v27, v15, v14
	v_cvt_f32_i32_e32 v27, v27
	s_waitcnt lgkmcnt(0)
	v_add_f32_e32 v8, v8, v9
	v_add_u32_e32 v28, v11, v14
	v_cmp_gt_i32_e64 s[0:1], s33, v28
	v_mul_f32_e32 v9, s44, v27
	v_cndmask_b32_e64 v9, 0, v9, s[2:3]
	v_fmac_f32_e32 v9, s37, v8
	v_cndmask_b32_e64 v8, 0, v9, s[0:1]
	ds_write_b32 v16, v8
	v_max_f32_e32 v8, v2, v2
	v_max_f32_e32 v8, v8, v9
	v_cndmask_b32_e64 v2, v2, v8, s[0:1]
	s_branch .LBB223_12
.LBB223_21:
	s_or_b64 exec, exec, s[38:39]
.LBB223_22:
	s_or_b64 exec, exec, s[18:19]
	v_mbcnt_hi_u32_b32 v3, -1, v10
	v_and_b32_e32 v10, 64, v3
	v_add_u32_e32 v4, 64, v10
	v_xor_b32_e32 v5, 32, v3
	v_cmp_lt_i32_e32 vcc, v5, v4
	v_xor_b32_e32 v7, 16, v3
	v_xor_b32_e32 v8, 8, v3
	v_cndmask_b32_e32 v5, v3, v5, vcc
	v_lshlrev_b32_e32 v5, 2, v5
	ds_bpermute_b32 v6, v5, v2
	v_max_f32_e32 v2, v2, v2
	v_cmp_lt_i32_e32 vcc, v7, v4
	v_and_b32_e32 v25, 63, v0
	s_waitcnt lgkmcnt(0)
	v_max_f32_e32 v6, v6, v6
	v_max_f32_e32 v2, v2, v6
	v_cndmask_b32_e32 v6, v3, v7, vcc
	v_lshlrev_b32_e32 v7, 2, v6
	ds_bpermute_b32 v6, v7, v2
	v_cmp_lt_i32_e32 vcc, v8, v4
	s_waitcnt lgkmcnt(0)
	v_max_f32_e32 v6, v6, v6
	v_max_f32_e32 v6, v2, v6
	v_cndmask_b32_e32 v2, v3, v8, vcc
	v_lshlrev_b32_e32 v9, 2, v2
	ds_bpermute_b32 v8, v9, v6
	v_cmp_eq_u32_e32 vcc, 0, v25
	v_lshlrev_b32_e32 v2, 2, v23
	s_and_saveexec_b64 s[0:1], vcc
	s_cbranch_execz .LBB223_24
; %bb.23:
	s_waitcnt lgkmcnt(0)
	v_max_f32_e32 v8, v8, v8
	v_max_f32_e32 v6, v6, v6
	;; [unrolled: 1-line block ×3, first 2 shown]
	ds_write_b32 v2, v6 offset:384
.LBB223_24:
	s_or_b64 exec, exec, s[0:1]
	v_cmp_gt_u32_e64 s[0:1], 2, v25
	v_mov_b32_e32 v11, 0xff7fffff
	v_lshlrev_b32_e32 v6, 2, v25
	s_waitcnt lgkmcnt(0)
	s_barrier
	s_and_saveexec_b64 s[2:3], s[0:1]
; %bb.25:
	ds_read_b32 v11, v6 offset:384
; %bb.26:
	s_or_b64 exec, exec, s[2:3]
	v_xor_b32_e32 v8, 1, v3
	v_cmp_lt_i32_e64 s[2:3], v8, v4
	v_lshlrev_b32_e32 v10, 2, v10
	s_nop 0
	v_cndmask_b32_e64 v8, v3, v8, s[2:3]
	v_lshlrev_b32_e32 v8, 2, v8
	s_waitcnt lgkmcnt(0)
	ds_bpermute_b32 v12, v8, v11
	v_max_f32_e32 v11, v11, v11
	s_lshl_b32 s2, s43, 3
	s_min_i32 s37, s2, s33
	v_cmp_gt_i32_e64 s[2:3], s37, v0
	s_waitcnt lgkmcnt(0)
	v_max_f32_e32 v12, v12, v12
	v_max_f32_e32 v11, v11, v12
	ds_bpermute_b32 v11, v10, v11
	v_mov_b32_e32 v10, 0
	s_and_saveexec_b64 s[12:13], s[2:3]
	s_cbranch_execz .LBB223_30
; %bb.27:
	v_mov_b32_e32 v10, 0x190
	v_lshl_add_u32 v12, v0, 2, v10
	v_mov_b32_e32 v10, 0
	s_mov_b64 s[18:19], 0
	v_mov_b32_e32 v13, v0
.LBB223_28:                             ; =>This Inner Loop Header: Depth=1
	ds_read_b32 v14, v12
	v_add_u32_e32 v13, 0x80, v13
	v_cmp_le_i32_e64 s[8:9], s37, v13
	s_or_b64 s[18:19], s[8:9], s[18:19]
	s_waitcnt lgkmcnt(0)
	v_sub_f32_e32 v14, v14, v11
	v_mul_f32_e32 v14, 0x3fb8aa3b, v14
	v_exp_f32_e32 v14, v14
	ds_write_b32 v12, v14
	v_add_f32_e32 v10, v10, v14
	v_add_u32_e32 v12, 0x200, v12
	s_andn2_b64 exec, exec, s[18:19]
	s_cbranch_execnz .LBB223_28
; %bb.29:
	s_or_b64 exec, exec, s[18:19]
.LBB223_30:
	s_or_b64 exec, exec, s[12:13]
	ds_bpermute_b32 v5, v5, v10
	s_waitcnt lgkmcnt(0)
	v_add_f32_e32 v5, v10, v5
	ds_bpermute_b32 v7, v7, v5
	s_waitcnt lgkmcnt(0)
	v_add_f32_e32 v5, v5, v7
	ds_bpermute_b32 v7, v9, v5
	v_xor_b32_e32 v9, 4, v3
	v_cmp_lt_i32_e64 s[8:9], v9, v4
	s_waitcnt lgkmcnt(0)
	v_add_f32_e32 v5, v5, v7
	v_cndmask_b32_e64 v9, v3, v9, s[8:9]
	v_lshlrev_b32_e32 v9, 2, v9
	ds_bpermute_b32 v7, v9, v5
	v_xor_b32_e32 v9, 2, v3
	v_cmp_lt_i32_e64 s[8:9], v9, v4
	s_waitcnt lgkmcnt(0)
	v_add_f32_e32 v5, v5, v7
	v_cndmask_b32_e64 v4, v3, v9, s[8:9]
	v_lshlrev_b32_e32 v4, 2, v4
	ds_bpermute_b32 v4, v4, v5
	s_waitcnt lgkmcnt(0)
	v_add_f32_e32 v4, v5, v4
	ds_bpermute_b32 v5, v8, v4
	s_waitcnt lgkmcnt(0)
	v_add_f32_e32 v4, v4, v5
	s_and_saveexec_b64 s[8:9], vcc
; %bb.31:
	ds_write_b32 v2, v4 offset:392
; %bb.32:
	s_or_b64 exec, exec, s[8:9]
	s_waitcnt lgkmcnt(0)
	s_barrier
	s_and_saveexec_b64 s[8:9], s[0:1]
; %bb.33:
	ds_read_b32 v4, v6 offset:392
; %bb.34:
	s_or_b64 exec, exec, s[8:9]
	s_waitcnt lgkmcnt(0)
	ds_bpermute_b32 v2, v8, v4
	v_lshlrev_b32_e32 v3, 2, v3
	v_and_b32_e32 v3, 0x100, v3
	s_waitcnt lgkmcnt(0)
	v_add_f32_e32 v2, v4, v2
	ds_bpermute_b32 v2, v3, v2
	s_and_saveexec_b64 s[0:1], s[2:3]
	s_cbranch_execz .LBB223_47
; %bb.35:
	s_waitcnt lgkmcnt(0)
	v_add_f32_e32 v2, 0x358637bd, v2
	v_div_scale_f32 v3, s[2:3], v2, v2, 1.0
	v_rcp_f32_e32 v4, v3
	v_div_scale_f32 v5, vcc, 1.0, v2, 1.0
	s_movk_i32 s2, 0x7f
	v_fma_f32 v6, -v3, v4, 1.0
	v_fmac_f32_e32 v4, v6, v4
	v_mul_f32_e32 v6, v5, v4
	v_fma_f32 v7, -v3, v6, v5
	v_fmac_f32_e32 v6, v7, v4
	v_fma_f32 v3, -v3, v6, v5
	v_div_fmas_f32 v3, v3, v4, v6
	v_xad_u32 v4, v0, -1, s37
	v_div_fixup_f32 v2, v3, v2, 1.0
	v_cmp_lt_u32_e32 vcc, s2, v4
	s_mov_b64 s[8:9], -1
	v_mov_b32_e32 v3, v0
	s_and_saveexec_b64 s[2:3], vcc
	s_cbranch_execz .LBB223_44
; %bb.36:
	v_lshrrev_b32_e32 v4, 7, v4
	v_add_u32_e32 v6, -1, v4
	v_lshrrev_b32_e32 v5, 1, v6
	v_mov_b32_e32 v3, v2
	v_add_u32_e32 v5, 1, v5
	v_cmp_lt_u32_e32 vcc, 13, v6
	v_mov_b32_e32 v8, 0
	s_and_saveexec_b64 s[8:9], vcc
	s_cbranch_execz .LBB223_40
; %bb.37:
	v_mov_b32_e32 v7, 0x190
	v_and_b32_e32 v6, -8, v5
	v_lshl_add_u32 v7, v0, 2, v7
	s_mov_b32 s18, 0
	s_mov_b64 s[12:13], 0
.LBB223_38:                             ; =>This Inner Loop Header: Depth=1
	ds_read2st64_b32 v[8:9], v7 offset1:2
	ds_read2st64_b32 v[10:11], v7 offset0:4 offset1:6
	ds_read2st64_b32 v[12:13], v7 offset0:8 offset1:10
	;; [unrolled: 1-line block ×3, first 2 shown]
	v_add_u32_e32 v6, -8, v6
	s_waitcnt lgkmcnt(3)
	v_pk_mul_f32 v[8:9], v[2:3], v[8:9]
	s_waitcnt lgkmcnt(2)
	v_pk_mul_f32 v[10:11], v[2:3], v[10:11]
	ds_write2st64_b32 v7, v8, v9 offset1:2
	ds_write2st64_b32 v7, v10, v11 offset0:4 offset1:6
	ds_read2st64_b32 v[10:11], v7 offset0:16 offset1:18
	s_waitcnt lgkmcnt(4)
	v_pk_mul_f32 v[8:9], v[2:3], v[12:13]
	ds_write2st64_b32 v7, v8, v9 offset0:8 offset1:10
	s_waitcnt lgkmcnt(4)
	v_pk_mul_f32 v[8:9], v[2:3], v[14:15]
	ds_write2st64_b32 v7, v8, v9 offset0:12 offset1:14
	ds_read2st64_b32 v[8:9], v7 offset0:20 offset1:22
	s_waitcnt lgkmcnt(3)
	v_pk_mul_f32 v[10:11], v[2:3], v[10:11]
	ds_read2st64_b32 v[12:13], v7 offset0:24 offset1:26
	ds_write2st64_b32 v7, v10, v11 offset0:16 offset1:18
	ds_read2st64_b32 v[10:11], v7 offset0:28 offset1:30
	s_waitcnt lgkmcnt(3)
	v_pk_mul_f32 v[8:9], v[2:3], v[8:9]
	ds_write2st64_b32 v7, v8, v9 offset0:20 offset1:22
	s_waitcnt lgkmcnt(3)
	v_pk_mul_f32 v[8:9], v[2:3], v[12:13]
	ds_write2st64_b32 v7, v8, v9 offset0:24 offset1:26
	s_waitcnt lgkmcnt(2)
	v_pk_mul_f32 v[8:9], v[2:3], v[10:11]
	s_add_i32 s18, s18, 16
	v_cmp_eq_u32_e32 vcc, 0, v6
	ds_write2st64_b32 v7, v8, v9 offset0:28 offset1:30
	v_add_u32_e32 v7, 0x2000, v7
	s_or_b64 s[12:13], vcc, s[12:13]
	v_mov_b32_e32 v8, s18
	s_andn2_b64 exec, exec, s[12:13]
	s_cbranch_execnz .LBB223_38
; %bb.39:
	s_or_b64 exec, exec, s[12:13]
.LBB223_40:
	s_or_b64 exec, exec, s[8:9]
	v_and_b32_e32 v5, 7, v5
	v_cmp_ne_u32_e32 vcc, 0, v5
	s_and_saveexec_b64 s[8:9], vcc
	s_cbranch_execz .LBB223_43
; %bb.41:
	v_lshlrev_b32_e32 v6, 9, v8
	v_lshlrev_b32_e32 v7, 2, v0
	s_movk_i32 s12, 0x190
	v_add3_u32 v6, v6, v7, s12
	s_mov_b64 s[12:13], 0
.LBB223_42:                             ; =>This Inner Loop Header: Depth=1
	ds_read2st64_b32 v[8:9], v6 offset1:2
	v_add_u32_e32 v5, -1, v5
	v_cmp_eq_u32_e32 vcc, 0, v5
	s_or_b64 s[12:13], vcc, s[12:13]
	s_waitcnt lgkmcnt(0)
	v_pk_mul_f32 v[8:9], v[2:3], v[8:9]
	ds_write2st64_b32 v6, v8, v9 offset1:2
	v_add_u32_e32 v6, 0x400, v6
	s_andn2_b64 exec, exec, s[12:13]
	s_cbranch_execnz .LBB223_42
.LBB223_43:
	s_or_b64 exec, exec, s[8:9]
	v_add_u32_e32 v4, 1, v4
	v_and_b32_e32 v5, 0x3fffffe, v4
	v_cmp_ne_u32_e32 vcc, v4, v5
	v_lshl_add_u32 v3, v5, 7, v0
	s_orn2_b64 s[8:9], vcc, exec
.LBB223_44:
	s_or_b64 exec, exec, s[2:3]
	s_and_b64 exec, exec, s[8:9]
	s_cbranch_execz .LBB223_47
; %bb.45:
	v_mov_b32_e32 v4, 0x190
	v_lshl_add_u32 v4, v3, 2, v4
	s_mov_b64 s[2:3], 0
.LBB223_46:                             ; =>This Inner Loop Header: Depth=1
	ds_read_b32 v5, v4
	v_add_u32_e32 v3, 0x80, v3
	v_cmp_le_i32_e32 vcc, s37, v3
	s_or_b64 s[2:3], vcc, s[2:3]
	s_waitcnt lgkmcnt(0)
	v_mul_f32_e32 v5, v2, v5
	ds_write_b32 v4, v5
	v_add_u32_e32 v4, 0x200, v4
	s_andn2_b64 exec, exec, s[2:3]
	s_cbranch_execnz .LBB223_46
.LBB223_47:
	s_or_b64 exec, exec, s[0:1]
	v_mov_b32_e32 v3, 0
	s_waitcnt lgkmcnt(0)
	v_mov_b32_e32 v2, 0
	v_mov_b32_e32 v26, 0
	s_barrier
	s_and_saveexec_b64 s[2:3], s[6:7]
	s_cbranch_execz .LBB223_203
; %bb.48:
	s_sub_i32 s37, s16, s21
	s_ashr_i32 s1, s20, 31
	s_add_u32 s0, s34, s20
	s_addc_u32 s1, s35, s1
	s_abs_i32 s22, s22
	v_cvt_f32_u32_e32 v2, s22
	v_lshlrev_b32_e32 v4, 3, v25
	v_mov_b32_e32 v5, 0
	v_lshl_add_u64 v[6:7], s[0:1], 0, v[4:5]
	v_rcp_iflag_f32_e32 v2, v2
	s_sub_i32 s0, 0, s22
	s_add_i32 s35, s43, -1
	s_mov_b32 s6, -1
	v_mul_f32_e32 v2, 0x4f7ffffe, v2
	v_cvt_u32_f32_e32 v2, v2
	v_and_b32_e32 v4, 60, v1
	v_mov_b32_e32 v1, 0x190
	s_mov_b32 s34, s17
	v_mul_lo_u32 v3, s0, v2
	s_lshl_b64 s[0:1], s[30:31], 2
	s_add_u32 s0, s28, s0
	v_mul_hi_u32 v3, v2, v3
	s_addc_u32 s1, s29, s1
	s_mov_b32 s7, 0xffffff
	s_mov_b32 s38, s33
	v_add_u32_e32 v27, v2, v3
	v_lshl_add_u64 v[8:9], s[0:1], 0, v[4:5]
	v_lshl_add_u32 v28, v23, 5, v1
	s_mov_b64 s[8:9], 0
	s_movk_i32 s28, 0x80
	s_movk_i32 s29, 0x7f
	s_mov_b32 s30, 0x8000
	v_mov_b32_e32 v29, 0x2000
	v_mov_b32_e32 v26, 0
	;; [unrolled: 1-line block ×4, first 2 shown]
	s_branch .LBB223_51
.LBB223_49:                             ;   in Loop: Header=BB223_51 Depth=1
	s_or_b64 exec, exec, s[0:1]
	v_add_f32_e32 v10, v20, v21
	v_add_f32_e32 v3, v3, v10
	;; [unrolled: 1-line block ×3, first 2 shown]
	;;#ASMSTART
	v_pk_mul_f16 v1, v40, v1;

	;;#ASMEND
	v_add_f32_e32 v2, v2, v10
	;;#ASMSTART
	v_pk_mul_f16 v4, v39, v4;

	;;#ASMEND
	;;#ASMSTART
	v_pk_mul_f16 v10, v38, v17;

	;;#ASMEND
	;; [unrolled: 4-line block ×3, first 2 shown]
	s_nop 0
	;;#ASMSTART
	v_pk_add_f16 v1, v1, v4;

	;;#ASMEND
	s_nop 0
	;;#ASMSTART
	v_pk_add_f16 v1, v1, v10;

	;;#ASMEND
	;; [unrolled: 5-line block ×3, first 2 shown]
	s_nop 0
	v_lshrrev_b32_e32 v4, 16, v1
	v_and_b32_e32 v1, 0xffff, v1
	;;#ASMSTART
	v_cvt_f32_f16 v1, v1;
	;;#ASMEND
	;;#ASMSTART
	v_cvt_f32_f16 v4, v4;
	;;#ASMEND
	s_nop 0
	v_add_f32_e32 v1, v1, v4
	v_add_f32_e32 v26, v26, v1
.LBB223_50:                             ;   in Loop: Header=BB223_51 Depth=1
	s_or_b64 exec, exec, s[12:13]
	v_add_u32_e32 v23, 2, v23
	v_cmp_le_i32_e32 vcc, s43, v23
	v_lshl_add_u64 v[8:9], v[8:9], 0, 8
	v_add_u32_e32 v24, 16, v24
	s_or_b64 s[8:9], vcc, s[8:9]
	v_add_u32_e32 v28, 64, v28
	s_andn2_b64 exec, exec, s[8:9]
	s_cbranch_execz .LBB223_202
.LBB223_51:                             ; =>This Inner Loop Header: Depth=1
	v_mul_hi_u32 v1, v24, s42
	v_mul_lo_u32 v4, v1, s25
	v_sub_u32_e32 v4, v24, v4
	v_add_u32_e32 v10, 1, v1
	v_cmp_le_u32_e32 vcc, s25, v4
	s_nop 1
	v_cndmask_b32_e32 v1, v1, v10, vcc
	v_subrev_u32_e32 v10, s25, v4
	v_cndmask_b32_e32 v4, v4, v10, vcc
	v_add_u32_e32 v10, 1, v1
	v_cmp_le_u32_e32 vcc, s25, v4
	s_nop 1
	v_cndmask_b32_e32 v1, v1, v10, vcc
	v_xor_b32_e32 v1, s23, v1
	v_subrev_u32_e32 v1, s23, v1
	v_add_u32_e32 v4, s36, v1
	v_sub_u32_e32 v11, 0, v4
	v_ashrrev_i32_e32 v10, 31, v4
	v_max_i32_e32 v4, v4, v11
	v_mul_hi_u32 v11, v4, v27
	v_mul_lo_u32 v11, v11, s22
	v_sub_u32_e32 v4, v4, v11
	v_subrev_u32_e32 v11, s22, v4
	v_cmp_le_u32_e32 vcc, s22, v4
	v_cmp_lt_i32_e64 s[0:1], s37, v1
	s_nop 0
	v_cndmask_b32_e32 v4, v4, v11, vcc
	v_subrev_u32_e32 v11, s22, v4
	v_cmp_le_u32_e32 vcc, s22, v4
	s_nop 1
	v_cndmask_b32_e32 v4, v4, v11, vcc
	v_xor_b32_e32 v4, v4, v10
	v_sub_u32_e32 v4, v4, v10
	v_cmp_eq_u32_e32 vcc, 0, v4
	s_or_b64 s[0:1], vcc, s[0:1]
	s_and_saveexec_b64 s[12:13], s[0:1]
	s_cbranch_execz .LBB223_50
; %bb.52:                               ;   in Loop: Header=BB223_51 Depth=1
	global_load_dword v1, v[8:9], off
	ds_read2_b64 v[10:13], v28 offset1:1
	ds_read2_b64 v[14:17], v28 offset0:2 offset1:3
	s_waitcnt lgkmcnt(1)
	;;#ASMSTART
	v_cvt_f16_f32 v37, v10;

	;;#ASMEND
	;;#ASMSTART
	v_cvt_f16_f32 v38, v11;

	;;#ASMEND
	;; [unrolled: 4-line block ×4, first 2 shown]
	s_waitcnt lgkmcnt(0)
	;;#ASMSTART
	v_cvt_f16_f32 v42, v14;

	;;#ASMEND
	;;#ASMSTART
	v_cvt_f16_f32 v43, v15;

	;;#ASMEND
	;; [unrolled: 4-line block ×4, first 2 shown]
	v_mov_b32_e32 v13, 0
	s_waitcnt vmcnt(0)
	v_mad_i64_i32 v[10:11], s[0:1], v1, s34, v[6:7]
	global_load_dwordx2 v[14:15], v[10:11], off
	v_mov_b32_e32 v1, 0
	global_load_dword v12, v1, s[14:15]
	s_waitcnt vmcnt(1)
	v_cmp_ne_u16_sdwa s[16:17], v14, v5 src0_sel:BYTE_0 src1_sel:DWORD
	s_and_saveexec_b64 s[0:1], s[16:17]
	s_cbranch_execz .LBB223_58
; %bb.53:                               ;   in Loop: Header=BB223_51 Depth=1
	v_cmp_ne_u16_sdwa s[18:19], v14, s28 src0_sel:BYTE_0 src1_sel:DWORD
	v_mov_b32_e32 v13, 0x8000
	s_and_saveexec_b64 s[16:17], s[18:19]
	s_cbranch_execz .LBB223_57
; %bb.54:                               ;   in Loop: Header=BB223_51 Depth=1
	v_and_b32_e32 v4, 0x7f, v14
	v_cmp_ne_u32_e32 vcc, s29, v4
	v_mov_b32_e32 v13, 0x7c01
	s_and_saveexec_b64 s[18:19], vcc
	s_cbranch_execz .LBB223_56
; %bb.55:                               ;   in Loop: Header=BB223_51 Depth=1
	v_and_b32_e32 v13, 7, v14
	v_ffbh_u32_e32 v16, v13
	v_min_u32_e32 v19, 32, v16
	v_subrev_u32_e32 v16, 28, v19
	v_lshlrev_b64 v[16:17], v16, v[14:15]
	v_lshrrev_b32_e32 v18, 3, v4
	v_sub_u32_e32 v17, 29, v19
	v_cmp_gt_u32_e32 vcc, 8, v4
	v_and_b32_e32 v16, 7, v16
	s_nop 0
	v_cndmask_b32_e32 v4, v18, v17, vcc
	v_lshl_add_u32 v4, v4, 10, v29
	v_lshlrev_b32_e32 v17, 8, v14
	v_and_b32_e32 v4, 0xfc00, v4
	v_cndmask_b32_e32 v13, v13, v16, vcc
	v_and_or_b32 v4, v17, s30, v4
	v_lshl_or_b32 v13, v13, 7, v4
.LBB223_56:                             ;   in Loop: Header=BB223_51 Depth=1
	s_or_b64 exec, exec, s[18:19]
.LBB223_57:                             ;   in Loop: Header=BB223_51 Depth=1
	s_or_b64 exec, exec, s[16:17]
.LBB223_58:                             ;   in Loop: Header=BB223_51 Depth=1
	s_or_b64 exec, exec, s[0:1]
	v_lshrrev_b16_e32 v4, 8, v14
	v_cmp_ne_u16_e32 vcc, 0, v4
	s_and_saveexec_b64 s[0:1], vcc
	s_cbranch_execz .LBB223_64
; %bb.59:                               ;   in Loop: Header=BB223_51 Depth=1
	v_cmp_ne_u16_e32 vcc, s28, v4
	v_bfrev_b32_e32 v1, 1
	s_and_saveexec_b64 s[16:17], vcc
	s_cbranch_execz .LBB223_63
; %bb.60:                               ;   in Loop: Header=BB223_51 Depth=1
	v_and_b32_e32 v16, 0x7f, v4
	v_cmp_ne_u32_e32 vcc, s29, v16
	v_mov_b32_e32 v1, 0x7c010000
	s_and_saveexec_b64 s[18:19], vcc
	s_cbranch_execz .LBB223_62
; %bb.61:                               ;   in Loop: Header=BB223_51 Depth=1
	v_and_b32_e32 v1, 7, v4
	v_ffbh_u32_e32 v18, v1
	v_min_u32_e32 v20, 32, v18
	v_subrev_u32_e32 v18, 28, v20
	v_lshlrev_b64 v[18:19], v18, v[4:5]
	v_lshrrev_b32_e32 v17, 3, v16
	v_sub_u32_e32 v19, 29, v20
	v_cmp_gt_u32_e32 vcc, 8, v16
	v_lshlrev_b32_e32 v4, 8, v4
	s_nop 0
	v_cndmask_b32_e32 v16, v17, v19, vcc
	v_lshl_add_u32 v16, v16, 10, v29
	v_and_b32_e32 v17, 7, v18
	v_and_or_b32 v4, v4, s30, v16
	v_cndmask_b32_e32 v1, v1, v17, vcc
	v_lshlrev_b32_e32 v4, 16, v4
	v_lshl_or_b32 v1, v1, 23, v4
.LBB223_62:                             ;   in Loop: Header=BB223_51 Depth=1
	s_or_b64 exec, exec, s[18:19]
.LBB223_63:                             ;   in Loop: Header=BB223_51 Depth=1
	s_or_b64 exec, exec, s[16:17]
.LBB223_64:                             ;   in Loop: Header=BB223_51 Depth=1
	s_or_b64 exec, exec, s[0:1]
	v_lshrrev_b32_e32 v4, 16, v14
	v_cmp_ne_u16_sdwa s[16:17], v4, v5 src0_sel:BYTE_0 src1_sel:DWORD
	v_mov_b32_e32 v17, 0
	v_mov_b32_e32 v16, 0
	s_and_saveexec_b64 s[0:1], s[16:17]
	s_cbranch_execz .LBB223_70
; %bb.65:                               ;   in Loop: Header=BB223_51 Depth=1
	v_cmp_ne_u16_sdwa s[18:19], v4, s28 src0_sel:BYTE_0 src1_sel:DWORD
	v_mov_b32_e32 v16, 0x8000
	s_and_saveexec_b64 s[16:17], s[18:19]
	s_cbranch_execz .LBB223_69
; %bb.66:                               ;   in Loop: Header=BB223_51 Depth=1
	v_bfe_u32 v18, v14, 16, 7
	v_cmp_ne_u32_e32 vcc, s29, v18
	v_mov_b32_e32 v16, 0x7c01
	s_and_saveexec_b64 s[18:19], vcc
	s_cbranch_execz .LBB223_68
; %bb.67:                               ;   in Loop: Header=BB223_51 Depth=1
	v_and_b32_e32 v16, 7, v4
	v_ffbh_u32_e32 v20, v16
	v_min_u32_e32 v30, 32, v20
	v_subrev_u32_e32 v20, 28, v30
	v_lshlrev_b64 v[20:21], v20, v[4:5]
	v_lshrrev_b32_e32 v19, 3, v18
	v_sub_u32_e32 v21, 29, v30
	v_cmp_gt_u32_e32 vcc, 8, v18
	v_lshlrev_b32_e32 v4, 8, v4
	s_nop 0
	v_cndmask_b32_e32 v18, v19, v21, vcc
	v_lshl_add_u32 v18, v18, 10, v29
	v_and_b32_e32 v19, 7, v20
	v_and_b32_e32 v18, 0xfc00, v18
	v_cndmask_b32_e32 v16, v16, v19, vcc
	v_and_or_b32 v4, v4, s30, v18
	v_lshl_or_b32 v16, v16, 7, v4
.LBB223_68:                             ;   in Loop: Header=BB223_51 Depth=1
	s_or_b64 exec, exec, s[18:19]
.LBB223_69:                             ;   in Loop: Header=BB223_51 Depth=1
	s_or_b64 exec, exec, s[16:17]
.LBB223_70:                             ;   in Loop: Header=BB223_51 Depth=1
	s_or_b64 exec, exec, s[0:1]
	v_cmp_lt_u32_e32 vcc, s7, v14
	s_and_saveexec_b64 s[0:1], vcc
	s_cbranch_execz .LBB223_76
; %bb.71:                               ;   in Loop: Header=BB223_51 Depth=1
	v_lshrrev_b32_e32 v4, 24, v14
	v_cmp_ne_u32_e32 vcc, s28, v4
	v_bfrev_b32_e32 v17, 1
	s_and_saveexec_b64 s[16:17], vcc
	s_cbranch_execz .LBB223_75
; %bb.72:                               ;   in Loop: Header=BB223_51 Depth=1
	v_and_b32_e32 v18, 0x7f, v4
	v_cmp_ne_u32_e32 vcc, s29, v18
	v_mov_b32_e32 v17, 0x7c010000
	s_and_saveexec_b64 s[18:19], vcc
	s_cbranch_execz .LBB223_74
; %bb.73:                               ;   in Loop: Header=BB223_51 Depth=1
	v_and_b32_e32 v17, 7, v4
	v_ffbh_u32_e32 v20, v17
	v_min_u32_e32 v30, 32, v20
	v_subrev_u32_e32 v20, 28, v30
	v_lshlrev_b64 v[20:21], v20, v[4:5]
	v_lshrrev_b32_e32 v19, 3, v18
	v_sub_u32_e32 v21, 29, v30
	v_cmp_gt_u32_e32 vcc, 8, v18
	v_lshlrev_b32_e32 v4, 8, v4
	s_nop 0
	v_cndmask_b32_e32 v18, v19, v21, vcc
	v_lshl_add_u32 v18, v18, 10, v29
	v_and_b32_e32 v19, 7, v20
	v_and_or_b32 v4, v4, s30, v18
	v_cndmask_b32_e32 v17, v17, v19, vcc
	v_lshlrev_b32_e32 v4, 16, v4
	v_lshl_or_b32 v17, v17, 23, v4
.LBB223_74:                             ;   in Loop: Header=BB223_51 Depth=1
	s_or_b64 exec, exec, s[18:19]
.LBB223_75:                             ;   in Loop: Header=BB223_51 Depth=1
	s_or_b64 exec, exec, s[16:17]
.LBB223_76:                             ;   in Loop: Header=BB223_51 Depth=1
	s_or_b64 exec, exec, s[0:1]
	v_mov_b32_e32 v4, v15
	v_cmp_ne_u16_sdwa s[16:17], v15, v5 src0_sel:BYTE_0 src1_sel:DWORD
	v_mov_b32_e32 v18, 0
	v_mov_b32_e32 v19, 0
	s_and_saveexec_b64 s[0:1], s[16:17]
	s_cbranch_execz .LBB223_82
; %bb.77:                               ;   in Loop: Header=BB223_51 Depth=1
	v_cmp_ne_u16_sdwa s[18:19], v15, s28 src0_sel:BYTE_0 src1_sel:DWORD
	v_mov_b32_e32 v19, 0x8000
	s_and_saveexec_b64 s[16:17], s[18:19]
	s_cbranch_execz .LBB223_81
; %bb.78:                               ;   in Loop: Header=BB223_51 Depth=1
	v_and_b32_e32 v20, 0x7f, v15
	v_cmp_ne_u32_e32 vcc, s29, v20
	v_mov_b32_e32 v19, 0x7c01
	s_and_saveexec_b64 s[18:19], vcc
	s_cbranch_execz .LBB223_80
; %bb.79:                               ;   in Loop: Header=BB223_51 Depth=1
	v_and_b32_e32 v19, 7, v15
	v_ffbh_u32_e32 v30, v19
	v_min_u32_e32 v32, 32, v30
	v_subrev_u32_e32 v30, 28, v32
	v_lshlrev_b64 v[30:31], v30, v[4:5]
	v_lshrrev_b32_e32 v21, 3, v20
	v_sub_u32_e32 v31, 29, v32
	v_cmp_gt_u32_e32 vcc, 8, v20
	v_and_b32_e32 v30, 7, v30
	s_nop 0
	v_cndmask_b32_e32 v20, v21, v31, vcc
	v_lshl_add_u32 v20, v20, 10, v29
	v_lshlrev_b32_e32 v21, 8, v15
	v_and_b32_e32 v20, 0xfc00, v20
	v_cndmask_b32_e32 v19, v19, v30, vcc
	v_and_or_b32 v20, v21, s30, v20
	v_lshl_or_b32 v19, v19, 7, v20
.LBB223_80:                             ;   in Loop: Header=BB223_51 Depth=1
	s_or_b64 exec, exec, s[18:19]
.LBB223_81:                             ;   in Loop: Header=BB223_51 Depth=1
	s_or_b64 exec, exec, s[16:17]
.LBB223_82:                             ;   in Loop: Header=BB223_51 Depth=1
	s_or_b64 exec, exec, s[0:1]
	v_lshrrev_b16_e32 v4, 8, v4
	v_cmp_ne_u16_e32 vcc, 0, v4
	v_mov_b32_e32 v20, 0
	s_and_saveexec_b64 s[0:1], vcc
	s_cbranch_execz .LBB223_88
; %bb.83:                               ;   in Loop: Header=BB223_51 Depth=1
	v_cmp_ne_u16_e32 vcc, s28, v4
	v_bfrev_b32_e32 v20, 1
	s_and_saveexec_b64 s[16:17], vcc
	s_cbranch_execz .LBB223_87
; %bb.84:                               ;   in Loop: Header=BB223_51 Depth=1
	v_and_b32_e32 v21, 0x7f, v4
	v_cmp_ne_u32_e32 vcc, s29, v21
	v_mov_b32_e32 v20, 0x7c010000
	s_and_saveexec_b64 s[18:19], vcc
	s_cbranch_execz .LBB223_86
; %bb.85:                               ;   in Loop: Header=BB223_51 Depth=1
	v_and_b32_e32 v20, 7, v4
	v_ffbh_u32_e32 v30, v20
	v_min_u32_e32 v33, 32, v30
	v_subrev_u32_e32 v30, 28, v33
	v_lshlrev_b64 v[30:31], v30, v[4:5]
	v_lshrrev_b32_e32 v32, 3, v21
	v_sub_u32_e32 v31, 29, v33
	v_cmp_gt_u32_e32 vcc, 8, v21
	v_lshlrev_b32_e32 v4, 8, v4
	v_and_b32_e32 v30, 7, v30
	v_cndmask_b32_e32 v21, v32, v31, vcc
	v_lshl_add_u32 v21, v21, 10, v29
	v_and_or_b32 v4, v4, s30, v21
	v_cndmask_b32_e32 v20, v20, v30, vcc
	v_lshlrev_b32_e32 v4, 16, v4
	v_lshl_or_b32 v20, v20, 23, v4
.LBB223_86:                             ;   in Loop: Header=BB223_51 Depth=1
	s_or_b64 exec, exec, s[18:19]
.LBB223_87:                             ;   in Loop: Header=BB223_51 Depth=1
	s_or_b64 exec, exec, s[16:17]
.LBB223_88:                             ;   in Loop: Header=BB223_51 Depth=1
	s_or_b64 exec, exec, s[0:1]
	v_lshrrev_b32_e32 v4, 16, v15
	v_cmp_ne_u16_sdwa s[16:17], v4, v5 src0_sel:BYTE_0 src1_sel:DWORD
	s_and_saveexec_b64 s[0:1], s[16:17]
	s_cbranch_execz .LBB223_94
; %bb.89:                               ;   in Loop: Header=BB223_51 Depth=1
	v_cmp_ne_u16_sdwa s[18:19], v4, s28 src0_sel:BYTE_0 src1_sel:DWORD
	v_mov_b32_e32 v18, 0x8000
	s_and_saveexec_b64 s[16:17], s[18:19]
	s_cbranch_execz .LBB223_93
; %bb.90:                               ;   in Loop: Header=BB223_51 Depth=1
	v_bfe_u32 v21, v15, 16, 7
	v_cmp_ne_u32_e32 vcc, s29, v21
	v_mov_b32_e32 v18, 0x7c01
	s_and_saveexec_b64 s[18:19], vcc
	s_cbranch_execz .LBB223_92
; %bb.91:                               ;   in Loop: Header=BB223_51 Depth=1
	v_and_b32_e32 v18, 7, v4
	v_ffbh_u32_e32 v30, v18
	v_min_u32_e32 v33, 32, v30
	v_subrev_u32_e32 v30, 28, v33
	v_lshlrev_b64 v[30:31], v30, v[4:5]
	v_lshrrev_b32_e32 v32, 3, v21
	v_sub_u32_e32 v31, 29, v33
	v_cmp_gt_u32_e32 vcc, 8, v21
	v_lshlrev_b32_e32 v4, 8, v4
	v_and_b32_e32 v30, 7, v30
	v_cndmask_b32_e32 v21, v32, v31, vcc
	v_lshl_add_u32 v21, v21, 10, v29
	v_and_b32_e32 v21, 0xfc00, v21
	v_cndmask_b32_e32 v18, v18, v30, vcc
	v_and_or_b32 v4, v4, s30, v21
	v_lshl_or_b32 v18, v18, 7, v4
.LBB223_92:                             ;   in Loop: Header=BB223_51 Depth=1
	s_or_b64 exec, exec, s[18:19]
.LBB223_93:                             ;   in Loop: Header=BB223_51 Depth=1
	s_or_b64 exec, exec, s[16:17]
.LBB223_94:                             ;   in Loop: Header=BB223_51 Depth=1
	s_or_b64 exec, exec, s[0:1]
	v_cmp_lt_u64_e32 vcc, s[6:7], v[14:15]
	v_mov_b32_e32 v21, 0
	s_and_saveexec_b64 s[0:1], vcc
	s_cbranch_execz .LBB223_100
; %bb.95:                               ;   in Loop: Header=BB223_51 Depth=1
	v_lshrrev_b32_e32 v4, 24, v15
	v_cmp_ne_u32_e32 vcc, s28, v4
	v_bfrev_b32_e32 v21, 1
	s_and_saveexec_b64 s[16:17], vcc
	s_cbranch_execz .LBB223_99
; %bb.96:                               ;   in Loop: Header=BB223_51 Depth=1
	v_and_b32_e32 v14, 0x7f, v4
	v_cmp_ne_u32_e32 vcc, s29, v14
	v_mov_b32_e32 v21, 0x7c010000
	s_and_saveexec_b64 s[18:19], vcc
	s_cbranch_execz .LBB223_98
; %bb.97:                               ;   in Loop: Header=BB223_51 Depth=1
	v_and_b32_e32 v15, 7, v4
	v_ffbh_u32_e32 v30, v15
	v_min_u32_e32 v32, 32, v30
	v_subrev_u32_e32 v30, 28, v32
	v_lshlrev_b64 v[30:31], v30, v[4:5]
	v_lshrrev_b32_e32 v21, 3, v14
	v_sub_u32_e32 v31, 29, v32
	v_cmp_gt_u32_e32 vcc, 8, v14
	v_lshlrev_b32_e32 v4, 8, v4
	s_nop 0
	v_cndmask_b32_e32 v14, v21, v31, vcc
	v_lshl_add_u32 v14, v14, 10, v29
	v_and_b32_e32 v21, 7, v30
	v_and_or_b32 v4, v4, s30, v14
	v_cndmask_b32_e32 v15, v15, v21, vcc
	v_lshlrev_b32_e32 v4, 16, v4
	v_lshl_or_b32 v21, v15, 23, v4
.LBB223_98:                             ;   in Loop: Header=BB223_51 Depth=1
	s_or_b64 exec, exec, s[18:19]
.LBB223_99:                             ;   in Loop: Header=BB223_51 Depth=1
	s_or_b64 exec, exec, s[16:17]
.LBB223_100:                            ;   in Loop: Header=BB223_51 Depth=1
	s_or_b64 exec, exec, s[0:1]
	v_cvt_f32_f16_sdwa v15, v1 dst_sel:DWORD dst_unused:UNUSED_PAD src0_sel:WORD_1
	v_cvt_f32_f16_sdwa v14, v17 dst_sel:DWORD dst_unused:UNUSED_PAD src0_sel:WORD_1
	v_or_b32_e32 v1, v1, v13
	v_or_b32_e32 v4, v17, v16
	v_cvt_f32_f16_e32 v16, v4
	v_cvt_f32_f16_e32 v17, v1
	s_waitcnt vmcnt(0)
	v_pk_mul_f32 v[14:15], v[12:13], v[14:15] op_sel_hi:[0,1]
	v_cvt_pk_f16_f32 v1, v14, v15
	v_and_b32_e32 v13, 0xffff0000, v1
	v_pk_mul_f32 v[16:17], v[12:13], v[16:17] op_sel_hi:[0,1]
	v_lshlrev_b32_e32 v14, 16, v1
	v_cvt_pk_f16_f32 v1, v16, v17
	v_or_b32_e32 v4, v20, v19
	v_or_b32_e32 v17, v21, v18
	v_cvt_f32_f16_e32 v18, v17
	v_cvt_f32_f16_e32 v19, v4
	v_cvt_f32_f16_sdwa v31, v20 dst_sel:DWORD dst_unused:UNUSED_PAD src0_sel:WORD_1
	v_cvt_f32_f16_sdwa v30, v21 dst_sel:DWORD dst_unused:UNUSED_PAD src0_sel:WORD_1
	v_lshrrev_b32_e32 v15, 16, v1
	v_pk_mul_f32 v[18:19], v[12:13], v[18:19] op_sel_hi:[0,1]
	v_cvt_pk_f16_f32 v20, v18, v19
	v_pk_mul_f32 v[18:19], v[12:13], v[30:31] op_sel_hi:[0,1]
	v_cvt_pk_f16_f32 v12, v18, v19
	v_and_b32_e32 v16, 0xffff, v1
	v_and_b32_e32 v17, 0xffff0000, v12
	v_lshlrev_b32_e32 v12, 16, v12
	v_lshrrev_b32_e32 v21, 16, v20
	v_and_b32_e32 v20, 0xffff, v20
	v_cmp_eq_u32_e32 vcc, s35, v23
	v_or_b32_e32 v1, v13, v15
	v_or_b32_e32 v4, v14, v16
	;; [unrolled: 1-line block ×4, first 2 shown]
	v_add_u32_e32 v36, 2, v24
	v_or_b32_e32 v35, 1, v24
	v_or_b32_e32 v34, 3, v24
	;; [unrolled: 1-line block ×6, first 2 shown]
	s_and_saveexec_b64 s[16:17], vcc
	s_cbranch_execz .LBB223_102
; %bb.101:                              ;   in Loop: Header=BB223_51 Depth=1
	v_cmp_gt_i32_e64 s[0:1], s38, v24
	s_nop 1
	v_cndmask_b32_e64 v1, 0, v15, s[0:1]
	v_cmp_gt_i32_e64 s[0:1], s33, v36
	s_nop 1
	v_cndmask_b32_e64 v4, 0, v16, s[0:1]
	;; [unrolled: 3-line block ×3, first 2 shown]
	v_cmp_gt_i32_e64 s[0:1], s33, v34
	v_or_b32_e32 v1, v13, v1
	s_nop 0
	v_cndmask_b32_e64 v14, 0, v14, s[0:1]
	v_cmp_gt_i32_e64 s[0:1], s38, v33
	v_or_b32_e32 v4, v14, v4
	s_nop 0
	v_cndmask_b32_e64 v13, 0, v21, s[0:1]
	v_cmp_gt_i32_e64 s[0:1], s33, v32
	s_nop 1
	v_cndmask_b32_e64 v14, 0, v20, s[0:1]
	v_cmp_gt_i32_e64 s[0:1], s38, v31
	;; [unrolled: 3-line block ×3, first 2 shown]
	v_or_b32_e32 v19, v15, v13
	s_nop 0
	v_cndmask_b32_e64 v12, 0, v12, s[0:1]
	v_or_b32_e32 v18, v12, v14
.LBB223_102:                            ;   in Loop: Header=BB223_51 Depth=1
	s_or_b64 exec, exec, s[16:17]
	v_and_b32_e32 v12, 0xffff, v37
	v_lshl_or_b32 v40, v38, 16, v12
	v_and_b32_e32 v12, 0xffff, v39
	v_lshl_or_b32 v39, v41, 16, v12
	;; [unrolled: 2-line block ×3, first 2 shown]
	v_and_b32_e32 v12, 0xffff, v44
	;;#ASMSTART
	v_pk_mul_f16 v1, v40, v1;

	;;#ASMEND
	v_lshl_or_b32 v37, v45, 16, v12
	;;#ASMSTART
	v_pk_mul_f16 v4, v39, v4;

	;;#ASMEND
	;;#ASMSTART
	v_pk_mul_f16 v12, v38, v19;

	;;#ASMEND
	;; [unrolled: 4-line block ×3, first 2 shown]
	s_nop 0
	;;#ASMSTART
	v_pk_add_f16 v1, v1, v4;

	;;#ASMEND
	s_nop 0
	;;#ASMSTART
	v_pk_add_f16 v1, v1, v12;

	;;#ASMEND
	;; [unrolled: 5-line block ×3, first 2 shown]
	v_mov_b32_e32 v13, 0
	v_lshrrev_b32_e32 v4, 16, v1
	v_and_b32_e32 v1, 0xffff, v1
	;;#ASMSTART
	v_cvt_f32_f16 v41, v1;
	;;#ASMEND
	;;#ASMSTART
	v_cvt_f32_f16 v42, v4;
	;;#ASMEND
	global_load_dwordx2 v[14:15], v[10:11], off offset:512
	v_mov_b32_e32 v1, 0
	global_load_dword v12, v1, s[14:15]
	s_waitcnt vmcnt(1)
	v_cmp_ne_u16_sdwa s[0:1], v14, v5 src0_sel:BYTE_0 src1_sel:DWORD
	s_and_saveexec_b64 s[16:17], s[0:1]
	s_cbranch_execz .LBB223_108
; %bb.103:                              ;   in Loop: Header=BB223_51 Depth=1
	v_cmp_ne_u16_sdwa s[0:1], v14, s28 src0_sel:BYTE_0 src1_sel:DWORD
	v_mov_b32_e32 v13, 0x8000
	s_and_saveexec_b64 s[18:19], s[0:1]
	s_cbranch_execz .LBB223_107
; %bb.104:                              ;   in Loop: Header=BB223_51 Depth=1
	v_and_b32_e32 v4, 0x7f, v14
	v_cmp_ne_u32_e64 s[0:1], s29, v4
	v_mov_b32_e32 v13, 0x7c01
	s_and_saveexec_b64 s[20:21], s[0:1]
	s_cbranch_execz .LBB223_106
; %bb.105:                              ;   in Loop: Header=BB223_51 Depth=1
	v_and_b32_e32 v13, 7, v14
	v_ffbh_u32_e32 v16, v13
	v_min_u32_e32 v19, 32, v16
	v_subrev_u32_e32 v16, 28, v19
	v_lshlrev_b64 v[16:17], v16, v[14:15]
	v_lshrrev_b32_e32 v18, 3, v4
	v_sub_u32_e32 v17, 29, v19
	v_cmp_gt_u32_e64 s[0:1], 8, v4
	v_and_b32_e32 v16, 7, v16
	s_nop 0
	v_cndmask_b32_e64 v4, v18, v17, s[0:1]
	v_lshl_add_u32 v4, v4, 10, v29
	v_lshlrev_b32_e32 v17, 8, v14
	v_and_b32_e32 v4, 0xfc00, v4
	v_cndmask_b32_e64 v13, v13, v16, s[0:1]
	v_and_or_b32 v4, v17, s30, v4
	v_lshl_or_b32 v13, v13, 7, v4
.LBB223_106:                            ;   in Loop: Header=BB223_51 Depth=1
	s_or_b64 exec, exec, s[20:21]
.LBB223_107:                            ;   in Loop: Header=BB223_51 Depth=1
	s_or_b64 exec, exec, s[18:19]
.LBB223_108:                            ;   in Loop: Header=BB223_51 Depth=1
	s_or_b64 exec, exec, s[16:17]
	v_lshrrev_b16_e32 v4, 8, v14
	v_cmp_ne_u16_e64 s[0:1], 0, v4
	s_and_saveexec_b64 s[16:17], s[0:1]
	s_cbranch_execz .LBB223_114
; %bb.109:                              ;   in Loop: Header=BB223_51 Depth=1
	v_cmp_ne_u16_e64 s[0:1], s28, v4
	v_bfrev_b32_e32 v1, 1
	s_and_saveexec_b64 s[18:19], s[0:1]
	s_cbranch_execz .LBB223_113
; %bb.110:                              ;   in Loop: Header=BB223_51 Depth=1
	v_and_b32_e32 v16, 0x7f, v4
	v_cmp_ne_u32_e64 s[0:1], s29, v16
	v_mov_b32_e32 v1, 0x7c010000
	s_and_saveexec_b64 s[20:21], s[0:1]
	s_cbranch_execz .LBB223_112
; %bb.111:                              ;   in Loop: Header=BB223_51 Depth=1
	v_and_b32_e32 v1, 7, v4
	v_ffbh_u32_e32 v18, v1
	v_min_u32_e32 v20, 32, v18
	v_subrev_u32_e32 v18, 28, v20
	v_lshlrev_b64 v[18:19], v18, v[4:5]
	v_lshrrev_b32_e32 v17, 3, v16
	v_sub_u32_e32 v19, 29, v20
	v_cmp_gt_u32_e64 s[0:1], 8, v16
	v_lshlrev_b32_e32 v4, 8, v4
	s_nop 0
	v_cndmask_b32_e64 v16, v17, v19, s[0:1]
	v_lshl_add_u32 v16, v16, 10, v29
	v_and_b32_e32 v17, 7, v18
	v_and_or_b32 v4, v4, s30, v16
	v_cndmask_b32_e64 v1, v1, v17, s[0:1]
	v_lshlrev_b32_e32 v4, 16, v4
	v_lshl_or_b32 v1, v1, 23, v4
.LBB223_112:                            ;   in Loop: Header=BB223_51 Depth=1
	s_or_b64 exec, exec, s[20:21]
.LBB223_113:                            ;   in Loop: Header=BB223_51 Depth=1
	s_or_b64 exec, exec, s[18:19]
.LBB223_114:                            ;   in Loop: Header=BB223_51 Depth=1
	s_or_b64 exec, exec, s[16:17]
	v_lshrrev_b32_e32 v4, 16, v14
	v_cmp_ne_u16_sdwa s[0:1], v4, v5 src0_sel:BYTE_0 src1_sel:DWORD
	v_mov_b32_e32 v17, 0
	v_mov_b32_e32 v16, 0
	s_and_saveexec_b64 s[16:17], s[0:1]
	s_cbranch_execz .LBB223_120
; %bb.115:                              ;   in Loop: Header=BB223_51 Depth=1
	v_cmp_ne_u16_sdwa s[0:1], v4, s28 src0_sel:BYTE_0 src1_sel:DWORD
	v_mov_b32_e32 v16, 0x8000
	s_and_saveexec_b64 s[18:19], s[0:1]
	s_cbranch_execz .LBB223_119
; %bb.116:                              ;   in Loop: Header=BB223_51 Depth=1
	v_bfe_u32 v18, v14, 16, 7
	v_cmp_ne_u32_e64 s[0:1], s29, v18
	v_mov_b32_e32 v16, 0x7c01
	s_and_saveexec_b64 s[20:21], s[0:1]
	s_cbranch_execz .LBB223_118
; %bb.117:                              ;   in Loop: Header=BB223_51 Depth=1
	v_and_b32_e32 v16, 7, v4
	v_ffbh_u32_e32 v20, v16
	v_min_u32_e32 v43, 32, v20
	v_subrev_u32_e32 v20, 28, v43
	v_lshlrev_b64 v[20:21], v20, v[4:5]
	v_lshrrev_b32_e32 v19, 3, v18
	v_sub_u32_e32 v21, 29, v43
	v_cmp_gt_u32_e64 s[0:1], 8, v18
	v_lshlrev_b32_e32 v4, 8, v4
	s_nop 0
	v_cndmask_b32_e64 v18, v19, v21, s[0:1]
	v_lshl_add_u32 v18, v18, 10, v29
	v_and_b32_e32 v19, 7, v20
	v_and_b32_e32 v18, 0xfc00, v18
	v_cndmask_b32_e64 v16, v16, v19, s[0:1]
	v_and_or_b32 v4, v4, s30, v18
	v_lshl_or_b32 v16, v16, 7, v4
.LBB223_118:                            ;   in Loop: Header=BB223_51 Depth=1
	s_or_b64 exec, exec, s[20:21]
.LBB223_119:                            ;   in Loop: Header=BB223_51 Depth=1
	s_or_b64 exec, exec, s[18:19]
.LBB223_120:                            ;   in Loop: Header=BB223_51 Depth=1
	s_or_b64 exec, exec, s[16:17]
	v_cmp_lt_u32_e64 s[0:1], s7, v14
	s_and_saveexec_b64 s[16:17], s[0:1]
	s_cbranch_execz .LBB223_126
; %bb.121:                              ;   in Loop: Header=BB223_51 Depth=1
	v_lshrrev_b32_e32 v4, 24, v14
	v_cmp_ne_u32_e64 s[0:1], s28, v4
	v_bfrev_b32_e32 v17, 1
	s_and_saveexec_b64 s[18:19], s[0:1]
	s_cbranch_execz .LBB223_125
; %bb.122:                              ;   in Loop: Header=BB223_51 Depth=1
	v_and_b32_e32 v18, 0x7f, v4
	v_cmp_ne_u32_e64 s[0:1], s29, v18
	v_mov_b32_e32 v17, 0x7c010000
	s_and_saveexec_b64 s[20:21], s[0:1]
	s_cbranch_execz .LBB223_124
; %bb.123:                              ;   in Loop: Header=BB223_51 Depth=1
	v_and_b32_e32 v17, 7, v4
	v_ffbh_u32_e32 v20, v17
	v_min_u32_e32 v43, 32, v20
	v_subrev_u32_e32 v20, 28, v43
	v_lshlrev_b64 v[20:21], v20, v[4:5]
	v_lshrrev_b32_e32 v19, 3, v18
	v_sub_u32_e32 v21, 29, v43
	v_cmp_gt_u32_e64 s[0:1], 8, v18
	v_lshlrev_b32_e32 v4, 8, v4
	s_nop 0
	v_cndmask_b32_e64 v18, v19, v21, s[0:1]
	v_lshl_add_u32 v18, v18, 10, v29
	v_and_b32_e32 v19, 7, v20
	v_and_or_b32 v4, v4, s30, v18
	v_cndmask_b32_e64 v17, v17, v19, s[0:1]
	v_lshlrev_b32_e32 v4, 16, v4
	v_lshl_or_b32 v17, v17, 23, v4
.LBB223_124:                            ;   in Loop: Header=BB223_51 Depth=1
	s_or_b64 exec, exec, s[20:21]
.LBB223_125:                            ;   in Loop: Header=BB223_51 Depth=1
	s_or_b64 exec, exec, s[18:19]
.LBB223_126:                            ;   in Loop: Header=BB223_51 Depth=1
	s_or_b64 exec, exec, s[16:17]
	v_mov_b32_e32 v4, v15
	v_cmp_ne_u16_sdwa s[0:1], v15, v5 src0_sel:BYTE_0 src1_sel:DWORD
	v_mov_b32_e32 v18, 0
	v_mov_b32_e32 v19, 0
	s_and_saveexec_b64 s[16:17], s[0:1]
	s_cbranch_execz .LBB223_132
; %bb.127:                              ;   in Loop: Header=BB223_51 Depth=1
	v_cmp_ne_u16_sdwa s[0:1], v15, s28 src0_sel:BYTE_0 src1_sel:DWORD
	v_mov_b32_e32 v19, 0x8000
	s_and_saveexec_b64 s[18:19], s[0:1]
	s_cbranch_execz .LBB223_131
; %bb.128:                              ;   in Loop: Header=BB223_51 Depth=1
	v_and_b32_e32 v20, 0x7f, v15
	v_cmp_ne_u32_e64 s[0:1], s29, v20
	v_mov_b32_e32 v19, 0x7c01
	s_and_saveexec_b64 s[20:21], s[0:1]
	s_cbranch_execz .LBB223_130
; %bb.129:                              ;   in Loop: Header=BB223_51 Depth=1
	v_and_b32_e32 v19, 7, v15
	v_ffbh_u32_e32 v43, v19
	v_min_u32_e32 v43, 32, v43
	v_lshrrev_b32_e32 v21, 3, v20
	v_subrev_u32_e32 v44, 28, v43
	v_sub_u32_e32 v43, 29, v43
	v_cmp_gt_u32_e64 s[0:1], 8, v20
	v_lshlrev_b64 v[44:45], v44, v[4:5]
	s_nop 0
	v_cndmask_b32_e64 v20, v21, v43, s[0:1]
	v_lshl_add_u32 v20, v20, 10, v29
	v_lshlrev_b32_e32 v21, 8, v15
	v_and_b32_e32 v43, 7, v44
	v_and_b32_e32 v20, 0xfc00, v20
	v_cndmask_b32_e64 v19, v19, v43, s[0:1]
	v_and_or_b32 v20, v21, s30, v20
	v_lshl_or_b32 v19, v19, 7, v20
.LBB223_130:                            ;   in Loop: Header=BB223_51 Depth=1
	s_or_b64 exec, exec, s[20:21]
.LBB223_131:                            ;   in Loop: Header=BB223_51 Depth=1
	s_or_b64 exec, exec, s[18:19]
.LBB223_132:                            ;   in Loop: Header=BB223_51 Depth=1
	s_or_b64 exec, exec, s[16:17]
	v_lshrrev_b16_e32 v4, 8, v4
	v_cmp_ne_u16_e64 s[0:1], 0, v4
	v_mov_b32_e32 v20, 0
	s_and_saveexec_b64 s[16:17], s[0:1]
	s_cbranch_execz .LBB223_138
; %bb.133:                              ;   in Loop: Header=BB223_51 Depth=1
	v_cmp_ne_u16_e64 s[0:1], s28, v4
	v_bfrev_b32_e32 v20, 1
	s_and_saveexec_b64 s[18:19], s[0:1]
	s_cbranch_execz .LBB223_137
; %bb.134:                              ;   in Loop: Header=BB223_51 Depth=1
	v_and_b32_e32 v21, 0x7f, v4
	v_cmp_ne_u32_e64 s[0:1], s29, v21
	v_mov_b32_e32 v20, 0x7c010000
	s_and_saveexec_b64 s[20:21], s[0:1]
	s_cbranch_execz .LBB223_136
; %bb.135:                              ;   in Loop: Header=BB223_51 Depth=1
	v_and_b32_e32 v20, 7, v4
	v_ffbh_u32_e32 v44, v20
	v_min_u32_e32 v46, 32, v44
	v_subrev_u32_e32 v44, 28, v46
	v_lshlrev_b64 v[44:45], v44, v[4:5]
	v_lshrrev_b32_e32 v43, 3, v21
	v_sub_u32_e32 v45, 29, v46
	v_cmp_gt_u32_e64 s[0:1], 8, v21
	v_lshlrev_b32_e32 v4, 8, v4
	s_nop 0
	v_cndmask_b32_e64 v21, v43, v45, s[0:1]
	v_lshl_add_u32 v21, v21, 10, v29
	v_and_b32_e32 v43, 7, v44
	v_and_or_b32 v4, v4, s30, v21
	v_cndmask_b32_e64 v20, v20, v43, s[0:1]
	v_lshlrev_b32_e32 v4, 16, v4
	v_lshl_or_b32 v20, v20, 23, v4
.LBB223_136:                            ;   in Loop: Header=BB223_51 Depth=1
	s_or_b64 exec, exec, s[20:21]
.LBB223_137:                            ;   in Loop: Header=BB223_51 Depth=1
	s_or_b64 exec, exec, s[18:19]
.LBB223_138:                            ;   in Loop: Header=BB223_51 Depth=1
	s_or_b64 exec, exec, s[16:17]
	v_lshrrev_b32_e32 v4, 16, v15
	v_cmp_ne_u16_sdwa s[0:1], v4, v5 src0_sel:BYTE_0 src1_sel:DWORD
	s_and_saveexec_b64 s[16:17], s[0:1]
	s_cbranch_execz .LBB223_144
; %bb.139:                              ;   in Loop: Header=BB223_51 Depth=1
	v_cmp_ne_u16_sdwa s[0:1], v4, s28 src0_sel:BYTE_0 src1_sel:DWORD
	v_mov_b32_e32 v18, 0x8000
	s_and_saveexec_b64 s[18:19], s[0:1]
	s_cbranch_execz .LBB223_143
; %bb.140:                              ;   in Loop: Header=BB223_51 Depth=1
	v_bfe_u32 v21, v15, 16, 7
	v_cmp_ne_u32_e64 s[0:1], s29, v21
	v_mov_b32_e32 v18, 0x7c01
	s_and_saveexec_b64 s[20:21], s[0:1]
	s_cbranch_execz .LBB223_142
; %bb.141:                              ;   in Loop: Header=BB223_51 Depth=1
	v_and_b32_e32 v18, 7, v4
	v_ffbh_u32_e32 v44, v18
	v_min_u32_e32 v46, 32, v44
	v_subrev_u32_e32 v44, 28, v46
	v_lshlrev_b64 v[44:45], v44, v[4:5]
	v_lshrrev_b32_e32 v43, 3, v21
	v_sub_u32_e32 v45, 29, v46
	v_cmp_gt_u32_e64 s[0:1], 8, v21
	v_lshlrev_b32_e32 v4, 8, v4
	s_nop 0
	v_cndmask_b32_e64 v21, v43, v45, s[0:1]
	v_lshl_add_u32 v21, v21, 10, v29
	v_and_b32_e32 v43, 7, v44
	v_and_b32_e32 v21, 0xfc00, v21
	v_cndmask_b32_e64 v18, v18, v43, s[0:1]
	v_and_or_b32 v4, v4, s30, v21
	v_lshl_or_b32 v18, v18, 7, v4
.LBB223_142:                            ;   in Loop: Header=BB223_51 Depth=1
	s_or_b64 exec, exec, s[20:21]
.LBB223_143:                            ;   in Loop: Header=BB223_51 Depth=1
	s_or_b64 exec, exec, s[18:19]
.LBB223_144:                            ;   in Loop: Header=BB223_51 Depth=1
	s_or_b64 exec, exec, s[16:17]
	v_cmp_lt_u64_e64 s[0:1], s[6:7], v[14:15]
	v_mov_b32_e32 v14, 0
	s_and_saveexec_b64 s[16:17], s[0:1]
	s_cbranch_execz .LBB223_150
; %bb.145:                              ;   in Loop: Header=BB223_51 Depth=1
	v_lshrrev_b32_e32 v4, 24, v15
	v_cmp_ne_u32_e64 s[0:1], s28, v4
	v_bfrev_b32_e32 v14, 1
	s_and_saveexec_b64 s[18:19], s[0:1]
	s_cbranch_execz .LBB223_149
; %bb.146:                              ;   in Loop: Header=BB223_51 Depth=1
	v_and_b32_e32 v15, 0x7f, v4
	v_cmp_ne_u32_e64 s[0:1], s29, v15
	v_mov_b32_e32 v14, 0x7c010000
	s_and_saveexec_b64 s[20:21], s[0:1]
	s_cbranch_execz .LBB223_148
; %bb.147:                              ;   in Loop: Header=BB223_51 Depth=1
	v_and_b32_e32 v14, 7, v4
	v_ffbh_u32_e32 v43, v14
	v_min_u32_e32 v43, 32, v43
	v_lshrrev_b32_e32 v21, 3, v15
	v_subrev_u32_e32 v44, 28, v43
	v_sub_u32_e32 v43, 29, v43
	v_cmp_gt_u32_e64 s[0:1], 8, v15
	v_lshlrev_b64 v[44:45], v44, v[4:5]
	v_lshlrev_b32_e32 v4, 8, v4
	v_cndmask_b32_e64 v15, v21, v43, s[0:1]
	v_lshl_add_u32 v15, v15, 10, v29
	v_and_b32_e32 v21, 7, v44
	v_and_or_b32 v4, v4, s30, v15
	v_cndmask_b32_e64 v14, v14, v21, s[0:1]
	v_lshlrev_b32_e32 v4, 16, v4
	v_lshl_or_b32 v14, v14, 23, v4
.LBB223_148:                            ;   in Loop: Header=BB223_51 Depth=1
	s_or_b64 exec, exec, s[20:21]
.LBB223_149:                            ;   in Loop: Header=BB223_51 Depth=1
	s_or_b64 exec, exec, s[18:19]
.LBB223_150:                            ;   in Loop: Header=BB223_51 Depth=1
	s_or_b64 exec, exec, s[16:17]
	v_cvt_f32_f16_sdwa v45, v1 dst_sel:DWORD dst_unused:UNUSED_PAD src0_sel:WORD_1
	v_cvt_f32_f16_sdwa v44, v17 dst_sel:DWORD dst_unused:UNUSED_PAD src0_sel:WORD_1
	v_or_b32_e32 v1, v1, v13
	v_or_b32_e32 v4, v17, v16
	;; [unrolled: 1-line block ×3, first 2 shown]
	s_waitcnt vmcnt(0)
	v_pk_mul_f32 v[16:17], v[12:13], v[44:45] op_sel_hi:[0,1]
	v_cvt_f32_f16_e32 v44, v4
	v_cvt_f32_f16_e32 v45, v1
	v_cvt_pk_f16_f32 v1, v16, v17
	v_and_b32_e32 v13, 0xffff0000, v1
	v_lshlrev_b32_e32 v4, 16, v1
	v_pk_mul_f32 v[16:17], v[12:13], v[44:45] op_sel_hi:[0,1]
	v_cvt_pk_f16_f32 v1, v16, v17
	v_or_b32_e32 v17, v20, v19
	v_cvt_f32_f16_e32 v18, v18
	v_cvt_f32_f16_e32 v19, v17
	v_cvt_f32_f16_sdwa v21, v20 dst_sel:DWORD dst_unused:UNUSED_PAD src0_sel:WORD_1
	v_cvt_f32_f16_sdwa v20, v14 dst_sel:DWORD dst_unused:UNUSED_PAD src0_sel:WORD_1
	v_lshrrev_b32_e32 v15, 16, v1
	v_pk_mul_f32 v[18:19], v[12:13], v[18:19] op_sel_hi:[0,1]
	v_cvt_pk_f16_f32 v43, v18, v19
	v_pk_mul_f32 v[18:19], v[12:13], v[20:21] op_sel_hi:[0,1]
	v_cvt_pk_f16_f32 v12, v18, v19
	v_and_b32_e32 v16, 0xffff, v1
	v_and_b32_e32 v17, 0xffff0000, v12
	v_lshlrev_b32_e32 v12, 16, v12
	v_lshrrev_b32_e32 v19, 16, v43
	v_and_b32_e32 v18, 0xffff, v43
	v_or_b32_e32 v1, v13, v15
	v_or_b32_e32 v14, v4, v16
	;; [unrolled: 1-line block ×4, first 2 shown]
	s_and_saveexec_b64 s[16:17], vcc
	s_cbranch_execz .LBB223_152
; %bb.151:                              ;   in Loop: Header=BB223_51 Depth=1
	v_cmp_gt_i32_e64 s[0:1], s38, v24
	s_nop 1
	v_cndmask_b32_e64 v1, 0, v15, s[0:1]
	v_cmp_gt_i32_e64 s[0:1], s33, v36
	s_nop 1
	v_cndmask_b32_e64 v14, 0, v16, s[0:1]
	;; [unrolled: 3-line block ×3, first 2 shown]
	v_cmp_gt_i32_e64 s[0:1], s33, v34
	v_or_b32_e32 v1, v13, v1
	s_nop 0
	v_cndmask_b32_e64 v4, 0, v4, s[0:1]
	v_cmp_gt_i32_e64 s[0:1], s38, v33
	v_or_b32_e32 v14, v4, v14
	s_nop 0
	v_cndmask_b32_e64 v4, 0, v19, s[0:1]
	v_cmp_gt_i32_e64 s[0:1], s33, v32
	s_nop 1
	v_cndmask_b32_e64 v13, 0, v18, s[0:1]
	v_cmp_gt_i32_e64 s[0:1], s38, v31
	;; [unrolled: 3-line block ×3, first 2 shown]
	v_or_b32_e32 v21, v15, v4
	s_nop 0
	v_cndmask_b32_e64 v12, 0, v12, s[0:1]
	v_or_b32_e32 v20, v12, v13
.LBB223_152:                            ;   in Loop: Header=BB223_51 Depth=1
	s_or_b64 exec, exec, s[16:17]
	;;#ASMSTART
	v_pk_mul_f16 v1, v40, v1;

	;;#ASMEND
	;;#ASMSTART
	v_pk_mul_f16 v4, v39, v14;

	;;#ASMEND
	;; [unrolled: 4-line block ×4, first 2 shown]
	s_nop 0
	;;#ASMSTART
	v_pk_add_f16 v1, v1, v4;

	;;#ASMEND
	s_nop 0
	;;#ASMSTART
	v_pk_add_f16 v1, v1, v12;

	;;#ASMEND
	;; [unrolled: 5-line block ×3, first 2 shown]
	s_nop 0
	v_lshrrev_b32_e32 v4, 16, v1
	v_and_b32_e32 v1, 0xffff, v1
	;;#ASMSTART
	v_cvt_f32_f16 v20, v1;
	;;#ASMEND
	;;#ASMSTART
	v_cvt_f32_f16 v21, v4;
	;;#ASMEND
	global_load_dwordx2 v[12:13], v[10:11], off offset:1024
	v_mov_b32_e32 v1, 0
	global_load_dword v10, v1, s[14:15]
	v_mov_b32_e32 v11, 0
	s_waitcnt vmcnt(1)
	v_cmp_ne_u16_sdwa s[0:1], v12, v5 src0_sel:BYTE_0 src1_sel:DWORD
	s_and_saveexec_b64 s[16:17], s[0:1]
	s_cbranch_execz .LBB223_158
; %bb.153:                              ;   in Loop: Header=BB223_51 Depth=1
	v_cmp_ne_u16_sdwa s[0:1], v12, s28 src0_sel:BYTE_0 src1_sel:DWORD
	v_mov_b32_e32 v11, 0x8000
	s_and_saveexec_b64 s[18:19], s[0:1]
	s_cbranch_execz .LBB223_157
; %bb.154:                              ;   in Loop: Header=BB223_51 Depth=1
	v_and_b32_e32 v4, 0x7f, v12
	v_cmp_ne_u32_e64 s[0:1], s29, v4
	v_mov_b32_e32 v11, 0x7c01
	s_and_saveexec_b64 s[20:21], s[0:1]
	s_cbranch_execz .LBB223_156
; %bb.155:                              ;   in Loop: Header=BB223_51 Depth=1
	v_and_b32_e32 v11, 7, v12
	v_ffbh_u32_e32 v14, v11
	v_min_u32_e32 v17, 32, v14
	v_subrev_u32_e32 v14, 28, v17
	v_lshlrev_b64 v[14:15], v14, v[12:13]
	v_lshrrev_b32_e32 v16, 3, v4
	v_sub_u32_e32 v15, 29, v17
	v_cmp_gt_u32_e64 s[0:1], 8, v4
	v_and_b32_e32 v14, 7, v14
	s_nop 0
	v_cndmask_b32_e64 v4, v16, v15, s[0:1]
	v_lshl_add_u32 v4, v4, 10, v29
	v_lshlrev_b32_e32 v15, 8, v12
	v_and_b32_e32 v4, 0xfc00, v4
	v_cndmask_b32_e64 v11, v11, v14, s[0:1]
	v_and_or_b32 v4, v15, s30, v4
	v_lshl_or_b32 v11, v11, 7, v4
.LBB223_156:                            ;   in Loop: Header=BB223_51 Depth=1
	s_or_b64 exec, exec, s[20:21]
.LBB223_157:                            ;   in Loop: Header=BB223_51 Depth=1
	s_or_b64 exec, exec, s[18:19]
.LBB223_158:                            ;   in Loop: Header=BB223_51 Depth=1
	s_or_b64 exec, exec, s[16:17]
	v_lshrrev_b16_e32 v4, 8, v12
	v_cmp_ne_u16_e64 s[0:1], 0, v4
	s_and_saveexec_b64 s[16:17], s[0:1]
	s_cbranch_execz .LBB223_164
; %bb.159:                              ;   in Loop: Header=BB223_51 Depth=1
	v_cmp_ne_u16_e64 s[0:1], s28, v4
	v_bfrev_b32_e32 v1, 1
	s_and_saveexec_b64 s[18:19], s[0:1]
	s_cbranch_execz .LBB223_163
; %bb.160:                              ;   in Loop: Header=BB223_51 Depth=1
	v_and_b32_e32 v14, 0x7f, v4
	v_cmp_ne_u32_e64 s[0:1], s29, v14
	v_mov_b32_e32 v1, 0x7c010000
	s_and_saveexec_b64 s[20:21], s[0:1]
	s_cbranch_execz .LBB223_162
; %bb.161:                              ;   in Loop: Header=BB223_51 Depth=1
	v_and_b32_e32 v1, 7, v4
	v_ffbh_u32_e32 v16, v1
	v_min_u32_e32 v18, 32, v16
	v_subrev_u32_e32 v16, 28, v18
	v_lshlrev_b64 v[16:17], v16, v[4:5]
	v_lshrrev_b32_e32 v15, 3, v14
	v_sub_u32_e32 v17, 29, v18
	v_cmp_gt_u32_e64 s[0:1], 8, v14
	v_lshlrev_b32_e32 v4, 8, v4
	s_nop 0
	v_cndmask_b32_e64 v14, v15, v17, s[0:1]
	v_lshl_add_u32 v14, v14, 10, v29
	v_and_b32_e32 v15, 7, v16
	v_and_or_b32 v4, v4, s30, v14
	v_cndmask_b32_e64 v1, v1, v15, s[0:1]
	v_lshlrev_b32_e32 v4, 16, v4
	v_lshl_or_b32 v1, v1, 23, v4
.LBB223_162:                            ;   in Loop: Header=BB223_51 Depth=1
	s_or_b64 exec, exec, s[20:21]
.LBB223_163:                            ;   in Loop: Header=BB223_51 Depth=1
	s_or_b64 exec, exec, s[18:19]
.LBB223_164:                            ;   in Loop: Header=BB223_51 Depth=1
	s_or_b64 exec, exec, s[16:17]
	v_lshrrev_b32_e32 v4, 16, v12
	v_cmp_ne_u16_sdwa s[0:1], v4, v5 src0_sel:BYTE_0 src1_sel:DWORD
	v_mov_b32_e32 v15, 0
	v_mov_b32_e32 v14, 0
	s_and_saveexec_b64 s[16:17], s[0:1]
	s_cbranch_execz .LBB223_170
; %bb.165:                              ;   in Loop: Header=BB223_51 Depth=1
	v_cmp_ne_u16_sdwa s[0:1], v4, s28 src0_sel:BYTE_0 src1_sel:DWORD
	v_mov_b32_e32 v14, 0x8000
	s_and_saveexec_b64 s[18:19], s[0:1]
	s_cbranch_execz .LBB223_169
; %bb.166:                              ;   in Loop: Header=BB223_51 Depth=1
	v_bfe_u32 v16, v12, 16, 7
	v_cmp_ne_u32_e64 s[0:1], s29, v16
	v_mov_b32_e32 v14, 0x7c01
	s_and_saveexec_b64 s[20:21], s[0:1]
	s_cbranch_execz .LBB223_168
; %bb.167:                              ;   in Loop: Header=BB223_51 Depth=1
	v_and_b32_e32 v14, 7, v4
	v_ffbh_u32_e32 v18, v14
	v_min_u32_e32 v43, 32, v18
	v_subrev_u32_e32 v18, 28, v43
	v_lshlrev_b64 v[18:19], v18, v[4:5]
	v_lshrrev_b32_e32 v17, 3, v16
	v_sub_u32_e32 v19, 29, v43
	v_cmp_gt_u32_e64 s[0:1], 8, v16
	v_lshlrev_b32_e32 v4, 8, v4
	s_nop 0
	v_cndmask_b32_e64 v16, v17, v19, s[0:1]
	v_lshl_add_u32 v16, v16, 10, v29
	v_and_b32_e32 v17, 7, v18
	v_and_b32_e32 v16, 0xfc00, v16
	v_cndmask_b32_e64 v14, v14, v17, s[0:1]
	v_and_or_b32 v4, v4, s30, v16
	v_lshl_or_b32 v14, v14, 7, v4
.LBB223_168:                            ;   in Loop: Header=BB223_51 Depth=1
	s_or_b64 exec, exec, s[20:21]
.LBB223_169:                            ;   in Loop: Header=BB223_51 Depth=1
	s_or_b64 exec, exec, s[18:19]
.LBB223_170:                            ;   in Loop: Header=BB223_51 Depth=1
	s_or_b64 exec, exec, s[16:17]
	v_cmp_lt_u32_e64 s[0:1], s7, v12
	s_and_saveexec_b64 s[16:17], s[0:1]
	s_cbranch_execz .LBB223_176
; %bb.171:                              ;   in Loop: Header=BB223_51 Depth=1
	v_lshrrev_b32_e32 v4, 24, v12
	v_cmp_ne_u32_e64 s[0:1], s28, v4
	v_bfrev_b32_e32 v15, 1
	s_and_saveexec_b64 s[18:19], s[0:1]
	s_cbranch_execz .LBB223_175
; %bb.172:                              ;   in Loop: Header=BB223_51 Depth=1
	v_and_b32_e32 v16, 0x7f, v4
	v_cmp_ne_u32_e64 s[0:1], s29, v16
	v_mov_b32_e32 v15, 0x7c010000
	s_and_saveexec_b64 s[20:21], s[0:1]
	s_cbranch_execz .LBB223_174
; %bb.173:                              ;   in Loop: Header=BB223_51 Depth=1
	v_and_b32_e32 v15, 7, v4
	v_ffbh_u32_e32 v18, v15
	v_min_u32_e32 v43, 32, v18
	v_subrev_u32_e32 v18, 28, v43
	v_lshlrev_b64 v[18:19], v18, v[4:5]
	v_lshrrev_b32_e32 v17, 3, v16
	v_sub_u32_e32 v19, 29, v43
	v_cmp_gt_u32_e64 s[0:1], 8, v16
	v_lshlrev_b32_e32 v4, 8, v4
	s_nop 0
	v_cndmask_b32_e64 v16, v17, v19, s[0:1]
	v_lshl_add_u32 v16, v16, 10, v29
	v_and_b32_e32 v17, 7, v18
	v_and_or_b32 v4, v4, s30, v16
	v_cndmask_b32_e64 v15, v15, v17, s[0:1]
	v_lshlrev_b32_e32 v4, 16, v4
	v_lshl_or_b32 v15, v15, 23, v4
.LBB223_174:                            ;   in Loop: Header=BB223_51 Depth=1
	s_or_b64 exec, exec, s[20:21]
.LBB223_175:                            ;   in Loop: Header=BB223_51 Depth=1
	s_or_b64 exec, exec, s[18:19]
.LBB223_176:                            ;   in Loop: Header=BB223_51 Depth=1
	s_or_b64 exec, exec, s[16:17]
	v_mov_b32_e32 v4, v13
	v_cmp_ne_u16_sdwa s[0:1], v13, v5 src0_sel:BYTE_0 src1_sel:DWORD
	v_mov_b32_e32 v16, 0
	v_mov_b32_e32 v17, 0
	s_and_saveexec_b64 s[16:17], s[0:1]
	s_cbranch_execz .LBB223_182
; %bb.177:                              ;   in Loop: Header=BB223_51 Depth=1
	v_cmp_ne_u16_sdwa s[0:1], v13, s28 src0_sel:BYTE_0 src1_sel:DWORD
	v_mov_b32_e32 v17, 0x8000
	s_and_saveexec_b64 s[18:19], s[0:1]
	s_cbranch_execz .LBB223_181
; %bb.178:                              ;   in Loop: Header=BB223_51 Depth=1
	v_and_b32_e32 v18, 0x7f, v13
	v_cmp_ne_u32_e64 s[0:1], s29, v18
	v_mov_b32_e32 v17, 0x7c01
	s_and_saveexec_b64 s[20:21], s[0:1]
	s_cbranch_execz .LBB223_180
; %bb.179:                              ;   in Loop: Header=BB223_51 Depth=1
	v_and_b32_e32 v17, 7, v13
	v_ffbh_u32_e32 v43, v17
	v_min_u32_e32 v43, 32, v43
	v_lshrrev_b32_e32 v19, 3, v18
	v_subrev_u32_e32 v44, 28, v43
	v_sub_u32_e32 v43, 29, v43
	v_cmp_gt_u32_e64 s[0:1], 8, v18
	v_lshlrev_b64 v[44:45], v44, v[4:5]
	s_nop 0
	v_cndmask_b32_e64 v18, v19, v43, s[0:1]
	v_lshl_add_u32 v18, v18, 10, v29
	v_lshlrev_b32_e32 v19, 8, v13
	v_and_b32_e32 v43, 7, v44
	v_and_b32_e32 v18, 0xfc00, v18
	v_cndmask_b32_e64 v17, v17, v43, s[0:1]
	v_and_or_b32 v18, v19, s30, v18
	v_lshl_or_b32 v17, v17, 7, v18
.LBB223_180:                            ;   in Loop: Header=BB223_51 Depth=1
	s_or_b64 exec, exec, s[20:21]
.LBB223_181:                            ;   in Loop: Header=BB223_51 Depth=1
	s_or_b64 exec, exec, s[18:19]
.LBB223_182:                            ;   in Loop: Header=BB223_51 Depth=1
	s_or_b64 exec, exec, s[16:17]
	v_lshrrev_b16_e32 v4, 8, v4
	v_cmp_ne_u16_e64 s[0:1], 0, v4
	v_mov_b32_e32 v18, 0
	s_and_saveexec_b64 s[16:17], s[0:1]
	s_cbranch_execz .LBB223_188
; %bb.183:                              ;   in Loop: Header=BB223_51 Depth=1
	v_cmp_ne_u16_e64 s[0:1], s28, v4
	v_bfrev_b32_e32 v18, 1
	s_and_saveexec_b64 s[18:19], s[0:1]
	s_cbranch_execz .LBB223_187
; %bb.184:                              ;   in Loop: Header=BB223_51 Depth=1
	v_and_b32_e32 v19, 0x7f, v4
	v_cmp_ne_u32_e64 s[0:1], s29, v19
	v_mov_b32_e32 v18, 0x7c010000
	s_and_saveexec_b64 s[20:21], s[0:1]
	s_cbranch_execz .LBB223_186
; %bb.185:                              ;   in Loop: Header=BB223_51 Depth=1
	v_and_b32_e32 v18, 7, v4
	v_ffbh_u32_e32 v44, v18
	v_min_u32_e32 v46, 32, v44
	v_subrev_u32_e32 v44, 28, v46
	v_lshlrev_b64 v[44:45], v44, v[4:5]
	v_lshrrev_b32_e32 v43, 3, v19
	v_sub_u32_e32 v45, 29, v46
	v_cmp_gt_u32_e64 s[0:1], 8, v19
	v_lshlrev_b32_e32 v4, 8, v4
	s_nop 0
	v_cndmask_b32_e64 v19, v43, v45, s[0:1]
	v_lshl_add_u32 v19, v19, 10, v29
	v_and_b32_e32 v43, 7, v44
	v_and_or_b32 v4, v4, s30, v19
	v_cndmask_b32_e64 v18, v18, v43, s[0:1]
	v_lshlrev_b32_e32 v4, 16, v4
	v_lshl_or_b32 v18, v18, 23, v4
.LBB223_186:                            ;   in Loop: Header=BB223_51 Depth=1
	s_or_b64 exec, exec, s[20:21]
.LBB223_187:                            ;   in Loop: Header=BB223_51 Depth=1
	s_or_b64 exec, exec, s[18:19]
.LBB223_188:                            ;   in Loop: Header=BB223_51 Depth=1
	s_or_b64 exec, exec, s[16:17]
	v_lshrrev_b32_e32 v4, 16, v13
	v_cmp_ne_u16_sdwa s[0:1], v4, v5 src0_sel:BYTE_0 src1_sel:DWORD
	s_and_saveexec_b64 s[16:17], s[0:1]
	s_cbranch_execz .LBB223_194
; %bb.189:                              ;   in Loop: Header=BB223_51 Depth=1
	v_cmp_ne_u16_sdwa s[0:1], v4, s28 src0_sel:BYTE_0 src1_sel:DWORD
	v_mov_b32_e32 v16, 0x8000
	s_and_saveexec_b64 s[18:19], s[0:1]
	s_cbranch_execz .LBB223_193
; %bb.190:                              ;   in Loop: Header=BB223_51 Depth=1
	v_bfe_u32 v19, v13, 16, 7
	v_cmp_ne_u32_e64 s[0:1], s29, v19
	v_mov_b32_e32 v16, 0x7c01
	s_and_saveexec_b64 s[20:21], s[0:1]
	s_cbranch_execz .LBB223_192
; %bb.191:                              ;   in Loop: Header=BB223_51 Depth=1
	v_and_b32_e32 v16, 7, v4
	v_ffbh_u32_e32 v44, v16
	v_min_u32_e32 v46, 32, v44
	v_subrev_u32_e32 v44, 28, v46
	v_lshlrev_b64 v[44:45], v44, v[4:5]
	v_lshrrev_b32_e32 v43, 3, v19
	v_sub_u32_e32 v45, 29, v46
	v_cmp_gt_u32_e64 s[0:1], 8, v19
	v_lshlrev_b32_e32 v4, 8, v4
	s_nop 0
	v_cndmask_b32_e64 v19, v43, v45, s[0:1]
	v_lshl_add_u32 v19, v19, 10, v29
	v_and_b32_e32 v43, 7, v44
	v_and_b32_e32 v19, 0xfc00, v19
	v_cndmask_b32_e64 v16, v16, v43, s[0:1]
	v_and_or_b32 v4, v4, s30, v19
	v_lshl_or_b32 v16, v16, 7, v4
.LBB223_192:                            ;   in Loop: Header=BB223_51 Depth=1
	s_or_b64 exec, exec, s[20:21]
.LBB223_193:                            ;   in Loop: Header=BB223_51 Depth=1
	s_or_b64 exec, exec, s[18:19]
.LBB223_194:                            ;   in Loop: Header=BB223_51 Depth=1
	s_or_b64 exec, exec, s[16:17]
	v_cmp_lt_u64_e64 s[0:1], s[6:7], v[12:13]
	v_mov_b32_e32 v19, 0
	s_and_saveexec_b64 s[16:17], s[0:1]
	s_cbranch_execz .LBB223_200
; %bb.195:                              ;   in Loop: Header=BB223_51 Depth=1
	v_lshrrev_b32_e32 v4, 24, v13
	v_cmp_ne_u32_e64 s[0:1], s28, v4
	v_bfrev_b32_e32 v19, 1
	s_and_saveexec_b64 s[18:19], s[0:1]
	s_cbranch_execz .LBB223_199
; %bb.196:                              ;   in Loop: Header=BB223_51 Depth=1
	v_and_b32_e32 v12, 0x7f, v4
	v_cmp_ne_u32_e64 s[0:1], s29, v12
	v_mov_b32_e32 v19, 0x7c010000
	s_and_saveexec_b64 s[20:21], s[0:1]
	s_cbranch_execz .LBB223_198
; %bb.197:                              ;   in Loop: Header=BB223_51 Depth=1
	v_and_b32_e32 v13, 7, v4
	v_ffbh_u32_e32 v43, v13
	v_min_u32_e32 v43, 32, v43
	v_lshrrev_b32_e32 v19, 3, v12
	v_subrev_u32_e32 v44, 28, v43
	v_sub_u32_e32 v43, 29, v43
	v_cmp_gt_u32_e64 s[0:1], 8, v12
	v_lshlrev_b64 v[44:45], v44, v[4:5]
	v_lshlrev_b32_e32 v4, 8, v4
	v_cndmask_b32_e64 v12, v19, v43, s[0:1]
	v_lshl_add_u32 v12, v12, 10, v29
	v_and_b32_e32 v19, 7, v44
	v_and_or_b32 v4, v4, s30, v12
	v_cndmask_b32_e64 v13, v13, v19, s[0:1]
	v_lshlrev_b32_e32 v4, 16, v4
	v_lshl_or_b32 v19, v13, 23, v4
.LBB223_198:                            ;   in Loop: Header=BB223_51 Depth=1
	s_or_b64 exec, exec, s[20:21]
.LBB223_199:                            ;   in Loop: Header=BB223_51 Depth=1
	s_or_b64 exec, exec, s[18:19]
.LBB223_200:                            ;   in Loop: Header=BB223_51 Depth=1
	s_or_b64 exec, exec, s[16:17]
	v_cvt_f32_f16_sdwa v13, v1 dst_sel:DWORD dst_unused:UNUSED_PAD src0_sel:WORD_1
	v_cvt_f32_f16_sdwa v12, v15 dst_sel:DWORD dst_unused:UNUSED_PAD src0_sel:WORD_1
	v_or_b32_e32 v1, v1, v11
	v_or_b32_e32 v4, v15, v14
	v_cvt_f32_f16_e32 v14, v4
	v_cvt_f32_f16_e32 v15, v1
	s_waitcnt vmcnt(0)
	v_pk_mul_f32 v[12:13], v[10:11], v[12:13] op_sel_hi:[0,1]
	v_cvt_pk_f16_f32 v1, v12, v13
	v_and_b32_e32 v11, 0xffff0000, v1
	v_pk_mul_f32 v[14:15], v[10:11], v[14:15] op_sel_hi:[0,1]
	v_lshlrev_b32_e32 v12, 16, v1
	v_cvt_pk_f16_f32 v1, v14, v15
	v_or_b32_e32 v4, v18, v17
	v_or_b32_e32 v15, v19, v16
	v_cvt_f32_f16_e32 v16, v15
	v_cvt_f32_f16_e32 v17, v4
	v_cvt_f32_f16_sdwa v45, v18 dst_sel:DWORD dst_unused:UNUSED_PAD src0_sel:WORD_1
	v_cvt_f32_f16_sdwa v44, v19 dst_sel:DWORD dst_unused:UNUSED_PAD src0_sel:WORD_1
	v_lshrrev_b32_e32 v13, 16, v1
	v_pk_mul_f32 v[16:17], v[10:11], v[16:17] op_sel_hi:[0,1]
	v_cvt_pk_f16_f32 v18, v16, v17
	v_pk_mul_f32 v[16:17], v[10:11], v[44:45] op_sel_hi:[0,1]
	v_cvt_pk_f16_f32 v10, v16, v17
	v_and_b32_e32 v14, 0xffff, v1
	v_and_b32_e32 v15, 0xffff0000, v10
	v_lshlrev_b32_e32 v10, 16, v10
	v_lshrrev_b32_e32 v19, 16, v18
	v_and_b32_e32 v18, 0xffff, v18
	v_or_b32_e32 v1, v11, v13
	v_or_b32_e32 v4, v12, v14
	;; [unrolled: 1-line block ×4, first 2 shown]
	s_and_saveexec_b64 s[0:1], vcc
	s_cbranch_execz .LBB223_49
; %bb.201:                              ;   in Loop: Header=BB223_51 Depth=1
	v_cmp_gt_i32_e32 vcc, s38, v24
	s_nop 1
	v_cndmask_b32_e32 v1, 0, v13, vcc
	v_cmp_gt_i32_e32 vcc, s33, v36
	s_nop 1
	v_cndmask_b32_e32 v4, 0, v14, vcc
	;; [unrolled: 3-line block ×3, first 2 shown]
	v_cmp_gt_i32_e32 vcc, s33, v34
	v_or_b32_e32 v1, v11, v1
	s_nop 0
	v_cndmask_b32_e32 v12, 0, v12, vcc
	v_cmp_gt_i32_e32 vcc, s38, v33
	v_or_b32_e32 v4, v12, v4
	s_nop 0
	v_cndmask_b32_e32 v11, 0, v19, vcc
	v_cmp_gt_i32_e32 vcc, s33, v32
	s_nop 1
	v_cndmask_b32_e32 v12, 0, v18, vcc
	v_cmp_gt_i32_e32 vcc, s38, v31
	;; [unrolled: 3-line block ×3, first 2 shown]
	v_or_b32_e32 v17, v13, v11
	s_nop 0
	v_cndmask_b32_e32 v10, 0, v10, vcc
	v_or_b32_e32 v16, v10, v12
	s_branch .LBB223_49
.LBB223_202:
	s_or_b64 exec, exec, s[8:9]
.LBB223_203:
	s_or_b64 exec, exec, s[2:3]
	v_and_b32_e32 v1, 0x3c0, v0
	v_cmp_eq_u32_e32 vcc, 64, v1
	s_barrier
	s_and_saveexec_b64 s[0:1], vcc
	s_cbranch_execz .LBB223_205
; %bb.204:
	v_mov_b32_e32 v1, 0x190
	v_lshl_add_u32 v1, v25, 2, v1
	ds_write2st64_b32 v1, v2, v3 offset1:1
	ds_write_b32 v1, v26 offset:512
.LBB223_205:
	s_or_b64 exec, exec, s[0:1]
	v_cmp_gt_u32_e32 vcc, 64, v0
	s_waitcnt lgkmcnt(0)
	s_barrier
	s_and_saveexec_b64 s[0:1], vcc
	s_cbranch_execz .LBB223_207
; %bb.206:
	v_mov_b32_e32 v1, 0x190
	v_lshl_add_u32 v4, v0, 2, v1
	ds_read2st64_b32 v[0:1], v4 offset1:1
	ds_read_b32 v4, v4 offset:512
	s_waitcnt lgkmcnt(1)
	v_pk_add_f32 v[2:3], v[2:3], v[0:1]
	s_waitcnt lgkmcnt(0)
	v_add_f32_e32 v26, v26, v4
.LBB223_207:
	s_or_b64 exec, exec, s[0:1]
	s_barrier
	s_and_saveexec_b64 s[0:1], vcc
	s_cbranch_execz .LBB223_209
; %bb.208:
	s_mul_i32 s0, s10, s11
	s_mul_i32 s0, s0, s5
	s_mulk_i32 s0, 0xc0
	s_ashr_i32 s1, s0, 31
	s_lshl_b64 s[0:1], s[0:1], 1
	s_add_u32 s2, s26, s0
	s_mul_i32 s0, s11, s24
	s_addc_u32 s3, s27, s1
	s_ashr_i32 s1, s0, 31
	s_lshl_b64 s[0:1], s[0:1], 1
	s_add_u32 s2, s2, s0
	s_mul_i32 s0, s4, 0xc0
	s_addc_u32 s3, s3, s1
	s_ashr_i32 s1, s0, 31
	s_lshl_b64 s[0:1], s[0:1], 1
	s_add_u32 s0, s2, s0
	s_addc_u32 s1, s3, s1
	;;#ASMSTART
	v_cvt_f16_f32 v0, v2;

	;;#ASMEND
	global_store_short v22, v0, s[0:1]
	;;#ASMSTART
	v_cvt_f16_f32 v0, v3;

	;;#ASMEND
	global_store_short v22, v0, s[0:1] offset:128
	;;#ASMSTART
	v_cvt_f16_f32 v0, v26;

	;;#ASMEND
	global_store_short v22, v0, s[0:1] offset:256
.LBB223_209:
	s_endpgm
	.section	.rodata,"a",@progbits
	.p2align	6, 0x0
	.amdhsa_kernel _ZN4vllm25paged_attention_v1_kernelIthLi192ELi8ELi128ELNS_18Fp8KVCacheDataTypeE1ELb1EEEvPT_PKS2_PKT0_S8_ifPKiSA_iPKfiiiSC_SC_iiiii
		.amdhsa_group_segment_fixed_size 400
		.amdhsa_private_segment_fixed_size 0
		.amdhsa_kernarg_size 384
		.amdhsa_user_sgpr_count 2
		.amdhsa_user_sgpr_dispatch_ptr 0
		.amdhsa_user_sgpr_queue_ptr 0
		.amdhsa_user_sgpr_kernarg_segment_ptr 1
		.amdhsa_user_sgpr_dispatch_id 0
		.amdhsa_user_sgpr_kernarg_preload_length 0
		.amdhsa_user_sgpr_kernarg_preload_offset 0
		.amdhsa_user_sgpr_private_segment_size 0
		.amdhsa_uses_dynamic_stack 0
		.amdhsa_enable_private_segment 0
		.amdhsa_system_sgpr_workgroup_id_x 1
		.amdhsa_system_sgpr_workgroup_id_y 1
		.amdhsa_system_sgpr_workgroup_id_z 1
		.amdhsa_system_sgpr_workgroup_info 0
		.amdhsa_system_vgpr_workitem_id 0
		.amdhsa_next_free_vgpr 70
		.amdhsa_next_free_sgpr 48
		.amdhsa_accum_offset 72
		.amdhsa_reserve_vcc 1
		.amdhsa_float_round_mode_32 0
		.amdhsa_float_round_mode_16_64 0
		.amdhsa_float_denorm_mode_32 3
		.amdhsa_float_denorm_mode_16_64 3
		.amdhsa_dx10_clamp 1
		.amdhsa_ieee_mode 1
		.amdhsa_fp16_overflow 0
		.amdhsa_tg_split 0
		.amdhsa_exception_fp_ieee_invalid_op 0
		.amdhsa_exception_fp_denorm_src 0
		.amdhsa_exception_fp_ieee_div_zero 0
		.amdhsa_exception_fp_ieee_overflow 0
		.amdhsa_exception_fp_ieee_underflow 0
		.amdhsa_exception_fp_ieee_inexact 0
		.amdhsa_exception_int_div_zero 0
	.end_amdhsa_kernel
	.section	.text._ZN4vllm25paged_attention_v1_kernelIthLi192ELi8ELi128ELNS_18Fp8KVCacheDataTypeE1ELb1EEEvPT_PKS2_PKT0_S8_ifPKiSA_iPKfiiiSC_SC_iiiii,"axG",@progbits,_ZN4vllm25paged_attention_v1_kernelIthLi192ELi8ELi128ELNS_18Fp8KVCacheDataTypeE1ELb1EEEvPT_PKS2_PKT0_S8_ifPKiSA_iPKfiiiSC_SC_iiiii,comdat
.Lfunc_end223:
	.size	_ZN4vllm25paged_attention_v1_kernelIthLi192ELi8ELi128ELNS_18Fp8KVCacheDataTypeE1ELb1EEEvPT_PKS2_PKT0_S8_ifPKiSA_iPKfiiiSC_SC_iiiii, .Lfunc_end223-_ZN4vllm25paged_attention_v1_kernelIthLi192ELi8ELi128ELNS_18Fp8KVCacheDataTypeE1ELb1EEEvPT_PKS2_PKT0_S8_ifPKiSA_iPKfiiiSC_SC_iiiii
                                        ; -- End function
	.set _ZN4vllm25paged_attention_v1_kernelIthLi192ELi8ELi128ELNS_18Fp8KVCacheDataTypeE1ELb1EEEvPT_PKS2_PKT0_S8_ifPKiSA_iPKfiiiSC_SC_iiiii.num_vgpr, 70
	.set _ZN4vllm25paged_attention_v1_kernelIthLi192ELi8ELi128ELNS_18Fp8KVCacheDataTypeE1ELb1EEEvPT_PKS2_PKT0_S8_ifPKiSA_iPKfiiiSC_SC_iiiii.num_agpr, 0
	.set _ZN4vllm25paged_attention_v1_kernelIthLi192ELi8ELi128ELNS_18Fp8KVCacheDataTypeE1ELb1EEEvPT_PKS2_PKT0_S8_ifPKiSA_iPKfiiiSC_SC_iiiii.numbered_sgpr, 48
	.set _ZN4vllm25paged_attention_v1_kernelIthLi192ELi8ELi128ELNS_18Fp8KVCacheDataTypeE1ELb1EEEvPT_PKS2_PKT0_S8_ifPKiSA_iPKfiiiSC_SC_iiiii.num_named_barrier, 0
	.set _ZN4vllm25paged_attention_v1_kernelIthLi192ELi8ELi128ELNS_18Fp8KVCacheDataTypeE1ELb1EEEvPT_PKS2_PKT0_S8_ifPKiSA_iPKfiiiSC_SC_iiiii.private_seg_size, 0
	.set _ZN4vllm25paged_attention_v1_kernelIthLi192ELi8ELi128ELNS_18Fp8KVCacheDataTypeE1ELb1EEEvPT_PKS2_PKT0_S8_ifPKiSA_iPKfiiiSC_SC_iiiii.uses_vcc, 1
	.set _ZN4vllm25paged_attention_v1_kernelIthLi192ELi8ELi128ELNS_18Fp8KVCacheDataTypeE1ELb1EEEvPT_PKS2_PKT0_S8_ifPKiSA_iPKfiiiSC_SC_iiiii.uses_flat_scratch, 0
	.set _ZN4vllm25paged_attention_v1_kernelIthLi192ELi8ELi128ELNS_18Fp8KVCacheDataTypeE1ELb1EEEvPT_PKS2_PKT0_S8_ifPKiSA_iPKfiiiSC_SC_iiiii.has_dyn_sized_stack, 0
	.set _ZN4vllm25paged_attention_v1_kernelIthLi192ELi8ELi128ELNS_18Fp8KVCacheDataTypeE1ELb1EEEvPT_PKS2_PKT0_S8_ifPKiSA_iPKfiiiSC_SC_iiiii.has_recursion, 0
	.set _ZN4vllm25paged_attention_v1_kernelIthLi192ELi8ELi128ELNS_18Fp8KVCacheDataTypeE1ELb1EEEvPT_PKS2_PKT0_S8_ifPKiSA_iPKfiiiSC_SC_iiiii.has_indirect_call, 0
	.section	.AMDGPU.csdata,"",@progbits
; Kernel info:
; codeLenInByte = 11836
; TotalNumSgprs: 54
; NumVgprs: 70
; NumAgprs: 0
; TotalNumVgprs: 70
; ScratchSize: 0
; MemoryBound: 0
; FloatMode: 240
; IeeeMode: 1
; LDSByteSize: 400 bytes/workgroup (compile time only)
; SGPRBlocks: 6
; VGPRBlocks: 8
; NumSGPRsForWavesPerEU: 54
; NumVGPRsForWavesPerEU: 70
; AccumOffset: 72
; Occupancy: 7
; WaveLimiterHint : 1
; COMPUTE_PGM_RSRC2:SCRATCH_EN: 0
; COMPUTE_PGM_RSRC2:USER_SGPR: 2
; COMPUTE_PGM_RSRC2:TRAP_HANDLER: 0
; COMPUTE_PGM_RSRC2:TGID_X_EN: 1
; COMPUTE_PGM_RSRC2:TGID_Y_EN: 1
; COMPUTE_PGM_RSRC2:TGID_Z_EN: 1
; COMPUTE_PGM_RSRC2:TIDIG_COMP_CNT: 0
; COMPUTE_PGM_RSRC3_GFX90A:ACCUM_OFFSET: 17
; COMPUTE_PGM_RSRC3_GFX90A:TG_SPLIT: 0
	.section	.text._ZN4vllm25paged_attention_v1_kernelIthLi256ELi8ELi128ELNS_18Fp8KVCacheDataTypeE1ELb1EEEvPT_PKS2_PKT0_S8_ifPKiSA_iPKfiiiSC_SC_iiiii,"axG",@progbits,_ZN4vllm25paged_attention_v1_kernelIthLi256ELi8ELi128ELNS_18Fp8KVCacheDataTypeE1ELb1EEEvPT_PKS2_PKT0_S8_ifPKiSA_iPKfiiiSC_SC_iiiii,comdat
	.protected	_ZN4vllm25paged_attention_v1_kernelIthLi256ELi8ELi128ELNS_18Fp8KVCacheDataTypeE1ELb1EEEvPT_PKS2_PKT0_S8_ifPKiSA_iPKfiiiSC_SC_iiiii ; -- Begin function _ZN4vllm25paged_attention_v1_kernelIthLi256ELi8ELi128ELNS_18Fp8KVCacheDataTypeE1ELb1EEEvPT_PKS2_PKT0_S8_ifPKiSA_iPKfiiiSC_SC_iiiii
	.globl	_ZN4vllm25paged_attention_v1_kernelIthLi256ELi8ELi128ELNS_18Fp8KVCacheDataTypeE1ELb1EEEvPT_PKS2_PKT0_S8_ifPKiSA_iPKfiiiSC_SC_iiiii
	.p2align	8
	.type	_ZN4vllm25paged_attention_v1_kernelIthLi256ELi8ELi128ELNS_18Fp8KVCacheDataTypeE1ELb1EEEvPT_PKS2_PKT0_S8_ifPKiSA_iPKfiiiSC_SC_iiiii,@function
_ZN4vllm25paged_attention_v1_kernelIthLi256ELi8ELi128ELNS_18Fp8KVCacheDataTypeE1ELb1EEEvPT_PKS2_PKT0_S8_ifPKiSA_iPKfiiiSC_SC_iiiii: ; @_ZN4vllm25paged_attention_v1_kernelIthLi256ELi8ELi128ELNS_18Fp8KVCacheDataTypeE1ELb1EEEvPT_PKS2_PKT0_S8_ifPKiSA_iPKfiiiSC_SC_iiiii
; %bb.0:
	s_load_dword s5, s[0:1], 0x80
	s_load_dwordx2 s[6:7], s[0:1], 0x30
	s_load_dwordx2 s[36:37], s[0:1], 0x20
	s_mov_b32 s10, s3
	s_ashr_i32 s11, s3, 31
	s_lshl_b64 s[8:9], s[10:11], 2
	s_waitcnt lgkmcnt(0)
	s_add_u32 s6, s6, s8
	s_addc_u32 s7, s7, s9
	s_abs_i32 s3, s36
	v_cvt_f32_u32_e32 v1, s3
	s_sub_i32 s11, 0, s3
	s_abs_i32 s9, s5
	s_xor_b32 s8, s5, s36
	v_rcp_iflag_f32_e32 v1, v1
	s_ashr_i32 s8, s8, 31
	s_mov_b32 s44, 0
	v_mul_f32_e32 v1, 0x4f7ffffe, v1
	v_cvt_u32_f32_e32 v1, v1
	s_nop 0
	v_readfirstlane_b32 s12, v1
	s_mul_i32 s11, s11, s12
	s_mul_hi_u32 s11, s12, s11
	s_add_i32 s12, s12, s11
	s_mul_hi_u32 s11, s9, s12
	s_mul_i32 s12, s11, s3
	s_sub_i32 s9, s9, s12
	s_add_i32 s12, s11, 1
	s_sub_i32 s13, s9, s3
	s_cmp_ge_u32 s9, s3
	s_cselect_b32 s11, s12, s11
	s_cselect_b32 s9, s13, s9
	s_add_i32 s12, s11, 1
	s_cmp_ge_u32 s9, s3
	s_cselect_b32 s3, s12, s11
	s_xor_b32 s3, s3, s8
	s_sub_i32 s11, s3, s8
	s_abs_i32 s12, s11
	v_cvt_f32_u32_e32 v1, s12
	s_load_dwordx2 s[8:9], s[0:1], 0x40
	s_sub_i32 s3, 0, s12
	s_abs_i32 s13, s2
	v_rcp_iflag_f32_e32 v1, v1
	s_nop 0
	v_mul_f32_e32 v1, 0x4f7ffffe, v1
	v_cvt_u32_f32_e32 v1, v1
	s_nop 0
	v_readfirstlane_b32 s14, v1
	s_mul_i32 s3, s3, s14
	s_mul_hi_u32 s3, s14, s3
	s_add_i32 s14, s14, s3
	s_waitcnt lgkmcnt(0)
	s_cmp_eq_u64 s[8:9], 0
	s_mul_hi_u32 s14, s13, s14
	s_cbranch_scc1 .LBB224_2
; %bb.1:
	s_ashr_i32 s3, s2, 31
	s_lshl_b64 s[16:17], s[2:3], 2
	s_add_u32 s8, s8, s16
	s_addc_u32 s9, s9, s17
	s_load_dword s44, s[8:9], 0x0
.LBB224_2:
	s_load_dword s33, s[6:7], 0x0
	s_ashr_i32 s15, s11, 31
	s_load_dword s11, s[0:1], 0x88
	s_load_dwordx4 s[16:19], s[0:1], 0x48
	s_movk_i32 s6, 0x100
	s_ashr_i32 s3, s2, 31
	v_and_b32_e32 v4, 7, v0
	s_lshl_b32 s24, s2, 8
	v_cmp_gt_u32_e32 vcc, s6, v0
	v_lshlrev_b32_e32 v24, 1, v0
	s_and_saveexec_b64 s[6:7], vcc
	s_cbranch_execz .LBB224_5
; %bb.3:
	s_load_dwordx2 s[8:9], s[0:1], 0x8
	s_waitcnt lgkmcnt(0)
	s_mul_i32 s20, s16, s10
	s_ashr_i32 s21, s20, 31
	s_lshl_b64 s[20:21], s[20:21], 1
	v_lshrrev_b32_e32 v1, 3, v0
	s_add_u32 s16, s8, s20
	s_addc_u32 s19, s9, s21
	s_ashr_i32 s25, s24, 31
	s_lshl_b64 s[8:9], s[24:25], 1
	s_add_u32 s8, s16, s8
	s_addc_u32 s9, s19, s9
	global_load_ushort v3, v24, s[8:9]
	s_movk_i32 s16, 0x80
	v_lshlrev_b32_e32 v2, 1, v1
	v_lshl_add_u32 v2, v4, 6, v2
	v_cmp_gt_u32_e32 vcc, s16, v0
	s_waitcnt vmcnt(0)
	ds_write_b16 v2, v3
	s_and_b64 exec, exec, vcc
	s_cbranch_execz .LBB224_5
; %bb.4:
	v_lshlrev_b32_e32 v1, 4, v1
	v_lshlrev_b32_e32 v3, 1, v4
	s_movk_i32 s16, 0x100
	v_or3_b32 v1, v1, v3, s16
	global_load_ushort v1, v1, s[8:9]
	s_waitcnt vmcnt(0)
	ds_write_b16 v2, v1 offset:32
.LBB224_5:
	s_or_b64 exec, exec, s[6:7]
	s_mul_i32 s6, s14, s12
	s_sub_i32 s6, s13, s6
	s_xor_b32 s3, s3, s15
	s_add_i32 s7, s14, 1
	s_sub_i32 s9, s6, s12
	s_load_dwordx4 s[20:23], s[0:1], 0x68
	s_load_dword s8, s[0:1], 0x78
	s_cmp_ge_u32 s6, s12
	s_cselect_b32 s7, s7, s14
	s_cselect_b32 s6, s9, s6
	s_add_i32 s9, s7, 1
	s_cmp_ge_u32 s6, s12
	s_cselect_b32 s6, s9, s7
	s_waitcnt lgkmcnt(0)
	s_abs_i32 s25, s23
	v_cvt_f32_u32_e32 v1, s25
	s_xor_b32 s6, s6, s3
	s_sub_i32 s3, s6, s3
	s_sub_i32 s6, 0, s25
	v_rcp_iflag_f32_e32 v1, v1
	s_add_i32 s12, s33, -1
	s_abs_i32 s9, s12
	v_mul_f32_e32 v1, 0x4f7ffffe, v1
	v_cvt_u32_f32_e32 v1, v1
	s_barrier
	v_readfirstlane_b32 s42, v1
	s_mul_i32 s6, s6, s42
	s_mul_hi_u32 s6, s42, s6
	s_add_i32 s42, s42, s6
	s_cmp_lt_i32 s8, 0
	s_mul_hi_u32 s16, s9, s42
	s_cbranch_scc0 .LBB224_7
; %bb.6:
	s_mul_i32 s6, s20, s36
	s_add_i32 s6, s3, s6
	s_mul_i32 s6, s6, s8
	s_sub_i32 s36, 1, s6
	s_mov_b64 s[6:7], 0
	s_branch .LBB224_8
.LBB224_7:
	s_mov_b64 s[6:7], -1
                                        ; implicit-def: $sgpr36
.LBB224_8:
	s_load_dwordx2 s[28:29], s[0:1], 0x28
	s_ashr_i32 s19, s12, 31
	s_andn2_b64 vcc, exec, s[6:7]
	s_ashr_i32 s23, s23, 31
	s_cbranch_vccnz .LBB224_10
; %bb.9:
	s_mul_i32 s6, s5, s20
	s_add_i32 s2, s6, s2
	s_mul_i32 s2, s2, s8
	s_add_i32 s36, s2, 1
.LBB224_10:
	s_load_dword s2, s[0:1], 0x38
	s_load_dwordx2 s[26:27], s[0:1], 0x0
	s_load_dwordx2 s[34:35], s[0:1], 0x18
	s_load_dwordx4 s[12:15], s[0:1], 0x58
	s_xor_b32 s6, s19, s23
	s_waitcnt lgkmcnt(0)
	s_mul_i32 s30, s2, s10
	s_mul_i32 s2, s16, s25
	s_sub_i32 s2, s9, s2
	s_ashr_i32 s31, s30, 31
	s_add_i32 s7, s16, 1
	s_sub_i32 s8, s2, s25
	s_cmp_ge_u32 s2, s25
	s_cselect_b32 s7, s7, s16
	s_cselect_b32 s2, s8, s2
	s_add_i32 s8, s7, 1
	s_cmp_ge_u32 s2, s25
	s_cselect_b32 s2, s8, s7
	s_xor_b32 s2, s2, s6
	s_sub_i32 s16, s2, s6
	s_add_i32 s2, s33, 7
	s_ashr_i32 s6, s2, 31
	s_lshr_b32 s6, s6, 29
	s_add_i32 s2, s2, s6
	s_ashr_i32 s43, s2, 3
	v_lshrrev_b32_e32 v25, 6, v0
	v_cmp_gt_i32_e64 s[6:7], s43, v25
	v_mov_b32_e32 v2, 0xff7fffff
	s_mul_i32 s20, s3, s18
	v_lshrrev_b32_e32 v1, 4, v0
	v_lshlrev_b32_e32 v26, 3, v25
	v_mbcnt_lo_u32_b32 v10, -1, 0
	s_and_saveexec_b64 s[18:19], s[6:7]
	s_cbranch_execz .LBB224_22
; %bb.11:
	s_load_dwordx2 s[0:1], s[0:1], 0x10
	s_sub_i32 s45, s16, s21
	s_ashr_i32 s2, s20, 31
	v_bfe_u32 v11, v0, 3, 3
	v_mov_b32_e32 v3, 0
	s_waitcnt lgkmcnt(0)
	s_add_u32 s0, s0, s20
	s_addc_u32 s1, s1, s2
	s_abs_i32 s46, s22
	v_cvt_f32_u32_e32 v2, s46
	v_cmp_eq_u32_e32 vcc, 0, v4
	v_lshlrev_b32_e32 v12, 6, v4
	v_mbcnt_hi_u32_b32 v18, -1, v10
	v_rcp_iflag_f32_e32 v5, v2
	v_lshlrev_b32_e32 v2, 4, v11
	v_lshl_add_u64 v[6:7], s[0:1], 0, v[2:3]
	s_sub_i32 s0, 0, s46
	v_mul_f32_e32 v5, 0x4f7ffffe, v5
	v_cvt_u32_f32_e32 v8, v5
	v_mov_b32_e32 v5, v3
	v_lshl_add_u64 v[4:5], v[6:7], 0, v[4:5]
	s_mov_b32 s47, s17
	v_mul_lo_u32 v2, s0, v8
	s_lshl_b64 s[0:1], s[30:31], 2
	v_mul_hi_u32 v2, v8, v2
	s_add_u32 s0, s28, s0
	v_add_u32_e32 v13, v8, v2
	v_and_b32_e32 v2, 60, v1
	s_addc_u32 s1, s29, s1
	v_lshl_add_u64 v[6:7], s[0:1], 0, v[2:3]
	v_subrev_u32_e32 v2, s33, v11
	v_add_u32_e32 v15, 1, v2
	v_lshlrev_b32_e32 v2, 2, v11
	v_lshl_or_b32 v2, v25, 5, v2
	v_add_u32_e32 v16, 0x210, v2
	v_and_b32_e32 v2, 64, v18
	v_cmp_neq_f32_e64 s[2:3], s44, 0
	v_lshlrev_b32_e32 v14, 3, v25
	v_mov_b32_e32 v17, 0xff7fffff
	s_mov_b64 s[38:39], 0
	v_add_u32_e32 v19, 64, v2
	v_xor_b32_e32 v20, 4, v18
	v_xor_b32_e32 v21, 2, v18
	;; [unrolled: 1-line block ×3, first 2 shown]
	v_mov_b32_e32 v2, 0xff7fffff
	v_mov_b32_e32 v23, v25
	s_branch .LBB224_14
.LBB224_12:                             ;   in Loop: Header=BB224_14 Depth=1
	s_or_b64 exec, exec, s[40:41]
.LBB224_13:                             ;   in Loop: Header=BB224_14 Depth=1
	s_or_b64 exec, exec, s[8:9]
	v_add_u32_e32 v23, 2, v23
	v_cmp_le_i32_e64 s[0:1], s43, v23
	v_lshl_add_u64 v[6:7], v[6:7], 0, 8
	v_add_u32_e32 v14, 16, v14
	s_or_b64 s[38:39], s[0:1], s[38:39]
	v_add_u32_e32 v16, 64, v16
	s_andn2_b64 exec, exec, s[38:39]
	s_cbranch_execz .LBB224_21
.LBB224_14:                             ; =>This Inner Loop Header: Depth=1
	v_mul_hi_u32 v8, v14, s42
	s_waitcnt lgkmcnt(0)
	v_mul_lo_u32 v9, v8, s25
	v_sub_u32_e32 v9, v14, v9
	v_add_u32_e32 v27, 1, v8
	v_cmp_le_u32_e64 s[0:1], s25, v9
	s_nop 1
	v_cndmask_b32_e64 v8, v8, v27, s[0:1]
	v_subrev_u32_e32 v27, s25, v9
	v_cndmask_b32_e64 v9, v9, v27, s[0:1]
	v_add_u32_e32 v27, 1, v8
	v_cmp_le_u32_e64 s[0:1], s25, v9
	s_nop 1
	v_cndmask_b32_e64 v8, v8, v27, s[0:1]
	v_xor_b32_e32 v8, s23, v8
	v_subrev_u32_e32 v8, s23, v8
	v_add_u32_e32 v9, s36, v8
	v_sub_u32_e32 v28, 0, v9
	v_ashrrev_i32_e32 v27, 31, v9
	v_max_i32_e32 v9, v9, v28
	v_mul_hi_u32 v28, v9, v13
	v_mul_lo_u32 v28, v28, s46
	v_sub_u32_e32 v9, v9, v28
	v_subrev_u32_e32 v28, s46, v9
	v_cmp_le_u32_e64 s[0:1], s46, v9
	v_cmp_ge_i32_e64 s[8:9], s45, v8
	s_nop 0
	v_cndmask_b32_e64 v9, v9, v28, s[0:1]
	v_subrev_u32_e32 v28, s46, v9
	v_cmp_le_u32_e64 s[0:1], s46, v9
	s_nop 1
	v_cndmask_b32_e64 v9, v9, v28, s[0:1]
	v_xor_b32_e32 v9, v9, v27
	v_sub_u32_e32 v9, v9, v27
	v_cmp_ne_u32_e64 s[0:1], 0, v9
	s_and_b64 s[0:1], s[0:1], s[8:9]
	s_and_saveexec_b64 s[8:9], s[0:1]
	s_xor_b64 s[0:1], exec, s[8:9]
	s_cbranch_execz .LBB224_18
; %bb.15:                               ;   in Loop: Header=BB224_14 Depth=1
	s_and_saveexec_b64 s[8:9], vcc
; %bb.16:                               ;   in Loop: Header=BB224_14 Depth=1
	ds_write_b32 v16, v17
; %bb.17:                               ;   in Loop: Header=BB224_14 Depth=1
	s_or_b64 exec, exec, s[8:9]
.LBB224_18:                             ;   in Loop: Header=BB224_14 Depth=1
	s_andn2_saveexec_b64 s[8:9], s[0:1]
	s_cbranch_execz .LBB224_13
; %bb.19:                               ;   in Loop: Header=BB224_14 Depth=1
	global_load_dword v8, v[6:7], off
	s_waitcnt vmcnt(0)
	v_mad_i64_i32 v[8:9], s[0:1], v8, s47, v[4:5]
	global_load_ubyte v46, v[8:9], off
	global_load_ubyte v45, v[8:9], off offset:8
	global_load_dword v27, v3, s[12:13]
	global_load_ubyte v42, v[8:9], off offset:128
	global_load_ubyte v38, v[8:9], off offset:136
	;; [unrolled: 1-line block ×15, first 2 shown]
	ds_read_u16 v51, v12
	global_load_ubyte v43, v[8:9], off offset:1032
	global_load_ubyte v44, v[8:9], off offset:1152
	;; [unrolled: 1-line block ×7, first 2 shown]
	v_cmp_lt_i32_e64 s[0:1], v20, v19
	s_waitcnt vmcnt(24)
	v_cvt_f32_fp8_e32 v58, v46
	global_load_ubyte v59, v[8:9], off offset:1536
	global_load_ubyte v60, v[8:9], off offset:1544
	;; [unrolled: 1-line block ×8, first 2 shown]
	s_waitcnt lgkmcnt(0)
	;;#ASMSTART
	v_cvt_f32_f16 v8, v51;
	;;#ASMEND
	s_waitcnt vmcnt(31)
	v_cvt_f32_fp8_e32 v51, v45
	s_waitcnt vmcnt(29)
	v_cvt_f32_fp8_e32 v42, v42
	;; [unrolled: 2-line block ×3, first 2 shown]
	v_fma_mixlo_f16 v9, v27, v58, 0
	s_waitcnt vmcnt(27)
	v_cvt_f32_fp8_e32 v41, v41
	v_cndmask_b32_e64 v52, v18, v20, s[0:1]
	v_and_b32_e32 v9, 0xffff, v9
	v_fma_mixlo_f16 v51, v27, v51, 0
	s_waitcnt vmcnt(26)
	v_cvt_f32_fp8_e32 v36, v36
	;;#ASMSTART
	v_cvt_f32_f16 v9, v9;
	;;#ASMEND
	ds_read_u16 v58, v12 offset:2
	v_lshlrev_b32_e32 v45, 2, v52
	v_and_b32_e32 v52, 0xffff, v51
	v_fma_mixlo_f16 v42, v27, v42, 0
	s_waitcnt vmcnt(25)
	v_cvt_f32_fp8_e32 v40, v40
	s_waitcnt lgkmcnt(0)
	;;#ASMSTART
	v_cvt_f32_f16 v51, v58;
	;;#ASMEND
	;;#ASMSTART
	v_cvt_f32_f16 v52, v52;
	;;#ASMEND
	ds_read_u16 v58, v12 offset:4
	v_and_b32_e32 v62, 0xffff, v42
	v_fma_mixlo_f16 v38, v27, v38, 0
	s_waitcnt vmcnt(24)
	v_cvt_f32_fp8_e32 v34, v34
	s_waitcnt lgkmcnt(0)
	;;#ASMSTART
	v_cvt_f32_f16 v42, v58;
	;;#ASMEND
	;;#ASMSTART
	v_cvt_f32_f16 v58, v62;
	;;#ASMEND
	ds_read_u16 v62, v12 offset:6
	v_and_b32_e32 v63, 0xffff, v38
	s_waitcnt vmcnt(23)
	v_cvt_f32_fp8_e32 v39, v39
	v_fma_mixlo_f16 v41, v27, v41, 0
	s_waitcnt lgkmcnt(0)
	;;#ASMSTART
	v_cvt_f32_f16 v38, v62;
	;;#ASMEND
	;;#ASMSTART
	v_cvt_f32_f16 v62, v63;
	;;#ASMEND
	ds_read_u16 v63, v12 offset:8
	v_and_b32_e32 v64, 0xffff, v41
	s_waitcnt vmcnt(22)
	v_cvt_f32_fp8_e32 v32, v32
	v_fma_mixlo_f16 v36, v27, v36, 0
	s_waitcnt lgkmcnt(0)
	;;#ASMSTART
	v_cvt_f32_f16 v41, v63;
	;;#ASMEND
	;;#ASMSTART
	v_cvt_f32_f16 v63, v64;
	;;#ASMEND
	ds_read_u16 v64, v12 offset:10
	s_waitcnt vmcnt(21)
	v_cvt_f32_fp8_e32 v37, v37
	v_and_b32_e32 v65, 0xffff, v36
	v_fma_mixlo_f16 v40, v27, v40, 0
	s_waitcnt lgkmcnt(0)
	;;#ASMSTART
	v_cvt_f32_f16 v36, v64;
	;;#ASMEND
	;;#ASMSTART
	v_cvt_f32_f16 v64, v65;
	;;#ASMEND
	ds_read_u16 v65, v12 offset:12
	s_waitcnt vmcnt(20)
	v_cvt_f32_fp8_e32 v30, v30
	v_and_b32_e32 v66, 0xffff, v40
	v_fma_mixlo_f16 v34, v27, v34, 0
	s_waitcnt vmcnt(19)
	v_cvt_f32_fp8_e32 v35, v35
	s_waitcnt lgkmcnt(0)
	;;#ASMSTART
	v_cvt_f32_f16 v40, v65;
	;;#ASMEND
	;;#ASMSTART
	v_cvt_f32_f16 v65, v66;
	;;#ASMEND
	ds_read_u16 v66, v12 offset:14
	v_and_b32_e32 v67, 0xffff, v34
	v_fma_mixlo_f16 v39, v27, v39, 0
	s_waitcnt vmcnt(18)
	v_cvt_f32_fp8_e32 v29, v29
	s_waitcnt lgkmcnt(0)
	;;#ASMSTART
	v_cvt_f32_f16 v34, v66;
	;;#ASMEND
	;;#ASMSTART
	v_cvt_f32_f16 v66, v67;
	;;#ASMEND
	ds_read_u16 v67, v12 offset:16
	;; [unrolled: 12-line block ×8, first 2 shown]
	v_and_b32_e32 v74, 0xffff, v33
	v_fma_mixlo_f16 v28, v27, v28, 0
	s_waitcnt vmcnt(11)
	v_cvt_f32_fp8_e32 v54, v54
	s_waitcnt vmcnt(10)
	v_cvt_f32_fp8_e32 v55, v55
	s_waitcnt lgkmcnt(0)
	;;#ASMSTART
	v_cvt_f32_f16 v33, v73;
	;;#ASMEND
	;;#ASMSTART
	v_cvt_f32_f16 v73, v74;
	;;#ASMEND
	ds_read_u16 v74, v12 offset:30
	v_and_b32_e32 v75, 0xffff, v28
	v_fma_mixlo_f16 v31, v27, v31, 0
	s_waitcnt vmcnt(9)
	v_cvt_f32_fp8_e32 v56, v56
	s_waitcnt lgkmcnt(0)
	;;#ASMSTART
	v_cvt_f32_f16 v28, v74;
	;;#ASMEND
	;;#ASMSTART
	v_cvt_f32_f16 v74, v75;
	;;#ASMEND
	ds_read_u16 v75, v12 offset:32
	v_fma_mixlo_f16 v43, v27, v43, 0
	v_and_b32_e32 v76, 0xffff, v31
	s_waitcnt vmcnt(8)
	v_cvt_f32_fp8_e32 v57, v57
	s_waitcnt vmcnt(7)
	v_cvt_f32_fp8_e32 v59, v59
	;; [unrolled: 2-line block ×9, first 2 shown]
	s_waitcnt lgkmcnt(0)
	;;#ASMSTART
	v_cvt_f32_f16 v31, v75;
	;;#ASMEND
	;;#ASMSTART
	v_cvt_f32_f16 v75, v76;
	;;#ASMEND
	ds_read_u16 v76, v12 offset:34
	v_fma_mixlo_f16 v44, v27, v44, 0
	v_and_b32_e32 v77, 0xffff, v43
	v_fma_mixlo_f16 v53, v27, v53, 0
	s_waitcnt lgkmcnt(0)
	;;#ASMSTART
	v_cvt_f32_f16 v43, v76;
	;;#ASMEND
	;;#ASMSTART
	v_cvt_f32_f16 v76, v77;
	;;#ASMEND
	ds_read_u16 v77, v12 offset:36
	v_and_b32_e32 v78, 0xffff, v44
	v_fma_mixlo_f16 v54, v27, v54, 0
	v_fma_mixlo_f16 v55, v27, v55, 0
	s_waitcnt lgkmcnt(0)
	;;#ASMSTART
	v_cvt_f32_f16 v44, v77;
	;;#ASMEND
	;;#ASMSTART
	v_cvt_f32_f16 v77, v78;
	;;#ASMEND
	ds_read_u16 v78, v12 offset:38
	v_and_b32_e32 v79, 0xffff, v53
	v_fma_mixlo_f16 v56, v27, v56, 0
	s_waitcnt lgkmcnt(0)
	;;#ASMSTART
	v_cvt_f32_f16 v53, v78;
	;;#ASMEND
	;;#ASMSTART
	v_cvt_f32_f16 v78, v79;
	;;#ASMEND
	ds_read_u16 v79, v12 offset:40
	v_and_b32_e32 v80, 0xffff, v54
	v_and_b32_e32 v55, 0xffff, v55
	v_fma_mixlo_f16 v57, v27, v57, 0
	v_fma_mixlo_f16 v59, v27, v59, 0
	;; [unrolled: 1-line block ×7, first 2 shown]
	s_waitcnt lgkmcnt(0)
	;;#ASMSTART
	v_cvt_f32_f16 v54, v79;
	;;#ASMEND
	;;#ASMSTART
	v_cvt_f32_f16 v79, v80;
	;;#ASMEND
	ds_read_u16 v80, v12 offset:42
	v_fma_mixlo_f16 v48, v27, v48, 0
	v_fma_mixlo_f16 v27, v27, v46, 0
	v_and_b32_e32 v81, 0xffff, v56
	s_waitcnt lgkmcnt(0)
	;;#ASMSTART
	v_cvt_f32_f16 v46, v80;
	;;#ASMEND
	;;#ASMSTART
	v_cvt_f32_f16 v55, v55;
	;;#ASMEND
	ds_read_u16 v56, v12 offset:44
	v_and_b32_e32 v80, 0xffff, v57
	s_waitcnt lgkmcnt(0)
	;;#ASMSTART
	v_cvt_f32_f16 v56, v56;
	;;#ASMEND
	;;#ASMSTART
	v_cvt_f32_f16 v57, v81;
	;;#ASMEND
	ds_read_u16 v81, v12 offset:46
	v_and_b32_e32 v82, 0xffff, v47
	s_waitcnt lgkmcnt(0)
	;;#ASMSTART
	v_cvt_f32_f16 v47, v81;
	;;#ASMEND
	v_and_b32_e32 v81, 0xffff, v27
	v_mul_f32_e32 v27, v51, v52
	v_fmac_f32_e32 v27, v8, v9
	v_fmac_f32_e32 v27, v42, v58
	;; [unrolled: 1-line block ×22, first 2 shown]
	v_and_b32_e32 v83, 0xffff, v48
	;;#ASMSTART
	v_cvt_f32_f16 v48, v80;
	;;#ASMEND
	v_and_b32_e32 v59, 0xffff, v59
	v_fmac_f32_e32 v27, v47, v48
	ds_read_u16 v80, v12 offset:48
	s_waitcnt lgkmcnt(0)
	;;#ASMSTART
	v_cvt_f32_f16 v8, v80;
	;;#ASMEND
	;;#ASMSTART
	v_cvt_f32_f16 v9, v59;
	;;#ASMEND
	v_and_b32_e32 v60, 0xffff, v60
	v_fmac_f32_e32 v27, v8, v9
	ds_read_u16 v42, v12 offset:50
	s_waitcnt lgkmcnt(0)
	;;#ASMSTART
	v_cvt_f32_f16 v36, v42;
	;;#ASMEND
	;; [unrolled: 10-line block ×4, first 2 shown]
	;;#ASMSTART
	v_cvt_f32_f16 v30, v50;
	;;#ASMEND
	ds_read_u16 v33, v12 offset:56
	v_fmac_f32_e32 v27, v29, v30
	v_and_b32_e32 v49, 0xffff, v49
	s_waitcnt lgkmcnt(0)
	;;#ASMSTART
	v_cvt_f32_f16 v28, v33;
	;;#ASMEND
	;;#ASMSTART
	v_cvt_f32_f16 v31, v49;
	;;#ASMEND
	ds_read_u16 v33, v12 offset:58
	v_fmac_f32_e32 v27, v28, v31
	s_waitcnt lgkmcnt(0)
	;;#ASMSTART
	v_cvt_f32_f16 v33, v33;
	;;#ASMEND
	;;#ASMSTART
	v_cvt_f32_f16 v35, v82;
	;;#ASMEND
	ds_read_u16 v37, v12 offset:60
	v_fmac_f32_e32 v27, v33, v35
	;; [unrolled: 9-line block ×3, first 2 shown]
	s_waitcnt lgkmcnt(0)
	;;#ASMSTART
	v_cvt_f32_f16 v8, v32;
	;;#ASMEND
	;;#ASMSTART
	v_cvt_f32_f16 v9, v81;
	;;#ASMEND
	v_cmp_lt_i32_e64 s[0:1], v21, v19
	v_fmac_f32_e32 v27, v8, v9
	ds_bpermute_b32 v8, v45, v27
	v_cndmask_b32_e64 v9, v18, v21, s[0:1]
	v_lshlrev_b32_e32 v9, 2, v9
	v_cmp_lt_i32_e64 s[0:1], v22, v19
	s_waitcnt lgkmcnt(0)
	v_add_f32_e32 v8, v27, v8
	ds_bpermute_b32 v9, v9, v8
	v_cndmask_b32_e64 v27, v18, v22, s[0:1]
	s_waitcnt lgkmcnt(0)
	v_add_f32_e32 v8, v8, v9
	v_lshlrev_b32_e32 v9, 2, v27
	ds_bpermute_b32 v9, v9, v8
	s_and_saveexec_b64 s[40:41], vcc
	s_cbranch_execz .LBB224_12
; %bb.20:                               ;   in Loop: Header=BB224_14 Depth=1
	v_add_u32_e32 v27, v15, v14
	v_cvt_f32_i32_e32 v27, v27
	s_waitcnt lgkmcnt(0)
	v_add_f32_e32 v8, v8, v9
	v_add_u32_e32 v28, v11, v14
	v_cmp_gt_i32_e64 s[0:1], s33, v28
	v_mul_f32_e32 v9, s44, v27
	v_cndmask_b32_e64 v9, 0, v9, s[2:3]
	v_fmac_f32_e32 v9, s37, v8
	v_cndmask_b32_e64 v8, 0, v9, s[0:1]
	ds_write_b32 v16, v8
	v_max_f32_e32 v8, v2, v2
	v_max_f32_e32 v8, v8, v9
	v_cndmask_b32_e64 v2, v2, v8, s[0:1]
	s_branch .LBB224_12
.LBB224_21:
	s_or_b64 exec, exec, s[38:39]
.LBB224_22:
	s_or_b64 exec, exec, s[18:19]
	v_mbcnt_hi_u32_b32 v3, -1, v10
	v_and_b32_e32 v10, 64, v3
	v_add_u32_e32 v4, 64, v10
	v_xor_b32_e32 v5, 32, v3
	v_cmp_lt_i32_e32 vcc, v5, v4
	v_xor_b32_e32 v7, 16, v3
	v_xor_b32_e32 v8, 8, v3
	v_cndmask_b32_e32 v5, v3, v5, vcc
	v_lshlrev_b32_e32 v5, 2, v5
	ds_bpermute_b32 v6, v5, v2
	v_max_f32_e32 v2, v2, v2
	v_cmp_lt_i32_e32 vcc, v7, v4
	v_and_b32_e32 v27, 63, v0
	s_waitcnt lgkmcnt(0)
	v_max_f32_e32 v6, v6, v6
	v_max_f32_e32 v2, v2, v6
	v_cndmask_b32_e32 v6, v3, v7, vcc
	v_lshlrev_b32_e32 v7, 2, v6
	ds_bpermute_b32 v6, v7, v2
	v_cmp_lt_i32_e32 vcc, v8, v4
	s_waitcnt lgkmcnt(0)
	v_max_f32_e32 v6, v6, v6
	v_max_f32_e32 v6, v2, v6
	v_cndmask_b32_e32 v2, v3, v8, vcc
	v_lshlrev_b32_e32 v9, 2, v2
	ds_bpermute_b32 v8, v9, v6
	v_cmp_eq_u32_e32 vcc, 0, v27
	v_lshlrev_b32_e32 v2, 2, v25
	s_and_saveexec_b64 s[0:1], vcc
	s_cbranch_execz .LBB224_24
; %bb.23:
	s_waitcnt lgkmcnt(0)
	v_max_f32_e32 v8, v8, v8
	v_max_f32_e32 v6, v6, v6
	;; [unrolled: 1-line block ×3, first 2 shown]
	ds_write_b32 v2, v6 offset:512
.LBB224_24:
	s_or_b64 exec, exec, s[0:1]
	v_cmp_gt_u32_e64 s[0:1], 2, v27
	v_mov_b32_e32 v11, 0xff7fffff
	v_lshlrev_b32_e32 v6, 2, v27
	s_waitcnt lgkmcnt(0)
	s_barrier
	s_and_saveexec_b64 s[2:3], s[0:1]
; %bb.25:
	ds_read_b32 v11, v6 offset:512
; %bb.26:
	s_or_b64 exec, exec, s[2:3]
	v_xor_b32_e32 v8, 1, v3
	v_cmp_lt_i32_e64 s[2:3], v8, v4
	v_lshlrev_b32_e32 v10, 2, v10
	s_nop 0
	v_cndmask_b32_e64 v8, v3, v8, s[2:3]
	v_lshlrev_b32_e32 v8, 2, v8
	s_waitcnt lgkmcnt(0)
	ds_bpermute_b32 v12, v8, v11
	v_max_f32_e32 v11, v11, v11
	s_lshl_b32 s2, s43, 3
	s_min_i32 s37, s2, s33
	v_cmp_gt_i32_e64 s[2:3], s37, v0
	s_waitcnt lgkmcnt(0)
	v_max_f32_e32 v12, v12, v12
	v_max_f32_e32 v11, v11, v12
	ds_bpermute_b32 v11, v10, v11
	v_mov_b32_e32 v10, 0
	s_and_saveexec_b64 s[12:13], s[2:3]
	s_cbranch_execz .LBB224_30
; %bb.27:
	v_mov_b32_e32 v10, 0x210
	v_lshl_add_u32 v12, v0, 2, v10
	v_mov_b32_e32 v10, 0
	s_mov_b64 s[18:19], 0
	v_mov_b32_e32 v13, v0
.LBB224_28:                             ; =>This Inner Loop Header: Depth=1
	ds_read_b32 v14, v12
	v_add_u32_e32 v13, 0x80, v13
	v_cmp_le_i32_e64 s[8:9], s37, v13
	s_or_b64 s[18:19], s[8:9], s[18:19]
	s_waitcnt lgkmcnt(0)
	v_sub_f32_e32 v14, v14, v11
	v_mul_f32_e32 v14, 0x3fb8aa3b, v14
	v_exp_f32_e32 v14, v14
	ds_write_b32 v12, v14
	v_add_f32_e32 v10, v10, v14
	v_add_u32_e32 v12, 0x200, v12
	s_andn2_b64 exec, exec, s[18:19]
	s_cbranch_execnz .LBB224_28
; %bb.29:
	s_or_b64 exec, exec, s[18:19]
.LBB224_30:
	s_or_b64 exec, exec, s[12:13]
	ds_bpermute_b32 v5, v5, v10
	s_waitcnt lgkmcnt(0)
	v_add_f32_e32 v5, v10, v5
	ds_bpermute_b32 v7, v7, v5
	s_waitcnt lgkmcnt(0)
	v_add_f32_e32 v5, v5, v7
	ds_bpermute_b32 v7, v9, v5
	v_xor_b32_e32 v9, 4, v3
	v_cmp_lt_i32_e64 s[8:9], v9, v4
	s_waitcnt lgkmcnt(0)
	v_add_f32_e32 v5, v5, v7
	v_cndmask_b32_e64 v9, v3, v9, s[8:9]
	v_lshlrev_b32_e32 v9, 2, v9
	ds_bpermute_b32 v7, v9, v5
	v_xor_b32_e32 v9, 2, v3
	v_cmp_lt_i32_e64 s[8:9], v9, v4
	s_waitcnt lgkmcnt(0)
	v_add_f32_e32 v5, v5, v7
	v_cndmask_b32_e64 v4, v3, v9, s[8:9]
	v_lshlrev_b32_e32 v4, 2, v4
	ds_bpermute_b32 v4, v4, v5
	s_waitcnt lgkmcnt(0)
	v_add_f32_e32 v4, v5, v4
	ds_bpermute_b32 v5, v8, v4
	s_waitcnt lgkmcnt(0)
	v_add_f32_e32 v4, v4, v5
	s_and_saveexec_b64 s[8:9], vcc
; %bb.31:
	ds_write_b32 v2, v4 offset:520
; %bb.32:
	s_or_b64 exec, exec, s[8:9]
	s_waitcnt lgkmcnt(0)
	s_barrier
	s_and_saveexec_b64 s[8:9], s[0:1]
; %bb.33:
	ds_read_b32 v4, v6 offset:520
; %bb.34:
	s_or_b64 exec, exec, s[8:9]
	s_waitcnt lgkmcnt(0)
	ds_bpermute_b32 v2, v8, v4
	v_lshlrev_b32_e32 v3, 2, v3
	v_and_b32_e32 v3, 0x100, v3
	s_waitcnt lgkmcnt(0)
	v_add_f32_e32 v2, v4, v2
	ds_bpermute_b32 v2, v3, v2
	s_and_saveexec_b64 s[0:1], s[2:3]
	s_cbranch_execz .LBB224_47
; %bb.35:
	s_waitcnt lgkmcnt(0)
	v_add_f32_e32 v2, 0x358637bd, v2
	v_div_scale_f32 v3, s[2:3], v2, v2, 1.0
	v_rcp_f32_e32 v4, v3
	v_div_scale_f32 v5, vcc, 1.0, v2, 1.0
	s_movk_i32 s2, 0x7f
	v_fma_f32 v6, -v3, v4, 1.0
	v_fmac_f32_e32 v4, v6, v4
	v_mul_f32_e32 v6, v5, v4
	v_fma_f32 v7, -v3, v6, v5
	v_fmac_f32_e32 v6, v7, v4
	v_fma_f32 v3, -v3, v6, v5
	v_div_fmas_f32 v3, v3, v4, v6
	v_xad_u32 v4, v0, -1, s37
	v_div_fixup_f32 v2, v3, v2, 1.0
	v_cmp_lt_u32_e32 vcc, s2, v4
	s_mov_b64 s[8:9], -1
	v_mov_b32_e32 v3, v0
	s_and_saveexec_b64 s[2:3], vcc
	s_cbranch_execz .LBB224_44
; %bb.36:
	v_lshrrev_b32_e32 v4, 7, v4
	v_add_u32_e32 v6, -1, v4
	v_lshrrev_b32_e32 v5, 1, v6
	v_mov_b32_e32 v3, v2
	v_add_u32_e32 v5, 1, v5
	v_cmp_lt_u32_e32 vcc, 13, v6
	v_mov_b32_e32 v8, 0
	s_and_saveexec_b64 s[8:9], vcc
	s_cbranch_execz .LBB224_40
; %bb.37:
	v_mov_b32_e32 v7, 0x210
	v_and_b32_e32 v6, -8, v5
	v_lshl_add_u32 v7, v0, 2, v7
	s_mov_b32 s18, 0
	s_mov_b64 s[12:13], 0
.LBB224_38:                             ; =>This Inner Loop Header: Depth=1
	ds_read2st64_b32 v[8:9], v7 offset1:2
	ds_read2st64_b32 v[10:11], v7 offset0:4 offset1:6
	ds_read2st64_b32 v[12:13], v7 offset0:8 offset1:10
	;; [unrolled: 1-line block ×3, first 2 shown]
	v_add_u32_e32 v6, -8, v6
	s_waitcnt lgkmcnt(3)
	v_pk_mul_f32 v[8:9], v[2:3], v[8:9]
	s_waitcnt lgkmcnt(2)
	v_pk_mul_f32 v[10:11], v[2:3], v[10:11]
	ds_write2st64_b32 v7, v8, v9 offset1:2
	ds_write2st64_b32 v7, v10, v11 offset0:4 offset1:6
	ds_read2st64_b32 v[10:11], v7 offset0:16 offset1:18
	s_waitcnt lgkmcnt(4)
	v_pk_mul_f32 v[8:9], v[2:3], v[12:13]
	ds_write2st64_b32 v7, v8, v9 offset0:8 offset1:10
	s_waitcnt lgkmcnt(4)
	v_pk_mul_f32 v[8:9], v[2:3], v[14:15]
	ds_write2st64_b32 v7, v8, v9 offset0:12 offset1:14
	ds_read2st64_b32 v[8:9], v7 offset0:20 offset1:22
	s_waitcnt lgkmcnt(3)
	v_pk_mul_f32 v[10:11], v[2:3], v[10:11]
	ds_read2st64_b32 v[12:13], v7 offset0:24 offset1:26
	ds_write2st64_b32 v7, v10, v11 offset0:16 offset1:18
	ds_read2st64_b32 v[10:11], v7 offset0:28 offset1:30
	s_waitcnt lgkmcnt(3)
	v_pk_mul_f32 v[8:9], v[2:3], v[8:9]
	ds_write2st64_b32 v7, v8, v9 offset0:20 offset1:22
	s_waitcnt lgkmcnt(3)
	v_pk_mul_f32 v[8:9], v[2:3], v[12:13]
	ds_write2st64_b32 v7, v8, v9 offset0:24 offset1:26
	s_waitcnt lgkmcnt(2)
	v_pk_mul_f32 v[8:9], v[2:3], v[10:11]
	s_add_i32 s18, s18, 16
	v_cmp_eq_u32_e32 vcc, 0, v6
	ds_write2st64_b32 v7, v8, v9 offset0:28 offset1:30
	v_add_u32_e32 v7, 0x2000, v7
	s_or_b64 s[12:13], vcc, s[12:13]
	v_mov_b32_e32 v8, s18
	s_andn2_b64 exec, exec, s[12:13]
	s_cbranch_execnz .LBB224_38
; %bb.39:
	s_or_b64 exec, exec, s[12:13]
.LBB224_40:
	s_or_b64 exec, exec, s[8:9]
	v_and_b32_e32 v5, 7, v5
	v_cmp_ne_u32_e32 vcc, 0, v5
	s_and_saveexec_b64 s[8:9], vcc
	s_cbranch_execz .LBB224_43
; %bb.41:
	v_lshlrev_b32_e32 v6, 9, v8
	v_lshlrev_b32_e32 v7, 2, v0
	s_movk_i32 s12, 0x210
	v_add3_u32 v6, v6, v7, s12
	s_mov_b64 s[12:13], 0
.LBB224_42:                             ; =>This Inner Loop Header: Depth=1
	ds_read2st64_b32 v[8:9], v6 offset1:2
	v_add_u32_e32 v5, -1, v5
	v_cmp_eq_u32_e32 vcc, 0, v5
	s_or_b64 s[12:13], vcc, s[12:13]
	s_waitcnt lgkmcnt(0)
	v_pk_mul_f32 v[8:9], v[2:3], v[8:9]
	ds_write2st64_b32 v6, v8, v9 offset1:2
	v_add_u32_e32 v6, 0x400, v6
	s_andn2_b64 exec, exec, s[12:13]
	s_cbranch_execnz .LBB224_42
.LBB224_43:
	s_or_b64 exec, exec, s[8:9]
	v_add_u32_e32 v4, 1, v4
	v_and_b32_e32 v5, 0x3fffffe, v4
	v_cmp_ne_u32_e32 vcc, v4, v5
	v_lshl_add_u32 v3, v5, 7, v0
	s_orn2_b64 s[8:9], vcc, exec
.LBB224_44:
	s_or_b64 exec, exec, s[2:3]
	s_and_b64 exec, exec, s[8:9]
	s_cbranch_execz .LBB224_47
; %bb.45:
	v_mov_b32_e32 v4, 0x210
	v_lshl_add_u32 v4, v3, 2, v4
	s_mov_b64 s[2:3], 0
.LBB224_46:                             ; =>This Inner Loop Header: Depth=1
	ds_read_b32 v5, v4
	v_add_u32_e32 v3, 0x80, v3
	v_cmp_le_i32_e32 vcc, s37, v3
	s_or_b64 s[2:3], vcc, s[2:3]
	s_waitcnt lgkmcnt(0)
	v_mul_f32_e32 v5, v2, v5
	ds_write_b32 v4, v5
	v_add_u32_e32 v4, 0x200, v4
	s_andn2_b64 exec, exec, s[2:3]
	s_cbranch_execnz .LBB224_46
.LBB224_47:
	s_or_b64 exec, exec, s[0:1]
	v_mov_b32_e32 v3, 0
	s_waitcnt lgkmcnt(0)
	v_mov_b32_e32 v2, 0
	v_mov_b32_e32 v5, 0
	;; [unrolled: 1-line block ×3, first 2 shown]
	s_barrier
	s_and_saveexec_b64 s[2:3], s[6:7]
	s_cbranch_execz .LBB224_253
; %bb.48:
	s_sub_i32 s37, s16, s21
	s_ashr_i32 s1, s20, 31
	s_add_u32 s0, s34, s20
	s_addc_u32 s1, s35, s1
	s_abs_i32 s22, s22
	v_cvt_f32_u32_e32 v2, s22
	v_lshlrev_b32_e32 v6, 3, v27
	v_mov_b32_e32 v7, 0
	v_lshl_add_u64 v[8:9], s[0:1], 0, v[6:7]
	v_rcp_iflag_f32_e32 v2, v2
	s_sub_i32 s0, 0, s22
	s_add_i32 s35, s43, -1
	s_mov_b32 s6, -1
	v_mul_f32_e32 v2, 0x4f7ffffe, v2
	v_cvt_u32_f32_e32 v2, v2
	v_and_b32_e32 v6, 60, v1
	v_mov_b32_e32 v1, 0x210
	s_mov_b32 s34, s17
	v_mul_lo_u32 v3, s0, v2
	s_lshl_b64 s[0:1], s[30:31], 2
	s_add_u32 s0, s28, s0
	v_mul_hi_u32 v3, v2, v3
	s_addc_u32 s1, s29, s1
	s_mov_b32 s7, 0xffffff
	s_mov_b32 s38, s33
	v_add_u32_e32 v28, v2, v3
	v_lshl_add_u64 v[10:11], s[0:1], 0, v[6:7]
	v_lshl_add_u32 v29, v25, 5, v1
	s_mov_b64 s[8:9], 0
	s_movk_i32 s28, 0x80
	s_movk_i32 s29, 0x7f
	s_mov_b32 s30, 0x8000
	v_mov_b32_e32 v30, 0x2000
	v_mov_b32_e32 v4, 0
	;; [unrolled: 1-line block ×5, first 2 shown]
	s_branch .LBB224_51
.LBB224_49:                             ;   in Loop: Header=BB224_51 Depth=1
	s_or_b64 exec, exec, s[0:1]
	v_add_f32_e32 v12, v22, v23
	v_add_f32_e32 v2, v2, v12
	;; [unrolled: 1-line block ×5, first 2 shown]
	;;#ASMSTART
	v_pk_mul_f16 v1, v41, v1;

	;;#ASMEND
	v_add_f32_e32 v4, v4, v12
	;;#ASMSTART
	v_pk_mul_f16 v6, v40, v6;

	;;#ASMEND
	;;#ASMSTART
	v_pk_mul_f16 v12, v39, v19;

	;;#ASMEND
	;; [unrolled: 4-line block ×3, first 2 shown]
	s_nop 0
	;;#ASMSTART
	v_pk_add_f16 v1, v1, v6;

	;;#ASMEND
	s_nop 0
	;;#ASMSTART
	v_pk_add_f16 v1, v1, v12;

	;;#ASMEND
	;; [unrolled: 5-line block ×3, first 2 shown]
	s_nop 0
	v_lshrrev_b32_e32 v6, 16, v1
	v_and_b32_e32 v1, 0xffff, v1
	;;#ASMSTART
	v_cvt_f32_f16 v1, v1;
	;;#ASMEND
	;;#ASMSTART
	v_cvt_f32_f16 v6, v6;
	;;#ASMEND
	s_nop 0
	v_add_f32_e32 v1, v1, v6
	v_add_f32_e32 v3, v3, v1
.LBB224_50:                             ;   in Loop: Header=BB224_51 Depth=1
	s_or_b64 exec, exec, s[12:13]
	v_add_u32_e32 v25, 2, v25
	v_cmp_le_i32_e32 vcc, s43, v25
	v_lshl_add_u64 v[10:11], v[10:11], 0, 8
	v_add_u32_e32 v26, 16, v26
	s_or_b64 s[8:9], vcc, s[8:9]
	v_add_u32_e32 v29, 64, v29
	s_andn2_b64 exec, exec, s[8:9]
	s_cbranch_execz .LBB224_252
.LBB224_51:                             ; =>This Inner Loop Header: Depth=1
	v_mul_hi_u32 v1, v26, s42
	v_mul_lo_u32 v6, v1, s25
	v_sub_u32_e32 v6, v26, v6
	v_add_u32_e32 v12, 1, v1
	v_cmp_le_u32_e32 vcc, s25, v6
	s_nop 1
	v_cndmask_b32_e32 v1, v1, v12, vcc
	v_subrev_u32_e32 v12, s25, v6
	v_cndmask_b32_e32 v6, v6, v12, vcc
	v_add_u32_e32 v12, 1, v1
	v_cmp_le_u32_e32 vcc, s25, v6
	s_nop 1
	v_cndmask_b32_e32 v1, v1, v12, vcc
	v_xor_b32_e32 v1, s23, v1
	v_subrev_u32_e32 v1, s23, v1
	v_add_u32_e32 v6, s36, v1
	v_sub_u32_e32 v13, 0, v6
	v_ashrrev_i32_e32 v12, 31, v6
	v_max_i32_e32 v6, v6, v13
	v_mul_hi_u32 v13, v6, v28
	v_mul_lo_u32 v13, v13, s22
	v_sub_u32_e32 v6, v6, v13
	v_subrev_u32_e32 v13, s22, v6
	v_cmp_le_u32_e32 vcc, s22, v6
	v_cmp_lt_i32_e64 s[0:1], s37, v1
	s_nop 0
	v_cndmask_b32_e32 v6, v6, v13, vcc
	v_subrev_u32_e32 v13, s22, v6
	v_cmp_le_u32_e32 vcc, s22, v6
	s_nop 1
	v_cndmask_b32_e32 v6, v6, v13, vcc
	v_xor_b32_e32 v6, v6, v12
	v_sub_u32_e32 v6, v6, v12
	v_cmp_eq_u32_e32 vcc, 0, v6
	s_or_b64 s[0:1], vcc, s[0:1]
	s_and_saveexec_b64 s[12:13], s[0:1]
	s_cbranch_execz .LBB224_50
; %bb.52:                               ;   in Loop: Header=BB224_51 Depth=1
	global_load_dword v1, v[10:11], off
	ds_read2_b64 v[12:15], v29 offset1:1
	ds_read2_b64 v[16:19], v29 offset0:2 offset1:3
	s_waitcnt lgkmcnt(1)
	;;#ASMSTART
	v_cvt_f16_f32 v38, v12;

	;;#ASMEND
	;;#ASMSTART
	v_cvt_f16_f32 v39, v13;

	;;#ASMEND
	;; [unrolled: 4-line block ×4, first 2 shown]
	s_waitcnt lgkmcnt(0)
	;;#ASMSTART
	v_cvt_f16_f32 v43, v16;

	;;#ASMEND
	;;#ASMSTART
	v_cvt_f16_f32 v44, v17;

	;;#ASMEND
	;; [unrolled: 4-line block ×4, first 2 shown]
	v_mov_b32_e32 v15, 0
	s_waitcnt vmcnt(0)
	v_mad_i64_i32 v[12:13], s[0:1], v1, s34, v[8:9]
	global_load_dwordx2 v[16:17], v[12:13], off
	v_mov_b32_e32 v1, 0
	global_load_dword v14, v1, s[14:15]
	s_waitcnt vmcnt(1)
	v_cmp_ne_u16_sdwa s[16:17], v16, v7 src0_sel:BYTE_0 src1_sel:DWORD
	s_and_saveexec_b64 s[0:1], s[16:17]
	s_cbranch_execz .LBB224_58
; %bb.53:                               ;   in Loop: Header=BB224_51 Depth=1
	v_cmp_ne_u16_sdwa s[18:19], v16, s28 src0_sel:BYTE_0 src1_sel:DWORD
	v_mov_b32_e32 v15, 0x8000
	s_and_saveexec_b64 s[16:17], s[18:19]
	s_cbranch_execz .LBB224_57
; %bb.54:                               ;   in Loop: Header=BB224_51 Depth=1
	v_and_b32_e32 v6, 0x7f, v16
	v_cmp_ne_u32_e32 vcc, s29, v6
	v_mov_b32_e32 v15, 0x7c01
	s_and_saveexec_b64 s[18:19], vcc
	s_cbranch_execz .LBB224_56
; %bb.55:                               ;   in Loop: Header=BB224_51 Depth=1
	v_and_b32_e32 v15, 7, v16
	v_ffbh_u32_e32 v18, v15
	v_min_u32_e32 v21, 32, v18
	v_subrev_u32_e32 v18, 28, v21
	v_lshlrev_b64 v[18:19], v18, v[16:17]
	v_lshrrev_b32_e32 v20, 3, v6
	v_sub_u32_e32 v19, 29, v21
	v_cmp_gt_u32_e32 vcc, 8, v6
	v_and_b32_e32 v18, 7, v18
	s_nop 0
	v_cndmask_b32_e32 v6, v20, v19, vcc
	v_lshl_add_u32 v6, v6, 10, v30
	v_lshlrev_b32_e32 v19, 8, v16
	v_and_b32_e32 v6, 0xfc00, v6
	v_cndmask_b32_e32 v15, v15, v18, vcc
	v_and_or_b32 v6, v19, s30, v6
	v_lshl_or_b32 v15, v15, 7, v6
.LBB224_56:                             ;   in Loop: Header=BB224_51 Depth=1
	s_or_b64 exec, exec, s[18:19]
.LBB224_57:                             ;   in Loop: Header=BB224_51 Depth=1
	s_or_b64 exec, exec, s[16:17]
.LBB224_58:                             ;   in Loop: Header=BB224_51 Depth=1
	s_or_b64 exec, exec, s[0:1]
	v_lshrrev_b16_e32 v6, 8, v16
	v_cmp_ne_u16_e32 vcc, 0, v6
	s_and_saveexec_b64 s[0:1], vcc
	s_cbranch_execz .LBB224_64
; %bb.59:                               ;   in Loop: Header=BB224_51 Depth=1
	v_cmp_ne_u16_e32 vcc, s28, v6
	v_bfrev_b32_e32 v1, 1
	s_and_saveexec_b64 s[16:17], vcc
	s_cbranch_execz .LBB224_63
; %bb.60:                               ;   in Loop: Header=BB224_51 Depth=1
	v_and_b32_e32 v18, 0x7f, v6
	v_cmp_ne_u32_e32 vcc, s29, v18
	v_mov_b32_e32 v1, 0x7c010000
	s_and_saveexec_b64 s[18:19], vcc
	s_cbranch_execz .LBB224_62
; %bb.61:                               ;   in Loop: Header=BB224_51 Depth=1
	v_and_b32_e32 v1, 7, v6
	v_ffbh_u32_e32 v20, v1
	v_min_u32_e32 v22, 32, v20
	v_subrev_u32_e32 v20, 28, v22
	v_lshlrev_b64 v[20:21], v20, v[6:7]
	v_lshrrev_b32_e32 v19, 3, v18
	v_sub_u32_e32 v21, 29, v22
	v_cmp_gt_u32_e32 vcc, 8, v18
	v_lshlrev_b32_e32 v6, 8, v6
	s_nop 0
	v_cndmask_b32_e32 v18, v19, v21, vcc
	v_lshl_add_u32 v18, v18, 10, v30
	v_and_b32_e32 v19, 7, v20
	v_and_or_b32 v6, v6, s30, v18
	v_cndmask_b32_e32 v1, v1, v19, vcc
	v_lshlrev_b32_e32 v6, 16, v6
	v_lshl_or_b32 v1, v1, 23, v6
.LBB224_62:                             ;   in Loop: Header=BB224_51 Depth=1
	s_or_b64 exec, exec, s[18:19]
.LBB224_63:                             ;   in Loop: Header=BB224_51 Depth=1
	s_or_b64 exec, exec, s[16:17]
.LBB224_64:                             ;   in Loop: Header=BB224_51 Depth=1
	s_or_b64 exec, exec, s[0:1]
	v_lshrrev_b32_e32 v6, 16, v16
	v_cmp_ne_u16_sdwa s[16:17], v6, v7 src0_sel:BYTE_0 src1_sel:DWORD
	v_mov_b32_e32 v19, 0
	v_mov_b32_e32 v18, 0
	s_and_saveexec_b64 s[0:1], s[16:17]
	s_cbranch_execz .LBB224_70
; %bb.65:                               ;   in Loop: Header=BB224_51 Depth=1
	v_cmp_ne_u16_sdwa s[18:19], v6, s28 src0_sel:BYTE_0 src1_sel:DWORD
	v_mov_b32_e32 v18, 0x8000
	s_and_saveexec_b64 s[16:17], s[18:19]
	s_cbranch_execz .LBB224_69
; %bb.66:                               ;   in Loop: Header=BB224_51 Depth=1
	v_bfe_u32 v20, v16, 16, 7
	v_cmp_ne_u32_e32 vcc, s29, v20
	v_mov_b32_e32 v18, 0x7c01
	s_and_saveexec_b64 s[18:19], vcc
	s_cbranch_execz .LBB224_68
; %bb.67:                               ;   in Loop: Header=BB224_51 Depth=1
	v_and_b32_e32 v18, 7, v6
	v_ffbh_u32_e32 v22, v18
	v_min_u32_e32 v31, 32, v22
	v_subrev_u32_e32 v22, 28, v31
	v_lshlrev_b64 v[22:23], v22, v[6:7]
	v_lshrrev_b32_e32 v21, 3, v20
	v_sub_u32_e32 v23, 29, v31
	v_cmp_gt_u32_e32 vcc, 8, v20
	v_lshlrev_b32_e32 v6, 8, v6
	s_nop 0
	v_cndmask_b32_e32 v20, v21, v23, vcc
	v_lshl_add_u32 v20, v20, 10, v30
	v_and_b32_e32 v21, 7, v22
	v_and_b32_e32 v20, 0xfc00, v20
	v_cndmask_b32_e32 v18, v18, v21, vcc
	v_and_or_b32 v6, v6, s30, v20
	v_lshl_or_b32 v18, v18, 7, v6
.LBB224_68:                             ;   in Loop: Header=BB224_51 Depth=1
	s_or_b64 exec, exec, s[18:19]
.LBB224_69:                             ;   in Loop: Header=BB224_51 Depth=1
	s_or_b64 exec, exec, s[16:17]
.LBB224_70:                             ;   in Loop: Header=BB224_51 Depth=1
	s_or_b64 exec, exec, s[0:1]
	v_cmp_lt_u32_e32 vcc, s7, v16
	s_and_saveexec_b64 s[0:1], vcc
	s_cbranch_execz .LBB224_76
; %bb.71:                               ;   in Loop: Header=BB224_51 Depth=1
	v_lshrrev_b32_e32 v6, 24, v16
	v_cmp_ne_u32_e32 vcc, s28, v6
	v_bfrev_b32_e32 v19, 1
	s_and_saveexec_b64 s[16:17], vcc
	s_cbranch_execz .LBB224_75
; %bb.72:                               ;   in Loop: Header=BB224_51 Depth=1
	v_and_b32_e32 v20, 0x7f, v6
	v_cmp_ne_u32_e32 vcc, s29, v20
	v_mov_b32_e32 v19, 0x7c010000
	s_and_saveexec_b64 s[18:19], vcc
	s_cbranch_execz .LBB224_74
; %bb.73:                               ;   in Loop: Header=BB224_51 Depth=1
	v_and_b32_e32 v19, 7, v6
	v_ffbh_u32_e32 v22, v19
	v_min_u32_e32 v31, 32, v22
	v_subrev_u32_e32 v22, 28, v31
	v_lshlrev_b64 v[22:23], v22, v[6:7]
	v_lshrrev_b32_e32 v21, 3, v20
	v_sub_u32_e32 v23, 29, v31
	v_cmp_gt_u32_e32 vcc, 8, v20
	v_lshlrev_b32_e32 v6, 8, v6
	s_nop 0
	v_cndmask_b32_e32 v20, v21, v23, vcc
	v_lshl_add_u32 v20, v20, 10, v30
	v_and_b32_e32 v21, 7, v22
	v_and_or_b32 v6, v6, s30, v20
	v_cndmask_b32_e32 v19, v19, v21, vcc
	v_lshlrev_b32_e32 v6, 16, v6
	v_lshl_or_b32 v19, v19, 23, v6
.LBB224_74:                             ;   in Loop: Header=BB224_51 Depth=1
	s_or_b64 exec, exec, s[18:19]
.LBB224_75:                             ;   in Loop: Header=BB224_51 Depth=1
	s_or_b64 exec, exec, s[16:17]
.LBB224_76:                             ;   in Loop: Header=BB224_51 Depth=1
	s_or_b64 exec, exec, s[0:1]
	v_mov_b32_e32 v6, v17
	v_cmp_ne_u16_sdwa s[16:17], v17, v7 src0_sel:BYTE_0 src1_sel:DWORD
	v_mov_b32_e32 v20, 0
	v_mov_b32_e32 v21, 0
	s_and_saveexec_b64 s[0:1], s[16:17]
	s_cbranch_execz .LBB224_82
; %bb.77:                               ;   in Loop: Header=BB224_51 Depth=1
	v_cmp_ne_u16_sdwa s[18:19], v17, s28 src0_sel:BYTE_0 src1_sel:DWORD
	v_mov_b32_e32 v21, 0x8000
	s_and_saveexec_b64 s[16:17], s[18:19]
	s_cbranch_execz .LBB224_81
; %bb.78:                               ;   in Loop: Header=BB224_51 Depth=1
	v_and_b32_e32 v22, 0x7f, v17
	v_cmp_ne_u32_e32 vcc, s29, v22
	v_mov_b32_e32 v21, 0x7c01
	s_and_saveexec_b64 s[18:19], vcc
	s_cbranch_execz .LBB224_80
; %bb.79:                               ;   in Loop: Header=BB224_51 Depth=1
	v_and_b32_e32 v21, 7, v17
	v_ffbh_u32_e32 v31, v21
	v_min_u32_e32 v31, 32, v31
	v_lshrrev_b32_e32 v23, 3, v22
	v_subrev_u32_e32 v32, 28, v31
	v_sub_u32_e32 v31, 29, v31
	v_cmp_gt_u32_e32 vcc, 8, v22
	v_lshlrev_b64 v[32:33], v32, v[6:7]
	s_nop 0
	v_cndmask_b32_e32 v22, v23, v31, vcc
	v_lshl_add_u32 v22, v22, 10, v30
	v_lshlrev_b32_e32 v23, 8, v17
	v_and_b32_e32 v31, 7, v32
	v_and_b32_e32 v22, 0xfc00, v22
	v_cndmask_b32_e32 v21, v21, v31, vcc
	v_and_or_b32 v22, v23, s30, v22
	v_lshl_or_b32 v21, v21, 7, v22
.LBB224_80:                             ;   in Loop: Header=BB224_51 Depth=1
	s_or_b64 exec, exec, s[18:19]
.LBB224_81:                             ;   in Loop: Header=BB224_51 Depth=1
	s_or_b64 exec, exec, s[16:17]
.LBB224_82:                             ;   in Loop: Header=BB224_51 Depth=1
	s_or_b64 exec, exec, s[0:1]
	v_lshrrev_b16_e32 v6, 8, v6
	v_cmp_ne_u16_e32 vcc, 0, v6
	v_mov_b32_e32 v22, 0
	s_and_saveexec_b64 s[0:1], vcc
	s_cbranch_execz .LBB224_88
; %bb.83:                               ;   in Loop: Header=BB224_51 Depth=1
	v_cmp_ne_u16_e32 vcc, s28, v6
	v_bfrev_b32_e32 v22, 1
	s_and_saveexec_b64 s[16:17], vcc
	s_cbranch_execz .LBB224_87
; %bb.84:                               ;   in Loop: Header=BB224_51 Depth=1
	v_and_b32_e32 v23, 0x7f, v6
	v_cmp_ne_u32_e32 vcc, s29, v23
	v_mov_b32_e32 v22, 0x7c010000
	s_and_saveexec_b64 s[18:19], vcc
	s_cbranch_execz .LBB224_86
; %bb.85:                               ;   in Loop: Header=BB224_51 Depth=1
	v_and_b32_e32 v22, 7, v6
	v_ffbh_u32_e32 v32, v22
	v_min_u32_e32 v34, 32, v32
	v_subrev_u32_e32 v32, 28, v34
	v_lshlrev_b64 v[32:33], v32, v[6:7]
	v_lshrrev_b32_e32 v31, 3, v23
	v_sub_u32_e32 v33, 29, v34
	v_cmp_gt_u32_e32 vcc, 8, v23
	v_lshlrev_b32_e32 v6, 8, v6
	s_nop 0
	v_cndmask_b32_e32 v23, v31, v33, vcc
	v_lshl_add_u32 v23, v23, 10, v30
	v_and_b32_e32 v31, 7, v32
	v_and_or_b32 v6, v6, s30, v23
	v_cndmask_b32_e32 v22, v22, v31, vcc
	v_lshlrev_b32_e32 v6, 16, v6
	v_lshl_or_b32 v22, v22, 23, v6
.LBB224_86:                             ;   in Loop: Header=BB224_51 Depth=1
	s_or_b64 exec, exec, s[18:19]
.LBB224_87:                             ;   in Loop: Header=BB224_51 Depth=1
	s_or_b64 exec, exec, s[16:17]
.LBB224_88:                             ;   in Loop: Header=BB224_51 Depth=1
	s_or_b64 exec, exec, s[0:1]
	v_lshrrev_b32_e32 v6, 16, v17
	v_cmp_ne_u16_sdwa s[16:17], v6, v7 src0_sel:BYTE_0 src1_sel:DWORD
	s_and_saveexec_b64 s[0:1], s[16:17]
	s_cbranch_execz .LBB224_94
; %bb.89:                               ;   in Loop: Header=BB224_51 Depth=1
	v_cmp_ne_u16_sdwa s[18:19], v6, s28 src0_sel:BYTE_0 src1_sel:DWORD
	v_mov_b32_e32 v20, 0x8000
	s_and_saveexec_b64 s[16:17], s[18:19]
	s_cbranch_execz .LBB224_93
; %bb.90:                               ;   in Loop: Header=BB224_51 Depth=1
	v_bfe_u32 v23, v17, 16, 7
	v_cmp_ne_u32_e32 vcc, s29, v23
	v_mov_b32_e32 v20, 0x7c01
	s_and_saveexec_b64 s[18:19], vcc
	s_cbranch_execz .LBB224_92
; %bb.91:                               ;   in Loop: Header=BB224_51 Depth=1
	v_and_b32_e32 v20, 7, v6
	v_ffbh_u32_e32 v32, v20
	v_min_u32_e32 v34, 32, v32
	v_subrev_u32_e32 v32, 28, v34
	v_lshlrev_b64 v[32:33], v32, v[6:7]
	v_lshrrev_b32_e32 v31, 3, v23
	v_sub_u32_e32 v33, 29, v34
	v_cmp_gt_u32_e32 vcc, 8, v23
	v_lshlrev_b32_e32 v6, 8, v6
	s_nop 0
	v_cndmask_b32_e32 v23, v31, v33, vcc
	v_lshl_add_u32 v23, v23, 10, v30
	v_and_b32_e32 v31, 7, v32
	v_and_b32_e32 v23, 0xfc00, v23
	v_cndmask_b32_e32 v20, v20, v31, vcc
	v_and_or_b32 v6, v6, s30, v23
	v_lshl_or_b32 v20, v20, 7, v6
.LBB224_92:                             ;   in Loop: Header=BB224_51 Depth=1
	s_or_b64 exec, exec, s[18:19]
.LBB224_93:                             ;   in Loop: Header=BB224_51 Depth=1
	s_or_b64 exec, exec, s[16:17]
.LBB224_94:                             ;   in Loop: Header=BB224_51 Depth=1
	s_or_b64 exec, exec, s[0:1]
	v_cmp_lt_u64_e32 vcc, s[6:7], v[16:17]
	v_mov_b32_e32 v23, 0
	s_and_saveexec_b64 s[0:1], vcc
	s_cbranch_execz .LBB224_100
; %bb.95:                               ;   in Loop: Header=BB224_51 Depth=1
	v_lshrrev_b32_e32 v6, 24, v17
	v_cmp_ne_u32_e32 vcc, s28, v6
	v_bfrev_b32_e32 v23, 1
	s_and_saveexec_b64 s[16:17], vcc
	s_cbranch_execz .LBB224_99
; %bb.96:                               ;   in Loop: Header=BB224_51 Depth=1
	v_and_b32_e32 v16, 0x7f, v6
	v_cmp_ne_u32_e32 vcc, s29, v16
	v_mov_b32_e32 v23, 0x7c010000
	s_and_saveexec_b64 s[18:19], vcc
	s_cbranch_execz .LBB224_98
; %bb.97:                               ;   in Loop: Header=BB224_51 Depth=1
	v_and_b32_e32 v17, 7, v6
	v_ffbh_u32_e32 v31, v17
	v_min_u32_e32 v31, 32, v31
	v_lshrrev_b32_e32 v23, 3, v16
	v_subrev_u32_e32 v32, 28, v31
	v_sub_u32_e32 v31, 29, v31
	v_cmp_gt_u32_e32 vcc, 8, v16
	v_lshlrev_b64 v[32:33], v32, v[6:7]
	v_lshlrev_b32_e32 v6, 8, v6
	v_cndmask_b32_e32 v16, v23, v31, vcc
	v_lshl_add_u32 v16, v16, 10, v30
	v_and_b32_e32 v23, 7, v32
	v_and_or_b32 v6, v6, s30, v16
	v_cndmask_b32_e32 v17, v17, v23, vcc
	v_lshlrev_b32_e32 v6, 16, v6
	v_lshl_or_b32 v23, v17, 23, v6
.LBB224_98:                             ;   in Loop: Header=BB224_51 Depth=1
	s_or_b64 exec, exec, s[18:19]
.LBB224_99:                             ;   in Loop: Header=BB224_51 Depth=1
	s_or_b64 exec, exec, s[16:17]
.LBB224_100:                            ;   in Loop: Header=BB224_51 Depth=1
	s_or_b64 exec, exec, s[0:1]
	v_cvt_f32_f16_sdwa v17, v1 dst_sel:DWORD dst_unused:UNUSED_PAD src0_sel:WORD_1
	v_cvt_f32_f16_sdwa v16, v19 dst_sel:DWORD dst_unused:UNUSED_PAD src0_sel:WORD_1
	v_or_b32_e32 v1, v1, v15
	v_or_b32_e32 v6, v19, v18
	v_cvt_f32_f16_e32 v18, v6
	v_cvt_f32_f16_e32 v19, v1
	s_waitcnt vmcnt(0)
	v_pk_mul_f32 v[16:17], v[14:15], v[16:17] op_sel_hi:[0,1]
	v_cvt_pk_f16_f32 v1, v16, v17
	v_and_b32_e32 v15, 0xffff0000, v1
	v_pk_mul_f32 v[18:19], v[14:15], v[18:19] op_sel_hi:[0,1]
	v_lshlrev_b32_e32 v16, 16, v1
	v_cvt_pk_f16_f32 v1, v18, v19
	v_or_b32_e32 v6, v22, v21
	v_or_b32_e32 v19, v23, v20
	v_cvt_f32_f16_e32 v20, v19
	v_cvt_f32_f16_e32 v21, v6
	v_cvt_f32_f16_sdwa v33, v22 dst_sel:DWORD dst_unused:UNUSED_PAD src0_sel:WORD_1
	v_cvt_f32_f16_sdwa v32, v23 dst_sel:DWORD dst_unused:UNUSED_PAD src0_sel:WORD_1
	v_lshrrev_b32_e32 v17, 16, v1
	v_pk_mul_f32 v[20:21], v[14:15], v[20:21] op_sel_hi:[0,1]
	v_cvt_pk_f16_f32 v22, v20, v21
	v_pk_mul_f32 v[20:21], v[14:15], v[32:33] op_sel_hi:[0,1]
	v_cvt_pk_f16_f32 v14, v20, v21
	v_and_b32_e32 v18, 0xffff, v1
	v_and_b32_e32 v19, 0xffff0000, v14
	v_lshlrev_b32_e32 v14, 16, v14
	v_lshrrev_b32_e32 v23, 16, v22
	v_and_b32_e32 v22, 0xffff, v22
	v_cmp_eq_u32_e32 vcc, s35, v25
	v_or_b32_e32 v1, v15, v17
	v_or_b32_e32 v6, v16, v18
	v_or_b32_e32 v21, v19, v23
	v_or_b32_e32 v20, v14, v22
	v_add_u32_e32 v37, 2, v26
	v_or_b32_e32 v36, 1, v26
	v_or_b32_e32 v35, 3, v26
	;; [unrolled: 1-line block ×6, first 2 shown]
	s_and_saveexec_b64 s[16:17], vcc
	s_cbranch_execz .LBB224_102
; %bb.101:                              ;   in Loop: Header=BB224_51 Depth=1
	v_cmp_gt_i32_e64 s[0:1], s38, v26
	s_nop 1
	v_cndmask_b32_e64 v1, 0, v17, s[0:1]
	v_cmp_gt_i32_e64 s[0:1], s33, v37
	s_nop 1
	v_cndmask_b32_e64 v6, 0, v18, s[0:1]
	;; [unrolled: 3-line block ×3, first 2 shown]
	v_cmp_gt_i32_e64 s[0:1], s33, v35
	v_or_b32_e32 v1, v15, v1
	s_nop 0
	v_cndmask_b32_e64 v16, 0, v16, s[0:1]
	v_cmp_gt_i32_e64 s[0:1], s38, v34
	v_or_b32_e32 v6, v16, v6
	s_nop 0
	v_cndmask_b32_e64 v15, 0, v23, s[0:1]
	v_cmp_gt_i32_e64 s[0:1], s33, v33
	s_nop 1
	v_cndmask_b32_e64 v16, 0, v22, s[0:1]
	v_cmp_gt_i32_e64 s[0:1], s38, v32
	;; [unrolled: 3-line block ×3, first 2 shown]
	v_or_b32_e32 v21, v17, v15
	s_nop 0
	v_cndmask_b32_e64 v14, 0, v14, s[0:1]
	v_or_b32_e32 v20, v14, v16
.LBB224_102:                            ;   in Loop: Header=BB224_51 Depth=1
	s_or_b64 exec, exec, s[16:17]
	v_and_b32_e32 v14, 0xffff, v38
	v_lshl_or_b32 v41, v39, 16, v14
	v_and_b32_e32 v14, 0xffff, v40
	v_lshl_or_b32 v40, v42, 16, v14
	;; [unrolled: 2-line block ×3, first 2 shown]
	v_and_b32_e32 v14, 0xffff, v45
	;;#ASMSTART
	v_pk_mul_f16 v1, v41, v1;

	;;#ASMEND
	v_lshl_or_b32 v38, v46, 16, v14
	;;#ASMSTART
	v_pk_mul_f16 v6, v40, v6;

	;;#ASMEND
	;;#ASMSTART
	v_pk_mul_f16 v14, v39, v21;

	;;#ASMEND
	;;#ASMSTART
	v_pk_mul_f16 v15, v38, v20;

	;;#ASMEND
	s_nop 0
	;;#ASMSTART
	v_pk_add_f16 v1, v1, v6;

	;;#ASMEND
	s_nop 0
	;;#ASMSTART
	v_pk_add_f16 v1, v1, v14;

	;;#ASMEND
	;; [unrolled: 5-line block ×3, first 2 shown]
	v_mov_b32_e32 v15, 0
	v_lshrrev_b32_e32 v6, 16, v1
	v_and_b32_e32 v1, 0xffff, v1
	;;#ASMSTART
	v_cvt_f32_f16 v42, v1;
	;;#ASMEND
	;;#ASMSTART
	v_cvt_f32_f16 v43, v6;
	;;#ASMEND
	global_load_dwordx2 v[16:17], v[12:13], off offset:512
	v_mov_b32_e32 v1, 0
	global_load_dword v14, v1, s[14:15]
	s_waitcnt vmcnt(1)
	v_cmp_ne_u16_sdwa s[0:1], v16, v7 src0_sel:BYTE_0 src1_sel:DWORD
	s_and_saveexec_b64 s[16:17], s[0:1]
	s_cbranch_execz .LBB224_108
; %bb.103:                              ;   in Loop: Header=BB224_51 Depth=1
	v_cmp_ne_u16_sdwa s[0:1], v16, s28 src0_sel:BYTE_0 src1_sel:DWORD
	v_mov_b32_e32 v15, 0x8000
	s_and_saveexec_b64 s[18:19], s[0:1]
	s_cbranch_execz .LBB224_107
; %bb.104:                              ;   in Loop: Header=BB224_51 Depth=1
	v_and_b32_e32 v6, 0x7f, v16
	v_cmp_ne_u32_e64 s[0:1], s29, v6
	v_mov_b32_e32 v15, 0x7c01
	s_and_saveexec_b64 s[20:21], s[0:1]
	s_cbranch_execz .LBB224_106
; %bb.105:                              ;   in Loop: Header=BB224_51 Depth=1
	v_and_b32_e32 v15, 7, v16
	v_ffbh_u32_e32 v18, v15
	v_min_u32_e32 v21, 32, v18
	v_subrev_u32_e32 v18, 28, v21
	v_lshlrev_b64 v[18:19], v18, v[16:17]
	v_lshrrev_b32_e32 v20, 3, v6
	v_sub_u32_e32 v19, 29, v21
	v_cmp_gt_u32_e64 s[0:1], 8, v6
	v_and_b32_e32 v18, 7, v18
	s_nop 0
	v_cndmask_b32_e64 v6, v20, v19, s[0:1]
	v_lshl_add_u32 v6, v6, 10, v30
	v_lshlrev_b32_e32 v19, 8, v16
	v_and_b32_e32 v6, 0xfc00, v6
	v_cndmask_b32_e64 v15, v15, v18, s[0:1]
	v_and_or_b32 v6, v19, s30, v6
	v_lshl_or_b32 v15, v15, 7, v6
.LBB224_106:                            ;   in Loop: Header=BB224_51 Depth=1
	s_or_b64 exec, exec, s[20:21]
.LBB224_107:                            ;   in Loop: Header=BB224_51 Depth=1
	s_or_b64 exec, exec, s[18:19]
.LBB224_108:                            ;   in Loop: Header=BB224_51 Depth=1
	s_or_b64 exec, exec, s[16:17]
	v_lshrrev_b16_e32 v6, 8, v16
	v_cmp_ne_u16_e64 s[0:1], 0, v6
	s_and_saveexec_b64 s[16:17], s[0:1]
	s_cbranch_execz .LBB224_114
; %bb.109:                              ;   in Loop: Header=BB224_51 Depth=1
	v_cmp_ne_u16_e64 s[0:1], s28, v6
	v_bfrev_b32_e32 v1, 1
	s_and_saveexec_b64 s[18:19], s[0:1]
	s_cbranch_execz .LBB224_113
; %bb.110:                              ;   in Loop: Header=BB224_51 Depth=1
	v_and_b32_e32 v18, 0x7f, v6
	v_cmp_ne_u32_e64 s[0:1], s29, v18
	v_mov_b32_e32 v1, 0x7c010000
	s_and_saveexec_b64 s[20:21], s[0:1]
	s_cbranch_execz .LBB224_112
; %bb.111:                              ;   in Loop: Header=BB224_51 Depth=1
	v_and_b32_e32 v1, 7, v6
	v_ffbh_u32_e32 v20, v1
	v_min_u32_e32 v22, 32, v20
	v_subrev_u32_e32 v20, 28, v22
	v_lshlrev_b64 v[20:21], v20, v[6:7]
	v_lshrrev_b32_e32 v19, 3, v18
	v_sub_u32_e32 v21, 29, v22
	v_cmp_gt_u32_e64 s[0:1], 8, v18
	v_lshlrev_b32_e32 v6, 8, v6
	s_nop 0
	v_cndmask_b32_e64 v18, v19, v21, s[0:1]
	v_lshl_add_u32 v18, v18, 10, v30
	v_and_b32_e32 v19, 7, v20
	v_and_or_b32 v6, v6, s30, v18
	v_cndmask_b32_e64 v1, v1, v19, s[0:1]
	v_lshlrev_b32_e32 v6, 16, v6
	v_lshl_or_b32 v1, v1, 23, v6
.LBB224_112:                            ;   in Loop: Header=BB224_51 Depth=1
	s_or_b64 exec, exec, s[20:21]
.LBB224_113:                            ;   in Loop: Header=BB224_51 Depth=1
	s_or_b64 exec, exec, s[18:19]
.LBB224_114:                            ;   in Loop: Header=BB224_51 Depth=1
	s_or_b64 exec, exec, s[16:17]
	v_lshrrev_b32_e32 v6, 16, v16
	v_cmp_ne_u16_sdwa s[0:1], v6, v7 src0_sel:BYTE_0 src1_sel:DWORD
	v_mov_b32_e32 v19, 0
	v_mov_b32_e32 v18, 0
	s_and_saveexec_b64 s[16:17], s[0:1]
	s_cbranch_execz .LBB224_120
; %bb.115:                              ;   in Loop: Header=BB224_51 Depth=1
	v_cmp_ne_u16_sdwa s[0:1], v6, s28 src0_sel:BYTE_0 src1_sel:DWORD
	v_mov_b32_e32 v18, 0x8000
	s_and_saveexec_b64 s[18:19], s[0:1]
	s_cbranch_execz .LBB224_119
; %bb.116:                              ;   in Loop: Header=BB224_51 Depth=1
	v_bfe_u32 v20, v16, 16, 7
	v_cmp_ne_u32_e64 s[0:1], s29, v20
	v_mov_b32_e32 v18, 0x7c01
	s_and_saveexec_b64 s[20:21], s[0:1]
	s_cbranch_execz .LBB224_118
; %bb.117:                              ;   in Loop: Header=BB224_51 Depth=1
	v_and_b32_e32 v18, 7, v6
	v_ffbh_u32_e32 v22, v18
	v_min_u32_e32 v44, 32, v22
	v_subrev_u32_e32 v22, 28, v44
	v_lshlrev_b64 v[22:23], v22, v[6:7]
	v_lshrrev_b32_e32 v21, 3, v20
	v_sub_u32_e32 v23, 29, v44
	v_cmp_gt_u32_e64 s[0:1], 8, v20
	v_lshlrev_b32_e32 v6, 8, v6
	s_nop 0
	v_cndmask_b32_e64 v20, v21, v23, s[0:1]
	v_lshl_add_u32 v20, v20, 10, v30
	v_and_b32_e32 v21, 7, v22
	v_and_b32_e32 v20, 0xfc00, v20
	v_cndmask_b32_e64 v18, v18, v21, s[0:1]
	v_and_or_b32 v6, v6, s30, v20
	v_lshl_or_b32 v18, v18, 7, v6
.LBB224_118:                            ;   in Loop: Header=BB224_51 Depth=1
	s_or_b64 exec, exec, s[20:21]
.LBB224_119:                            ;   in Loop: Header=BB224_51 Depth=1
	s_or_b64 exec, exec, s[18:19]
.LBB224_120:                            ;   in Loop: Header=BB224_51 Depth=1
	s_or_b64 exec, exec, s[16:17]
	v_cmp_lt_u32_e64 s[0:1], s7, v16
	s_and_saveexec_b64 s[16:17], s[0:1]
	s_cbranch_execz .LBB224_126
; %bb.121:                              ;   in Loop: Header=BB224_51 Depth=1
	v_lshrrev_b32_e32 v6, 24, v16
	v_cmp_ne_u32_e64 s[0:1], s28, v6
	v_bfrev_b32_e32 v19, 1
	s_and_saveexec_b64 s[18:19], s[0:1]
	s_cbranch_execz .LBB224_125
; %bb.122:                              ;   in Loop: Header=BB224_51 Depth=1
	v_and_b32_e32 v20, 0x7f, v6
	v_cmp_ne_u32_e64 s[0:1], s29, v20
	v_mov_b32_e32 v19, 0x7c010000
	s_and_saveexec_b64 s[20:21], s[0:1]
	s_cbranch_execz .LBB224_124
; %bb.123:                              ;   in Loop: Header=BB224_51 Depth=1
	v_and_b32_e32 v19, 7, v6
	v_ffbh_u32_e32 v22, v19
	v_min_u32_e32 v44, 32, v22
	v_subrev_u32_e32 v22, 28, v44
	v_lshlrev_b64 v[22:23], v22, v[6:7]
	v_lshrrev_b32_e32 v21, 3, v20
	v_sub_u32_e32 v23, 29, v44
	v_cmp_gt_u32_e64 s[0:1], 8, v20
	v_lshlrev_b32_e32 v6, 8, v6
	s_nop 0
	v_cndmask_b32_e64 v20, v21, v23, s[0:1]
	v_lshl_add_u32 v20, v20, 10, v30
	v_and_b32_e32 v21, 7, v22
	v_and_or_b32 v6, v6, s30, v20
	v_cndmask_b32_e64 v19, v19, v21, s[0:1]
	v_lshlrev_b32_e32 v6, 16, v6
	v_lshl_or_b32 v19, v19, 23, v6
.LBB224_124:                            ;   in Loop: Header=BB224_51 Depth=1
	s_or_b64 exec, exec, s[20:21]
.LBB224_125:                            ;   in Loop: Header=BB224_51 Depth=1
	s_or_b64 exec, exec, s[18:19]
.LBB224_126:                            ;   in Loop: Header=BB224_51 Depth=1
	s_or_b64 exec, exec, s[16:17]
	v_mov_b32_e32 v6, v17
	v_cmp_ne_u16_sdwa s[0:1], v17, v7 src0_sel:BYTE_0 src1_sel:DWORD
	v_mov_b32_e32 v20, 0
	v_mov_b32_e32 v21, 0
	s_and_saveexec_b64 s[16:17], s[0:1]
	s_cbranch_execz .LBB224_132
; %bb.127:                              ;   in Loop: Header=BB224_51 Depth=1
	v_cmp_ne_u16_sdwa s[0:1], v17, s28 src0_sel:BYTE_0 src1_sel:DWORD
	v_mov_b32_e32 v21, 0x8000
	s_and_saveexec_b64 s[18:19], s[0:1]
	s_cbranch_execz .LBB224_131
; %bb.128:                              ;   in Loop: Header=BB224_51 Depth=1
	v_and_b32_e32 v22, 0x7f, v17
	v_cmp_ne_u32_e64 s[0:1], s29, v22
	v_mov_b32_e32 v21, 0x7c01
	s_and_saveexec_b64 s[20:21], s[0:1]
	s_cbranch_execz .LBB224_130
; %bb.129:                              ;   in Loop: Header=BB224_51 Depth=1
	v_and_b32_e32 v21, 7, v17
	v_ffbh_u32_e32 v44, v21
	v_min_u32_e32 v46, 32, v44
	v_subrev_u32_e32 v44, 28, v46
	v_lshlrev_b64 v[44:45], v44, v[6:7]
	v_lshrrev_b32_e32 v23, 3, v22
	v_sub_u32_e32 v45, 29, v46
	v_cmp_gt_u32_e64 s[0:1], 8, v22
	v_and_b32_e32 v44, 7, v44
	s_nop 0
	v_cndmask_b32_e64 v22, v23, v45, s[0:1]
	v_lshl_add_u32 v22, v22, 10, v30
	v_lshlrev_b32_e32 v23, 8, v17
	v_and_b32_e32 v22, 0xfc00, v22
	v_cndmask_b32_e64 v21, v21, v44, s[0:1]
	v_and_or_b32 v22, v23, s30, v22
	v_lshl_or_b32 v21, v21, 7, v22
.LBB224_130:                            ;   in Loop: Header=BB224_51 Depth=1
	s_or_b64 exec, exec, s[20:21]
.LBB224_131:                            ;   in Loop: Header=BB224_51 Depth=1
	s_or_b64 exec, exec, s[18:19]
.LBB224_132:                            ;   in Loop: Header=BB224_51 Depth=1
	s_or_b64 exec, exec, s[16:17]
	v_lshrrev_b16_e32 v6, 8, v6
	v_cmp_ne_u16_e64 s[0:1], 0, v6
	v_mov_b32_e32 v22, 0
	s_and_saveexec_b64 s[16:17], s[0:1]
	s_cbranch_execz .LBB224_138
; %bb.133:                              ;   in Loop: Header=BB224_51 Depth=1
	v_cmp_ne_u16_e64 s[0:1], s28, v6
	v_bfrev_b32_e32 v22, 1
	s_and_saveexec_b64 s[18:19], s[0:1]
	s_cbranch_execz .LBB224_137
; %bb.134:                              ;   in Loop: Header=BB224_51 Depth=1
	v_and_b32_e32 v23, 0x7f, v6
	v_cmp_ne_u32_e64 s[0:1], s29, v23
	v_mov_b32_e32 v22, 0x7c010000
	s_and_saveexec_b64 s[20:21], s[0:1]
	s_cbranch_execz .LBB224_136
; %bb.135:                              ;   in Loop: Header=BB224_51 Depth=1
	v_and_b32_e32 v22, 7, v6
	v_ffbh_u32_e32 v44, v22
	v_min_u32_e32 v47, 32, v44
	v_subrev_u32_e32 v44, 28, v47
	v_lshlrev_b64 v[44:45], v44, v[6:7]
	v_lshrrev_b32_e32 v46, 3, v23
	v_sub_u32_e32 v45, 29, v47
	v_cmp_gt_u32_e64 s[0:1], 8, v23
	v_lshlrev_b32_e32 v6, 8, v6
	v_and_b32_e32 v44, 7, v44
	v_cndmask_b32_e64 v23, v46, v45, s[0:1]
	v_lshl_add_u32 v23, v23, 10, v30
	v_and_or_b32 v6, v6, s30, v23
	v_cndmask_b32_e64 v22, v22, v44, s[0:1]
	v_lshlrev_b32_e32 v6, 16, v6
	v_lshl_or_b32 v22, v22, 23, v6
.LBB224_136:                            ;   in Loop: Header=BB224_51 Depth=1
	s_or_b64 exec, exec, s[20:21]
.LBB224_137:                            ;   in Loop: Header=BB224_51 Depth=1
	s_or_b64 exec, exec, s[18:19]
.LBB224_138:                            ;   in Loop: Header=BB224_51 Depth=1
	s_or_b64 exec, exec, s[16:17]
	v_lshrrev_b32_e32 v6, 16, v17
	v_cmp_ne_u16_sdwa s[0:1], v6, v7 src0_sel:BYTE_0 src1_sel:DWORD
	s_and_saveexec_b64 s[16:17], s[0:1]
	s_cbranch_execz .LBB224_144
; %bb.139:                              ;   in Loop: Header=BB224_51 Depth=1
	v_cmp_ne_u16_sdwa s[0:1], v6, s28 src0_sel:BYTE_0 src1_sel:DWORD
	v_mov_b32_e32 v20, 0x8000
	s_and_saveexec_b64 s[18:19], s[0:1]
	s_cbranch_execz .LBB224_143
; %bb.140:                              ;   in Loop: Header=BB224_51 Depth=1
	v_bfe_u32 v23, v17, 16, 7
	v_cmp_ne_u32_e64 s[0:1], s29, v23
	v_mov_b32_e32 v20, 0x7c01
	s_and_saveexec_b64 s[20:21], s[0:1]
	s_cbranch_execz .LBB224_142
; %bb.141:                              ;   in Loop: Header=BB224_51 Depth=1
	v_and_b32_e32 v20, 7, v6
	v_ffbh_u32_e32 v44, v20
	v_min_u32_e32 v47, 32, v44
	v_subrev_u32_e32 v44, 28, v47
	v_lshlrev_b64 v[44:45], v44, v[6:7]
	v_lshrrev_b32_e32 v46, 3, v23
	v_sub_u32_e32 v45, 29, v47
	v_cmp_gt_u32_e64 s[0:1], 8, v23
	v_lshlrev_b32_e32 v6, 8, v6
	v_and_b32_e32 v44, 7, v44
	v_cndmask_b32_e64 v23, v46, v45, s[0:1]
	v_lshl_add_u32 v23, v23, 10, v30
	v_and_b32_e32 v23, 0xfc00, v23
	v_cndmask_b32_e64 v20, v20, v44, s[0:1]
	v_and_or_b32 v6, v6, s30, v23
	v_lshl_or_b32 v20, v20, 7, v6
.LBB224_142:                            ;   in Loop: Header=BB224_51 Depth=1
	s_or_b64 exec, exec, s[20:21]
.LBB224_143:                            ;   in Loop: Header=BB224_51 Depth=1
	s_or_b64 exec, exec, s[18:19]
.LBB224_144:                            ;   in Loop: Header=BB224_51 Depth=1
	s_or_b64 exec, exec, s[16:17]
	v_cmp_lt_u64_e64 s[0:1], s[6:7], v[16:17]
	v_mov_b32_e32 v16, 0
	s_and_saveexec_b64 s[16:17], s[0:1]
	s_cbranch_execz .LBB224_150
; %bb.145:                              ;   in Loop: Header=BB224_51 Depth=1
	v_lshrrev_b32_e32 v6, 24, v17
	v_cmp_ne_u32_e64 s[0:1], s28, v6
	v_bfrev_b32_e32 v16, 1
	s_and_saveexec_b64 s[18:19], s[0:1]
	s_cbranch_execz .LBB224_149
; %bb.146:                              ;   in Loop: Header=BB224_51 Depth=1
	v_and_b32_e32 v17, 0x7f, v6
	v_cmp_ne_u32_e64 s[0:1], s29, v17
	v_mov_b32_e32 v16, 0x7c010000
	s_and_saveexec_b64 s[20:21], s[0:1]
	s_cbranch_execz .LBB224_148
; %bb.147:                              ;   in Loop: Header=BB224_51 Depth=1
	v_and_b32_e32 v16, 7, v6
	v_ffbh_u32_e32 v44, v16
	v_min_u32_e32 v46, 32, v44
	v_subrev_u32_e32 v44, 28, v46
	v_lshlrev_b64 v[44:45], v44, v[6:7]
	v_lshrrev_b32_e32 v23, 3, v17
	v_sub_u32_e32 v45, 29, v46
	v_cmp_gt_u32_e64 s[0:1], 8, v17
	v_lshlrev_b32_e32 v6, 8, v6
	s_nop 0
	v_cndmask_b32_e64 v17, v23, v45, s[0:1]
	v_lshl_add_u32 v17, v17, 10, v30
	v_and_b32_e32 v23, 7, v44
	v_and_or_b32 v6, v6, s30, v17
	v_cndmask_b32_e64 v16, v16, v23, s[0:1]
	v_lshlrev_b32_e32 v6, 16, v6
	v_lshl_or_b32 v16, v16, 23, v6
.LBB224_148:                            ;   in Loop: Header=BB224_51 Depth=1
	s_or_b64 exec, exec, s[20:21]
.LBB224_149:                            ;   in Loop: Header=BB224_51 Depth=1
	s_or_b64 exec, exec, s[18:19]
.LBB224_150:                            ;   in Loop: Header=BB224_51 Depth=1
	s_or_b64 exec, exec, s[16:17]
	v_cvt_f32_f16_sdwa v45, v1 dst_sel:DWORD dst_unused:UNUSED_PAD src0_sel:WORD_1
	v_cvt_f32_f16_sdwa v44, v19 dst_sel:DWORD dst_unused:UNUSED_PAD src0_sel:WORD_1
	v_or_b32_e32 v1, v1, v15
	v_or_b32_e32 v6, v19, v18
	;; [unrolled: 1-line block ×3, first 2 shown]
	s_waitcnt vmcnt(0)
	v_pk_mul_f32 v[18:19], v[14:15], v[44:45] op_sel_hi:[0,1]
	v_cvt_f32_f16_e32 v44, v6
	v_cvt_f32_f16_e32 v45, v1
	v_cvt_pk_f16_f32 v1, v18, v19
	v_and_b32_e32 v15, 0xffff0000, v1
	v_lshlrev_b32_e32 v6, 16, v1
	v_pk_mul_f32 v[18:19], v[14:15], v[44:45] op_sel_hi:[0,1]
	v_cvt_pk_f16_f32 v1, v18, v19
	v_or_b32_e32 v19, v22, v21
	v_cvt_f32_f16_e32 v20, v20
	v_cvt_f32_f16_e32 v21, v19
	v_cvt_f32_f16_sdwa v23, v22 dst_sel:DWORD dst_unused:UNUSED_PAD src0_sel:WORD_1
	v_cvt_f32_f16_sdwa v22, v16 dst_sel:DWORD dst_unused:UNUSED_PAD src0_sel:WORD_1
	v_lshrrev_b32_e32 v17, 16, v1
	v_pk_mul_f32 v[20:21], v[14:15], v[20:21] op_sel_hi:[0,1]
	v_cvt_pk_f16_f32 v44, v20, v21
	v_pk_mul_f32 v[20:21], v[14:15], v[22:23] op_sel_hi:[0,1]
	v_cvt_pk_f16_f32 v14, v20, v21
	v_and_b32_e32 v18, 0xffff, v1
	v_and_b32_e32 v19, 0xffff0000, v14
	v_lshlrev_b32_e32 v14, 16, v14
	v_lshrrev_b32_e32 v21, 16, v44
	v_and_b32_e32 v20, 0xffff, v44
	v_or_b32_e32 v1, v15, v17
	v_or_b32_e32 v16, v6, v18
	;; [unrolled: 1-line block ×4, first 2 shown]
	s_and_saveexec_b64 s[16:17], vcc
	s_cbranch_execz .LBB224_152
; %bb.151:                              ;   in Loop: Header=BB224_51 Depth=1
	v_cmp_gt_i32_e64 s[0:1], s38, v26
	s_nop 1
	v_cndmask_b32_e64 v1, 0, v17, s[0:1]
	v_cmp_gt_i32_e64 s[0:1], s33, v37
	s_nop 1
	v_cndmask_b32_e64 v16, 0, v18, s[0:1]
	;; [unrolled: 3-line block ×3, first 2 shown]
	v_cmp_gt_i32_e64 s[0:1], s33, v35
	v_or_b32_e32 v1, v15, v1
	s_nop 0
	v_cndmask_b32_e64 v6, 0, v6, s[0:1]
	v_cmp_gt_i32_e64 s[0:1], s38, v34
	v_or_b32_e32 v16, v6, v16
	s_nop 0
	v_cndmask_b32_e64 v6, 0, v21, s[0:1]
	v_cmp_gt_i32_e64 s[0:1], s33, v33
	s_nop 1
	v_cndmask_b32_e64 v15, 0, v20, s[0:1]
	v_cmp_gt_i32_e64 s[0:1], s38, v32
	;; [unrolled: 3-line block ×3, first 2 shown]
	v_or_b32_e32 v23, v17, v6
	s_nop 0
	v_cndmask_b32_e64 v14, 0, v14, s[0:1]
	v_or_b32_e32 v22, v14, v15
.LBB224_152:                            ;   in Loop: Header=BB224_51 Depth=1
	s_or_b64 exec, exec, s[16:17]
	;;#ASMSTART
	v_pk_mul_f16 v1, v41, v1;

	;;#ASMEND
	;;#ASMSTART
	v_pk_mul_f16 v6, v40, v16;

	;;#ASMEND
	;; [unrolled: 4-line block ×4, first 2 shown]
	s_nop 0
	;;#ASMSTART
	v_pk_add_f16 v1, v1, v6;

	;;#ASMEND
	s_nop 0
	;;#ASMSTART
	v_pk_add_f16 v1, v1, v14;

	;;#ASMEND
	;; [unrolled: 5-line block ×3, first 2 shown]
	v_mov_b32_e32 v15, 0
	v_lshrrev_b32_e32 v6, 16, v1
	v_and_b32_e32 v1, 0xffff, v1
	;;#ASMSTART
	v_cvt_f32_f16 v44, v1;
	;;#ASMEND
	;;#ASMSTART
	v_cvt_f32_f16 v45, v6;
	;;#ASMEND
	global_load_dwordx2 v[16:17], v[12:13], off offset:1024
	v_mov_b32_e32 v1, 0
	global_load_dword v14, v1, s[14:15]
	s_waitcnt vmcnt(1)
	v_cmp_ne_u16_sdwa s[0:1], v16, v7 src0_sel:BYTE_0 src1_sel:DWORD
	s_and_saveexec_b64 s[16:17], s[0:1]
	s_cbranch_execz .LBB224_158
; %bb.153:                              ;   in Loop: Header=BB224_51 Depth=1
	v_cmp_ne_u16_sdwa s[0:1], v16, s28 src0_sel:BYTE_0 src1_sel:DWORD
	v_mov_b32_e32 v15, 0x8000
	s_and_saveexec_b64 s[18:19], s[0:1]
	s_cbranch_execz .LBB224_157
; %bb.154:                              ;   in Loop: Header=BB224_51 Depth=1
	v_and_b32_e32 v6, 0x7f, v16
	v_cmp_ne_u32_e64 s[0:1], s29, v6
	v_mov_b32_e32 v15, 0x7c01
	s_and_saveexec_b64 s[20:21], s[0:1]
	s_cbranch_execz .LBB224_156
; %bb.155:                              ;   in Loop: Header=BB224_51 Depth=1
	v_and_b32_e32 v15, 7, v16
	v_ffbh_u32_e32 v18, v15
	v_min_u32_e32 v21, 32, v18
	v_subrev_u32_e32 v18, 28, v21
	v_lshlrev_b64 v[18:19], v18, v[16:17]
	v_lshrrev_b32_e32 v20, 3, v6
	v_sub_u32_e32 v19, 29, v21
	v_cmp_gt_u32_e64 s[0:1], 8, v6
	v_and_b32_e32 v18, 7, v18
	s_nop 0
	v_cndmask_b32_e64 v6, v20, v19, s[0:1]
	v_lshl_add_u32 v6, v6, 10, v30
	v_lshlrev_b32_e32 v19, 8, v16
	v_and_b32_e32 v6, 0xfc00, v6
	v_cndmask_b32_e64 v15, v15, v18, s[0:1]
	v_and_or_b32 v6, v19, s30, v6
	v_lshl_or_b32 v15, v15, 7, v6
.LBB224_156:                            ;   in Loop: Header=BB224_51 Depth=1
	s_or_b64 exec, exec, s[20:21]
.LBB224_157:                            ;   in Loop: Header=BB224_51 Depth=1
	s_or_b64 exec, exec, s[18:19]
.LBB224_158:                            ;   in Loop: Header=BB224_51 Depth=1
	s_or_b64 exec, exec, s[16:17]
	v_lshrrev_b16_e32 v6, 8, v16
	v_cmp_ne_u16_e64 s[0:1], 0, v6
	s_and_saveexec_b64 s[16:17], s[0:1]
	s_cbranch_execz .LBB224_164
; %bb.159:                              ;   in Loop: Header=BB224_51 Depth=1
	v_cmp_ne_u16_e64 s[0:1], s28, v6
	v_bfrev_b32_e32 v1, 1
	s_and_saveexec_b64 s[18:19], s[0:1]
	s_cbranch_execz .LBB224_163
; %bb.160:                              ;   in Loop: Header=BB224_51 Depth=1
	v_and_b32_e32 v18, 0x7f, v6
	v_cmp_ne_u32_e64 s[0:1], s29, v18
	v_mov_b32_e32 v1, 0x7c010000
	s_and_saveexec_b64 s[20:21], s[0:1]
	s_cbranch_execz .LBB224_162
; %bb.161:                              ;   in Loop: Header=BB224_51 Depth=1
	v_and_b32_e32 v1, 7, v6
	v_ffbh_u32_e32 v20, v1
	v_min_u32_e32 v22, 32, v20
	v_subrev_u32_e32 v20, 28, v22
	v_lshlrev_b64 v[20:21], v20, v[6:7]
	v_lshrrev_b32_e32 v19, 3, v18
	v_sub_u32_e32 v21, 29, v22
	v_cmp_gt_u32_e64 s[0:1], 8, v18
	v_lshlrev_b32_e32 v6, 8, v6
	s_nop 0
	v_cndmask_b32_e64 v18, v19, v21, s[0:1]
	v_lshl_add_u32 v18, v18, 10, v30
	v_and_b32_e32 v19, 7, v20
	v_and_or_b32 v6, v6, s30, v18
	v_cndmask_b32_e64 v1, v1, v19, s[0:1]
	v_lshlrev_b32_e32 v6, 16, v6
	v_lshl_or_b32 v1, v1, 23, v6
.LBB224_162:                            ;   in Loop: Header=BB224_51 Depth=1
	s_or_b64 exec, exec, s[20:21]
.LBB224_163:                            ;   in Loop: Header=BB224_51 Depth=1
	s_or_b64 exec, exec, s[18:19]
.LBB224_164:                            ;   in Loop: Header=BB224_51 Depth=1
	s_or_b64 exec, exec, s[16:17]
	v_lshrrev_b32_e32 v6, 16, v16
	v_cmp_ne_u16_sdwa s[0:1], v6, v7 src0_sel:BYTE_0 src1_sel:DWORD
	v_mov_b32_e32 v19, 0
	v_mov_b32_e32 v18, 0
	s_and_saveexec_b64 s[16:17], s[0:1]
	s_cbranch_execz .LBB224_170
; %bb.165:                              ;   in Loop: Header=BB224_51 Depth=1
	v_cmp_ne_u16_sdwa s[0:1], v6, s28 src0_sel:BYTE_0 src1_sel:DWORD
	v_mov_b32_e32 v18, 0x8000
	s_and_saveexec_b64 s[18:19], s[0:1]
	s_cbranch_execz .LBB224_169
; %bb.166:                              ;   in Loop: Header=BB224_51 Depth=1
	v_bfe_u32 v20, v16, 16, 7
	v_cmp_ne_u32_e64 s[0:1], s29, v20
	v_mov_b32_e32 v18, 0x7c01
	s_and_saveexec_b64 s[20:21], s[0:1]
	s_cbranch_execz .LBB224_168
; %bb.167:                              ;   in Loop: Header=BB224_51 Depth=1
	v_and_b32_e32 v18, 7, v6
	v_ffbh_u32_e32 v22, v18
	v_min_u32_e32 v46, 32, v22
	v_subrev_u32_e32 v22, 28, v46
	v_lshlrev_b64 v[22:23], v22, v[6:7]
	v_lshrrev_b32_e32 v21, 3, v20
	v_sub_u32_e32 v23, 29, v46
	v_cmp_gt_u32_e64 s[0:1], 8, v20
	v_lshlrev_b32_e32 v6, 8, v6
	s_nop 0
	v_cndmask_b32_e64 v20, v21, v23, s[0:1]
	v_lshl_add_u32 v20, v20, 10, v30
	v_and_b32_e32 v21, 7, v22
	v_and_b32_e32 v20, 0xfc00, v20
	v_cndmask_b32_e64 v18, v18, v21, s[0:1]
	v_and_or_b32 v6, v6, s30, v20
	v_lshl_or_b32 v18, v18, 7, v6
.LBB224_168:                            ;   in Loop: Header=BB224_51 Depth=1
	s_or_b64 exec, exec, s[20:21]
.LBB224_169:                            ;   in Loop: Header=BB224_51 Depth=1
	s_or_b64 exec, exec, s[18:19]
.LBB224_170:                            ;   in Loop: Header=BB224_51 Depth=1
	s_or_b64 exec, exec, s[16:17]
	v_cmp_lt_u32_e64 s[0:1], s7, v16
	s_and_saveexec_b64 s[16:17], s[0:1]
	s_cbranch_execz .LBB224_176
; %bb.171:                              ;   in Loop: Header=BB224_51 Depth=1
	v_lshrrev_b32_e32 v6, 24, v16
	v_cmp_ne_u32_e64 s[0:1], s28, v6
	v_bfrev_b32_e32 v19, 1
	s_and_saveexec_b64 s[18:19], s[0:1]
	s_cbranch_execz .LBB224_175
; %bb.172:                              ;   in Loop: Header=BB224_51 Depth=1
	v_and_b32_e32 v20, 0x7f, v6
	v_cmp_ne_u32_e64 s[0:1], s29, v20
	v_mov_b32_e32 v19, 0x7c010000
	s_and_saveexec_b64 s[20:21], s[0:1]
	s_cbranch_execz .LBB224_174
; %bb.173:                              ;   in Loop: Header=BB224_51 Depth=1
	v_and_b32_e32 v19, 7, v6
	v_ffbh_u32_e32 v22, v19
	v_min_u32_e32 v46, 32, v22
	v_subrev_u32_e32 v22, 28, v46
	v_lshlrev_b64 v[22:23], v22, v[6:7]
	v_lshrrev_b32_e32 v21, 3, v20
	v_sub_u32_e32 v23, 29, v46
	v_cmp_gt_u32_e64 s[0:1], 8, v20
	v_lshlrev_b32_e32 v6, 8, v6
	s_nop 0
	v_cndmask_b32_e64 v20, v21, v23, s[0:1]
	v_lshl_add_u32 v20, v20, 10, v30
	v_and_b32_e32 v21, 7, v22
	v_and_or_b32 v6, v6, s30, v20
	v_cndmask_b32_e64 v19, v19, v21, s[0:1]
	v_lshlrev_b32_e32 v6, 16, v6
	v_lshl_or_b32 v19, v19, 23, v6
.LBB224_174:                            ;   in Loop: Header=BB224_51 Depth=1
	s_or_b64 exec, exec, s[20:21]
.LBB224_175:                            ;   in Loop: Header=BB224_51 Depth=1
	s_or_b64 exec, exec, s[18:19]
.LBB224_176:                            ;   in Loop: Header=BB224_51 Depth=1
	s_or_b64 exec, exec, s[16:17]
	v_mov_b32_e32 v6, v17
	v_cmp_ne_u16_sdwa s[0:1], v17, v7 src0_sel:BYTE_0 src1_sel:DWORD
	v_mov_b32_e32 v20, 0
	v_mov_b32_e32 v21, 0
	s_and_saveexec_b64 s[16:17], s[0:1]
	s_cbranch_execz .LBB224_182
; %bb.177:                              ;   in Loop: Header=BB224_51 Depth=1
	v_cmp_ne_u16_sdwa s[0:1], v17, s28 src0_sel:BYTE_0 src1_sel:DWORD
	v_mov_b32_e32 v21, 0x8000
	s_and_saveexec_b64 s[18:19], s[0:1]
	s_cbranch_execz .LBB224_181
; %bb.178:                              ;   in Loop: Header=BB224_51 Depth=1
	v_and_b32_e32 v22, 0x7f, v17
	v_cmp_ne_u32_e64 s[0:1], s29, v22
	v_mov_b32_e32 v21, 0x7c01
	s_and_saveexec_b64 s[20:21], s[0:1]
	s_cbranch_execz .LBB224_180
; %bb.179:                              ;   in Loop: Header=BB224_51 Depth=1
	v_and_b32_e32 v21, 7, v17
	v_ffbh_u32_e32 v46, v21
	v_min_u32_e32 v48, 32, v46
	v_subrev_u32_e32 v46, 28, v48
	v_lshlrev_b64 v[46:47], v46, v[6:7]
	v_lshrrev_b32_e32 v23, 3, v22
	v_sub_u32_e32 v47, 29, v48
	v_cmp_gt_u32_e64 s[0:1], 8, v22
	v_and_b32_e32 v46, 7, v46
	s_nop 0
	v_cndmask_b32_e64 v22, v23, v47, s[0:1]
	v_lshl_add_u32 v22, v22, 10, v30
	v_lshlrev_b32_e32 v23, 8, v17
	v_and_b32_e32 v22, 0xfc00, v22
	v_cndmask_b32_e64 v21, v21, v46, s[0:1]
	v_and_or_b32 v22, v23, s30, v22
	v_lshl_or_b32 v21, v21, 7, v22
.LBB224_180:                            ;   in Loop: Header=BB224_51 Depth=1
	s_or_b64 exec, exec, s[20:21]
.LBB224_181:                            ;   in Loop: Header=BB224_51 Depth=1
	s_or_b64 exec, exec, s[18:19]
.LBB224_182:                            ;   in Loop: Header=BB224_51 Depth=1
	s_or_b64 exec, exec, s[16:17]
	v_lshrrev_b16_e32 v6, 8, v6
	v_cmp_ne_u16_e64 s[0:1], 0, v6
	v_mov_b32_e32 v22, 0
	s_and_saveexec_b64 s[16:17], s[0:1]
	s_cbranch_execz .LBB224_188
; %bb.183:                              ;   in Loop: Header=BB224_51 Depth=1
	v_cmp_ne_u16_e64 s[0:1], s28, v6
	v_bfrev_b32_e32 v22, 1
	s_and_saveexec_b64 s[18:19], s[0:1]
	s_cbranch_execz .LBB224_187
; %bb.184:                              ;   in Loop: Header=BB224_51 Depth=1
	v_and_b32_e32 v23, 0x7f, v6
	v_cmp_ne_u32_e64 s[0:1], s29, v23
	v_mov_b32_e32 v22, 0x7c010000
	s_and_saveexec_b64 s[20:21], s[0:1]
	s_cbranch_execz .LBB224_186
; %bb.185:                              ;   in Loop: Header=BB224_51 Depth=1
	v_and_b32_e32 v22, 7, v6
	v_ffbh_u32_e32 v46, v22
	v_min_u32_e32 v49, 32, v46
	v_subrev_u32_e32 v46, 28, v49
	v_lshlrev_b64 v[46:47], v46, v[6:7]
	v_lshrrev_b32_e32 v48, 3, v23
	v_sub_u32_e32 v47, 29, v49
	v_cmp_gt_u32_e64 s[0:1], 8, v23
	v_lshlrev_b32_e32 v6, 8, v6
	v_and_b32_e32 v46, 7, v46
	v_cndmask_b32_e64 v23, v48, v47, s[0:1]
	v_lshl_add_u32 v23, v23, 10, v30
	v_and_or_b32 v6, v6, s30, v23
	v_cndmask_b32_e64 v22, v22, v46, s[0:1]
	v_lshlrev_b32_e32 v6, 16, v6
	v_lshl_or_b32 v22, v22, 23, v6
.LBB224_186:                            ;   in Loop: Header=BB224_51 Depth=1
	s_or_b64 exec, exec, s[20:21]
.LBB224_187:                            ;   in Loop: Header=BB224_51 Depth=1
	s_or_b64 exec, exec, s[18:19]
.LBB224_188:                            ;   in Loop: Header=BB224_51 Depth=1
	s_or_b64 exec, exec, s[16:17]
	v_lshrrev_b32_e32 v6, 16, v17
	v_cmp_ne_u16_sdwa s[0:1], v6, v7 src0_sel:BYTE_0 src1_sel:DWORD
	s_and_saveexec_b64 s[16:17], s[0:1]
	s_cbranch_execz .LBB224_194
; %bb.189:                              ;   in Loop: Header=BB224_51 Depth=1
	v_cmp_ne_u16_sdwa s[0:1], v6, s28 src0_sel:BYTE_0 src1_sel:DWORD
	v_mov_b32_e32 v20, 0x8000
	s_and_saveexec_b64 s[18:19], s[0:1]
	s_cbranch_execz .LBB224_193
; %bb.190:                              ;   in Loop: Header=BB224_51 Depth=1
	v_bfe_u32 v23, v17, 16, 7
	v_cmp_ne_u32_e64 s[0:1], s29, v23
	v_mov_b32_e32 v20, 0x7c01
	s_and_saveexec_b64 s[20:21], s[0:1]
	s_cbranch_execz .LBB224_192
; %bb.191:                              ;   in Loop: Header=BB224_51 Depth=1
	v_and_b32_e32 v20, 7, v6
	v_ffbh_u32_e32 v46, v20
	v_min_u32_e32 v49, 32, v46
	v_subrev_u32_e32 v46, 28, v49
	v_lshlrev_b64 v[46:47], v46, v[6:7]
	v_lshrrev_b32_e32 v48, 3, v23
	v_sub_u32_e32 v47, 29, v49
	v_cmp_gt_u32_e64 s[0:1], 8, v23
	v_lshlrev_b32_e32 v6, 8, v6
	v_and_b32_e32 v46, 7, v46
	v_cndmask_b32_e64 v23, v48, v47, s[0:1]
	v_lshl_add_u32 v23, v23, 10, v30
	v_and_b32_e32 v23, 0xfc00, v23
	v_cndmask_b32_e64 v20, v20, v46, s[0:1]
	v_and_or_b32 v6, v6, s30, v23
	v_lshl_or_b32 v20, v20, 7, v6
.LBB224_192:                            ;   in Loop: Header=BB224_51 Depth=1
	s_or_b64 exec, exec, s[20:21]
.LBB224_193:                            ;   in Loop: Header=BB224_51 Depth=1
	s_or_b64 exec, exec, s[18:19]
.LBB224_194:                            ;   in Loop: Header=BB224_51 Depth=1
	s_or_b64 exec, exec, s[16:17]
	v_cmp_lt_u64_e64 s[0:1], s[6:7], v[16:17]
	v_mov_b32_e32 v16, 0
	s_and_saveexec_b64 s[16:17], s[0:1]
	s_cbranch_execz .LBB224_200
; %bb.195:                              ;   in Loop: Header=BB224_51 Depth=1
	v_lshrrev_b32_e32 v6, 24, v17
	v_cmp_ne_u32_e64 s[0:1], s28, v6
	v_bfrev_b32_e32 v16, 1
	s_and_saveexec_b64 s[18:19], s[0:1]
	s_cbranch_execz .LBB224_199
; %bb.196:                              ;   in Loop: Header=BB224_51 Depth=1
	v_and_b32_e32 v17, 0x7f, v6
	v_cmp_ne_u32_e64 s[0:1], s29, v17
	v_mov_b32_e32 v16, 0x7c010000
	s_and_saveexec_b64 s[20:21], s[0:1]
	s_cbranch_execz .LBB224_198
; %bb.197:                              ;   in Loop: Header=BB224_51 Depth=1
	v_and_b32_e32 v16, 7, v6
	v_ffbh_u32_e32 v46, v16
	v_min_u32_e32 v48, 32, v46
	v_subrev_u32_e32 v46, 28, v48
	v_lshlrev_b64 v[46:47], v46, v[6:7]
	v_lshrrev_b32_e32 v23, 3, v17
	v_sub_u32_e32 v47, 29, v48
	v_cmp_gt_u32_e64 s[0:1], 8, v17
	v_lshlrev_b32_e32 v6, 8, v6
	s_nop 0
	v_cndmask_b32_e64 v17, v23, v47, s[0:1]
	v_lshl_add_u32 v17, v17, 10, v30
	v_and_b32_e32 v23, 7, v46
	v_and_or_b32 v6, v6, s30, v17
	v_cndmask_b32_e64 v16, v16, v23, s[0:1]
	v_lshlrev_b32_e32 v6, 16, v6
	v_lshl_or_b32 v16, v16, 23, v6
.LBB224_198:                            ;   in Loop: Header=BB224_51 Depth=1
	s_or_b64 exec, exec, s[20:21]
.LBB224_199:                            ;   in Loop: Header=BB224_51 Depth=1
	s_or_b64 exec, exec, s[18:19]
.LBB224_200:                            ;   in Loop: Header=BB224_51 Depth=1
	s_or_b64 exec, exec, s[16:17]
	v_cvt_f32_f16_sdwa v47, v1 dst_sel:DWORD dst_unused:UNUSED_PAD src0_sel:WORD_1
	v_cvt_f32_f16_sdwa v46, v19 dst_sel:DWORD dst_unused:UNUSED_PAD src0_sel:WORD_1
	v_or_b32_e32 v1, v1, v15
	v_or_b32_e32 v6, v19, v18
	;; [unrolled: 1-line block ×3, first 2 shown]
	s_waitcnt vmcnt(0)
	v_pk_mul_f32 v[18:19], v[14:15], v[46:47] op_sel_hi:[0,1]
	v_cvt_f32_f16_e32 v46, v6
	v_cvt_f32_f16_e32 v47, v1
	v_cvt_pk_f16_f32 v1, v18, v19
	v_and_b32_e32 v15, 0xffff0000, v1
	v_lshlrev_b32_e32 v6, 16, v1
	v_pk_mul_f32 v[18:19], v[14:15], v[46:47] op_sel_hi:[0,1]
	v_cvt_pk_f16_f32 v1, v18, v19
	v_or_b32_e32 v19, v22, v21
	v_cvt_f32_f16_e32 v20, v20
	v_cvt_f32_f16_e32 v21, v19
	v_cvt_f32_f16_sdwa v23, v22 dst_sel:DWORD dst_unused:UNUSED_PAD src0_sel:WORD_1
	v_cvt_f32_f16_sdwa v22, v16 dst_sel:DWORD dst_unused:UNUSED_PAD src0_sel:WORD_1
	v_lshrrev_b32_e32 v17, 16, v1
	v_pk_mul_f32 v[20:21], v[14:15], v[20:21] op_sel_hi:[0,1]
	v_cvt_pk_f16_f32 v46, v20, v21
	v_pk_mul_f32 v[20:21], v[14:15], v[22:23] op_sel_hi:[0,1]
	v_cvt_pk_f16_f32 v14, v20, v21
	v_and_b32_e32 v18, 0xffff, v1
	v_and_b32_e32 v19, 0xffff0000, v14
	v_lshlrev_b32_e32 v14, 16, v14
	v_lshrrev_b32_e32 v21, 16, v46
	v_and_b32_e32 v20, 0xffff, v46
	v_or_b32_e32 v1, v15, v17
	v_or_b32_e32 v16, v6, v18
	;; [unrolled: 1-line block ×4, first 2 shown]
	s_and_saveexec_b64 s[16:17], vcc
	s_cbranch_execz .LBB224_202
; %bb.201:                              ;   in Loop: Header=BB224_51 Depth=1
	v_cmp_gt_i32_e64 s[0:1], s38, v26
	s_nop 1
	v_cndmask_b32_e64 v1, 0, v17, s[0:1]
	v_cmp_gt_i32_e64 s[0:1], s33, v37
	s_nop 1
	v_cndmask_b32_e64 v16, 0, v18, s[0:1]
	;; [unrolled: 3-line block ×3, first 2 shown]
	v_cmp_gt_i32_e64 s[0:1], s33, v35
	v_or_b32_e32 v1, v15, v1
	s_nop 0
	v_cndmask_b32_e64 v6, 0, v6, s[0:1]
	v_cmp_gt_i32_e64 s[0:1], s38, v34
	v_or_b32_e32 v16, v6, v16
	s_nop 0
	v_cndmask_b32_e64 v6, 0, v21, s[0:1]
	v_cmp_gt_i32_e64 s[0:1], s33, v33
	s_nop 1
	v_cndmask_b32_e64 v15, 0, v20, s[0:1]
	v_cmp_gt_i32_e64 s[0:1], s38, v32
	;; [unrolled: 3-line block ×3, first 2 shown]
	v_or_b32_e32 v23, v17, v6
	s_nop 0
	v_cndmask_b32_e64 v14, 0, v14, s[0:1]
	v_or_b32_e32 v22, v14, v15
.LBB224_202:                            ;   in Loop: Header=BB224_51 Depth=1
	s_or_b64 exec, exec, s[16:17]
	;;#ASMSTART
	v_pk_mul_f16 v1, v41, v1;

	;;#ASMEND
	;;#ASMSTART
	v_pk_mul_f16 v6, v40, v16;

	;;#ASMEND
	;; [unrolled: 4-line block ×4, first 2 shown]
	s_nop 0
	;;#ASMSTART
	v_pk_add_f16 v1, v1, v6;

	;;#ASMEND
	s_nop 0
	;;#ASMSTART
	v_pk_add_f16 v1, v1, v14;

	;;#ASMEND
	;; [unrolled: 5-line block ×3, first 2 shown]
	s_nop 0
	v_lshrrev_b32_e32 v6, 16, v1
	v_and_b32_e32 v1, 0xffff, v1
	;;#ASMSTART
	v_cvt_f32_f16 v22, v1;
	;;#ASMEND
	;;#ASMSTART
	v_cvt_f32_f16 v23, v6;
	;;#ASMEND
	global_load_dwordx2 v[14:15], v[12:13], off offset:1536
	v_mov_b32_e32 v1, 0
	global_load_dword v12, v1, s[14:15]
	v_mov_b32_e32 v13, 0
	s_waitcnt vmcnt(1)
	v_cmp_ne_u16_sdwa s[0:1], v14, v7 src0_sel:BYTE_0 src1_sel:DWORD
	s_and_saveexec_b64 s[16:17], s[0:1]
	s_cbranch_execz .LBB224_208
; %bb.203:                              ;   in Loop: Header=BB224_51 Depth=1
	v_cmp_ne_u16_sdwa s[0:1], v14, s28 src0_sel:BYTE_0 src1_sel:DWORD
	v_mov_b32_e32 v13, 0x8000
	s_and_saveexec_b64 s[18:19], s[0:1]
	s_cbranch_execz .LBB224_207
; %bb.204:                              ;   in Loop: Header=BB224_51 Depth=1
	v_and_b32_e32 v6, 0x7f, v14
	v_cmp_ne_u32_e64 s[0:1], s29, v6
	v_mov_b32_e32 v13, 0x7c01
	s_and_saveexec_b64 s[20:21], s[0:1]
	s_cbranch_execz .LBB224_206
; %bb.205:                              ;   in Loop: Header=BB224_51 Depth=1
	v_and_b32_e32 v13, 7, v14
	v_ffbh_u32_e32 v16, v13
	v_min_u32_e32 v19, 32, v16
	v_subrev_u32_e32 v16, 28, v19
	v_lshlrev_b64 v[16:17], v16, v[14:15]
	v_lshrrev_b32_e32 v18, 3, v6
	v_sub_u32_e32 v17, 29, v19
	v_cmp_gt_u32_e64 s[0:1], 8, v6
	v_and_b32_e32 v16, 7, v16
	s_nop 0
	v_cndmask_b32_e64 v6, v18, v17, s[0:1]
	v_lshl_add_u32 v6, v6, 10, v30
	v_lshlrev_b32_e32 v17, 8, v14
	v_and_b32_e32 v6, 0xfc00, v6
	v_cndmask_b32_e64 v13, v13, v16, s[0:1]
	v_and_or_b32 v6, v17, s30, v6
	v_lshl_or_b32 v13, v13, 7, v6
.LBB224_206:                            ;   in Loop: Header=BB224_51 Depth=1
	s_or_b64 exec, exec, s[20:21]
.LBB224_207:                            ;   in Loop: Header=BB224_51 Depth=1
	s_or_b64 exec, exec, s[18:19]
.LBB224_208:                            ;   in Loop: Header=BB224_51 Depth=1
	s_or_b64 exec, exec, s[16:17]
	v_lshrrev_b16_e32 v6, 8, v14
	v_cmp_ne_u16_e64 s[0:1], 0, v6
	s_and_saveexec_b64 s[16:17], s[0:1]
	s_cbranch_execz .LBB224_214
; %bb.209:                              ;   in Loop: Header=BB224_51 Depth=1
	v_cmp_ne_u16_e64 s[0:1], s28, v6
	v_bfrev_b32_e32 v1, 1
	s_and_saveexec_b64 s[18:19], s[0:1]
	s_cbranch_execz .LBB224_213
; %bb.210:                              ;   in Loop: Header=BB224_51 Depth=1
	v_and_b32_e32 v16, 0x7f, v6
	v_cmp_ne_u32_e64 s[0:1], s29, v16
	v_mov_b32_e32 v1, 0x7c010000
	s_and_saveexec_b64 s[20:21], s[0:1]
	s_cbranch_execz .LBB224_212
; %bb.211:                              ;   in Loop: Header=BB224_51 Depth=1
	v_and_b32_e32 v1, 7, v6
	v_ffbh_u32_e32 v18, v1
	v_min_u32_e32 v20, 32, v18
	v_subrev_u32_e32 v18, 28, v20
	v_lshlrev_b64 v[18:19], v18, v[6:7]
	v_lshrrev_b32_e32 v17, 3, v16
	v_sub_u32_e32 v19, 29, v20
	v_cmp_gt_u32_e64 s[0:1], 8, v16
	v_lshlrev_b32_e32 v6, 8, v6
	s_nop 0
	v_cndmask_b32_e64 v16, v17, v19, s[0:1]
	v_lshl_add_u32 v16, v16, 10, v30
	v_and_b32_e32 v17, 7, v18
	v_and_or_b32 v6, v6, s30, v16
	v_cndmask_b32_e64 v1, v1, v17, s[0:1]
	v_lshlrev_b32_e32 v6, 16, v6
	v_lshl_or_b32 v1, v1, 23, v6
.LBB224_212:                            ;   in Loop: Header=BB224_51 Depth=1
	s_or_b64 exec, exec, s[20:21]
.LBB224_213:                            ;   in Loop: Header=BB224_51 Depth=1
	s_or_b64 exec, exec, s[18:19]
.LBB224_214:                            ;   in Loop: Header=BB224_51 Depth=1
	s_or_b64 exec, exec, s[16:17]
	v_lshrrev_b32_e32 v6, 16, v14
	v_cmp_ne_u16_sdwa s[0:1], v6, v7 src0_sel:BYTE_0 src1_sel:DWORD
	v_mov_b32_e32 v17, 0
	v_mov_b32_e32 v16, 0
	s_and_saveexec_b64 s[16:17], s[0:1]
	s_cbranch_execz .LBB224_220
; %bb.215:                              ;   in Loop: Header=BB224_51 Depth=1
	v_cmp_ne_u16_sdwa s[0:1], v6, s28 src0_sel:BYTE_0 src1_sel:DWORD
	v_mov_b32_e32 v16, 0x8000
	s_and_saveexec_b64 s[18:19], s[0:1]
	s_cbranch_execz .LBB224_219
; %bb.216:                              ;   in Loop: Header=BB224_51 Depth=1
	v_bfe_u32 v18, v14, 16, 7
	v_cmp_ne_u32_e64 s[0:1], s29, v18
	v_mov_b32_e32 v16, 0x7c01
	s_and_saveexec_b64 s[20:21], s[0:1]
	s_cbranch_execz .LBB224_218
; %bb.217:                              ;   in Loop: Header=BB224_51 Depth=1
	v_and_b32_e32 v16, 7, v6
	v_ffbh_u32_e32 v20, v16
	v_min_u32_e32 v46, 32, v20
	v_subrev_u32_e32 v20, 28, v46
	v_lshlrev_b64 v[20:21], v20, v[6:7]
	v_lshrrev_b32_e32 v19, 3, v18
	v_sub_u32_e32 v21, 29, v46
	v_cmp_gt_u32_e64 s[0:1], 8, v18
	v_lshlrev_b32_e32 v6, 8, v6
	s_nop 0
	v_cndmask_b32_e64 v18, v19, v21, s[0:1]
	v_lshl_add_u32 v18, v18, 10, v30
	v_and_b32_e32 v19, 7, v20
	v_and_b32_e32 v18, 0xfc00, v18
	v_cndmask_b32_e64 v16, v16, v19, s[0:1]
	v_and_or_b32 v6, v6, s30, v18
	v_lshl_or_b32 v16, v16, 7, v6
.LBB224_218:                            ;   in Loop: Header=BB224_51 Depth=1
	s_or_b64 exec, exec, s[20:21]
.LBB224_219:                            ;   in Loop: Header=BB224_51 Depth=1
	s_or_b64 exec, exec, s[18:19]
.LBB224_220:                            ;   in Loop: Header=BB224_51 Depth=1
	s_or_b64 exec, exec, s[16:17]
	v_cmp_lt_u32_e64 s[0:1], s7, v14
	s_and_saveexec_b64 s[16:17], s[0:1]
	s_cbranch_execz .LBB224_226
; %bb.221:                              ;   in Loop: Header=BB224_51 Depth=1
	v_lshrrev_b32_e32 v6, 24, v14
	v_cmp_ne_u32_e64 s[0:1], s28, v6
	v_bfrev_b32_e32 v17, 1
	s_and_saveexec_b64 s[18:19], s[0:1]
	s_cbranch_execz .LBB224_225
; %bb.222:                              ;   in Loop: Header=BB224_51 Depth=1
	v_and_b32_e32 v18, 0x7f, v6
	v_cmp_ne_u32_e64 s[0:1], s29, v18
	v_mov_b32_e32 v17, 0x7c010000
	s_and_saveexec_b64 s[20:21], s[0:1]
	s_cbranch_execz .LBB224_224
; %bb.223:                              ;   in Loop: Header=BB224_51 Depth=1
	v_and_b32_e32 v17, 7, v6
	v_ffbh_u32_e32 v20, v17
	v_min_u32_e32 v46, 32, v20
	v_subrev_u32_e32 v20, 28, v46
	v_lshlrev_b64 v[20:21], v20, v[6:7]
	v_lshrrev_b32_e32 v19, 3, v18
	v_sub_u32_e32 v21, 29, v46
	v_cmp_gt_u32_e64 s[0:1], 8, v18
	v_lshlrev_b32_e32 v6, 8, v6
	s_nop 0
	v_cndmask_b32_e64 v18, v19, v21, s[0:1]
	v_lshl_add_u32 v18, v18, 10, v30
	v_and_b32_e32 v19, 7, v20
	v_and_or_b32 v6, v6, s30, v18
	v_cndmask_b32_e64 v17, v17, v19, s[0:1]
	v_lshlrev_b32_e32 v6, 16, v6
	v_lshl_or_b32 v17, v17, 23, v6
.LBB224_224:                            ;   in Loop: Header=BB224_51 Depth=1
	s_or_b64 exec, exec, s[20:21]
.LBB224_225:                            ;   in Loop: Header=BB224_51 Depth=1
	s_or_b64 exec, exec, s[18:19]
.LBB224_226:                            ;   in Loop: Header=BB224_51 Depth=1
	s_or_b64 exec, exec, s[16:17]
	v_mov_b32_e32 v6, v15
	v_cmp_ne_u16_sdwa s[0:1], v15, v7 src0_sel:BYTE_0 src1_sel:DWORD
	v_mov_b32_e32 v18, 0
	v_mov_b32_e32 v19, 0
	s_and_saveexec_b64 s[16:17], s[0:1]
	s_cbranch_execz .LBB224_232
; %bb.227:                              ;   in Loop: Header=BB224_51 Depth=1
	v_cmp_ne_u16_sdwa s[0:1], v15, s28 src0_sel:BYTE_0 src1_sel:DWORD
	v_mov_b32_e32 v19, 0x8000
	s_and_saveexec_b64 s[18:19], s[0:1]
	s_cbranch_execz .LBB224_231
; %bb.228:                              ;   in Loop: Header=BB224_51 Depth=1
	v_and_b32_e32 v20, 0x7f, v15
	v_cmp_ne_u32_e64 s[0:1], s29, v20
	v_mov_b32_e32 v19, 0x7c01
	s_and_saveexec_b64 s[20:21], s[0:1]
	s_cbranch_execz .LBB224_230
; %bb.229:                              ;   in Loop: Header=BB224_51 Depth=1
	v_and_b32_e32 v19, 7, v15
	v_ffbh_u32_e32 v46, v19
	v_min_u32_e32 v48, 32, v46
	v_subrev_u32_e32 v46, 28, v48
	v_lshlrev_b64 v[46:47], v46, v[6:7]
	v_lshrrev_b32_e32 v21, 3, v20
	v_sub_u32_e32 v47, 29, v48
	v_cmp_gt_u32_e64 s[0:1], 8, v20
	v_and_b32_e32 v46, 7, v46
	s_nop 0
	v_cndmask_b32_e64 v20, v21, v47, s[0:1]
	v_lshl_add_u32 v20, v20, 10, v30
	v_lshlrev_b32_e32 v21, 8, v15
	v_and_b32_e32 v20, 0xfc00, v20
	v_cndmask_b32_e64 v19, v19, v46, s[0:1]
	v_and_or_b32 v20, v21, s30, v20
	v_lshl_or_b32 v19, v19, 7, v20
.LBB224_230:                            ;   in Loop: Header=BB224_51 Depth=1
	s_or_b64 exec, exec, s[20:21]
.LBB224_231:                            ;   in Loop: Header=BB224_51 Depth=1
	s_or_b64 exec, exec, s[18:19]
.LBB224_232:                            ;   in Loop: Header=BB224_51 Depth=1
	s_or_b64 exec, exec, s[16:17]
	v_lshrrev_b16_e32 v6, 8, v6
	v_cmp_ne_u16_e64 s[0:1], 0, v6
	v_mov_b32_e32 v20, 0
	s_and_saveexec_b64 s[16:17], s[0:1]
	s_cbranch_execz .LBB224_238
; %bb.233:                              ;   in Loop: Header=BB224_51 Depth=1
	v_cmp_ne_u16_e64 s[0:1], s28, v6
	v_bfrev_b32_e32 v20, 1
	s_and_saveexec_b64 s[18:19], s[0:1]
	s_cbranch_execz .LBB224_237
; %bb.234:                              ;   in Loop: Header=BB224_51 Depth=1
	v_and_b32_e32 v21, 0x7f, v6
	v_cmp_ne_u32_e64 s[0:1], s29, v21
	v_mov_b32_e32 v20, 0x7c010000
	s_and_saveexec_b64 s[20:21], s[0:1]
	s_cbranch_execz .LBB224_236
; %bb.235:                              ;   in Loop: Header=BB224_51 Depth=1
	v_and_b32_e32 v20, 7, v6
	v_ffbh_u32_e32 v46, v20
	v_min_u32_e32 v49, 32, v46
	v_subrev_u32_e32 v46, 28, v49
	v_lshlrev_b64 v[46:47], v46, v[6:7]
	v_lshrrev_b32_e32 v48, 3, v21
	v_sub_u32_e32 v47, 29, v49
	v_cmp_gt_u32_e64 s[0:1], 8, v21
	v_lshlrev_b32_e32 v6, 8, v6
	v_and_b32_e32 v46, 7, v46
	v_cndmask_b32_e64 v21, v48, v47, s[0:1]
	v_lshl_add_u32 v21, v21, 10, v30
	v_and_or_b32 v6, v6, s30, v21
	v_cndmask_b32_e64 v20, v20, v46, s[0:1]
	v_lshlrev_b32_e32 v6, 16, v6
	v_lshl_or_b32 v20, v20, 23, v6
.LBB224_236:                            ;   in Loop: Header=BB224_51 Depth=1
	s_or_b64 exec, exec, s[20:21]
.LBB224_237:                            ;   in Loop: Header=BB224_51 Depth=1
	s_or_b64 exec, exec, s[18:19]
.LBB224_238:                            ;   in Loop: Header=BB224_51 Depth=1
	s_or_b64 exec, exec, s[16:17]
	v_lshrrev_b32_e32 v6, 16, v15
	v_cmp_ne_u16_sdwa s[0:1], v6, v7 src0_sel:BYTE_0 src1_sel:DWORD
	s_and_saveexec_b64 s[16:17], s[0:1]
	s_cbranch_execz .LBB224_244
; %bb.239:                              ;   in Loop: Header=BB224_51 Depth=1
	v_cmp_ne_u16_sdwa s[0:1], v6, s28 src0_sel:BYTE_0 src1_sel:DWORD
	v_mov_b32_e32 v18, 0x8000
	s_and_saveexec_b64 s[18:19], s[0:1]
	s_cbranch_execz .LBB224_243
; %bb.240:                              ;   in Loop: Header=BB224_51 Depth=1
	v_bfe_u32 v21, v15, 16, 7
	v_cmp_ne_u32_e64 s[0:1], s29, v21
	v_mov_b32_e32 v18, 0x7c01
	s_and_saveexec_b64 s[20:21], s[0:1]
	s_cbranch_execz .LBB224_242
; %bb.241:                              ;   in Loop: Header=BB224_51 Depth=1
	v_and_b32_e32 v18, 7, v6
	v_ffbh_u32_e32 v46, v18
	v_min_u32_e32 v49, 32, v46
	v_subrev_u32_e32 v46, 28, v49
	v_lshlrev_b64 v[46:47], v46, v[6:7]
	v_lshrrev_b32_e32 v48, 3, v21
	v_sub_u32_e32 v47, 29, v49
	v_cmp_gt_u32_e64 s[0:1], 8, v21
	v_lshlrev_b32_e32 v6, 8, v6
	v_and_b32_e32 v46, 7, v46
	v_cndmask_b32_e64 v21, v48, v47, s[0:1]
	v_lshl_add_u32 v21, v21, 10, v30
	v_and_b32_e32 v21, 0xfc00, v21
	v_cndmask_b32_e64 v18, v18, v46, s[0:1]
	v_and_or_b32 v6, v6, s30, v21
	v_lshl_or_b32 v18, v18, 7, v6
.LBB224_242:                            ;   in Loop: Header=BB224_51 Depth=1
	s_or_b64 exec, exec, s[20:21]
.LBB224_243:                            ;   in Loop: Header=BB224_51 Depth=1
	s_or_b64 exec, exec, s[18:19]
.LBB224_244:                            ;   in Loop: Header=BB224_51 Depth=1
	s_or_b64 exec, exec, s[16:17]
	v_cmp_lt_u64_e64 s[0:1], s[6:7], v[14:15]
	v_mov_b32_e32 v21, 0
	s_and_saveexec_b64 s[16:17], s[0:1]
	s_cbranch_execz .LBB224_250
; %bb.245:                              ;   in Loop: Header=BB224_51 Depth=1
	v_lshrrev_b32_e32 v6, 24, v15
	v_cmp_ne_u32_e64 s[0:1], s28, v6
	v_bfrev_b32_e32 v21, 1
	s_and_saveexec_b64 s[18:19], s[0:1]
	s_cbranch_execz .LBB224_249
; %bb.246:                              ;   in Loop: Header=BB224_51 Depth=1
	v_and_b32_e32 v14, 0x7f, v6
	v_cmp_ne_u32_e64 s[0:1], s29, v14
	v_mov_b32_e32 v21, 0x7c010000
	s_and_saveexec_b64 s[20:21], s[0:1]
	s_cbranch_execz .LBB224_248
; %bb.247:                              ;   in Loop: Header=BB224_51 Depth=1
	v_and_b32_e32 v15, 7, v6
	v_ffbh_u32_e32 v46, v15
	v_min_u32_e32 v48, 32, v46
	v_subrev_u32_e32 v46, 28, v48
	v_lshlrev_b64 v[46:47], v46, v[6:7]
	v_lshrrev_b32_e32 v21, 3, v14
	v_sub_u32_e32 v47, 29, v48
	v_cmp_gt_u32_e64 s[0:1], 8, v14
	v_lshlrev_b32_e32 v6, 8, v6
	s_nop 0
	v_cndmask_b32_e64 v14, v21, v47, s[0:1]
	v_lshl_add_u32 v14, v14, 10, v30
	v_and_b32_e32 v21, 7, v46
	v_and_or_b32 v6, v6, s30, v14
	v_cndmask_b32_e64 v15, v15, v21, s[0:1]
	v_lshlrev_b32_e32 v6, 16, v6
	v_lshl_or_b32 v21, v15, 23, v6
.LBB224_248:                            ;   in Loop: Header=BB224_51 Depth=1
	s_or_b64 exec, exec, s[20:21]
.LBB224_249:                            ;   in Loop: Header=BB224_51 Depth=1
	s_or_b64 exec, exec, s[18:19]
.LBB224_250:                            ;   in Loop: Header=BB224_51 Depth=1
	s_or_b64 exec, exec, s[16:17]
	v_cvt_f32_f16_sdwa v15, v1 dst_sel:DWORD dst_unused:UNUSED_PAD src0_sel:WORD_1
	v_cvt_f32_f16_sdwa v14, v17 dst_sel:DWORD dst_unused:UNUSED_PAD src0_sel:WORD_1
	v_or_b32_e32 v1, v1, v13
	v_or_b32_e32 v6, v17, v16
	v_cvt_f32_f16_e32 v16, v6
	v_cvt_f32_f16_e32 v17, v1
	s_waitcnt vmcnt(0)
	v_pk_mul_f32 v[14:15], v[12:13], v[14:15] op_sel_hi:[0,1]
	v_cvt_pk_f16_f32 v1, v14, v15
	v_and_b32_e32 v13, 0xffff0000, v1
	v_pk_mul_f32 v[16:17], v[12:13], v[16:17] op_sel_hi:[0,1]
	v_lshlrev_b32_e32 v14, 16, v1
	v_cvt_pk_f16_f32 v1, v16, v17
	v_or_b32_e32 v6, v20, v19
	v_or_b32_e32 v17, v21, v18
	v_cvt_f32_f16_e32 v18, v17
	v_cvt_f32_f16_e32 v19, v6
	v_cvt_f32_f16_sdwa v47, v20 dst_sel:DWORD dst_unused:UNUSED_PAD src0_sel:WORD_1
	v_cvt_f32_f16_sdwa v46, v21 dst_sel:DWORD dst_unused:UNUSED_PAD src0_sel:WORD_1
	v_lshrrev_b32_e32 v15, 16, v1
	v_pk_mul_f32 v[18:19], v[12:13], v[18:19] op_sel_hi:[0,1]
	v_cvt_pk_f16_f32 v20, v18, v19
	v_pk_mul_f32 v[18:19], v[12:13], v[46:47] op_sel_hi:[0,1]
	v_cvt_pk_f16_f32 v12, v18, v19
	v_and_b32_e32 v16, 0xffff, v1
	v_and_b32_e32 v17, 0xffff0000, v12
	v_lshlrev_b32_e32 v12, 16, v12
	v_lshrrev_b32_e32 v21, 16, v20
	v_and_b32_e32 v20, 0xffff, v20
	v_or_b32_e32 v1, v13, v15
	v_or_b32_e32 v6, v14, v16
	;; [unrolled: 1-line block ×4, first 2 shown]
	s_and_saveexec_b64 s[0:1], vcc
	s_cbranch_execz .LBB224_49
; %bb.251:                              ;   in Loop: Header=BB224_51 Depth=1
	v_cmp_gt_i32_e32 vcc, s38, v26
	s_nop 1
	v_cndmask_b32_e32 v1, 0, v15, vcc
	v_cmp_gt_i32_e32 vcc, s33, v37
	s_nop 1
	v_cndmask_b32_e32 v6, 0, v16, vcc
	;; [unrolled: 3-line block ×3, first 2 shown]
	v_cmp_gt_i32_e32 vcc, s33, v35
	v_or_b32_e32 v1, v13, v1
	s_nop 0
	v_cndmask_b32_e32 v14, 0, v14, vcc
	v_cmp_gt_i32_e32 vcc, s38, v34
	v_or_b32_e32 v6, v14, v6
	s_nop 0
	v_cndmask_b32_e32 v13, 0, v21, vcc
	v_cmp_gt_i32_e32 vcc, s33, v33
	s_nop 1
	v_cndmask_b32_e32 v14, 0, v20, vcc
	v_cmp_gt_i32_e32 vcc, s38, v32
	;; [unrolled: 3-line block ×3, first 2 shown]
	v_or_b32_e32 v19, v15, v13
	s_nop 0
	v_cndmask_b32_e32 v12, 0, v12, vcc
	v_or_b32_e32 v18, v12, v14
	s_branch .LBB224_49
.LBB224_252:
	s_or_b64 exec, exec, s[8:9]
.LBB224_253:
	s_or_b64 exec, exec, s[2:3]
	v_and_b32_e32 v1, 0x3c0, v0
	v_cmp_eq_u32_e32 vcc, 64, v1
	s_barrier
	s_and_saveexec_b64 s[0:1], vcc
	s_cbranch_execz .LBB224_255
; %bb.254:
	v_mov_b32_e32 v1, 0x210
	v_lshl_add_u32 v1, v27, 2, v1
	ds_write2st64_b32 v1, v4, v5 offset1:1
	ds_write2st64_b32 v1, v2, v3 offset0:2 offset1:3
.LBB224_255:
	s_or_b64 exec, exec, s[0:1]
	v_cmp_gt_u32_e32 vcc, 64, v0
	s_waitcnt lgkmcnt(0)
	s_barrier
	s_and_saveexec_b64 s[0:1], vcc
	s_cbranch_execz .LBB224_257
; %bb.256:
	v_mov_b32_e32 v1, 0x210
	v_lshl_add_u32 v6, v0, 2, v1
	ds_read2st64_b32 v[0:1], v6 offset1:1
	ds_read2st64_b32 v[6:7], v6 offset0:2 offset1:3
	s_waitcnt lgkmcnt(1)
	v_pk_add_f32 v[4:5], v[4:5], v[0:1]
	s_waitcnt lgkmcnt(0)
	v_pk_add_f32 v[2:3], v[2:3], v[6:7]
.LBB224_257:
	s_or_b64 exec, exec, s[0:1]
	s_barrier
	s_and_saveexec_b64 s[0:1], vcc
	s_cbranch_execz .LBB224_259
; %bb.258:
	s_mul_i32 s0, s10, s11
	s_mul_i32 s0, s0, s5
	s_lshl_b32 s0, s0, 8
	s_ashr_i32 s1, s0, 31
	s_lshl_b64 s[0:1], s[0:1], 1
	s_add_u32 s2, s26, s0
	s_mul_i32 s0, s11, s24
	s_addc_u32 s3, s27, s1
	s_ashr_i32 s1, s0, 31
	s_lshl_b64 s[0:1], s[0:1], 1
	s_add_u32 s2, s2, s0
	s_addc_u32 s3, s3, s1
	s_lshl_b32 s0, s4, 8
	s_ashr_i32 s1, s0, 31
	s_lshl_b64 s[0:1], s[0:1], 1
	s_add_u32 s0, s2, s0
	s_addc_u32 s1, s3, s1
	;;#ASMSTART
	v_cvt_f16_f32 v0, v4;

	;;#ASMEND
	global_store_short v24, v0, s[0:1]
	;;#ASMSTART
	v_cvt_f16_f32 v0, v5;

	;;#ASMEND
	global_store_short v24, v0, s[0:1] offset:128
	;;#ASMSTART
	v_cvt_f16_f32 v0, v2;

	;;#ASMEND
	global_store_short v24, v0, s[0:1] offset:256
	;; [unrolled: 5-line block ×3, first 2 shown]
.LBB224_259:
	s_endpgm
	.section	.rodata,"a",@progbits
	.p2align	6, 0x0
	.amdhsa_kernel _ZN4vllm25paged_attention_v1_kernelIthLi256ELi8ELi128ELNS_18Fp8KVCacheDataTypeE1ELb1EEEvPT_PKS2_PKT0_S8_ifPKiSA_iPKfiiiSC_SC_iiiii
		.amdhsa_group_segment_fixed_size 528
		.amdhsa_private_segment_fixed_size 0
		.amdhsa_kernarg_size 384
		.amdhsa_user_sgpr_count 2
		.amdhsa_user_sgpr_dispatch_ptr 0
		.amdhsa_user_sgpr_queue_ptr 0
		.amdhsa_user_sgpr_kernarg_segment_ptr 1
		.amdhsa_user_sgpr_dispatch_id 0
		.amdhsa_user_sgpr_kernarg_preload_length 0
		.amdhsa_user_sgpr_kernarg_preload_offset 0
		.amdhsa_user_sgpr_private_segment_size 0
		.amdhsa_uses_dynamic_stack 0
		.amdhsa_enable_private_segment 0
		.amdhsa_system_sgpr_workgroup_id_x 1
		.amdhsa_system_sgpr_workgroup_id_y 1
		.amdhsa_system_sgpr_workgroup_id_z 1
		.amdhsa_system_sgpr_workgroup_info 0
		.amdhsa_system_vgpr_workitem_id 0
		.amdhsa_next_free_vgpr 84
		.amdhsa_next_free_sgpr 48
		.amdhsa_accum_offset 84
		.amdhsa_reserve_vcc 1
		.amdhsa_float_round_mode_32 0
		.amdhsa_float_round_mode_16_64 0
		.amdhsa_float_denorm_mode_32 3
		.amdhsa_float_denorm_mode_16_64 3
		.amdhsa_dx10_clamp 1
		.amdhsa_ieee_mode 1
		.amdhsa_fp16_overflow 0
		.amdhsa_tg_split 0
		.amdhsa_exception_fp_ieee_invalid_op 0
		.amdhsa_exception_fp_denorm_src 0
		.amdhsa_exception_fp_ieee_div_zero 0
		.amdhsa_exception_fp_ieee_overflow 0
		.amdhsa_exception_fp_ieee_underflow 0
		.amdhsa_exception_fp_ieee_inexact 0
		.amdhsa_exception_int_div_zero 0
	.end_amdhsa_kernel
	.section	.text._ZN4vllm25paged_attention_v1_kernelIthLi256ELi8ELi128ELNS_18Fp8KVCacheDataTypeE1ELb1EEEvPT_PKS2_PKT0_S8_ifPKiSA_iPKfiiiSC_SC_iiiii,"axG",@progbits,_ZN4vllm25paged_attention_v1_kernelIthLi256ELi8ELi128ELNS_18Fp8KVCacheDataTypeE1ELb1EEEvPT_PKS2_PKT0_S8_ifPKiSA_iPKfiiiSC_SC_iiiii,comdat
.Lfunc_end224:
	.size	_ZN4vllm25paged_attention_v1_kernelIthLi256ELi8ELi128ELNS_18Fp8KVCacheDataTypeE1ELb1EEEvPT_PKS2_PKT0_S8_ifPKiSA_iPKfiiiSC_SC_iiiii, .Lfunc_end224-_ZN4vllm25paged_attention_v1_kernelIthLi256ELi8ELi128ELNS_18Fp8KVCacheDataTypeE1ELb1EEEvPT_PKS2_PKT0_S8_ifPKiSA_iPKfiiiSC_SC_iiiii
                                        ; -- End function
	.set _ZN4vllm25paged_attention_v1_kernelIthLi256ELi8ELi128ELNS_18Fp8KVCacheDataTypeE1ELb1EEEvPT_PKS2_PKT0_S8_ifPKiSA_iPKfiiiSC_SC_iiiii.num_vgpr, 84
	.set _ZN4vllm25paged_attention_v1_kernelIthLi256ELi8ELi128ELNS_18Fp8KVCacheDataTypeE1ELb1EEEvPT_PKS2_PKT0_S8_ifPKiSA_iPKfiiiSC_SC_iiiii.num_agpr, 0
	.set _ZN4vllm25paged_attention_v1_kernelIthLi256ELi8ELi128ELNS_18Fp8KVCacheDataTypeE1ELb1EEEvPT_PKS2_PKT0_S8_ifPKiSA_iPKfiiiSC_SC_iiiii.numbered_sgpr, 48
	.set _ZN4vllm25paged_attention_v1_kernelIthLi256ELi8ELi128ELNS_18Fp8KVCacheDataTypeE1ELb1EEEvPT_PKS2_PKT0_S8_ifPKiSA_iPKfiiiSC_SC_iiiii.num_named_barrier, 0
	.set _ZN4vllm25paged_attention_v1_kernelIthLi256ELi8ELi128ELNS_18Fp8KVCacheDataTypeE1ELb1EEEvPT_PKS2_PKT0_S8_ifPKiSA_iPKfiiiSC_SC_iiiii.private_seg_size, 0
	.set _ZN4vllm25paged_attention_v1_kernelIthLi256ELi8ELi128ELNS_18Fp8KVCacheDataTypeE1ELb1EEEvPT_PKS2_PKT0_S8_ifPKiSA_iPKfiiiSC_SC_iiiii.uses_vcc, 1
	.set _ZN4vllm25paged_attention_v1_kernelIthLi256ELi8ELi128ELNS_18Fp8KVCacheDataTypeE1ELb1EEEvPT_PKS2_PKT0_S8_ifPKiSA_iPKfiiiSC_SC_iiiii.uses_flat_scratch, 0
	.set _ZN4vllm25paged_attention_v1_kernelIthLi256ELi8ELi128ELNS_18Fp8KVCacheDataTypeE1ELb1EEEvPT_PKS2_PKT0_S8_ifPKiSA_iPKfiiiSC_SC_iiiii.has_dyn_sized_stack, 0
	.set _ZN4vllm25paged_attention_v1_kernelIthLi256ELi8ELi128ELNS_18Fp8KVCacheDataTypeE1ELb1EEEvPT_PKS2_PKT0_S8_ifPKiSA_iPKfiiiSC_SC_iiiii.has_recursion, 0
	.set _ZN4vllm25paged_attention_v1_kernelIthLi256ELi8ELi128ELNS_18Fp8KVCacheDataTypeE1ELb1EEEvPT_PKS2_PKT0_S8_ifPKiSA_iPKfiiiSC_SC_iiiii.has_indirect_call, 0
	.section	.AMDGPU.csdata,"",@progbits
; Kernel info:
; codeLenInByte = 14588
; TotalNumSgprs: 54
; NumVgprs: 84
; NumAgprs: 0
; TotalNumVgprs: 84
; ScratchSize: 0
; MemoryBound: 0
; FloatMode: 240
; IeeeMode: 1
; LDSByteSize: 528 bytes/workgroup (compile time only)
; SGPRBlocks: 6
; VGPRBlocks: 10
; NumSGPRsForWavesPerEU: 54
; NumVGPRsForWavesPerEU: 84
; AccumOffset: 84
; Occupancy: 5
; WaveLimiterHint : 1
; COMPUTE_PGM_RSRC2:SCRATCH_EN: 0
; COMPUTE_PGM_RSRC2:USER_SGPR: 2
; COMPUTE_PGM_RSRC2:TRAP_HANDLER: 0
; COMPUTE_PGM_RSRC2:TGID_X_EN: 1
; COMPUTE_PGM_RSRC2:TGID_Y_EN: 1
; COMPUTE_PGM_RSRC2:TGID_Z_EN: 1
; COMPUTE_PGM_RSRC2:TIDIG_COMP_CNT: 0
; COMPUTE_PGM_RSRC3_GFX90A:ACCUM_OFFSET: 20
; COMPUTE_PGM_RSRC3_GFX90A:TG_SPLIT: 0
	.section	.text._ZN4vllm25paged_attention_v1_kernelIthLi32ELi8ELi128ELNS_18Fp8KVCacheDataTypeE1ELb0EEEvPT_PKS2_PKT0_S8_ifPKiSA_iPKfiiiSC_SC_iiiii,"axG",@progbits,_ZN4vllm25paged_attention_v1_kernelIthLi32ELi8ELi128ELNS_18Fp8KVCacheDataTypeE1ELb0EEEvPT_PKS2_PKT0_S8_ifPKiSA_iPKfiiiSC_SC_iiiii,comdat
	.protected	_ZN4vllm25paged_attention_v1_kernelIthLi32ELi8ELi128ELNS_18Fp8KVCacheDataTypeE1ELb0EEEvPT_PKS2_PKT0_S8_ifPKiSA_iPKfiiiSC_SC_iiiii ; -- Begin function _ZN4vllm25paged_attention_v1_kernelIthLi32ELi8ELi128ELNS_18Fp8KVCacheDataTypeE1ELb0EEEvPT_PKS2_PKT0_S8_ifPKiSA_iPKfiiiSC_SC_iiiii
	.globl	_ZN4vllm25paged_attention_v1_kernelIthLi32ELi8ELi128ELNS_18Fp8KVCacheDataTypeE1ELb0EEEvPT_PKS2_PKT0_S8_ifPKiSA_iPKfiiiSC_SC_iiiii
	.p2align	8
	.type	_ZN4vllm25paged_attention_v1_kernelIthLi32ELi8ELi128ELNS_18Fp8KVCacheDataTypeE1ELb0EEEvPT_PKS2_PKT0_S8_ifPKiSA_iPKfiiiSC_SC_iiiii,@function
_ZN4vllm25paged_attention_v1_kernelIthLi32ELi8ELi128ELNS_18Fp8KVCacheDataTypeE1ELb0EEEvPT_PKS2_PKT0_S8_ifPKiSA_iPKfiiiSC_SC_iiiii: ; @_ZN4vllm25paged_attention_v1_kernelIthLi32ELi8ELi128ELNS_18Fp8KVCacheDataTypeE1ELb0EEEvPT_PKS2_PKT0_S8_ifPKiSA_iPKfiiiSC_SC_iiiii
; %bb.0:
	s_load_dword s5, s[0:1], 0x80
	s_load_dwordx2 s[6:7], s[0:1], 0x30
	s_load_dwordx2 s[28:29], s[0:1], 0x20
	s_mov_b32 s16, s3
	s_ashr_i32 s17, s3, 31
	s_lshl_b64 s[8:9], s[16:17], 2
	s_waitcnt lgkmcnt(0)
	s_add_u32 s6, s6, s8
	s_addc_u32 s7, s7, s9
	s_abs_i32 s3, s28
	v_cvt_f32_u32_e32 v1, s3
	s_sub_i32 s10, 0, s3
	s_abs_i32 s9, s5
	s_xor_b32 s8, s5, s28
	v_rcp_iflag_f32_e32 v1, v1
	s_ashr_i32 s8, s8, 31
	s_mov_b32 s28, 0
	v_mul_f32_e32 v1, 0x4f7ffffe, v1
	v_cvt_u32_f32_e32 v1, v1
	s_nop 0
	v_readfirstlane_b32 s11, v1
	s_mul_i32 s10, s10, s11
	s_mul_hi_u32 s10, s11, s10
	s_add_i32 s11, s11, s10
	s_mul_hi_u32 s10, s9, s11
	s_mul_i32 s11, s10, s3
	s_sub_i32 s9, s9, s11
	s_add_i32 s11, s10, 1
	s_sub_i32 s12, s9, s3
	s_cmp_ge_u32 s9, s3
	s_cselect_b32 s10, s11, s10
	s_cselect_b32 s9, s12, s9
	s_add_i32 s11, s10, 1
	s_cmp_ge_u32 s9, s3
	s_cselect_b32 s3, s11, s10
	s_xor_b32 s3, s3, s8
	s_sub_i32 s18, s3, s8
	s_abs_i32 s10, s18
	v_cvt_f32_u32_e32 v1, s10
	s_load_dwordx2 s[8:9], s[0:1], 0x40
	s_sub_i32 s3, 0, s10
	s_abs_i32 s11, s2
	v_rcp_iflag_f32_e32 v1, v1
	s_nop 0
	v_mul_f32_e32 v1, 0x4f7ffffe, v1
	v_cvt_u32_f32_e32 v1, v1
	s_nop 0
	v_readfirstlane_b32 s12, v1
	s_mul_i32 s3, s3, s12
	s_mul_hi_u32 s3, s12, s3
	s_add_i32 s12, s12, s3
	s_waitcnt lgkmcnt(0)
	s_cmp_eq_u64 s[8:9], 0
	s_mul_hi_u32 s20, s11, s12
	s_cbranch_scc1 .LBB225_2
; %bb.1:
	s_ashr_i32 s3, s2, 31
	s_lshl_b64 s[12:13], s[2:3], 2
	s_add_u32 s8, s8, s12
	s_addc_u32 s9, s9, s13
	s_load_dword s28, s[8:9], 0x0
.LBB225_2:
	s_load_dword s17, s[6:7], 0x0
	s_load_dwordx4 s[12:15], s[0:1], 0x48
	s_ashr_i32 s6, s2, 31
	s_ashr_i32 s7, s18, 31
	v_and_b32_e32 v4, 7, v0
	s_lshl_b32 s18, s2, 5
	v_cmp_gt_u32_e32 vcc, 32, v0
	s_and_saveexec_b64 s[2:3], vcc
	s_cbranch_execz .LBB225_4
; %bb.3:
	s_load_dwordx2 s[8:9], s[0:1], 0x8
	s_waitcnt lgkmcnt(0)
	s_mul_i32 s22, s12, s16
	s_ashr_i32 s23, s22, 31
	s_lshl_b64 s[22:23], s[22:23], 1
	v_lshlrev_b32_e32 v1, 1, v0
	s_add_u32 s12, s8, s22
	s_addc_u32 s15, s9, s23
	s_ashr_i32 s19, s18, 31
	s_lshl_b64 s[8:9], s[18:19], 1
	s_add_u32 s8, s12, s8
	s_addc_u32 s9, s15, s9
	global_load_ushort v1, v1, s[8:9]
	v_lshrrev_b32_e32 v2, 2, v0
	v_and_b32_e32 v2, 0xfe, v2
	v_lshl_add_u32 v2, v4, 3, v2
	s_waitcnt vmcnt(0)
	ds_write_b16 v2, v1
.LBB225_4:
	s_or_b64 exec, exec, s[2:3]
	s_waitcnt lgkmcnt(0)
	s_add_i32 s3, s17, 7
	s_ashr_i32 s8, s3, 31
	s_lshr_b32 s8, s8, 29
	s_add_i32 s3, s3, s8
	s_ashr_i32 s33, s3, 3
	s_xor_b32 s3, s6, s7
	s_mul_i32 s6, s20, s10
	s_sub_i32 s6, s11, s6
	s_add_i32 s7, s20, 1
	s_sub_i32 s8, s6, s10
	s_load_dwordx2 s[22:23], s[0:1], 0x28
	s_load_dword s2, s[0:1], 0x38
	s_cmp_ge_u32 s6, s10
	s_cselect_b32 s7, s7, s20
	s_cselect_b32 s6, s8, s6
	s_add_i32 s8, s7, 1
	s_cmp_ge_u32 s6, s10
	s_cselect_b32 s6, s8, s7
	v_lshrrev_b32_e32 v18, 6, v0
	s_xor_b32 s6, s6, s3
	s_waitcnt lgkmcnt(0)
	s_mul_i32 s24, s2, s16
	s_sub_i32 s12, s6, s3
	s_ashr_i32 s25, s24, 31
	v_cmp_gt_i32_e64 s[2:3], s33, v18
	v_cmp_le_i32_e32 vcc, s33, v18
	v_mbcnt_lo_u32_b32 v14, -1, 0
	s_barrier
                                        ; implicit-def: $vgpr2
                                        ; implicit-def: $vgpr9
                                        ; implicit-def: $vgpr8
	s_and_saveexec_b64 s[6:7], vcc
	s_xor_b64 s[6:7], exec, s[6:7]
; %bb.5:
	v_mbcnt_hi_u32_b32 v2, -1, v14
	v_and_b32_e32 v9, 64, v2
	v_add_u32_e32 v8, 64, v9
                                        ; implicit-def: $vgpr4
                                        ; implicit-def: $vgpr14
; %bb.6:
	s_or_saveexec_b64 s[30:31], s[6:7]
	s_load_dwordx2 s[20:21], s[0:1], 0x0
	s_load_dwordx2 s[26:27], s[0:1], 0x18
	s_load_dword s19, s[0:1], 0x88
	s_load_dwordx4 s[8:11], s[0:1], 0x58
	v_mov_b32_e32 v10, 0xff7fffff
	s_mul_i32 s12, s12, s14
	v_lshrrev_b32_e32 v1, 4, v0
	s_xor_b64 exec, exec, s[30:31]
	s_cbranch_execz .LBB225_12
; %bb.7:
	s_load_dwordx2 s[0:1], s[0:1], 0x10
	s_ashr_i32 s6, s12, 31
	v_bfe_u32 v8, v0, 3, 3
	v_lshlrev_b32_e32 v2, 4, v8
	v_mov_b32_e32 v3, 0
	s_waitcnt lgkmcnt(0)
	s_add_u32 s0, s0, s12
	s_addc_u32 s1, s1, s6
	v_lshl_add_u64 v[6:7], s[0:1], 0, v[2:3]
	s_sub_i32 s37, 1, s17
	v_lshlrev_b32_e32 v2, 2, v8
	s_lshl_b64 s[6:7], s[24:25], 2
	v_lshl_or_b32 v2, v18, 5, v2
	s_add_u32 s6, s22, s6
	v_mov_b32_e32 v5, v3
	v_add_u32_e32 v13, 0x50, v2
	v_and_b32_e32 v2, 60, v1
	s_addc_u32 s7, s23, s7
	v_lshlrev_b32_e32 v11, 3, v4
	v_cmp_eq_u32_e32 vcc, 0, v4
	v_lshl_add_u64 v[4:5], v[6:7], 0, v[4:5]
	v_lshl_add_u64 v[6:7], s[6:7], 0, v[2:3]
	v_mbcnt_hi_u32_b32 v2, -1, v14
	v_and_b32_e32 v9, 64, v2
	s_mov_b32 s36, s13
	v_cmp_neq_f32_e64 s[0:1], s28, 0
	v_lshl_or_b32 v12, v18, 3, v8
	v_mov_b32_e32 v10, 0xff7fffff
	s_mov_b64 s[14:15], 0
	v_add_u32_e32 v8, 64, v9
	v_xor_b32_e32 v14, 4, v2
	v_xor_b32_e32 v15, 2, v2
	;; [unrolled: 1-line block ×3, first 2 shown]
	v_mov_b32_e32 v17, v18
	s_branch .LBB225_9
.LBB225_8:                              ;   in Loop: Header=BB225_9 Depth=1
	s_or_b64 exec, exec, s[34:35]
	v_add_u32_e32 v17, 2, v17
	v_cmp_le_i32_e64 s[6:7], s33, v17
	v_add_u32_e32 v12, 16, v12
	v_add_u32_e32 v13, 64, v13
	s_or_b64 s[14:15], s[6:7], s[14:15]
	v_lshl_add_u64 v[6:7], v[6:7], 0, 8
	s_andn2_b64 exec, exec, s[14:15]
	s_cbranch_execz .LBB225_11
.LBB225_9:                              ; =>This Inner Loop Header: Depth=1
	global_load_dword v19, v[6:7], off
	s_waitcnt vmcnt(0) lgkmcnt(0)
	v_mad_i64_i32 v[20:21], s[6:7], v19, s36, v[4:5]
	global_load_ubyte v19, v[20:21], off
	global_load_ubyte v22, v[20:21], off offset:8
	global_load_dword v23, v3, s[8:9]
	global_load_ubyte v24, v[20:21], off offset:128
	global_load_ubyte v25, v[20:21], off offset:136
	ds_read_u16 v21, v11
	s_waitcnt lgkmcnt(0)
	;;#ASMSTART
	v_cvt_f32_f16 v21, v21;
	;;#ASMEND
	v_cmp_lt_i32_e64 s[6:7], v14, v8
	s_waitcnt vmcnt(4)
	v_cvt_f32_fp8_e32 v19, v19
	s_waitcnt vmcnt(3)
	v_cvt_f32_fp8_e32 v22, v22
	v_cndmask_b32_e64 v20, v2, v14, s[6:7]
	s_waitcnt vmcnt(1)
	v_cvt_f32_fp8_e32 v24, v24
	v_fma_mixlo_f16 v19, v23, v19, 0
	s_waitcnt vmcnt(0)
	v_cvt_f32_fp8_e32 v25, v25
	v_and_b32_e32 v19, 0xffff, v19
	v_fma_mixlo_f16 v22, v23, v22, 0
	;;#ASMSTART
	v_cvt_f32_f16 v19, v19;
	;;#ASMEND
	ds_read_u16 v26, v11 offset:2
	v_and_b32_e32 v27, 0xffff, v22
	s_waitcnt lgkmcnt(0)
	;;#ASMSTART
	v_cvt_f32_f16 v22, v26;
	;;#ASMEND
	;;#ASMSTART
	v_cvt_f32_f16 v26, v27;
	;;#ASMEND
	v_fma_mixlo_f16 v24, v23, v24, 0
	v_mul_f32_e32 v22, v22, v26
	v_fma_mixlo_f16 v23, v23, v25, 0
	v_and_b32_e32 v25, 0xffff, v24
	v_fmac_f32_e32 v22, v21, v19
	ds_read_u16 v27, v11 offset:4
	s_waitcnt lgkmcnt(0)
	;;#ASMSTART
	v_cvt_f32_f16 v24, v27;
	;;#ASMEND
	;;#ASMSTART
	v_cvt_f32_f16 v25, v25;
	;;#ASMEND
	v_lshlrev_b32_e32 v20, 2, v20
	v_fmac_f32_e32 v22, v24, v25
	ds_read_u16 v27, v11 offset:6
	v_and_b32_e32 v23, 0xffff, v23
	s_waitcnt lgkmcnt(0)
	;;#ASMSTART
	v_cvt_f32_f16 v19, v27;
	;;#ASMEND
	;;#ASMSTART
	v_cvt_f32_f16 v21, v23;
	;;#ASMEND
	v_cmp_lt_i32_e64 s[6:7], v15, v8
	v_fmac_f32_e32 v22, v19, v21
	ds_bpermute_b32 v19, v20, v22
	v_cndmask_b32_e64 v20, v2, v15, s[6:7]
	v_lshlrev_b32_e32 v20, 2, v20
	v_cmp_lt_i32_e64 s[6:7], v16, v8
	s_waitcnt lgkmcnt(0)
	v_add_f32_e32 v19, v22, v19
	ds_bpermute_b32 v20, v20, v19
	v_cndmask_b32_e64 v21, v2, v16, s[6:7]
	s_waitcnt lgkmcnt(0)
	v_add_f32_e32 v19, v19, v20
	v_lshlrev_b32_e32 v20, 2, v21
	ds_bpermute_b32 v20, v20, v19
	s_and_saveexec_b64 s[34:35], vcc
	s_cbranch_execz .LBB225_8
; %bb.10:                               ;   in Loop: Header=BB225_9 Depth=1
	v_add_u32_e32 v21, s37, v12
	v_cvt_f32_i32_e32 v21, v21
	s_waitcnt lgkmcnt(0)
	v_add_f32_e32 v19, v19, v20
	v_cmp_gt_i32_e64 s[6:7], s17, v12
	v_max_f32_e32 v20, v10, v10
	v_mul_f32_e32 v21, s28, v21
	v_cndmask_b32_e64 v21, 0, v21, s[0:1]
	v_fmac_f32_e32 v21, s29, v19
	v_cndmask_b32_e64 v19, 0, v21, s[6:7]
	ds_write_b32 v13, v19
	v_max_f32_e32 v19, v20, v21
	v_cndmask_b32_e64 v10, v10, v19, s[6:7]
	s_branch .LBB225_8
.LBB225_11:
	s_or_b64 exec, exec, s[14:15]
.LBB225_12:
	s_or_b64 exec, exec, s[30:31]
	v_xor_b32_e32 v3, 32, v2
	v_cmp_lt_i32_e32 vcc, v3, v8
	v_xor_b32_e32 v6, 16, v2
	v_max_f32_e32 v5, v10, v10
	v_cndmask_b32_e32 v3, v2, v3, vcc
	v_lshlrev_b32_e32 v4, 2, v3
	ds_bpermute_b32 v3, v4, v10
	v_cmp_lt_i32_e32 vcc, v6, v8
	v_xor_b32_e32 v7, 8, v2
	v_and_b32_e32 v19, 63, v0
	s_waitcnt lgkmcnt(0)
	v_max_f32_e32 v3, v3, v3
	v_max_f32_e32 v3, v5, v3
	v_cndmask_b32_e32 v5, v2, v6, vcc
	v_lshlrev_b32_e32 v6, 2, v5
	ds_bpermute_b32 v5, v6, v3
	v_cmp_lt_i32_e32 vcc, v7, v8
	s_waitcnt lgkmcnt(0)
	v_max_f32_e32 v5, v5, v5
	v_max_f32_e32 v5, v3, v5
	v_cndmask_b32_e32 v3, v2, v7, vcc
	v_lshlrev_b32_e32 v10, 2, v3
	ds_bpermute_b32 v7, v10, v5
	v_cmp_eq_u32_e32 vcc, 0, v19
	v_lshlrev_b32_e32 v3, 2, v18
	s_and_saveexec_b64 s[0:1], vcc
	s_cbranch_execz .LBB225_14
; %bb.13:
	s_waitcnt lgkmcnt(0)
	v_max_f32_e32 v7, v7, v7
	v_max_f32_e32 v5, v5, v5
	;; [unrolled: 1-line block ×3, first 2 shown]
	ds_write_b32 v3, v5 offset:64
.LBB225_14:
	s_or_b64 exec, exec, s[0:1]
	v_cmp_gt_u32_e64 s[0:1], 2, v19
	v_mov_b32_e32 v11, 0xff7fffff
	v_lshlrev_b32_e32 v5, 2, v19
	s_waitcnt lgkmcnt(0)
	s_barrier
	s_and_saveexec_b64 s[6:7], s[0:1]
; %bb.15:
	ds_read_b32 v11, v5 offset:64
; %bb.16:
	s_or_b64 exec, exec, s[6:7]
	v_xor_b32_e32 v7, 1, v2
	v_cmp_lt_i32_e64 s[6:7], v7, v8
	v_lshlrev_b32_e32 v9, 2, v9
	s_nop 0
	v_cndmask_b32_e64 v7, v2, v7, s[6:7]
	v_lshlrev_b32_e32 v7, 2, v7
	s_waitcnt lgkmcnt(0)
	ds_bpermute_b32 v12, v7, v11
	v_max_f32_e32 v11, v11, v11
	s_lshl_b32 s6, s33, 3
	s_min_i32 s30, s6, s17
	v_cmp_gt_i32_e64 s[6:7], s30, v0
	s_waitcnt lgkmcnt(0)
	v_max_f32_e32 v12, v12, v12
	v_max_f32_e32 v11, v11, v12
	ds_bpermute_b32 v11, v9, v11
	v_mov_b32_e32 v9, 0
	s_and_saveexec_b64 s[14:15], s[6:7]
	s_cbranch_execz .LBB225_20
; %bb.17:
	v_mov_b32_e32 v9, 0x50
	v_lshl_add_u32 v12, v0, 2, v9
	v_mov_b32_e32 v9, 0
	s_mov_b64 s[28:29], 0
	v_mov_b32_e32 v13, v0
.LBB225_18:                             ; =>This Inner Loop Header: Depth=1
	ds_read_b32 v14, v12
	v_add_u32_e32 v13, 0x80, v13
	v_cmp_le_i32_e64 s[8:9], s30, v13
	s_or_b64 s[28:29], s[8:9], s[28:29]
	s_waitcnt lgkmcnt(0)
	v_sub_f32_e32 v14, v14, v11
	v_mul_f32_e32 v14, 0x3fb8aa3b, v14
	v_exp_f32_e32 v14, v14
	ds_write_b32 v12, v14
	v_add_f32_e32 v9, v9, v14
	v_add_u32_e32 v12, 0x200, v12
	s_andn2_b64 exec, exec, s[28:29]
	s_cbranch_execnz .LBB225_18
; %bb.19:
	s_or_b64 exec, exec, s[28:29]
.LBB225_20:
	s_or_b64 exec, exec, s[14:15]
	ds_bpermute_b32 v4, v4, v9
	s_waitcnt lgkmcnt(0)
	v_add_f32_e32 v4, v9, v4
	ds_bpermute_b32 v6, v6, v4
	v_xor_b32_e32 v9, 4, v2
	v_cmp_lt_i32_e64 s[8:9], v9, v8
	s_waitcnt lgkmcnt(0)
	v_add_f32_e32 v4, v4, v6
	ds_bpermute_b32 v6, v10, v4
	v_cndmask_b32_e64 v9, v2, v9, s[8:9]
	v_lshlrev_b32_e32 v9, 2, v9
	s_waitcnt lgkmcnt(0)
	v_add_f32_e32 v4, v4, v6
	ds_bpermute_b32 v6, v9, v4
	v_xor_b32_e32 v9, 2, v2
	v_cmp_lt_i32_e64 s[8:9], v9, v8
	s_waitcnt lgkmcnt(0)
	v_add_f32_e32 v4, v4, v6
	v_cndmask_b32_e64 v8, v2, v9, s[8:9]
	v_lshlrev_b32_e32 v6, 2, v8
	ds_bpermute_b32 v6, v6, v4
	s_waitcnt lgkmcnt(0)
	v_add_f32_e32 v4, v4, v6
	ds_bpermute_b32 v6, v7, v4
	s_waitcnt lgkmcnt(0)
	v_add_f32_e32 v4, v4, v6
	s_and_saveexec_b64 s[8:9], vcc
; %bb.21:
	ds_write_b32 v3, v4 offset:72
; %bb.22:
	s_or_b64 exec, exec, s[8:9]
	s_waitcnt lgkmcnt(0)
	s_barrier
	s_and_saveexec_b64 s[8:9], s[0:1]
; %bb.23:
	ds_read_b32 v4, v5 offset:72
; %bb.24:
	s_or_b64 exec, exec, s[8:9]
	s_waitcnt lgkmcnt(0)
	ds_bpermute_b32 v3, v7, v4
	v_lshlrev_b32_e32 v2, 2, v2
	v_and_b32_e32 v2, 0xffffff00, v2
	s_waitcnt lgkmcnt(0)
	v_add_f32_e32 v3, v4, v3
	ds_bpermute_b32 v2, v2, v3
	s_and_saveexec_b64 s[0:1], s[6:7]
	s_cbranch_execz .LBB225_37
; %bb.25:
	s_waitcnt lgkmcnt(0)
	v_add_f32_e32 v2, 0x358637bd, v2
	v_div_scale_f32 v3, s[6:7], v2, v2, 1.0
	v_rcp_f32_e32 v4, v3
	v_div_scale_f32 v5, vcc, 1.0, v2, 1.0
	s_movk_i32 s6, 0x7f
	v_fma_f32 v6, -v3, v4, 1.0
	v_fmac_f32_e32 v4, v6, v4
	v_mul_f32_e32 v6, v5, v4
	v_fma_f32 v7, -v3, v6, v5
	v_fmac_f32_e32 v6, v7, v4
	v_fma_f32 v3, -v3, v6, v5
	v_div_fmas_f32 v3, v3, v4, v6
	v_xad_u32 v4, v0, -1, s30
	v_div_fixup_f32 v2, v3, v2, 1.0
	v_cmp_lt_u32_e32 vcc, s6, v4
	s_mov_b64 s[8:9], -1
	v_mov_b32_e32 v3, v0
	s_and_saveexec_b64 s[6:7], vcc
	s_cbranch_execz .LBB225_34
; %bb.26:
	v_lshrrev_b32_e32 v4, 7, v4
	v_add_u32_e32 v6, -1, v4
	v_lshrrev_b32_e32 v5, 1, v6
	v_mov_b32_e32 v3, v2
	v_add_u32_e32 v5, 1, v5
	v_cmp_lt_u32_e32 vcc, 13, v6
	v_mov_b32_e32 v8, 0
	s_and_saveexec_b64 s[8:9], vcc
	s_cbranch_execz .LBB225_30
; %bb.27:
	v_mov_b32_e32 v7, 0x50
	v_and_b32_e32 v6, -8, v5
	v_lshl_add_u32 v7, v0, 2, v7
	s_mov_b32 s28, 0
	s_mov_b64 s[14:15], 0
.LBB225_28:                             ; =>This Inner Loop Header: Depth=1
	ds_read2st64_b32 v[8:9], v7 offset1:2
	ds_read2st64_b32 v[10:11], v7 offset0:4 offset1:6
	ds_read2st64_b32 v[12:13], v7 offset0:8 offset1:10
	;; [unrolled: 1-line block ×3, first 2 shown]
	v_add_u32_e32 v6, -8, v6
	s_waitcnt lgkmcnt(3)
	v_pk_mul_f32 v[8:9], v[2:3], v[8:9]
	s_waitcnt lgkmcnt(2)
	v_pk_mul_f32 v[10:11], v[2:3], v[10:11]
	ds_write2st64_b32 v7, v8, v9 offset1:2
	ds_write2st64_b32 v7, v10, v11 offset0:4 offset1:6
	ds_read2st64_b32 v[10:11], v7 offset0:16 offset1:18
	s_waitcnt lgkmcnt(4)
	v_pk_mul_f32 v[8:9], v[2:3], v[12:13]
	ds_write2st64_b32 v7, v8, v9 offset0:8 offset1:10
	s_waitcnt lgkmcnt(4)
	v_pk_mul_f32 v[8:9], v[2:3], v[14:15]
	ds_write2st64_b32 v7, v8, v9 offset0:12 offset1:14
	ds_read2st64_b32 v[8:9], v7 offset0:20 offset1:22
	s_waitcnt lgkmcnt(3)
	v_pk_mul_f32 v[10:11], v[2:3], v[10:11]
	ds_read2st64_b32 v[12:13], v7 offset0:24 offset1:26
	ds_write2st64_b32 v7, v10, v11 offset0:16 offset1:18
	ds_read2st64_b32 v[10:11], v7 offset0:28 offset1:30
	s_waitcnt lgkmcnt(3)
	v_pk_mul_f32 v[8:9], v[2:3], v[8:9]
	ds_write2st64_b32 v7, v8, v9 offset0:20 offset1:22
	s_waitcnt lgkmcnt(3)
	v_pk_mul_f32 v[8:9], v[2:3], v[12:13]
	ds_write2st64_b32 v7, v8, v9 offset0:24 offset1:26
	s_waitcnt lgkmcnt(2)
	v_pk_mul_f32 v[8:9], v[2:3], v[10:11]
	s_add_i32 s28, s28, 16
	v_cmp_eq_u32_e32 vcc, 0, v6
	ds_write2st64_b32 v7, v8, v9 offset0:28 offset1:30
	v_add_u32_e32 v7, 0x2000, v7
	s_or_b64 s[14:15], vcc, s[14:15]
	v_mov_b32_e32 v8, s28
	s_andn2_b64 exec, exec, s[14:15]
	s_cbranch_execnz .LBB225_28
; %bb.29:
	s_or_b64 exec, exec, s[14:15]
.LBB225_30:
	s_or_b64 exec, exec, s[8:9]
	v_and_b32_e32 v5, 7, v5
	v_cmp_ne_u32_e32 vcc, 0, v5
	s_and_saveexec_b64 s[8:9], vcc
	s_cbranch_execz .LBB225_33
; %bb.31:
	v_lshlrev_b32_e32 v6, 9, v8
	v_lshlrev_b32_e32 v7, 2, v0
	s_movk_i32 s14, 0x50
	v_add3_u32 v6, v6, v7, s14
	s_mov_b64 s[14:15], 0
.LBB225_32:                             ; =>This Inner Loop Header: Depth=1
	ds_read2st64_b32 v[8:9], v6 offset1:2
	v_add_u32_e32 v5, -1, v5
	v_cmp_eq_u32_e32 vcc, 0, v5
	s_or_b64 s[14:15], vcc, s[14:15]
	s_waitcnt lgkmcnt(0)
	v_pk_mul_f32 v[8:9], v[2:3], v[8:9]
	ds_write2st64_b32 v6, v8, v9 offset1:2
	v_add_u32_e32 v6, 0x400, v6
	s_andn2_b64 exec, exec, s[14:15]
	s_cbranch_execnz .LBB225_32
.LBB225_33:
	s_or_b64 exec, exec, s[8:9]
	v_add_u32_e32 v4, 1, v4
	v_and_b32_e32 v5, 0x3fffffe, v4
	v_cmp_ne_u32_e32 vcc, v4, v5
	v_lshl_add_u32 v3, v5, 7, v0
	s_orn2_b64 s[8:9], vcc, exec
.LBB225_34:
	s_or_b64 exec, exec, s[6:7]
	s_and_b64 exec, exec, s[8:9]
	s_cbranch_execz .LBB225_37
; %bb.35:
	v_mov_b32_e32 v4, 0x50
	v_lshl_add_u32 v4, v3, 2, v4
	s_mov_b64 s[6:7], 0
.LBB225_36:                             ; =>This Inner Loop Header: Depth=1
	ds_read_b32 v5, v4
	v_add_u32_e32 v3, 0x80, v3
	v_cmp_le_i32_e32 vcc, s30, v3
	s_or_b64 s[6:7], vcc, s[6:7]
	s_waitcnt lgkmcnt(0)
	v_mul_f32_e32 v5, v2, v5
	ds_write_b32 v4, v5
	v_add_u32_e32 v4, 0x200, v4
	s_andn2_b64 exec, exec, s[6:7]
	s_cbranch_execnz .LBB225_36
.LBB225_37:
	s_or_b64 exec, exec, s[0:1]
	v_mov_b32_e32 v20, 0
	s_waitcnt lgkmcnt(0)
	s_barrier
	s_and_saveexec_b64 s[6:7], s[2:3]
	s_cbranch_execz .LBB225_93
; %bb.38:
	s_ashr_i32 s1, s12, 31
	s_add_u32 s0, s26, s12
	s_addc_u32 s1, s27, s1
	v_lshlrev_b32_e32 v2, 3, v19
	v_mov_b32_e32 v3, 0
	v_lshl_add_u64 v[4:5], s[0:1], 0, v[2:3]
	s_add_i32 s26, s33, -1
	s_lshl_b64 s[0:1], s[24:25], 2
	v_mov_b32_e32 v2, 0x50
	s_add_u32 s0, s22, s0
	s_mov_b32 s2, -1
	v_lshl_add_u32 v22, v18, 5, v2
	v_and_b32_e32 v2, 60, v1
	s_addc_u32 s1, s23, s1
	s_mov_b32 s28, s13
	v_cmp_gt_u32_e32 vcc, 32, v19
	s_mov_b32 s3, 0xffffff
	s_mov_b32 s27, s17
	v_lshlrev_b32_e32 v21, 3, v18
	v_lshl_add_u64 v[6:7], s[0:1], 0, v[2:3]
	s_mov_b64 s[8:9], 0
	s_movk_i32 s29, 0x80
	s_movk_i32 s30, 0x7f
	s_mov_b32 s31, 0x8000
	v_mov_b32_e32 v23, 0x2000
	v_mov_b32_e32 v20, 0
	s_branch .LBB225_41
.LBB225_39:                             ;   in Loop: Header=BB225_41 Depth=1
	s_or_b64 exec, exec, s[14:15]
	v_and_b32_e32 v8, 0xffff, v24
	v_and_b32_e32 v9, 0xffff, v26
	v_lshl_or_b32 v8, v25, 16, v8
	v_lshl_or_b32 v9, v27, 16, v9
	v_and_b32_e32 v10, 0xffff, v28
	v_and_b32_e32 v11, 0xffff, v30
	;;#ASMSTART
	v_pk_mul_f16 v1, v8, v1;

	;;#ASMEND
	v_lshl_or_b32 v10, v29, 16, v10
	v_lshl_or_b32 v11, v31, 16, v11
	;;#ASMSTART
	v_pk_mul_f16 v2, v9, v2;

	;;#ASMEND
	;;#ASMSTART
	v_pk_mul_f16 v8, v10, v17;

	;;#ASMEND
	;; [unrolled: 4-line block ×3, first 2 shown]
	s_nop 0
	;;#ASMSTART
	v_pk_add_f16 v1, v1, v2;

	;;#ASMEND
	s_nop 0
	;;#ASMSTART
	v_pk_add_f16 v1, v1, v8;

	;;#ASMEND
	s_nop 0
	;;#ASMSTART
	v_pk_add_f16 v1, v1, v9;

	;;#ASMEND
	s_nop 0
	v_lshrrev_b32_e32 v2, 16, v1
	v_and_b32_e32 v1, 0xffff, v1
	;;#ASMSTART
	v_cvt_f32_f16 v1, v1;
	;;#ASMEND
	;;#ASMSTART
	v_cvt_f32_f16 v2, v2;
	;;#ASMEND
	s_nop 0
	v_add_f32_e32 v1, v1, v2
	v_add_f32_e32 v20, v20, v1
.LBB225_40:                             ;   in Loop: Header=BB225_41 Depth=1
	s_or_b64 exec, exec, s[12:13]
	v_add_u32_e32 v18, 2, v18
	v_cmp_le_i32_e64 s[0:1], s33, v18
	v_add_u32_e32 v21, 16, v21
	v_add_u32_e32 v22, 64, v22
	s_or_b64 s[8:9], s[0:1], s[8:9]
	v_lshl_add_u64 v[6:7], v[6:7], 0, 8
	s_andn2_b64 exec, exec, s[8:9]
	s_cbranch_execz .LBB225_92
.LBB225_41:                             ; =>This Inner Loop Header: Depth=1
	ds_read2_b64 v[8:11], v22 offset1:1
	ds_read2_b64 v[12:15], v22 offset0:2 offset1:3
	s_waitcnt lgkmcnt(1)
	;;#ASMSTART
	v_cvt_f16_f32 v24, v8;

	;;#ASMEND
	;;#ASMSTART
	v_cvt_f16_f32 v25, v9;

	;;#ASMEND
	;; [unrolled: 4-line block ×4, first 2 shown]
	s_waitcnt lgkmcnt(0)
	;;#ASMSTART
	v_cvt_f16_f32 v28, v12;

	;;#ASMEND
	;;#ASMSTART
	v_cvt_f16_f32 v29, v13;

	;;#ASMEND
	;; [unrolled: 4-line block ×4, first 2 shown]
	s_and_saveexec_b64 s[12:13], vcc
	s_cbranch_execz .LBB225_40
; %bb.42:                               ;   in Loop: Header=BB225_41 Depth=1
	global_load_dword v1, v[6:7], off
	s_waitcnt vmcnt(0)
	v_mad_i64_i32 v[8:9], s[0:1], v1, s28, v[4:5]
	global_load_dwordx2 v[10:11], v[8:9], off
	v_mov_b32_e32 v1, 0
	global_load_dword v8, v1, s[10:11]
	v_mov_b32_e32 v9, 0
	s_waitcnt vmcnt(1)
	v_cmp_ne_u16_sdwa s[0:1], v10, v3 src0_sel:BYTE_0 src1_sel:DWORD
	s_and_saveexec_b64 s[14:15], s[0:1]
	s_cbranch_execz .LBB225_48
; %bb.43:                               ;   in Loop: Header=BB225_41 Depth=1
	v_cmp_ne_u16_sdwa s[0:1], v10, s29 src0_sel:BYTE_0 src1_sel:DWORD
	v_mov_b32_e32 v9, 0x8000
	s_and_saveexec_b64 s[22:23], s[0:1]
	s_cbranch_execz .LBB225_47
; %bb.44:                               ;   in Loop: Header=BB225_41 Depth=1
	v_and_b32_e32 v2, 0x7f, v10
	v_cmp_ne_u32_e64 s[0:1], s30, v2
	v_mov_b32_e32 v9, 0x7c01
	s_and_saveexec_b64 s[24:25], s[0:1]
	s_cbranch_execz .LBB225_46
; %bb.45:                               ;   in Loop: Header=BB225_41 Depth=1
	v_and_b32_e32 v9, 7, v10
	v_ffbh_u32_e32 v12, v9
	v_min_u32_e32 v15, 32, v12
	v_subrev_u32_e32 v12, 28, v15
	v_lshlrev_b64 v[12:13], v12, v[10:11]
	v_lshrrev_b32_e32 v14, 3, v2
	v_sub_u32_e32 v13, 29, v15
	v_cmp_gt_u32_e64 s[0:1], 8, v2
	v_and_b32_e32 v12, 7, v12
	s_nop 0
	v_cndmask_b32_e64 v2, v14, v13, s[0:1]
	v_lshl_add_u32 v2, v2, 10, v23
	v_lshlrev_b32_e32 v13, 8, v10
	v_and_b32_e32 v2, 0xfc00, v2
	v_cndmask_b32_e64 v9, v9, v12, s[0:1]
	v_and_or_b32 v2, v13, s31, v2
	v_lshl_or_b32 v9, v9, 7, v2
.LBB225_46:                             ;   in Loop: Header=BB225_41 Depth=1
	s_or_b64 exec, exec, s[24:25]
.LBB225_47:                             ;   in Loop: Header=BB225_41 Depth=1
	s_or_b64 exec, exec, s[22:23]
.LBB225_48:                             ;   in Loop: Header=BB225_41 Depth=1
	s_or_b64 exec, exec, s[14:15]
	v_lshrrev_b16_e32 v2, 8, v10
	v_cmp_ne_u16_e64 s[0:1], 0, v2
	s_and_saveexec_b64 s[14:15], s[0:1]
	s_cbranch_execz .LBB225_54
; %bb.49:                               ;   in Loop: Header=BB225_41 Depth=1
	v_cmp_ne_u16_e64 s[0:1], s29, v2
	v_bfrev_b32_e32 v1, 1
	s_and_saveexec_b64 s[22:23], s[0:1]
	s_cbranch_execz .LBB225_53
; %bb.50:                               ;   in Loop: Header=BB225_41 Depth=1
	v_and_b32_e32 v12, 0x7f, v2
	v_cmp_ne_u32_e64 s[0:1], s30, v12
	v_mov_b32_e32 v1, 0x7c010000
	s_and_saveexec_b64 s[24:25], s[0:1]
	s_cbranch_execz .LBB225_52
; %bb.51:                               ;   in Loop: Header=BB225_41 Depth=1
	v_and_b32_e32 v1, 7, v2
	v_ffbh_u32_e32 v14, v1
	v_min_u32_e32 v16, 32, v14
	v_subrev_u32_e32 v14, 28, v16
	v_lshlrev_b64 v[14:15], v14, v[2:3]
	v_lshrrev_b32_e32 v13, 3, v12
	v_sub_u32_e32 v15, 29, v16
	v_cmp_gt_u32_e64 s[0:1], 8, v12
	v_lshlrev_b32_e32 v2, 8, v2
	s_nop 0
	v_cndmask_b32_e64 v12, v13, v15, s[0:1]
	v_lshl_add_u32 v12, v12, 10, v23
	v_and_b32_e32 v13, 7, v14
	v_and_or_b32 v2, v2, s31, v12
	v_cndmask_b32_e64 v1, v1, v13, s[0:1]
	v_lshlrev_b32_e32 v2, 16, v2
	v_lshl_or_b32 v1, v1, 23, v2
.LBB225_52:                             ;   in Loop: Header=BB225_41 Depth=1
	s_or_b64 exec, exec, s[24:25]
.LBB225_53:                             ;   in Loop: Header=BB225_41 Depth=1
	s_or_b64 exec, exec, s[22:23]
.LBB225_54:                             ;   in Loop: Header=BB225_41 Depth=1
	s_or_b64 exec, exec, s[14:15]
	v_lshrrev_b32_e32 v2, 16, v10
	v_cmp_ne_u16_sdwa s[0:1], v2, v3 src0_sel:BYTE_0 src1_sel:DWORD
	v_mov_b32_e32 v13, 0
	v_mov_b32_e32 v12, 0
	s_and_saveexec_b64 s[14:15], s[0:1]
	s_cbranch_execz .LBB225_60
; %bb.55:                               ;   in Loop: Header=BB225_41 Depth=1
	v_cmp_ne_u16_sdwa s[0:1], v2, s29 src0_sel:BYTE_0 src1_sel:DWORD
	v_mov_b32_e32 v12, 0x8000
	s_and_saveexec_b64 s[22:23], s[0:1]
	s_cbranch_execz .LBB225_59
; %bb.56:                               ;   in Loop: Header=BB225_41 Depth=1
	v_bfe_u32 v14, v10, 16, 7
	v_cmp_ne_u32_e64 s[0:1], s30, v14
	v_mov_b32_e32 v12, 0x7c01
	s_and_saveexec_b64 s[24:25], s[0:1]
	s_cbranch_execz .LBB225_58
; %bb.57:                               ;   in Loop: Header=BB225_41 Depth=1
	v_and_b32_e32 v12, 7, v2
	v_ffbh_u32_e32 v16, v12
	v_min_u32_e32 v32, 32, v16
	v_subrev_u32_e32 v16, 28, v32
	v_lshlrev_b64 v[16:17], v16, v[2:3]
	v_lshrrev_b32_e32 v15, 3, v14
	v_sub_u32_e32 v17, 29, v32
	v_cmp_gt_u32_e64 s[0:1], 8, v14
	v_lshlrev_b32_e32 v2, 8, v2
	s_nop 0
	v_cndmask_b32_e64 v14, v15, v17, s[0:1]
	v_lshl_add_u32 v14, v14, 10, v23
	v_and_b32_e32 v15, 7, v16
	v_and_b32_e32 v14, 0xfc00, v14
	v_cndmask_b32_e64 v12, v12, v15, s[0:1]
	v_and_or_b32 v2, v2, s31, v14
	v_lshl_or_b32 v12, v12, 7, v2
.LBB225_58:                             ;   in Loop: Header=BB225_41 Depth=1
	s_or_b64 exec, exec, s[24:25]
.LBB225_59:                             ;   in Loop: Header=BB225_41 Depth=1
	s_or_b64 exec, exec, s[22:23]
.LBB225_60:                             ;   in Loop: Header=BB225_41 Depth=1
	s_or_b64 exec, exec, s[14:15]
	v_cmp_lt_u32_e64 s[0:1], s3, v10
	s_and_saveexec_b64 s[14:15], s[0:1]
	s_cbranch_execz .LBB225_66
; %bb.61:                               ;   in Loop: Header=BB225_41 Depth=1
	v_lshrrev_b32_e32 v2, 24, v10
	v_cmp_ne_u32_e64 s[0:1], s29, v2
	v_bfrev_b32_e32 v13, 1
	s_and_saveexec_b64 s[22:23], s[0:1]
	s_cbranch_execz .LBB225_65
; %bb.62:                               ;   in Loop: Header=BB225_41 Depth=1
	v_and_b32_e32 v14, 0x7f, v2
	v_cmp_ne_u32_e64 s[0:1], s30, v14
	v_mov_b32_e32 v13, 0x7c010000
	s_and_saveexec_b64 s[24:25], s[0:1]
	s_cbranch_execz .LBB225_64
; %bb.63:                               ;   in Loop: Header=BB225_41 Depth=1
	v_and_b32_e32 v13, 7, v2
	v_ffbh_u32_e32 v16, v13
	v_min_u32_e32 v32, 32, v16
	v_subrev_u32_e32 v16, 28, v32
	v_lshlrev_b64 v[16:17], v16, v[2:3]
	v_lshrrev_b32_e32 v15, 3, v14
	v_sub_u32_e32 v17, 29, v32
	v_cmp_gt_u32_e64 s[0:1], 8, v14
	v_lshlrev_b32_e32 v2, 8, v2
	s_nop 0
	v_cndmask_b32_e64 v14, v15, v17, s[0:1]
	v_lshl_add_u32 v14, v14, 10, v23
	v_and_b32_e32 v15, 7, v16
	v_and_or_b32 v2, v2, s31, v14
	v_cndmask_b32_e64 v13, v13, v15, s[0:1]
	v_lshlrev_b32_e32 v2, 16, v2
	v_lshl_or_b32 v13, v13, 23, v2
.LBB225_64:                             ;   in Loop: Header=BB225_41 Depth=1
	s_or_b64 exec, exec, s[24:25]
.LBB225_65:                             ;   in Loop: Header=BB225_41 Depth=1
	s_or_b64 exec, exec, s[22:23]
.LBB225_66:                             ;   in Loop: Header=BB225_41 Depth=1
	s_or_b64 exec, exec, s[14:15]
	v_mov_b32_e32 v2, v11
	v_cmp_ne_u16_sdwa s[0:1], v11, v3 src0_sel:BYTE_0 src1_sel:DWORD
	v_mov_b32_e32 v14, 0
	v_mov_b32_e32 v15, 0
	s_and_saveexec_b64 s[14:15], s[0:1]
	s_cbranch_execz .LBB225_72
; %bb.67:                               ;   in Loop: Header=BB225_41 Depth=1
	v_cmp_ne_u16_sdwa s[0:1], v11, s29 src0_sel:BYTE_0 src1_sel:DWORD
	v_mov_b32_e32 v15, 0x8000
	s_and_saveexec_b64 s[22:23], s[0:1]
	s_cbranch_execz .LBB225_71
; %bb.68:                               ;   in Loop: Header=BB225_41 Depth=1
	v_and_b32_e32 v16, 0x7f, v11
	v_cmp_ne_u32_e64 s[0:1], s30, v16
	v_mov_b32_e32 v15, 0x7c01
	s_and_saveexec_b64 s[24:25], s[0:1]
	s_cbranch_execz .LBB225_70
; %bb.69:                               ;   in Loop: Header=BB225_41 Depth=1
	v_and_b32_e32 v15, 7, v11
	v_ffbh_u32_e32 v32, v15
	v_min_u32_e32 v34, 32, v32
	v_subrev_u32_e32 v32, 28, v34
	v_lshlrev_b64 v[32:33], v32, v[2:3]
	v_lshrrev_b32_e32 v17, 3, v16
	v_sub_u32_e32 v33, 29, v34
	v_cmp_gt_u32_e64 s[0:1], 8, v16
	v_and_b32_e32 v32, 7, v32
	s_nop 0
	v_cndmask_b32_e64 v16, v17, v33, s[0:1]
	v_lshl_add_u32 v16, v16, 10, v23
	v_lshlrev_b32_e32 v17, 8, v11
	v_and_b32_e32 v16, 0xfc00, v16
	v_cndmask_b32_e64 v15, v15, v32, s[0:1]
	v_and_or_b32 v16, v17, s31, v16
	v_lshl_or_b32 v15, v15, 7, v16
.LBB225_70:                             ;   in Loop: Header=BB225_41 Depth=1
	s_or_b64 exec, exec, s[24:25]
.LBB225_71:                             ;   in Loop: Header=BB225_41 Depth=1
	s_or_b64 exec, exec, s[22:23]
.LBB225_72:                             ;   in Loop: Header=BB225_41 Depth=1
	s_or_b64 exec, exec, s[14:15]
	v_lshrrev_b16_e32 v2, 8, v2
	v_cmp_ne_u16_e64 s[0:1], 0, v2
	v_mov_b32_e32 v16, 0
	s_and_saveexec_b64 s[14:15], s[0:1]
	s_cbranch_execz .LBB225_78
; %bb.73:                               ;   in Loop: Header=BB225_41 Depth=1
	v_cmp_ne_u16_e64 s[0:1], s29, v2
	v_bfrev_b32_e32 v16, 1
	s_and_saveexec_b64 s[22:23], s[0:1]
	s_cbranch_execz .LBB225_77
; %bb.74:                               ;   in Loop: Header=BB225_41 Depth=1
	v_and_b32_e32 v17, 0x7f, v2
	v_cmp_ne_u32_e64 s[0:1], s30, v17
	v_mov_b32_e32 v16, 0x7c010000
	s_and_saveexec_b64 s[24:25], s[0:1]
	s_cbranch_execz .LBB225_76
; %bb.75:                               ;   in Loop: Header=BB225_41 Depth=1
	v_and_b32_e32 v16, 7, v2
	v_ffbh_u32_e32 v32, v16
	v_min_u32_e32 v35, 32, v32
	v_subrev_u32_e32 v32, 28, v35
	v_lshlrev_b64 v[32:33], v32, v[2:3]
	v_lshrrev_b32_e32 v34, 3, v17
	v_sub_u32_e32 v33, 29, v35
	v_cmp_gt_u32_e64 s[0:1], 8, v17
	v_lshlrev_b32_e32 v2, 8, v2
	v_and_b32_e32 v32, 7, v32
	v_cndmask_b32_e64 v17, v34, v33, s[0:1]
	v_lshl_add_u32 v17, v17, 10, v23
	v_and_or_b32 v2, v2, s31, v17
	v_cndmask_b32_e64 v16, v16, v32, s[0:1]
	v_lshlrev_b32_e32 v2, 16, v2
	v_lshl_or_b32 v16, v16, 23, v2
.LBB225_76:                             ;   in Loop: Header=BB225_41 Depth=1
	s_or_b64 exec, exec, s[24:25]
.LBB225_77:                             ;   in Loop: Header=BB225_41 Depth=1
	s_or_b64 exec, exec, s[22:23]
.LBB225_78:                             ;   in Loop: Header=BB225_41 Depth=1
	s_or_b64 exec, exec, s[14:15]
	v_lshrrev_b32_e32 v2, 16, v11
	v_cmp_ne_u16_sdwa s[0:1], v2, v3 src0_sel:BYTE_0 src1_sel:DWORD
	s_and_saveexec_b64 s[14:15], s[0:1]
	s_cbranch_execz .LBB225_84
; %bb.79:                               ;   in Loop: Header=BB225_41 Depth=1
	v_cmp_ne_u16_sdwa s[0:1], v2, s29 src0_sel:BYTE_0 src1_sel:DWORD
	v_mov_b32_e32 v14, 0x8000
	s_and_saveexec_b64 s[22:23], s[0:1]
	s_cbranch_execz .LBB225_83
; %bb.80:                               ;   in Loop: Header=BB225_41 Depth=1
	v_bfe_u32 v17, v11, 16, 7
	v_cmp_ne_u32_e64 s[0:1], s30, v17
	v_mov_b32_e32 v14, 0x7c01
	s_and_saveexec_b64 s[24:25], s[0:1]
	s_cbranch_execz .LBB225_82
; %bb.81:                               ;   in Loop: Header=BB225_41 Depth=1
	v_and_b32_e32 v14, 7, v2
	v_ffbh_u32_e32 v32, v14
	v_min_u32_e32 v35, 32, v32
	v_subrev_u32_e32 v32, 28, v35
	v_lshlrev_b64 v[32:33], v32, v[2:3]
	v_lshrrev_b32_e32 v34, 3, v17
	v_sub_u32_e32 v33, 29, v35
	v_cmp_gt_u32_e64 s[0:1], 8, v17
	v_lshlrev_b32_e32 v2, 8, v2
	v_and_b32_e32 v32, 7, v32
	v_cndmask_b32_e64 v17, v34, v33, s[0:1]
	v_lshl_add_u32 v17, v17, 10, v23
	v_and_b32_e32 v17, 0xfc00, v17
	v_cndmask_b32_e64 v14, v14, v32, s[0:1]
	v_and_or_b32 v2, v2, s31, v17
	v_lshl_or_b32 v14, v14, 7, v2
.LBB225_82:                             ;   in Loop: Header=BB225_41 Depth=1
	s_or_b64 exec, exec, s[24:25]
.LBB225_83:                             ;   in Loop: Header=BB225_41 Depth=1
	s_or_b64 exec, exec, s[22:23]
.LBB225_84:                             ;   in Loop: Header=BB225_41 Depth=1
	s_or_b64 exec, exec, s[14:15]
	v_cmp_lt_u64_e64 s[0:1], s[2:3], v[10:11]
	v_mov_b32_e32 v17, 0
	s_and_saveexec_b64 s[14:15], s[0:1]
	s_cbranch_execz .LBB225_90
; %bb.85:                               ;   in Loop: Header=BB225_41 Depth=1
	v_lshrrev_b32_e32 v2, 24, v11
	v_cmp_ne_u32_e64 s[0:1], s29, v2
	v_bfrev_b32_e32 v17, 1
	s_and_saveexec_b64 s[22:23], s[0:1]
	s_cbranch_execz .LBB225_89
; %bb.86:                               ;   in Loop: Header=BB225_41 Depth=1
	v_and_b32_e32 v10, 0x7f, v2
	v_cmp_ne_u32_e64 s[0:1], s30, v10
	v_mov_b32_e32 v17, 0x7c010000
	s_and_saveexec_b64 s[24:25], s[0:1]
	s_cbranch_execz .LBB225_88
; %bb.87:                               ;   in Loop: Header=BB225_41 Depth=1
	v_and_b32_e32 v11, 7, v2
	v_ffbh_u32_e32 v32, v11
	v_min_u32_e32 v34, 32, v32
	v_subrev_u32_e32 v32, 28, v34
	v_lshlrev_b64 v[32:33], v32, v[2:3]
	v_lshrrev_b32_e32 v17, 3, v10
	v_sub_u32_e32 v33, 29, v34
	v_cmp_gt_u32_e64 s[0:1], 8, v10
	v_lshlrev_b32_e32 v2, 8, v2
	s_nop 0
	v_cndmask_b32_e64 v10, v17, v33, s[0:1]
	v_lshl_add_u32 v10, v10, 10, v23
	v_and_b32_e32 v17, 7, v32
	v_and_or_b32 v2, v2, s31, v10
	v_cndmask_b32_e64 v11, v11, v17, s[0:1]
	v_lshlrev_b32_e32 v2, 16, v2
	v_lshl_or_b32 v17, v11, 23, v2
.LBB225_88:                             ;   in Loop: Header=BB225_41 Depth=1
	s_or_b64 exec, exec, s[24:25]
.LBB225_89:                             ;   in Loop: Header=BB225_41 Depth=1
	s_or_b64 exec, exec, s[22:23]
.LBB225_90:                             ;   in Loop: Header=BB225_41 Depth=1
	s_or_b64 exec, exec, s[14:15]
	v_cvt_f32_f16_sdwa v11, v1 dst_sel:DWORD dst_unused:UNUSED_PAD src0_sel:WORD_1
	v_cvt_f32_f16_sdwa v10, v13 dst_sel:DWORD dst_unused:UNUSED_PAD src0_sel:WORD_1
	v_or_b32_e32 v1, v1, v9
	v_or_b32_e32 v2, v13, v12
	v_cvt_f32_f16_e32 v12, v2
	v_cvt_f32_f16_e32 v13, v1
	s_waitcnt vmcnt(0)
	v_pk_mul_f32 v[10:11], v[8:9], v[10:11] op_sel_hi:[0,1]
	v_cvt_pk_f16_f32 v1, v10, v11
	v_and_b32_e32 v9, 0xffff0000, v1
	v_pk_mul_f32 v[12:13], v[8:9], v[12:13] op_sel_hi:[0,1]
	v_lshlrev_b32_e32 v10, 16, v1
	v_cvt_pk_f16_f32 v1, v12, v13
	v_or_b32_e32 v2, v16, v15
	v_or_b32_e32 v13, v17, v14
	v_cvt_f32_f16_e32 v14, v13
	v_cvt_f32_f16_e32 v15, v2
	v_cvt_f32_f16_sdwa v33, v16 dst_sel:DWORD dst_unused:UNUSED_PAD src0_sel:WORD_1
	v_cvt_f32_f16_sdwa v32, v17 dst_sel:DWORD dst_unused:UNUSED_PAD src0_sel:WORD_1
	v_lshrrev_b32_e32 v11, 16, v1
	v_pk_mul_f32 v[14:15], v[8:9], v[14:15] op_sel_hi:[0,1]
	v_cvt_pk_f16_f32 v16, v14, v15
	v_pk_mul_f32 v[14:15], v[8:9], v[32:33] op_sel_hi:[0,1]
	v_cvt_pk_f16_f32 v8, v14, v15
	v_and_b32_e32 v12, 0xffff, v1
	v_and_b32_e32 v13, 0xffff0000, v8
	v_lshlrev_b32_e32 v8, 16, v8
	v_lshrrev_b32_e32 v15, 16, v16
	v_and_b32_e32 v14, 0xffff, v16
	v_cmp_eq_u32_e64 s[0:1], s26, v18
	v_or_b32_e32 v1, v9, v11
	v_or_b32_e32 v2, v10, v12
	;; [unrolled: 1-line block ×4, first 2 shown]
	s_and_saveexec_b64 s[14:15], s[0:1]
	s_cbranch_execz .LBB225_39
; %bb.91:                               ;   in Loop: Header=BB225_41 Depth=1
	v_add_u32_e32 v16, 2, v21
	v_cmp_gt_i32_e64 s[0:1], s27, v21
	v_or_b32_e32 v1, 1, v21
	v_or_b32_e32 v2, 3, v21
	v_cndmask_b32_e64 v11, 0, v11, s[0:1]
	v_cmp_gt_i32_e64 s[0:1], s17, v16
	s_nop 1
	v_cndmask_b32_e64 v12, 0, v12, s[0:1]
	v_cmp_gt_i32_e64 s[0:1], s27, v1
	s_nop 1
	v_cndmask_b32_e64 v1, 0, v9, s[0:1]
	v_cmp_gt_i32_e64 s[0:1], s17, v2
	v_or_b32_e32 v9, 4, v21
	v_or_b32_e32 v1, v1, v11
	v_cndmask_b32_e64 v2, 0, v10, s[0:1]
	v_or_b32_e32 v10, 6, v21
	v_cmp_gt_i32_e64 s[0:1], s27, v9
	v_or_b32_e32 v11, 5, v21
	v_or_b32_e32 v2, v2, v12
	v_cndmask_b32_e64 v9, 0, v15, s[0:1]
	v_cmp_gt_i32_e64 s[0:1], s17, v10
	v_or_b32_e32 v12, 7, v21
	s_nop 0
	v_cndmask_b32_e64 v10, 0, v14, s[0:1]
	v_cmp_gt_i32_e64 s[0:1], s27, v11
	s_nop 1
	v_cndmask_b32_e64 v11, 0, v13, s[0:1]
	v_cmp_gt_i32_e64 s[0:1], s17, v12
	v_or_b32_e32 v17, v11, v9
	s_nop 0
	v_cndmask_b32_e64 v8, 0, v8, s[0:1]
	v_or_b32_e32 v16, v8, v10
	s_branch .LBB225_39
.LBB225_92:
	s_or_b64 exec, exec, s[8:9]
.LBB225_93:
	s_or_b64 exec, exec, s[6:7]
	v_and_b32_e32 v1, 0x3c0, v0
	v_cmp_eq_u32_e64 s[0:1], 64, v1
	v_cmp_gt_u32_e64 s[2:3], 32, v19
	v_mov_b32_e32 v1, 0x50
	v_cmp_lt_u32_e32 vcc, 31, v19
	v_lshl_add_u32 v1, v19, 2, v1
	s_and_b64 s[2:3], s[0:1], s[2:3]
	s_barrier
	s_and_saveexec_b64 s[0:1], s[2:3]
; %bb.94:
	ds_write_b32 v1, v20
; %bb.95:
	s_or_b64 exec, exec, s[0:1]
	v_cmp_gt_u32_e64 s[0:1], 64, v0
	s_xor_b64 s[2:3], vcc, -1
	s_and_b64 s[2:3], s[0:1], s[2:3]
	s_waitcnt lgkmcnt(0)
	s_barrier
	s_and_saveexec_b64 s[0:1], s[2:3]
	s_cbranch_execz .LBB225_97
; %bb.96:
	ds_read_b32 v1, v1
	s_waitcnt lgkmcnt(0)
	v_add_f32_e32 v20, v20, v1
.LBB225_97:
	s_or_b64 exec, exec, s[0:1]
	v_cmp_gt_u32_e32 vcc, 64, v0
	v_cmp_gt_u32_e64 s[0:1], 32, v19
	s_and_b64 s[0:1], vcc, s[0:1]
	s_barrier
	s_and_saveexec_b64 s[2:3], s[0:1]
	s_cbranch_execz .LBB225_99
; %bb.98:
	s_mul_i32 s0, s16, s19
	s_mul_i32 s0, s0, s5
	s_lshl_b32 s0, s0, 5
	s_ashr_i32 s1, s0, 31
	s_lshl_b64 s[0:1], s[0:1], 1
	s_add_u32 s2, s20, s0
	s_mul_i32 s0, s19, s18
	s_addc_u32 s3, s21, s1
	s_ashr_i32 s1, s0, 31
	s_lshl_b64 s[0:1], s[0:1], 1
	s_add_u32 s2, s2, s0
	s_addc_u32 s3, s3, s1
	s_lshl_b32 s0, s4, 5
	s_ashr_i32 s1, s0, 31
	s_lshl_b64 s[0:1], s[0:1], 1
	s_add_u32 s0, s2, s0
	s_addc_u32 s1, s3, s1
	v_lshlrev_b32_e32 v0, 1, v19
	;;#ASMSTART
	v_cvt_f16_f32 v1, v20;

	;;#ASMEND
	global_store_short v0, v1, s[0:1]
.LBB225_99:
	s_endpgm
	.section	.rodata,"a",@progbits
	.p2align	6, 0x0
	.amdhsa_kernel _ZN4vllm25paged_attention_v1_kernelIthLi32ELi8ELi128ELNS_18Fp8KVCacheDataTypeE1ELb0EEEvPT_PKS2_PKT0_S8_ifPKiSA_iPKfiiiSC_SC_iiiii
		.amdhsa_group_segment_fixed_size 80
		.amdhsa_private_segment_fixed_size 0
		.amdhsa_kernarg_size 384
		.amdhsa_user_sgpr_count 2
		.amdhsa_user_sgpr_dispatch_ptr 0
		.amdhsa_user_sgpr_queue_ptr 0
		.amdhsa_user_sgpr_kernarg_segment_ptr 1
		.amdhsa_user_sgpr_dispatch_id 0
		.amdhsa_user_sgpr_kernarg_preload_length 0
		.amdhsa_user_sgpr_kernarg_preload_offset 0
		.amdhsa_user_sgpr_private_segment_size 0
		.amdhsa_uses_dynamic_stack 0
		.amdhsa_enable_private_segment 0
		.amdhsa_system_sgpr_workgroup_id_x 1
		.amdhsa_system_sgpr_workgroup_id_y 1
		.amdhsa_system_sgpr_workgroup_id_z 1
		.amdhsa_system_sgpr_workgroup_info 0
		.amdhsa_system_vgpr_workitem_id 0
		.amdhsa_next_free_vgpr 36
		.amdhsa_next_free_sgpr 38
		.amdhsa_accum_offset 36
		.amdhsa_reserve_vcc 1
		.amdhsa_float_round_mode_32 0
		.amdhsa_float_round_mode_16_64 0
		.amdhsa_float_denorm_mode_32 3
		.amdhsa_float_denorm_mode_16_64 3
		.amdhsa_dx10_clamp 1
		.amdhsa_ieee_mode 1
		.amdhsa_fp16_overflow 0
		.amdhsa_tg_split 0
		.amdhsa_exception_fp_ieee_invalid_op 0
		.amdhsa_exception_fp_denorm_src 0
		.amdhsa_exception_fp_ieee_div_zero 0
		.amdhsa_exception_fp_ieee_overflow 0
		.amdhsa_exception_fp_ieee_underflow 0
		.amdhsa_exception_fp_ieee_inexact 0
		.amdhsa_exception_int_div_zero 0
	.end_amdhsa_kernel
	.section	.text._ZN4vllm25paged_attention_v1_kernelIthLi32ELi8ELi128ELNS_18Fp8KVCacheDataTypeE1ELb0EEEvPT_PKS2_PKT0_S8_ifPKiSA_iPKfiiiSC_SC_iiiii,"axG",@progbits,_ZN4vllm25paged_attention_v1_kernelIthLi32ELi8ELi128ELNS_18Fp8KVCacheDataTypeE1ELb0EEEvPT_PKS2_PKT0_S8_ifPKiSA_iPKfiiiSC_SC_iiiii,comdat
.Lfunc_end225:
	.size	_ZN4vllm25paged_attention_v1_kernelIthLi32ELi8ELi128ELNS_18Fp8KVCacheDataTypeE1ELb0EEEvPT_PKS2_PKT0_S8_ifPKiSA_iPKfiiiSC_SC_iiiii, .Lfunc_end225-_ZN4vllm25paged_attention_v1_kernelIthLi32ELi8ELi128ELNS_18Fp8KVCacheDataTypeE1ELb0EEEvPT_PKS2_PKT0_S8_ifPKiSA_iPKfiiiSC_SC_iiiii
                                        ; -- End function
	.set _ZN4vllm25paged_attention_v1_kernelIthLi32ELi8ELi128ELNS_18Fp8KVCacheDataTypeE1ELb0EEEvPT_PKS2_PKT0_S8_ifPKiSA_iPKfiiiSC_SC_iiiii.num_vgpr, 36
	.set _ZN4vllm25paged_attention_v1_kernelIthLi32ELi8ELi128ELNS_18Fp8KVCacheDataTypeE1ELb0EEEvPT_PKS2_PKT0_S8_ifPKiSA_iPKfiiiSC_SC_iiiii.num_agpr, 0
	.set _ZN4vllm25paged_attention_v1_kernelIthLi32ELi8ELi128ELNS_18Fp8KVCacheDataTypeE1ELb0EEEvPT_PKS2_PKT0_S8_ifPKiSA_iPKfiiiSC_SC_iiiii.numbered_sgpr, 38
	.set _ZN4vllm25paged_attention_v1_kernelIthLi32ELi8ELi128ELNS_18Fp8KVCacheDataTypeE1ELb0EEEvPT_PKS2_PKT0_S8_ifPKiSA_iPKfiiiSC_SC_iiiii.num_named_barrier, 0
	.set _ZN4vllm25paged_attention_v1_kernelIthLi32ELi8ELi128ELNS_18Fp8KVCacheDataTypeE1ELb0EEEvPT_PKS2_PKT0_S8_ifPKiSA_iPKfiiiSC_SC_iiiii.private_seg_size, 0
	.set _ZN4vllm25paged_attention_v1_kernelIthLi32ELi8ELi128ELNS_18Fp8KVCacheDataTypeE1ELb0EEEvPT_PKS2_PKT0_S8_ifPKiSA_iPKfiiiSC_SC_iiiii.uses_vcc, 1
	.set _ZN4vllm25paged_attention_v1_kernelIthLi32ELi8ELi128ELNS_18Fp8KVCacheDataTypeE1ELb0EEEvPT_PKS2_PKT0_S8_ifPKiSA_iPKfiiiSC_SC_iiiii.uses_flat_scratch, 0
	.set _ZN4vllm25paged_attention_v1_kernelIthLi32ELi8ELi128ELNS_18Fp8KVCacheDataTypeE1ELb0EEEvPT_PKS2_PKT0_S8_ifPKiSA_iPKfiiiSC_SC_iiiii.has_dyn_sized_stack, 0
	.set _ZN4vllm25paged_attention_v1_kernelIthLi32ELi8ELi128ELNS_18Fp8KVCacheDataTypeE1ELb0EEEvPT_PKS2_PKT0_S8_ifPKiSA_iPKfiiiSC_SC_iiiii.has_recursion, 0
	.set _ZN4vllm25paged_attention_v1_kernelIthLi32ELi8ELi128ELNS_18Fp8KVCacheDataTypeE1ELb0EEEvPT_PKS2_PKT0_S8_ifPKiSA_iPKfiiiSC_SC_iiiii.has_indirect_call, 0
	.section	.AMDGPU.csdata,"",@progbits
; Kernel info:
; codeLenInByte = 5500
; TotalNumSgprs: 44
; NumVgprs: 36
; NumAgprs: 0
; TotalNumVgprs: 36
; ScratchSize: 0
; MemoryBound: 0
; FloatMode: 240
; IeeeMode: 1
; LDSByteSize: 80 bytes/workgroup (compile time only)
; SGPRBlocks: 5
; VGPRBlocks: 4
; NumSGPRsForWavesPerEU: 44
; NumVGPRsForWavesPerEU: 36
; AccumOffset: 36
; Occupancy: 8
; WaveLimiterHint : 1
; COMPUTE_PGM_RSRC2:SCRATCH_EN: 0
; COMPUTE_PGM_RSRC2:USER_SGPR: 2
; COMPUTE_PGM_RSRC2:TRAP_HANDLER: 0
; COMPUTE_PGM_RSRC2:TGID_X_EN: 1
; COMPUTE_PGM_RSRC2:TGID_Y_EN: 1
; COMPUTE_PGM_RSRC2:TGID_Z_EN: 1
; COMPUTE_PGM_RSRC2:TIDIG_COMP_CNT: 0
; COMPUTE_PGM_RSRC3_GFX90A:ACCUM_OFFSET: 8
; COMPUTE_PGM_RSRC3_GFX90A:TG_SPLIT: 0
	.section	.text._ZN4vllm25paged_attention_v1_kernelIthLi64ELi8ELi128ELNS_18Fp8KVCacheDataTypeE1ELb0EEEvPT_PKS2_PKT0_S8_ifPKiSA_iPKfiiiSC_SC_iiiii,"axG",@progbits,_ZN4vllm25paged_attention_v1_kernelIthLi64ELi8ELi128ELNS_18Fp8KVCacheDataTypeE1ELb0EEEvPT_PKS2_PKT0_S8_ifPKiSA_iPKfiiiSC_SC_iiiii,comdat
	.protected	_ZN4vllm25paged_attention_v1_kernelIthLi64ELi8ELi128ELNS_18Fp8KVCacheDataTypeE1ELb0EEEvPT_PKS2_PKT0_S8_ifPKiSA_iPKfiiiSC_SC_iiiii ; -- Begin function _ZN4vllm25paged_attention_v1_kernelIthLi64ELi8ELi128ELNS_18Fp8KVCacheDataTypeE1ELb0EEEvPT_PKS2_PKT0_S8_ifPKiSA_iPKfiiiSC_SC_iiiii
	.globl	_ZN4vllm25paged_attention_v1_kernelIthLi64ELi8ELi128ELNS_18Fp8KVCacheDataTypeE1ELb0EEEvPT_PKS2_PKT0_S8_ifPKiSA_iPKfiiiSC_SC_iiiii
	.p2align	8
	.type	_ZN4vllm25paged_attention_v1_kernelIthLi64ELi8ELi128ELNS_18Fp8KVCacheDataTypeE1ELb0EEEvPT_PKS2_PKT0_S8_ifPKiSA_iPKfiiiSC_SC_iiiii,@function
_ZN4vllm25paged_attention_v1_kernelIthLi64ELi8ELi128ELNS_18Fp8KVCacheDataTypeE1ELb0EEEvPT_PKS2_PKT0_S8_ifPKiSA_iPKfiiiSC_SC_iiiii: ; @_ZN4vllm25paged_attention_v1_kernelIthLi64ELi8ELi128ELNS_18Fp8KVCacheDataTypeE1ELb0EEEvPT_PKS2_PKT0_S8_ifPKiSA_iPKfiiiSC_SC_iiiii
; %bb.0:
	s_load_dword s5, s[0:1], 0x80
	s_load_dwordx2 s[6:7], s[0:1], 0x30
	s_load_dwordx2 s[10:11], s[0:1], 0x20
	s_mov_b32 s20, s3
	s_ashr_i32 s21, s3, 31
	s_lshl_b64 s[8:9], s[20:21], 2
	s_waitcnt lgkmcnt(0)
	s_add_u32 s6, s6, s8
	s_addc_u32 s7, s7, s9
	s_abs_i32 s3, s10
	v_cvt_f32_u32_e32 v1, s3
	s_xor_b32 s8, s5, s10
	s_sub_i32 s10, 0, s3
	s_abs_i32 s9, s5
	v_rcp_iflag_f32_e32 v1, v1
	s_ashr_i32 s8, s8, 31
	v_mul_f32_e32 v1, 0x4f7ffffe, v1
	v_cvt_u32_f32_e32 v1, v1
	s_nop 0
	v_readfirstlane_b32 s12, v1
	s_mul_i32 s10, s10, s12
	s_mul_hi_u32 s10, s12, s10
	s_add_i32 s12, s12, s10
	s_mul_hi_u32 s10, s9, s12
	s_mul_i32 s12, s10, s3
	s_sub_i32 s9, s9, s12
	s_add_i32 s12, s10, 1
	s_sub_i32 s13, s9, s3
	s_cmp_ge_u32 s9, s3
	s_cselect_b32 s10, s12, s10
	s_cselect_b32 s9, s13, s9
	s_add_i32 s12, s10, 1
	s_cmp_ge_u32 s9, s3
	s_cselect_b32 s3, s12, s10
	s_xor_b32 s3, s3, s8
	s_sub_i32 s15, s3, s8
	s_abs_i32 s12, s15
	v_cvt_f32_u32_e32 v1, s12
	s_load_dwordx2 s[8:9], s[0:1], 0x40
	s_sub_i32 s3, 0, s12
	s_abs_i32 s13, s2
	v_rcp_iflag_f32_e32 v1, v1
	s_mov_b32 s10, 0
	v_mul_f32_e32 v1, 0x4f7ffffe, v1
	v_cvt_u32_f32_e32 v1, v1
	s_nop 0
	v_readfirstlane_b32 s14, v1
	s_mul_i32 s3, s3, s14
	s_mul_hi_u32 s3, s14, s3
	s_add_i32 s14, s14, s3
	s_waitcnt lgkmcnt(0)
	s_cmp_eq_u64 s[8:9], 0
	s_mul_hi_u32 s14, s13, s14
	s_cbranch_scc1 .LBB226_2
; %bb.1:
	s_ashr_i32 s3, s2, 31
	s_lshl_b64 s[16:17], s[2:3], 2
	s_add_u32 s8, s8, s16
	s_addc_u32 s9, s9, s17
	s_load_dword s10, s[8:9], 0x0
.LBB226_2:
	s_load_dword s21, s[6:7], 0x0
	s_load_dwordx4 s[16:19], s[0:1], 0x48
	s_ashr_i32 s8, s2, 31
	s_ashr_i32 s9, s15, 31
	v_and_b32_e32 v4, 7, v0
	s_lshl_b32 s22, s2, 6
	v_cmp_gt_u32_e64 s[6:7], 64, v0
	s_and_saveexec_b64 s[2:3], s[6:7]
	s_cbranch_execz .LBB226_4
; %bb.3:
	s_load_dwordx2 s[24:25], s[0:1], 0x8
	s_waitcnt lgkmcnt(0)
	s_mul_i32 s26, s16, s20
	s_ashr_i32 s27, s26, 31
	s_lshl_b64 s[26:27], s[26:27], 1
	v_lshlrev_b32_e32 v1, 1, v0
	s_add_u32 s15, s24, s26
	s_addc_u32 s16, s25, s27
	s_ashr_i32 s23, s22, 31
	s_lshl_b64 s[24:25], s[22:23], 1
	s_add_u32 s24, s15, s24
	s_addc_u32 s25, s16, s25
	global_load_ushort v1, v1, s[24:25]
	v_lshrrev_b32_e32 v2, 2, v0
	v_and_b32_e32 v2, 0xfe, v2
	v_lshl_add_u32 v2, v4, 4, v2
	s_waitcnt vmcnt(0)
	ds_write_b16 v2, v1
.LBB226_4:
	s_or_b64 exec, exec, s[2:3]
	s_waitcnt lgkmcnt(0)
	s_add_i32 s3, s21, 7
	s_ashr_i32 s15, s3, 31
	s_lshr_b32 s15, s15, 29
	s_add_i32 s3, s3, s15
	s_ashr_i32 s33, s3, 3
	s_xor_b32 s3, s8, s9
	s_mul_i32 s8, s14, s12
	s_sub_i32 s8, s13, s8
	s_add_i32 s9, s14, 1
	s_sub_i32 s13, s8, s12
	s_load_dwordx2 s[26:27], s[0:1], 0x28
	s_load_dword s2, s[0:1], 0x38
	s_cmp_ge_u32 s8, s12
	s_cselect_b32 s9, s9, s14
	s_cselect_b32 s8, s13, s8
	s_add_i32 s13, s9, 1
	s_cmp_ge_u32 s8, s12
	s_cselect_b32 s8, s13, s9
	v_lshrrev_b32_e32 v18, 6, v0
	s_xor_b32 s8, s8, s3
	s_waitcnt lgkmcnt(0)
	s_mul_i32 s28, s2, s20
	s_sub_i32 s16, s8, s3
	s_ashr_i32 s29, s28, 31
	v_cmp_gt_i32_e64 s[2:3], s33, v18
	v_cmp_le_i32_e32 vcc, s33, v18
	v_mbcnt_lo_u32_b32 v14, -1, 0
	s_barrier
                                        ; implicit-def: $vgpr2
                                        ; implicit-def: $vgpr9
                                        ; implicit-def: $vgpr8
	s_and_saveexec_b64 s[8:9], vcc
	s_xor_b64 s[8:9], exec, s[8:9]
; %bb.5:
	v_mbcnt_hi_u32_b32 v2, -1, v14
	v_and_b32_e32 v9, 64, v2
	v_add_u32_e32 v8, 64, v9
                                        ; implicit-def: $vgpr4
                                        ; implicit-def: $vgpr14
; %bb.6:
	s_or_saveexec_b64 s[34:35], s[8:9]
	s_load_dwordx2 s[24:25], s[0:1], 0x0
	s_load_dwordx2 s[30:31], s[0:1], 0x18
	s_load_dword s23, s[0:1], 0x88
	s_load_dwordx4 s[12:15], s[0:1], 0x58
	v_mov_b32_e32 v10, 0xff7fffff
	s_mul_i32 s16, s16, s18
	v_lshrrev_b32_e32 v1, 4, v0
	s_xor_b64 exec, exec, s[34:35]
	s_cbranch_execz .LBB226_12
; %bb.7:
	s_load_dwordx2 s[0:1], s[0:1], 0x10
	s_ashr_i32 s8, s16, 31
	v_bfe_u32 v8, v0, 3, 3
	v_lshlrev_b32_e32 v2, 4, v8
	v_mov_b32_e32 v3, 0
	s_waitcnt lgkmcnt(0)
	s_add_u32 s0, s0, s16
	s_addc_u32 s1, s1, s8
	v_lshl_add_u64 v[6:7], s[0:1], 0, v[2:3]
	s_sub_i32 s39, 1, s21
	v_lshlrev_b32_e32 v2, 2, v8
	s_lshl_b64 s[8:9], s[28:29], 2
	v_lshl_or_b32 v2, v18, 5, v2
	s_add_u32 s8, s26, s8
	v_mov_b32_e32 v5, v3
	v_add_u32_e32 v13, 0x90, v2
	v_and_b32_e32 v2, 60, v1
	s_addc_u32 s9, s27, s9
	v_lshlrev_b32_e32 v11, 4, v4
	v_cmp_eq_u32_e32 vcc, 0, v4
	v_lshl_add_u64 v[4:5], v[6:7], 0, v[4:5]
	v_lshl_add_u64 v[6:7], s[8:9], 0, v[2:3]
	v_mbcnt_hi_u32_b32 v2, -1, v14
	v_and_b32_e32 v9, 64, v2
	s_mov_b32 s38, s17
	v_cmp_neq_f32_e64 s[0:1], s10, 0
	v_lshl_or_b32 v12, v18, 3, v8
	v_mov_b32_e32 v10, 0xff7fffff
	s_mov_b64 s[18:19], 0
	v_add_u32_e32 v8, 64, v9
	v_xor_b32_e32 v14, 4, v2
	v_xor_b32_e32 v15, 2, v2
	;; [unrolled: 1-line block ×3, first 2 shown]
	v_mov_b32_e32 v17, v18
	s_branch .LBB226_9
.LBB226_8:                              ;   in Loop: Header=BB226_9 Depth=1
	s_or_b64 exec, exec, s[36:37]
	v_add_u32_e32 v17, 2, v17
	v_cmp_le_i32_e64 s[8:9], s33, v17
	v_add_u32_e32 v12, 16, v12
	v_add_u32_e32 v13, 64, v13
	s_or_b64 s[18:19], s[8:9], s[18:19]
	v_lshl_add_u64 v[6:7], v[6:7], 0, 8
	s_andn2_b64 exec, exec, s[18:19]
	s_cbranch_execz .LBB226_11
.LBB226_9:                              ; =>This Inner Loop Header: Depth=1
	global_load_dword v19, v[6:7], off
	s_waitcnt vmcnt(0) lgkmcnt(0)
	v_mad_i64_i32 v[20:21], s[8:9], v19, s38, v[4:5]
	global_load_ubyte v19, v[20:21], off
	global_load_ubyte v22, v[20:21], off offset:8
	global_load_dword v23, v3, s[12:13]
	global_load_ubyte v24, v[20:21], off offset:128
	global_load_ubyte v25, v[20:21], off offset:136
	global_load_ubyte v26, v[20:21], off offset:256
	global_load_ubyte v27, v[20:21], off offset:264
	global_load_ubyte v28, v[20:21], off offset:384
	global_load_ubyte v29, v[20:21], off offset:392
	ds_read_u16 v21, v11
	s_waitcnt lgkmcnt(0)
	;;#ASMSTART
	v_cvt_f32_f16 v21, v21;
	;;#ASMEND
	v_cmp_lt_i32_e64 s[8:9], v14, v8
	s_waitcnt vmcnt(8)
	v_cvt_f32_fp8_e32 v19, v19
	s_waitcnt vmcnt(7)
	v_cvt_f32_fp8_e32 v22, v22
	v_cndmask_b32_e64 v20, v2, v14, s[8:9]
	s_waitcnt vmcnt(5)
	v_cvt_f32_fp8_e32 v24, v24
	v_fma_mixlo_f16 v19, v23, v19, 0
	s_waitcnt vmcnt(4)
	v_cvt_f32_fp8_e32 v25, v25
	v_and_b32_e32 v19, 0xffff, v19
	v_fma_mixlo_f16 v22, v23, v22, 0
	;;#ASMSTART
	v_cvt_f32_f16 v19, v19;
	;;#ASMEND
	ds_read_u16 v30, v11 offset:2
	v_and_b32_e32 v31, 0xffff, v22
	s_waitcnt lgkmcnt(0)
	;;#ASMSTART
	v_cvt_f32_f16 v22, v30;
	;;#ASMEND
	s_waitcnt vmcnt(3)
	v_cvt_f32_fp8_e32 v26, v26
	;;#ASMSTART
	v_cvt_f32_f16 v30, v31;
	;;#ASMEND
	v_fma_mixlo_f16 v24, v23, v24, 0
	s_waitcnt vmcnt(2)
	v_cvt_f32_fp8_e32 v27, v27
	s_waitcnt vmcnt(1)
	v_cvt_f32_fp8_e32 v28, v28
	v_mul_f32_e32 v22, v22, v30
	ds_read_u16 v31, v11 offset:4
	v_and_b32_e32 v32, 0xffff, v24
	v_fma_mixlo_f16 v25, v23, v25, 0
	s_waitcnt vmcnt(0)
	v_cvt_f32_fp8_e32 v29, v29
	v_fmac_f32_e32 v22, v21, v19
	s_waitcnt lgkmcnt(0)
	;;#ASMSTART
	v_cvt_f32_f16 v24, v31;
	;;#ASMEND
	;;#ASMSTART
	v_cvt_f32_f16 v31, v32;
	;;#ASMEND
	ds_read_u16 v32, v11 offset:6
	v_and_b32_e32 v33, 0xffff, v25
	v_fmac_f32_e32 v22, v24, v31
	s_waitcnt lgkmcnt(0)
	;;#ASMSTART
	v_cvt_f32_f16 v25, v32;
	;;#ASMEND
	;;#ASMSTART
	v_cvt_f32_f16 v32, v33;
	;;#ASMEND
	ds_read_u16 v33, v11 offset:8
	v_fma_mixlo_f16 v26, v23, v26, 0
	v_fmac_f32_e32 v22, v25, v32
	v_fma_mixlo_f16 v27, v23, v27, 0
	v_and_b32_e32 v34, 0xffff, v26
	s_waitcnt lgkmcnt(0)
	;;#ASMSTART
	v_cvt_f32_f16 v26, v33;
	;;#ASMEND
	;;#ASMSTART
	v_cvt_f32_f16 v33, v34;
	;;#ASMEND
	v_fma_mixlo_f16 v28, v23, v28, 0
	v_fmac_f32_e32 v22, v26, v33
	ds_read_u16 v34, v11 offset:10
	v_fma_mixlo_f16 v23, v23, v29, 0
	v_and_b32_e32 v29, 0xffff, v27
	v_and_b32_e32 v35, 0xffff, v28
	s_waitcnt lgkmcnt(0)
	;;#ASMSTART
	v_cvt_f32_f16 v27, v34;
	;;#ASMEND
	;;#ASMSTART
	v_cvt_f32_f16 v28, v29;
	;;#ASMEND
	ds_read_u16 v29, v11 offset:12
	v_fmac_f32_e32 v22, v27, v28
	s_waitcnt lgkmcnt(0)
	;;#ASMSTART
	v_cvt_f32_f16 v19, v29;
	;;#ASMEND
	;;#ASMSTART
	v_cvt_f32_f16 v21, v35;
	;;#ASMEND
	v_lshlrev_b32_e32 v20, 2, v20
	v_fmac_f32_e32 v22, v19, v21
	v_and_b32_e32 v23, 0xffff, v23
	ds_read_u16 v24, v11 offset:14
	s_waitcnt lgkmcnt(0)
	;;#ASMSTART
	v_cvt_f32_f16 v19, v24;
	;;#ASMEND
	;;#ASMSTART
	v_cvt_f32_f16 v21, v23;
	;;#ASMEND
	v_cmp_lt_i32_e64 s[8:9], v15, v8
	v_fmac_f32_e32 v22, v19, v21
	ds_bpermute_b32 v19, v20, v22
	v_cndmask_b32_e64 v20, v2, v15, s[8:9]
	v_lshlrev_b32_e32 v20, 2, v20
	v_cmp_lt_i32_e64 s[8:9], v16, v8
	s_waitcnt lgkmcnt(0)
	v_add_f32_e32 v19, v22, v19
	ds_bpermute_b32 v20, v20, v19
	v_cndmask_b32_e64 v21, v2, v16, s[8:9]
	s_waitcnt lgkmcnt(0)
	v_add_f32_e32 v19, v19, v20
	v_lshlrev_b32_e32 v20, 2, v21
	ds_bpermute_b32 v20, v20, v19
	s_and_saveexec_b64 s[36:37], vcc
	s_cbranch_execz .LBB226_8
; %bb.10:                               ;   in Loop: Header=BB226_9 Depth=1
	v_add_u32_e32 v21, s39, v12
	v_cvt_f32_i32_e32 v21, v21
	s_waitcnt lgkmcnt(0)
	v_add_f32_e32 v19, v19, v20
	v_cmp_gt_i32_e64 s[8:9], s21, v12
	v_max_f32_e32 v20, v10, v10
	v_mul_f32_e32 v21, s10, v21
	v_cndmask_b32_e64 v21, 0, v21, s[0:1]
	v_fmac_f32_e32 v21, s11, v19
	v_cndmask_b32_e64 v19, 0, v21, s[8:9]
	ds_write_b32 v13, v19
	v_max_f32_e32 v19, v20, v21
	v_cndmask_b32_e64 v10, v10, v19, s[8:9]
	s_branch .LBB226_8
.LBB226_11:
	s_or_b64 exec, exec, s[18:19]
.LBB226_12:
	s_or_b64 exec, exec, s[34:35]
	v_xor_b32_e32 v3, 32, v2
	v_cmp_lt_i32_e32 vcc, v3, v8
	v_xor_b32_e32 v6, 16, v2
	v_max_f32_e32 v5, v10, v10
	v_cndmask_b32_e32 v3, v2, v3, vcc
	v_lshlrev_b32_e32 v4, 2, v3
	ds_bpermute_b32 v3, v4, v10
	v_cmp_lt_i32_e32 vcc, v6, v8
	v_xor_b32_e32 v7, 8, v2
	v_and_b32_e32 v19, 63, v0
	s_waitcnt lgkmcnt(0)
	v_max_f32_e32 v3, v3, v3
	v_max_f32_e32 v3, v5, v3
	v_cndmask_b32_e32 v5, v2, v6, vcc
	v_lshlrev_b32_e32 v6, 2, v5
	ds_bpermute_b32 v5, v6, v3
	v_cmp_lt_i32_e32 vcc, v7, v8
	s_waitcnt lgkmcnt(0)
	v_max_f32_e32 v5, v5, v5
	v_max_f32_e32 v5, v3, v5
	v_cndmask_b32_e32 v3, v2, v7, vcc
	v_lshlrev_b32_e32 v10, 2, v3
	ds_bpermute_b32 v7, v10, v5
	v_cmp_eq_u32_e32 vcc, 0, v19
	v_lshlrev_b32_e32 v3, 2, v18
	s_and_saveexec_b64 s[0:1], vcc
	s_cbranch_execz .LBB226_14
; %bb.13:
	s_waitcnt lgkmcnt(0)
	v_max_f32_e32 v7, v7, v7
	v_max_f32_e32 v5, v5, v5
	;; [unrolled: 1-line block ×3, first 2 shown]
	ds_write_b32 v3, v5 offset:128
.LBB226_14:
	s_or_b64 exec, exec, s[0:1]
	v_cmp_gt_u32_e64 s[0:1], 2, v19
	v_mov_b32_e32 v11, 0xff7fffff
	v_lshlrev_b32_e32 v5, 2, v19
	s_waitcnt lgkmcnt(0)
	s_barrier
	s_and_saveexec_b64 s[8:9], s[0:1]
; %bb.15:
	ds_read_b32 v11, v5 offset:128
; %bb.16:
	s_or_b64 exec, exec, s[8:9]
	v_xor_b32_e32 v7, 1, v2
	v_cmp_lt_i32_e64 s[8:9], v7, v8
	v_lshlrev_b32_e32 v9, 2, v9
	s_nop 0
	v_cndmask_b32_e64 v7, v2, v7, s[8:9]
	v_lshlrev_b32_e32 v7, 2, v7
	s_waitcnt lgkmcnt(0)
	ds_bpermute_b32 v12, v7, v11
	v_max_f32_e32 v11, v11, v11
	s_lshl_b32 s8, s33, 3
	s_min_i32 s34, s8, s21
	v_cmp_gt_i32_e64 s[8:9], s34, v0
	s_waitcnt lgkmcnt(0)
	v_max_f32_e32 v12, v12, v12
	v_max_f32_e32 v11, v11, v12
	ds_bpermute_b32 v11, v9, v11
	v_mov_b32_e32 v9, 0
	s_and_saveexec_b64 s[12:13], s[8:9]
	s_cbranch_execz .LBB226_20
; %bb.17:
	v_mov_b32_e32 v9, 0x90
	v_lshl_add_u32 v12, v0, 2, v9
	v_mov_b32_e32 v9, 0
	s_mov_b64 s[18:19], 0
	v_mov_b32_e32 v13, v0
.LBB226_18:                             ; =>This Inner Loop Header: Depth=1
	ds_read_b32 v14, v12
	v_add_u32_e32 v13, 0x80, v13
	v_cmp_le_i32_e64 s[10:11], s34, v13
	s_or_b64 s[18:19], s[10:11], s[18:19]
	s_waitcnt lgkmcnt(0)
	v_sub_f32_e32 v14, v14, v11
	v_mul_f32_e32 v14, 0x3fb8aa3b, v14
	v_exp_f32_e32 v14, v14
	ds_write_b32 v12, v14
	v_add_f32_e32 v9, v9, v14
	v_add_u32_e32 v12, 0x200, v12
	s_andn2_b64 exec, exec, s[18:19]
	s_cbranch_execnz .LBB226_18
; %bb.19:
	s_or_b64 exec, exec, s[18:19]
.LBB226_20:
	s_or_b64 exec, exec, s[12:13]
	ds_bpermute_b32 v4, v4, v9
	s_waitcnt lgkmcnt(0)
	v_add_f32_e32 v4, v9, v4
	ds_bpermute_b32 v6, v6, v4
	v_xor_b32_e32 v9, 4, v2
	v_cmp_lt_i32_e64 s[10:11], v9, v8
	s_waitcnt lgkmcnt(0)
	v_add_f32_e32 v4, v4, v6
	ds_bpermute_b32 v6, v10, v4
	v_cndmask_b32_e64 v9, v2, v9, s[10:11]
	v_lshlrev_b32_e32 v9, 2, v9
	s_waitcnt lgkmcnt(0)
	v_add_f32_e32 v4, v4, v6
	ds_bpermute_b32 v6, v9, v4
	v_xor_b32_e32 v9, 2, v2
	v_cmp_lt_i32_e64 s[10:11], v9, v8
	s_waitcnt lgkmcnt(0)
	v_add_f32_e32 v4, v4, v6
	v_cndmask_b32_e64 v8, v2, v9, s[10:11]
	v_lshlrev_b32_e32 v6, 2, v8
	ds_bpermute_b32 v6, v6, v4
	s_waitcnt lgkmcnt(0)
	v_add_f32_e32 v4, v4, v6
	ds_bpermute_b32 v6, v7, v4
	s_waitcnt lgkmcnt(0)
	v_add_f32_e32 v4, v4, v6
	s_and_saveexec_b64 s[10:11], vcc
; %bb.21:
	ds_write_b32 v3, v4 offset:136
; %bb.22:
	s_or_b64 exec, exec, s[10:11]
	s_waitcnt lgkmcnt(0)
	s_barrier
	s_and_saveexec_b64 s[10:11], s[0:1]
; %bb.23:
	ds_read_b32 v4, v5 offset:136
; %bb.24:
	s_or_b64 exec, exec, s[10:11]
	s_waitcnt lgkmcnt(0)
	ds_bpermute_b32 v3, v7, v4
	v_lshlrev_b32_e32 v2, 2, v2
	v_and_b32_e32 v2, 0xffffff00, v2
	s_waitcnt lgkmcnt(0)
	v_add_f32_e32 v3, v4, v3
	ds_bpermute_b32 v2, v2, v3
	s_and_saveexec_b64 s[0:1], s[8:9]
	s_cbranch_execz .LBB226_37
; %bb.25:
	s_waitcnt lgkmcnt(0)
	v_add_f32_e32 v2, 0x358637bd, v2
	v_div_scale_f32 v3, s[8:9], v2, v2, 1.0
	v_rcp_f32_e32 v4, v3
	v_div_scale_f32 v5, vcc, 1.0, v2, 1.0
	s_movk_i32 s8, 0x7f
	v_fma_f32 v6, -v3, v4, 1.0
	v_fmac_f32_e32 v4, v6, v4
	v_mul_f32_e32 v6, v5, v4
	v_fma_f32 v7, -v3, v6, v5
	v_fmac_f32_e32 v6, v7, v4
	v_fma_f32 v3, -v3, v6, v5
	v_div_fmas_f32 v3, v3, v4, v6
	v_xad_u32 v4, v0, -1, s34
	v_div_fixup_f32 v2, v3, v2, 1.0
	v_cmp_lt_u32_e32 vcc, s8, v4
	s_mov_b64 s[10:11], -1
	v_mov_b32_e32 v3, v0
	s_and_saveexec_b64 s[8:9], vcc
	s_cbranch_execz .LBB226_34
; %bb.26:
	v_lshrrev_b32_e32 v4, 7, v4
	v_add_u32_e32 v6, -1, v4
	v_lshrrev_b32_e32 v5, 1, v6
	v_mov_b32_e32 v3, v2
	v_add_u32_e32 v5, 1, v5
	v_cmp_lt_u32_e32 vcc, 13, v6
	v_mov_b32_e32 v8, 0
	s_and_saveexec_b64 s[10:11], vcc
	s_cbranch_execz .LBB226_30
; %bb.27:
	v_mov_b32_e32 v7, 0x90
	v_and_b32_e32 v6, -8, v5
	v_lshl_add_u32 v7, v0, 2, v7
	s_mov_b32 s18, 0
	s_mov_b64 s[12:13], 0
.LBB226_28:                             ; =>This Inner Loop Header: Depth=1
	ds_read2st64_b32 v[8:9], v7 offset1:2
	ds_read2st64_b32 v[10:11], v7 offset0:4 offset1:6
	ds_read2st64_b32 v[12:13], v7 offset0:8 offset1:10
	;; [unrolled: 1-line block ×3, first 2 shown]
	v_add_u32_e32 v6, -8, v6
	s_waitcnt lgkmcnt(3)
	v_pk_mul_f32 v[8:9], v[2:3], v[8:9]
	s_waitcnt lgkmcnt(2)
	v_pk_mul_f32 v[10:11], v[2:3], v[10:11]
	ds_write2st64_b32 v7, v8, v9 offset1:2
	ds_write2st64_b32 v7, v10, v11 offset0:4 offset1:6
	ds_read2st64_b32 v[10:11], v7 offset0:16 offset1:18
	s_waitcnt lgkmcnt(4)
	v_pk_mul_f32 v[8:9], v[2:3], v[12:13]
	ds_write2st64_b32 v7, v8, v9 offset0:8 offset1:10
	s_waitcnt lgkmcnt(4)
	v_pk_mul_f32 v[8:9], v[2:3], v[14:15]
	ds_write2st64_b32 v7, v8, v9 offset0:12 offset1:14
	ds_read2st64_b32 v[8:9], v7 offset0:20 offset1:22
	s_waitcnt lgkmcnt(3)
	v_pk_mul_f32 v[10:11], v[2:3], v[10:11]
	ds_read2st64_b32 v[12:13], v7 offset0:24 offset1:26
	ds_write2st64_b32 v7, v10, v11 offset0:16 offset1:18
	ds_read2st64_b32 v[10:11], v7 offset0:28 offset1:30
	s_waitcnt lgkmcnt(3)
	v_pk_mul_f32 v[8:9], v[2:3], v[8:9]
	ds_write2st64_b32 v7, v8, v9 offset0:20 offset1:22
	s_waitcnt lgkmcnt(3)
	v_pk_mul_f32 v[8:9], v[2:3], v[12:13]
	ds_write2st64_b32 v7, v8, v9 offset0:24 offset1:26
	s_waitcnt lgkmcnt(2)
	v_pk_mul_f32 v[8:9], v[2:3], v[10:11]
	s_add_i32 s18, s18, 16
	v_cmp_eq_u32_e32 vcc, 0, v6
	ds_write2st64_b32 v7, v8, v9 offset0:28 offset1:30
	v_add_u32_e32 v7, 0x2000, v7
	s_or_b64 s[12:13], vcc, s[12:13]
	v_mov_b32_e32 v8, s18
	s_andn2_b64 exec, exec, s[12:13]
	s_cbranch_execnz .LBB226_28
; %bb.29:
	s_or_b64 exec, exec, s[12:13]
.LBB226_30:
	s_or_b64 exec, exec, s[10:11]
	v_and_b32_e32 v5, 7, v5
	v_cmp_ne_u32_e32 vcc, 0, v5
	s_and_saveexec_b64 s[10:11], vcc
	s_cbranch_execz .LBB226_33
; %bb.31:
	v_lshlrev_b32_e32 v6, 9, v8
	v_lshlrev_b32_e32 v7, 2, v0
	s_movk_i32 s12, 0x90
	v_add3_u32 v6, v6, v7, s12
	s_mov_b64 s[12:13], 0
.LBB226_32:                             ; =>This Inner Loop Header: Depth=1
	ds_read2st64_b32 v[8:9], v6 offset1:2
	v_add_u32_e32 v5, -1, v5
	v_cmp_eq_u32_e32 vcc, 0, v5
	s_or_b64 s[12:13], vcc, s[12:13]
	s_waitcnt lgkmcnt(0)
	v_pk_mul_f32 v[8:9], v[2:3], v[8:9]
	ds_write2st64_b32 v6, v8, v9 offset1:2
	v_add_u32_e32 v6, 0x400, v6
	s_andn2_b64 exec, exec, s[12:13]
	s_cbranch_execnz .LBB226_32
.LBB226_33:
	s_or_b64 exec, exec, s[10:11]
	v_add_u32_e32 v4, 1, v4
	v_and_b32_e32 v5, 0x3fffffe, v4
	v_cmp_ne_u32_e32 vcc, v4, v5
	v_lshl_add_u32 v3, v5, 7, v0
	s_orn2_b64 s[10:11], vcc, exec
.LBB226_34:
	s_or_b64 exec, exec, s[8:9]
	s_and_b64 exec, exec, s[10:11]
	s_cbranch_execz .LBB226_37
; %bb.35:
	v_mov_b32_e32 v4, 0x90
	v_lshl_add_u32 v4, v3, 2, v4
	s_mov_b64 s[8:9], 0
.LBB226_36:                             ; =>This Inner Loop Header: Depth=1
	ds_read_b32 v5, v4
	v_add_u32_e32 v3, 0x80, v3
	v_cmp_le_i32_e32 vcc, s34, v3
	s_or_b64 s[8:9], vcc, s[8:9]
	s_waitcnt lgkmcnt(0)
	v_mul_f32_e32 v5, v2, v5
	ds_write_b32 v4, v5
	v_add_u32_e32 v4, 0x200, v4
	s_andn2_b64 exec, exec, s[8:9]
	s_cbranch_execnz .LBB226_36
.LBB226_37:
	s_or_b64 exec, exec, s[0:1]
	v_mov_b32_e32 v20, 0
	s_waitcnt lgkmcnt(0)
	s_barrier
	s_and_saveexec_b64 s[8:9], s[2:3]
	s_cbranch_execz .LBB226_91
; %bb.38:
	s_ashr_i32 s1, s16, 31
	s_add_u32 s0, s30, s16
	s_addc_u32 s1, s31, s1
	v_lshlrev_b32_e32 v2, 3, v19
	v_mov_b32_e32 v3, 0
	v_lshl_add_u64 v[4:5], s[0:1], 0, v[2:3]
	s_add_i32 s19, s33, -1
	s_lshl_b64 s[0:1], s[28:29], 2
	v_mov_b32_e32 v2, 0x90
	s_add_u32 s0, s26, s0
	s_mov_b32 s2, -1
	v_lshl_add_u32 v22, v18, 5, v2
	v_and_b32_e32 v2, 60, v1
	s_addc_u32 s1, s27, s1
	s_mov_b32 s18, s17
	s_mov_b32 s3, 0xffffff
	;; [unrolled: 1-line block ×3, first 2 shown]
	v_lshlrev_b32_e32 v21, 3, v18
	v_lshl_add_u64 v[6:7], s[0:1], 0, v[2:3]
	s_mov_b64 s[10:11], 0
	s_movk_i32 s26, 0x7f
	s_movk_i32 s27, 0x80
	s_mov_b32 s28, 0xffff
	s_mov_b32 s29, 0x8000
	v_mov_b32_e32 v23, 0x2000
	v_mov_b32_e32 v24, 0x7c01
	v_mov_b32_e32 v25, 0x7c010000
	v_bfrev_b32_e32 v26, 1
	v_mov_b32_e32 v20, 0
	s_branch .LBB226_40
.LBB226_39:                             ;   in Loop: Header=BB226_40 Depth=1
	s_or_b64 exec, exec, s[0:1]
	v_and_b32_e32 v8, 0xffff, v27
	v_and_b32_e32 v9, 0xffff, v29
	v_lshl_or_b32 v8, v28, 16, v8
	v_lshl_or_b32 v9, v30, 16, v9
	v_and_b32_e32 v10, 0xffff, v31
	v_and_b32_e32 v11, 0xffff, v33
	;;#ASMSTART
	v_pk_mul_f16 v1, v8, v1;

	;;#ASMEND
	v_lshl_or_b32 v10, v32, 16, v10
	v_lshl_or_b32 v11, v34, 16, v11
	;;#ASMSTART
	v_pk_mul_f16 v2, v9, v2;

	;;#ASMEND
	;;#ASMSTART
	v_pk_mul_f16 v8, v10, v17;

	;;#ASMEND
	;; [unrolled: 4-line block ×3, first 2 shown]
	v_add_u32_e32 v18, 2, v18
	;;#ASMSTART
	v_pk_add_f16 v1, v1, v2;

	;;#ASMEND
	v_cmp_le_i32_e32 vcc, s33, v18
	;;#ASMSTART
	v_pk_add_f16 v1, v1, v8;

	;;#ASMEND
	v_add_u32_e32 v21, 16, v21
	;;#ASMSTART
	v_pk_add_f16 v1, v1, v9;

	;;#ASMEND
	v_add_u32_e32 v22, 64, v22
	v_lshrrev_b32_e32 v2, 16, v1
	v_and_b32_e32 v1, 0xffff, v1
	;;#ASMSTART
	v_cvt_f32_f16 v1, v1;
	;;#ASMEND
	;;#ASMSTART
	v_cvt_f32_f16 v2, v2;
	;;#ASMEND
	s_or_b64 s[10:11], vcc, s[10:11]
	v_add_f32_e32 v1, v1, v2
	v_add_f32_e32 v20, v20, v1
	v_lshl_add_u64 v[6:7], v[6:7], 0, 8
	s_andn2_b64 exec, exec, s[10:11]
	s_cbranch_execz .LBB226_90
.LBB226_40:                             ; =>This Inner Loop Header: Depth=1
	ds_read2_b64 v[8:11], v22 offset1:1
	ds_read2_b64 v[12:15], v22 offset0:2 offset1:3
	s_waitcnt lgkmcnt(1)
	;;#ASMSTART
	v_cvt_f16_f32 v27, v8;

	;;#ASMEND
	;;#ASMSTART
	v_cvt_f16_f32 v28, v9;

	;;#ASMEND
	;; [unrolled: 4-line block ×4, first 2 shown]
	s_waitcnt lgkmcnt(0)
	;;#ASMSTART
	v_cvt_f16_f32 v31, v12;

	;;#ASMEND
	;;#ASMSTART
	v_cvt_f16_f32 v32, v13;

	;;#ASMEND
	;; [unrolled: 4-line block ×4, first 2 shown]
	global_load_dword v1, v[6:7], off
	s_waitcnt vmcnt(0)
	v_mad_i64_i32 v[12:13], s[0:1], v1, s18, v[4:5]
	global_load_dwordx2 v[10:11], v[12:13], off
	global_load_dword v8, v3, s[14:15]
	s_mov_b64 s[0:1], 0
	s_waitcnt vmcnt(1)
	v_cmp_gt_i16_sdwa s[12:13], v10, s26 src0_sel:BYTE_0 src1_sel:DWORD
	s_and_saveexec_b64 s[16:17], s[12:13]
	s_xor_b64 s[12:13], exec, s[16:17]
	s_cbranch_execnz .LBB226_66
; %bb.41:                               ;   in Loop: Header=BB226_40 Depth=1
	s_or_saveexec_b64 s[12:13], s[12:13]
	v_mov_b32_e32 v1, 0x8000
	s_xor_b64 exec, exec, s[12:13]
	s_cbranch_execnz .LBB226_69
.LBB226_42:                             ;   in Loop: Header=BB226_40 Depth=1
	s_or_b64 exec, exec, s[12:13]
	s_and_saveexec_b64 s[12:13], s[0:1]
	s_cbranch_execz .LBB226_44
.LBB226_43:                             ;   in Loop: Header=BB226_40 Depth=1
	v_and_b32_e32 v2, 7, v10
	v_ffbh_u32_e32 v9, v2
	v_min_u32_e32 v9, 32, v9
	v_subrev_u32_e32 v12, 28, v9
	v_and_b32_e32 v1, 0x7f, v10
	v_lshlrev_b64 v[12:13], v12, v[10:11]
	v_cmp_gt_u32_e32 vcc, 8, v1
	v_sub_u32_e32 v9, 29, v9
	v_bfe_u32 v13, v10, 3, 4
	v_cndmask_b32_e32 v9, v13, v9, vcc
	v_and_b32_e32 v12, 7, v12
	v_lshl_add_u32 v9, v9, 10, v23
	v_cndmask_b32_e32 v2, v2, v12, vcc
	v_lshlrev_b32_e32 v12, 8, v10
	v_and_b32_e32 v9, 0xfc00, v9
	v_and_or_b32 v9, v12, s29, v9
	v_lshl_or_b32 v2, v2, 7, v9
	v_cmp_ne_u32_e32 vcc, s26, v1
	s_nop 1
	v_cndmask_b32_e32 v1, v24, v2, vcc
.LBB226_44:                             ;   in Loop: Header=BB226_40 Depth=1
	s_or_b64 exec, exec, s[12:13]
	v_lshrrev_b16_e32 v2, 8, v10
	v_cmp_lt_i16_e32 vcc, s26, v2
	s_mov_b64 s[0:1], 0
	s_and_saveexec_b64 s[12:13], vcc
	s_xor_b64 s[12:13], exec, s[12:13]
	s_cbranch_execnz .LBB226_70
; %bb.45:                               ;   in Loop: Header=BB226_40 Depth=1
	s_or_saveexec_b64 s[12:13], s[12:13]
	v_bfrev_b32_e32 v9, 1
	s_xor_b64 exec, exec, s[12:13]
	s_cbranch_execnz .LBB226_73
.LBB226_46:                             ;   in Loop: Header=BB226_40 Depth=1
	s_or_b64 exec, exec, s[12:13]
	s_and_saveexec_b64 s[12:13], s[0:1]
	s_cbranch_execz .LBB226_48
.LBB226_47:                             ;   in Loop: Header=BB226_40 Depth=1
	v_and_b32_e32 v9, 7, v2
	v_ffbh_u32_e32 v12, v9
	v_min_u32_e32 v16, 32, v12
	v_subrev_u32_e32 v12, 28, v16
	v_and_b32_e32 v14, 0x7f, v2
	v_lshlrev_b64 v[12:13], v12, v[2:3]
	v_bfe_u32 v15, v2, 3, 4
	v_sub_u32_e32 v13, 29, v16
	v_cmp_gt_u32_e32 vcc, 8, v14
	v_lshlrev_b32_e32 v2, 8, v2
	v_and_b32_e32 v12, 7, v12
	v_cndmask_b32_e32 v13, v15, v13, vcc
	v_lshl_add_u32 v13, v13, 10, v23
	v_and_or_b32 v2, v2, s29, v13
	v_cndmask_b32_e32 v9, v9, v12, vcc
	v_lshlrev_b32_e32 v2, 16, v2
	v_lshl_or_b32 v2, v9, 23, v2
	v_cmp_ne_u32_e32 vcc, s26, v14
	s_nop 1
	v_cndmask_b32_e32 v9, v25, v2, vcc
.LBB226_48:                             ;   in Loop: Header=BB226_40 Depth=1
	s_or_b64 exec, exec, s[12:13]
	v_lshrrev_b32_e32 v12, 16, v10
	v_cmp_gt_i16_sdwa s[12:13], v12, s26 src0_sel:BYTE_0 src1_sel:DWORD
	s_mov_b64 s[0:1], 0
	s_and_saveexec_b64 s[16:17], s[12:13]
	s_xor_b64 s[12:13], exec, s[16:17]
	s_cbranch_execnz .LBB226_74
; %bb.49:                               ;   in Loop: Header=BB226_40 Depth=1
	s_or_saveexec_b64 s[12:13], s[12:13]
	v_mov_b32_e32 v13, 0x8000
	s_xor_b64 exec, exec, s[12:13]
	s_cbranch_execnz .LBB226_77
.LBB226_50:                             ;   in Loop: Header=BB226_40 Depth=1
	s_or_b64 exec, exec, s[12:13]
	s_and_saveexec_b64 s[12:13], s[0:1]
	s_cbranch_execz .LBB226_52
.LBB226_51:                             ;   in Loop: Header=BB226_40 Depth=1
	v_and_b32_e32 v2, 7, v12
	v_ffbh_u32_e32 v14, v2
	v_min_u32_e32 v17, 32, v14
	v_and_b32_e32 v13, 0x7f, v12
	v_subrev_u32_e32 v14, 28, v17
	v_lshlrev_b64 v[14:15], v14, v[12:13]
	v_bfe_u32 v16, v12, 3, 4
	v_sub_u32_e32 v15, 29, v17
	v_cmp_gt_u32_e32 vcc, 8, v13
	v_and_b32_e32 v14, 7, v14
	s_nop 0
	v_cndmask_b32_e32 v15, v16, v15, vcc
	v_lshl_add_u32 v15, v15, 10, v23
	v_lshlrev_b32_e32 v16, 8, v12
	v_cndmask_b32_e32 v2, v2, v14, vcc
	v_and_b32_e32 v14, 0xfc00, v15
	v_and_or_b32 v14, v16, s29, v14
	v_lshl_or_b32 v2, v2, 7, v14
	v_cmp_ne_u32_e32 vcc, s26, v13
	s_nop 1
	v_cndmask_b32_e32 v13, v24, v2, vcc
.LBB226_52:                             ;   in Loop: Header=BB226_40 Depth=1
	s_or_b64 exec, exec, s[12:13]
	v_mov_b32_e32 v2, v11
	v_cmp_gt_i16_sdwa s[12:13], v11, s26 src0_sel:BYTE_0 src1_sel:DWORD
	s_mov_b64 s[0:1], 0
	s_and_saveexec_b64 s[16:17], s[12:13]
	s_xor_b64 s[12:13], exec, s[16:17]
	s_cbranch_execnz .LBB226_78
; %bb.53:                               ;   in Loop: Header=BB226_40 Depth=1
	s_or_saveexec_b64 s[12:13], s[12:13]
	v_mov_b32_e32 v14, 0x8000
	s_xor_b64 exec, exec, s[12:13]
	s_cbranch_execnz .LBB226_81
.LBB226_54:                             ;   in Loop: Header=BB226_40 Depth=1
	s_or_b64 exec, exec, s[12:13]
	s_and_saveexec_b64 s[12:13], s[0:1]
	s_cbranch_execz .LBB226_56
.LBB226_55:                             ;   in Loop: Header=BB226_40 Depth=1
	v_and_b32_e32 v16, 7, v11
	v_ffbh_u32_e32 v14, v16
	v_min_u32_e32 v36, 32, v14
	v_subrev_u32_e32 v14, 28, v36
	v_and_b32_e32 v17, 0x7f, v11
	v_lshlrev_b64 v[14:15], v14, v[2:3]
	v_bfe_u32 v35, v11, 3, 4
	v_sub_u32_e32 v15, 29, v36
	v_cmp_gt_u32_e32 vcc, 8, v17
	v_and_b32_e32 v14, 7, v14
	s_nop 0
	v_cndmask_b32_e32 v15, v35, v15, vcc
	v_lshl_add_u32 v15, v15, 10, v23
	v_lshlrev_b32_e32 v35, 8, v11
	v_and_b32_e32 v15, 0xfc00, v15
	v_cndmask_b32_e32 v14, v16, v14, vcc
	v_and_or_b32 v15, v35, s29, v15
	v_lshl_or_b32 v14, v14, 7, v15
	v_cmp_ne_u32_e32 vcc, s26, v17
	s_nop 1
	v_cndmask_b32_e32 v14, v24, v14, vcc
.LBB226_56:                             ;   in Loop: Header=BB226_40 Depth=1
	s_or_b64 exec, exec, s[12:13]
	v_lshrrev_b16_e32 v2, 8, v2
	v_cmp_lt_i16_e32 vcc, s26, v2
	s_mov_b64 s[0:1], 0
	s_and_saveexec_b64 s[12:13], vcc
	s_xor_b64 s[12:13], exec, s[12:13]
	s_cbranch_execnz .LBB226_82
; %bb.57:                               ;   in Loop: Header=BB226_40 Depth=1
	s_or_saveexec_b64 s[12:13], s[12:13]
	v_bfrev_b32_e32 v15, 1
	s_xor_b64 exec, exec, s[12:13]
	s_cbranch_execnz .LBB226_85
.LBB226_58:                             ;   in Loop: Header=BB226_40 Depth=1
	s_or_b64 exec, exec, s[12:13]
	s_and_saveexec_b64 s[12:13], s[0:1]
	s_cbranch_execz .LBB226_60
.LBB226_59:                             ;   in Loop: Header=BB226_40 Depth=1
	v_and_b32_e32 v15, 7, v2
	v_ffbh_u32_e32 v16, v15
	v_min_u32_e32 v37, 32, v16
	v_subrev_u32_e32 v16, 28, v37
	v_and_b32_e32 v35, 0x7f, v2
	v_lshlrev_b64 v[16:17], v16, v[2:3]
	v_bfe_u32 v36, v2, 3, 4
	v_sub_u32_e32 v17, 29, v37
	v_cmp_gt_u32_e32 vcc, 8, v35
	v_lshlrev_b32_e32 v2, 8, v2
	v_and_b32_e32 v16, 7, v16
	v_cndmask_b32_e32 v17, v36, v17, vcc
	v_lshl_add_u32 v17, v17, 10, v23
	v_and_or_b32 v2, v2, s29, v17
	v_cndmask_b32_e32 v15, v15, v16, vcc
	v_lshlrev_b32_e32 v2, 16, v2
	v_lshl_or_b32 v2, v15, 23, v2
	v_cmp_ne_u32_e32 vcc, s26, v35
	s_nop 1
	v_cndmask_b32_e32 v15, v25, v2, vcc
.LBB226_60:                             ;   in Loop: Header=BB226_40 Depth=1
	s_or_b64 exec, exec, s[12:13]
	v_lshrrev_b32_e32 v2, 16, v11
	v_cmp_gt_i16_sdwa s[12:13], v2, s26 src0_sel:BYTE_0 src1_sel:DWORD
	s_mov_b64 s[0:1], 0
	s_and_saveexec_b64 s[16:17], s[12:13]
	s_xor_b64 s[12:13], exec, s[16:17]
	s_cbranch_execnz .LBB226_86
; %bb.61:                               ;   in Loop: Header=BB226_40 Depth=1
	s_or_saveexec_b64 s[12:13], s[12:13]
	v_mov_b32_e32 v16, 0x8000
	s_xor_b64 exec, exec, s[12:13]
	s_cbranch_execnz .LBB226_89
.LBB226_62:                             ;   in Loop: Header=BB226_40 Depth=1
	s_or_b64 exec, exec, s[12:13]
	s_and_saveexec_b64 s[12:13], s[0:1]
	s_cbranch_execz .LBB226_64
.LBB226_63:                             ;   in Loop: Header=BB226_40 Depth=1
	v_and_b32_e32 v35, 7, v2
	v_ffbh_u32_e32 v16, v35
	v_min_u32_e32 v38, 32, v16
	v_subrev_u32_e32 v16, 28, v38
	v_and_b32_e32 v36, 0x7f, v2
	v_lshlrev_b64 v[16:17], v16, v[2:3]
	v_bfe_u32 v37, v2, 3, 4
	v_sub_u32_e32 v17, 29, v38
	v_cmp_gt_u32_e32 vcc, 8, v36
	v_and_b32_e32 v16, 7, v16
	s_nop 0
	v_cndmask_b32_e32 v17, v37, v17, vcc
	v_lshl_add_u32 v17, v17, 10, v23
	v_lshlrev_b32_e32 v37, 8, v2
	v_and_b32_e32 v17, 0xfc00, v17
	v_cndmask_b32_e32 v16, v35, v16, vcc
	v_and_or_b32 v17, v37, s29, v17
	v_lshl_or_b32 v16, v16, 7, v17
	v_cmp_ne_u32_e32 vcc, s26, v36
	s_nop 1
	v_cndmask_b32_e32 v16, v24, v16, vcc
.LBB226_64:                             ;   in Loop: Header=BB226_40 Depth=1
	s_or_b64 exec, exec, s[12:13]
	v_bfe_u32 v17, v10, 24, 3
	v_ffbh_u32_e32 v38, v17
	v_lshrrev_b32_e32 v36, 24, v10
	v_min_u32_e32 v40, 32, v38
	v_bfe_u32 v37, v36, 3, 4
	v_subrev_u32_e32 v38, 28, v40
	v_bfe_u32 v35, v10, 24, 7
	v_lshlrev_b64 v[38:39], v38, v[36:37]
	v_sub_u32_e32 v39, 29, v40
	v_cmp_gt_u32_e32 vcc, 8, v35
	v_and_b32_e32 v38, 7, v38
	v_or_b32_e32 v1, v9, v1
	v_cndmask_b32_e32 v37, v37, v39, vcc
	v_lshl_add_u32 v37, v37, 10, v23
	v_and_or_b32 v12, v12, s29, v37
	v_cndmask_b32_e32 v17, v17, v38, vcc
	v_lshlrev_b32_e32 v12, 16, v12
	v_lshl_or_b32 v12, v17, 23, v12
	v_cmp_ne_u32_e32 vcc, s26, v35
	v_bfe_u32 v35, v11, 24, 3
	v_bfe_u32 v38, v11, 24, 7
	v_cndmask_b32_e32 v12, v25, v12, vcc
	v_cmp_ne_u32_e32 vcc, s27, v36
	v_ffbh_u32_e32 v36, v35
	v_min_u32_e32 v40, 32, v36
	v_cndmask_b32_e32 v12, v26, v12, vcc
	v_cmp_lt_u32_e32 vcc, s3, v10
	v_subrev_u32_e32 v36, 28, v40
	v_cmp_ne_u32_e64 s[0:1], s26, v38
	v_cndmask_b32_e32 v17, 0, v12, vcc
	v_lshrrev_b32_e32 v12, 24, v11
	v_lshlrev_b64 v[36:37], v36, v[12:13]
	v_bfe_u32 v39, v12, 3, 4
	v_sub_u32_e32 v37, 29, v40
	v_cmp_gt_u32_e32 vcc, 8, v38
	v_and_b32_e32 v36, 7, v36
	s_nop 0
	v_cndmask_b32_e32 v37, v39, v37, vcc
	v_lshl_add_u32 v37, v37, 10, v23
	v_cndmask_b32_e32 v35, v35, v36, vcc
	v_and_or_b32 v2, v2, s29, v37
	v_cvt_f32_f16_sdwa v36, v17 dst_sel:DWORD dst_unused:UNUSED_PAD src0_sel:WORD_1
	v_cvt_f32_f16_sdwa v37, v9 dst_sel:DWORD dst_unused:UNUSED_PAD src0_sel:WORD_1
	v_lshlrev_b32_e32 v2, 16, v2
	v_lshl_or_b32 v2, v35, 23, v2
	v_or_b32_e32 v9, v13, v17
	v_cndmask_b32_e64 v2, v25, v2, s[0:1]
	v_cmp_ne_u32_e64 s[0:1], s27, v12
	v_cvt_f32_f16_e32 v12, v9
	v_cvt_f32_f16_e32 v13, v1
	v_cndmask_b32_e64 v2, v26, v2, s[0:1]
	v_cmp_lt_u64_e64 s[0:1], s[2:3], v[10:11]
	s_waitcnt vmcnt(0)
	v_pk_mul_f32 v[10:11], v[8:9], v[36:37] op_sel_hi:[0,1]
	v_cvt_pk_f16_f32 v1, v10, v11
	v_and_b32_e32 v9, 0xffff0000, v1
	v_cndmask_b32_e64 v2, 0, v2, s[0:1]
	v_pk_mul_f32 v[12:13], v[8:9], v[12:13] op_sel_hi:[0,1]
	v_lshlrev_b32_e32 v10, 16, v1
	v_cvt_pk_f16_f32 v1, v12, v13
	v_or_b32_e32 v13, v15, v14
	v_or_b32_e32 v14, v16, v2
	v_cvt_f32_f16_e32 v16, v14
	v_cvt_f32_f16_e32 v17, v13
	v_cvt_f32_f16_sdwa v14, v2 dst_sel:DWORD dst_unused:UNUSED_PAD src0_sel:WORD_1
	v_cvt_f32_f16_sdwa v15, v15 dst_sel:DWORD dst_unused:UNUSED_PAD src0_sel:WORD_1
	v_lshrrev_b32_e32 v11, 16, v1
	v_pk_mul_f32 v[16:17], v[8:9], v[16:17] op_sel_hi:[0,1]
	v_cvt_pk_f16_f32 v16, v16, v17
	v_pk_mul_f32 v[14:15], v[8:9], v[14:15] op_sel_hi:[0,1]
	v_cvt_pk_f16_f32 v8, v14, v15
	v_and_b32_e32 v12, 0xffff, v1
	v_and_b32_e32 v13, 0xffff0000, v8
	v_lshlrev_b32_e32 v8, 16, v8
	v_lshrrev_b32_e32 v15, 16, v16
	v_and_b32_e32 v14, 0xffff, v16
	v_cmp_eq_u32_e32 vcc, s19, v18
	v_or_b32_e32 v1, v9, v11
	v_or_b32_e32 v2, v10, v12
	;; [unrolled: 1-line block ×4, first 2 shown]
	s_and_saveexec_b64 s[0:1], vcc
	s_cbranch_execz .LBB226_39
; %bb.65:                               ;   in Loop: Header=BB226_40 Depth=1
	v_add_u32_e32 v16, 2, v21
	v_cmp_gt_i32_e32 vcc, s30, v21
	v_or_b32_e32 v1, 1, v21
	v_or_b32_e32 v2, 3, v21
	v_cndmask_b32_e32 v11, 0, v11, vcc
	v_cmp_gt_i32_e32 vcc, s21, v16
	s_nop 1
	v_cndmask_b32_e32 v12, 0, v12, vcc
	v_cmp_gt_i32_e32 vcc, s30, v1
	s_nop 1
	v_cndmask_b32_e32 v1, 0, v9, vcc
	v_cmp_gt_i32_e32 vcc, s21, v2
	v_or_b32_e32 v9, 4, v21
	v_or_b32_e32 v1, v1, v11
	v_cndmask_b32_e32 v2, 0, v10, vcc
	v_or_b32_e32 v10, 6, v21
	v_cmp_gt_i32_e32 vcc, s30, v9
	v_or_b32_e32 v11, 5, v21
	v_or_b32_e32 v2, v2, v12
	v_cndmask_b32_e32 v9, 0, v15, vcc
	v_cmp_gt_i32_e32 vcc, s21, v10
	v_or_b32_e32 v12, 7, v21
	s_nop 0
	v_cndmask_b32_e32 v10, 0, v14, vcc
	v_cmp_gt_i32_e32 vcc, s30, v11
	s_nop 1
	v_cndmask_b32_e32 v11, 0, v13, vcc
	v_cmp_gt_i32_e32 vcc, s21, v12
	v_or_b32_e32 v17, v11, v9
	s_nop 0
	v_cndmask_b32_e32 v8, 0, v8, vcc
	v_or_b32_e32 v16, v8, v10
	s_branch .LBB226_39
.LBB226_66:                             ;   in Loop: Header=BB226_40 Depth=1
	v_cmp_eq_u16_sdwa s[34:35], v10, s27 src0_sel:BYTE_0 src1_sel:DWORD
	s_mov_b64 s[0:1], -1
	s_and_saveexec_b64 s[16:17], s[34:35]
; %bb.67:                               ;   in Loop: Header=BB226_40 Depth=1
	s_xor_b64 s[0:1], exec, -1
; %bb.68:                               ;   in Loop: Header=BB226_40 Depth=1
	s_or_b64 exec, exec, s[16:17]
	s_and_b64 s[0:1], s[0:1], exec
	s_or_saveexec_b64 s[12:13], s[12:13]
	v_mov_b32_e32 v1, 0x8000
	s_xor_b64 exec, exec, s[12:13]
	s_cbranch_execz .LBB226_42
.LBB226_69:                             ;   in Loop: Header=BB226_40 Depth=1
	v_cmp_ne_u16_sdwa s[16:17], v10, v3 src0_sel:BYTE_0 src1_sel:DWORD
	s_andn2_b64 s[0:1], s[0:1], exec
	s_and_b64 s[16:17], s[16:17], exec
	v_and_b32_sdwa v1, s28, v10 dst_sel:DWORD dst_unused:UNUSED_PAD src0_sel:DWORD src1_sel:BYTE_0
	s_or_b64 s[0:1], s[0:1], s[16:17]
	s_or_b64 exec, exec, s[12:13]
	s_and_saveexec_b64 s[12:13], s[0:1]
	s_cbranch_execnz .LBB226_43
	s_branch .LBB226_44
.LBB226_70:                             ;   in Loop: Header=BB226_40 Depth=1
	v_cmp_eq_u16_e32 vcc, s27, v2
	s_mov_b64 s[0:1], -1
	s_and_saveexec_b64 s[16:17], vcc
; %bb.71:                               ;   in Loop: Header=BB226_40 Depth=1
	s_xor_b64 s[0:1], exec, -1
; %bb.72:                               ;   in Loop: Header=BB226_40 Depth=1
	s_or_b64 exec, exec, s[16:17]
	s_and_b64 s[0:1], s[0:1], exec
	s_or_saveexec_b64 s[12:13], s[12:13]
	v_bfrev_b32_e32 v9, 1
	s_xor_b64 exec, exec, s[12:13]
	s_cbranch_execz .LBB226_46
.LBB226_73:                             ;   in Loop: Header=BB226_40 Depth=1
	v_cmp_ne_u16_e32 vcc, 0, v2
	s_andn2_b64 s[0:1], s[0:1], exec
	s_and_b64 s[16:17], vcc, exec
	s_or_b64 s[0:1], s[0:1], s[16:17]
	v_mov_b32_e32 v9, v2
	s_or_b64 exec, exec, s[12:13]
	s_and_saveexec_b64 s[12:13], s[0:1]
	s_cbranch_execnz .LBB226_47
	s_branch .LBB226_48
.LBB226_74:                             ;   in Loop: Header=BB226_40 Depth=1
	v_cmp_eq_u16_sdwa s[34:35], v12, s27 src0_sel:BYTE_0 src1_sel:DWORD
	s_mov_b64 s[0:1], -1
	s_and_saveexec_b64 s[16:17], s[34:35]
; %bb.75:                               ;   in Loop: Header=BB226_40 Depth=1
	s_xor_b64 s[0:1], exec, -1
; %bb.76:                               ;   in Loop: Header=BB226_40 Depth=1
	s_or_b64 exec, exec, s[16:17]
	s_and_b64 s[0:1], s[0:1], exec
	s_or_saveexec_b64 s[12:13], s[12:13]
	v_mov_b32_e32 v13, 0x8000
	s_xor_b64 exec, exec, s[12:13]
	s_cbranch_execz .LBB226_50
.LBB226_77:                             ;   in Loop: Header=BB226_40 Depth=1
	v_cmp_ne_u16_sdwa s[16:17], v12, v3 src0_sel:BYTE_0 src1_sel:DWORD
	s_andn2_b64 s[0:1], s[0:1], exec
	s_and_b64 s[16:17], s[16:17], exec
	v_and_b32_sdwa v13, s28, v12 dst_sel:DWORD dst_unused:UNUSED_PAD src0_sel:DWORD src1_sel:BYTE_0
	s_or_b64 s[0:1], s[0:1], s[16:17]
	s_or_b64 exec, exec, s[12:13]
	s_and_saveexec_b64 s[12:13], s[0:1]
	s_cbranch_execnz .LBB226_51
	s_branch .LBB226_52
.LBB226_78:                             ;   in Loop: Header=BB226_40 Depth=1
	v_cmp_eq_u16_sdwa s[34:35], v11, s27 src0_sel:BYTE_0 src1_sel:DWORD
	s_mov_b64 s[0:1], -1
	s_and_saveexec_b64 s[16:17], s[34:35]
; %bb.79:                               ;   in Loop: Header=BB226_40 Depth=1
	s_xor_b64 s[0:1], exec, -1
; %bb.80:                               ;   in Loop: Header=BB226_40 Depth=1
	s_or_b64 exec, exec, s[16:17]
	s_and_b64 s[0:1], s[0:1], exec
	s_or_saveexec_b64 s[12:13], s[12:13]
	v_mov_b32_e32 v14, 0x8000
	s_xor_b64 exec, exec, s[12:13]
	s_cbranch_execz .LBB226_54
.LBB226_81:                             ;   in Loop: Header=BB226_40 Depth=1
	v_cmp_ne_u16_sdwa s[16:17], v11, v3 src0_sel:BYTE_0 src1_sel:DWORD
	s_andn2_b64 s[0:1], s[0:1], exec
	s_and_b64 s[16:17], s[16:17], exec
	v_and_b32_sdwa v14, s28, v11 dst_sel:DWORD dst_unused:UNUSED_PAD src0_sel:DWORD src1_sel:BYTE_0
	s_or_b64 s[0:1], s[0:1], s[16:17]
	s_or_b64 exec, exec, s[12:13]
	s_and_saveexec_b64 s[12:13], s[0:1]
	s_cbranch_execnz .LBB226_55
	s_branch .LBB226_56
.LBB226_82:                             ;   in Loop: Header=BB226_40 Depth=1
	v_cmp_eq_u16_e32 vcc, s27, v2
	s_mov_b64 s[0:1], -1
	s_and_saveexec_b64 s[16:17], vcc
; %bb.83:                               ;   in Loop: Header=BB226_40 Depth=1
	s_xor_b64 s[0:1], exec, -1
; %bb.84:                               ;   in Loop: Header=BB226_40 Depth=1
	s_or_b64 exec, exec, s[16:17]
	s_and_b64 s[0:1], s[0:1], exec
	s_or_saveexec_b64 s[12:13], s[12:13]
	v_bfrev_b32_e32 v15, 1
	s_xor_b64 exec, exec, s[12:13]
	s_cbranch_execz .LBB226_58
.LBB226_85:                             ;   in Loop: Header=BB226_40 Depth=1
	v_cmp_ne_u16_e32 vcc, 0, v2
	s_andn2_b64 s[0:1], s[0:1], exec
	s_and_b64 s[16:17], vcc, exec
	s_or_b64 s[0:1], s[0:1], s[16:17]
	v_mov_b32_e32 v15, v2
	s_or_b64 exec, exec, s[12:13]
	s_and_saveexec_b64 s[12:13], s[0:1]
	s_cbranch_execnz .LBB226_59
	s_branch .LBB226_60
.LBB226_86:                             ;   in Loop: Header=BB226_40 Depth=1
	v_cmp_eq_u16_sdwa s[34:35], v2, s27 src0_sel:BYTE_0 src1_sel:DWORD
	s_mov_b64 s[0:1], -1
	s_and_saveexec_b64 s[16:17], s[34:35]
; %bb.87:                               ;   in Loop: Header=BB226_40 Depth=1
	s_xor_b64 s[0:1], exec, -1
; %bb.88:                               ;   in Loop: Header=BB226_40 Depth=1
	s_or_b64 exec, exec, s[16:17]
	s_and_b64 s[0:1], s[0:1], exec
	s_or_saveexec_b64 s[12:13], s[12:13]
	v_mov_b32_e32 v16, 0x8000
	s_xor_b64 exec, exec, s[12:13]
	s_cbranch_execz .LBB226_62
.LBB226_89:                             ;   in Loop: Header=BB226_40 Depth=1
	v_cmp_ne_u16_sdwa s[16:17], v2, v3 src0_sel:BYTE_0 src1_sel:DWORD
	s_andn2_b64 s[0:1], s[0:1], exec
	s_and_b64 s[16:17], s[16:17], exec
	v_and_b32_sdwa v16, s28, v2 dst_sel:DWORD dst_unused:UNUSED_PAD src0_sel:DWORD src1_sel:BYTE_0
	s_or_b64 s[0:1], s[0:1], s[16:17]
	s_or_b64 exec, exec, s[12:13]
	s_and_saveexec_b64 s[12:13], s[0:1]
	s_cbranch_execnz .LBB226_63
	s_branch .LBB226_64
.LBB226_90:
	s_or_b64 exec, exec, s[10:11]
.LBB226_91:
	s_or_b64 exec, exec, s[8:9]
	v_and_b32_e32 v0, 0x3c0, v0
	v_cmp_eq_u32_e32 vcc, 64, v0
	v_mov_b32_e32 v0, 0x90
	v_lshl_add_u32 v0, v19, 2, v0
	s_barrier
	s_and_saveexec_b64 s[0:1], vcc
; %bb.92:
	ds_write_b32 v0, v20
; %bb.93:
	s_or_b64 exec, exec, s[0:1]
	s_waitcnt lgkmcnt(0)
	s_barrier
	s_and_saveexec_b64 s[0:1], s[6:7]
	s_cbranch_execz .LBB226_95
; %bb.94:
	ds_read_b32 v0, v0
	s_waitcnt lgkmcnt(0)
	v_add_f32_e32 v20, v20, v0
.LBB226_95:
	s_or_b64 exec, exec, s[0:1]
	s_barrier
	s_and_saveexec_b64 s[0:1], s[6:7]
	s_cbranch_execz .LBB226_97
; %bb.96:
	s_mul_i32 s0, s20, s23
	s_mul_i32 s0, s0, s5
	s_lshl_b32 s0, s0, 6
	s_ashr_i32 s1, s0, 31
	s_lshl_b64 s[0:1], s[0:1], 1
	s_add_u32 s2, s24, s0
	s_mul_i32 s0, s23, s22
	s_addc_u32 s3, s25, s1
	s_ashr_i32 s1, s0, 31
	s_lshl_b64 s[0:1], s[0:1], 1
	s_add_u32 s2, s2, s0
	s_addc_u32 s3, s3, s1
	s_lshl_b32 s0, s4, 6
	s_ashr_i32 s1, s0, 31
	s_lshl_b64 s[0:1], s[0:1], 1
	s_add_u32 s0, s2, s0
	s_addc_u32 s1, s3, s1
	v_lshlrev_b32_e32 v0, 1, v19
	;;#ASMSTART
	v_cvt_f16_f32 v1, v20;

	;;#ASMEND
	global_store_short v0, v1, s[0:1]
.LBB226_97:
	s_endpgm
	.section	.rodata,"a",@progbits
	.p2align	6, 0x0
	.amdhsa_kernel _ZN4vllm25paged_attention_v1_kernelIthLi64ELi8ELi128ELNS_18Fp8KVCacheDataTypeE1ELb0EEEvPT_PKS2_PKT0_S8_ifPKiSA_iPKfiiiSC_SC_iiiii
		.amdhsa_group_segment_fixed_size 144
		.amdhsa_private_segment_fixed_size 0
		.amdhsa_kernarg_size 384
		.amdhsa_user_sgpr_count 2
		.amdhsa_user_sgpr_dispatch_ptr 0
		.amdhsa_user_sgpr_queue_ptr 0
		.amdhsa_user_sgpr_kernarg_segment_ptr 1
		.amdhsa_user_sgpr_dispatch_id 0
		.amdhsa_user_sgpr_kernarg_preload_length 0
		.amdhsa_user_sgpr_kernarg_preload_offset 0
		.amdhsa_user_sgpr_private_segment_size 0
		.amdhsa_uses_dynamic_stack 0
		.amdhsa_enable_private_segment 0
		.amdhsa_system_sgpr_workgroup_id_x 1
		.amdhsa_system_sgpr_workgroup_id_y 1
		.amdhsa_system_sgpr_workgroup_id_z 1
		.amdhsa_system_sgpr_workgroup_info 0
		.amdhsa_system_vgpr_workitem_id 0
		.amdhsa_next_free_vgpr 41
		.amdhsa_next_free_sgpr 40
		.amdhsa_accum_offset 44
		.amdhsa_reserve_vcc 1
		.amdhsa_float_round_mode_32 0
		.amdhsa_float_round_mode_16_64 0
		.amdhsa_float_denorm_mode_32 3
		.amdhsa_float_denorm_mode_16_64 3
		.amdhsa_dx10_clamp 1
		.amdhsa_ieee_mode 1
		.amdhsa_fp16_overflow 0
		.amdhsa_tg_split 0
		.amdhsa_exception_fp_ieee_invalid_op 0
		.amdhsa_exception_fp_denorm_src 0
		.amdhsa_exception_fp_ieee_div_zero 0
		.amdhsa_exception_fp_ieee_overflow 0
		.amdhsa_exception_fp_ieee_underflow 0
		.amdhsa_exception_fp_ieee_inexact 0
		.amdhsa_exception_int_div_zero 0
	.end_amdhsa_kernel
	.section	.text._ZN4vllm25paged_attention_v1_kernelIthLi64ELi8ELi128ELNS_18Fp8KVCacheDataTypeE1ELb0EEEvPT_PKS2_PKT0_S8_ifPKiSA_iPKfiiiSC_SC_iiiii,"axG",@progbits,_ZN4vllm25paged_attention_v1_kernelIthLi64ELi8ELi128ELNS_18Fp8KVCacheDataTypeE1ELb0EEEvPT_PKS2_PKT0_S8_ifPKiSA_iPKfiiiSC_SC_iiiii,comdat
.Lfunc_end226:
	.size	_ZN4vllm25paged_attention_v1_kernelIthLi64ELi8ELi128ELNS_18Fp8KVCacheDataTypeE1ELb0EEEvPT_PKS2_PKT0_S8_ifPKiSA_iPKfiiiSC_SC_iiiii, .Lfunc_end226-_ZN4vllm25paged_attention_v1_kernelIthLi64ELi8ELi128ELNS_18Fp8KVCacheDataTypeE1ELb0EEEvPT_PKS2_PKT0_S8_ifPKiSA_iPKfiiiSC_SC_iiiii
                                        ; -- End function
	.set _ZN4vllm25paged_attention_v1_kernelIthLi64ELi8ELi128ELNS_18Fp8KVCacheDataTypeE1ELb0EEEvPT_PKS2_PKT0_S8_ifPKiSA_iPKfiiiSC_SC_iiiii.num_vgpr, 41
	.set _ZN4vllm25paged_attention_v1_kernelIthLi64ELi8ELi128ELNS_18Fp8KVCacheDataTypeE1ELb0EEEvPT_PKS2_PKT0_S8_ifPKiSA_iPKfiiiSC_SC_iiiii.num_agpr, 0
	.set _ZN4vllm25paged_attention_v1_kernelIthLi64ELi8ELi128ELNS_18Fp8KVCacheDataTypeE1ELb0EEEvPT_PKS2_PKT0_S8_ifPKiSA_iPKfiiiSC_SC_iiiii.numbered_sgpr, 40
	.set _ZN4vllm25paged_attention_v1_kernelIthLi64ELi8ELi128ELNS_18Fp8KVCacheDataTypeE1ELb0EEEvPT_PKS2_PKT0_S8_ifPKiSA_iPKfiiiSC_SC_iiiii.num_named_barrier, 0
	.set _ZN4vllm25paged_attention_v1_kernelIthLi64ELi8ELi128ELNS_18Fp8KVCacheDataTypeE1ELb0EEEvPT_PKS2_PKT0_S8_ifPKiSA_iPKfiiiSC_SC_iiiii.private_seg_size, 0
	.set _ZN4vllm25paged_attention_v1_kernelIthLi64ELi8ELi128ELNS_18Fp8KVCacheDataTypeE1ELb0EEEvPT_PKS2_PKT0_S8_ifPKiSA_iPKfiiiSC_SC_iiiii.uses_vcc, 1
	.set _ZN4vllm25paged_attention_v1_kernelIthLi64ELi8ELi128ELNS_18Fp8KVCacheDataTypeE1ELb0EEEvPT_PKS2_PKT0_S8_ifPKiSA_iPKfiiiSC_SC_iiiii.uses_flat_scratch, 0
	.set _ZN4vllm25paged_attention_v1_kernelIthLi64ELi8ELi128ELNS_18Fp8KVCacheDataTypeE1ELb0EEEvPT_PKS2_PKT0_S8_ifPKiSA_iPKfiiiSC_SC_iiiii.has_dyn_sized_stack, 0
	.set _ZN4vllm25paged_attention_v1_kernelIthLi64ELi8ELi128ELNS_18Fp8KVCacheDataTypeE1ELb0EEEvPT_PKS2_PKT0_S8_ifPKiSA_iPKfiiiSC_SC_iiiii.has_recursion, 0
	.set _ZN4vllm25paged_attention_v1_kernelIthLi64ELi8ELi128ELNS_18Fp8KVCacheDataTypeE1ELb0EEEvPT_PKS2_PKT0_S8_ifPKiSA_iPKfiiiSC_SC_iiiii.has_indirect_call, 0
	.section	.AMDGPU.csdata,"",@progbits
; Kernel info:
; codeLenInByte = 6000
; TotalNumSgprs: 46
; NumVgprs: 41
; NumAgprs: 0
; TotalNumVgprs: 41
; ScratchSize: 0
; MemoryBound: 0
; FloatMode: 240
; IeeeMode: 1
; LDSByteSize: 144 bytes/workgroup (compile time only)
; SGPRBlocks: 5
; VGPRBlocks: 5
; NumSGPRsForWavesPerEU: 46
; NumVGPRsForWavesPerEU: 41
; AccumOffset: 44
; Occupancy: 8
; WaveLimiterHint : 1
; COMPUTE_PGM_RSRC2:SCRATCH_EN: 0
; COMPUTE_PGM_RSRC2:USER_SGPR: 2
; COMPUTE_PGM_RSRC2:TRAP_HANDLER: 0
; COMPUTE_PGM_RSRC2:TGID_X_EN: 1
; COMPUTE_PGM_RSRC2:TGID_Y_EN: 1
; COMPUTE_PGM_RSRC2:TGID_Z_EN: 1
; COMPUTE_PGM_RSRC2:TIDIG_COMP_CNT: 0
; COMPUTE_PGM_RSRC3_GFX90A:ACCUM_OFFSET: 10
; COMPUTE_PGM_RSRC3_GFX90A:TG_SPLIT: 0
	.section	.text._ZN4vllm25paged_attention_v1_kernelIthLi80ELi8ELi128ELNS_18Fp8KVCacheDataTypeE1ELb0EEEvPT_PKS2_PKT0_S8_ifPKiSA_iPKfiiiSC_SC_iiiii,"axG",@progbits,_ZN4vllm25paged_attention_v1_kernelIthLi80ELi8ELi128ELNS_18Fp8KVCacheDataTypeE1ELb0EEEvPT_PKS2_PKT0_S8_ifPKiSA_iPKfiiiSC_SC_iiiii,comdat
	.protected	_ZN4vllm25paged_attention_v1_kernelIthLi80ELi8ELi128ELNS_18Fp8KVCacheDataTypeE1ELb0EEEvPT_PKS2_PKT0_S8_ifPKiSA_iPKfiiiSC_SC_iiiii ; -- Begin function _ZN4vllm25paged_attention_v1_kernelIthLi80ELi8ELi128ELNS_18Fp8KVCacheDataTypeE1ELb0EEEvPT_PKS2_PKT0_S8_ifPKiSA_iPKfiiiSC_SC_iiiii
	.globl	_ZN4vllm25paged_attention_v1_kernelIthLi80ELi8ELi128ELNS_18Fp8KVCacheDataTypeE1ELb0EEEvPT_PKS2_PKT0_S8_ifPKiSA_iPKfiiiSC_SC_iiiii
	.p2align	8
	.type	_ZN4vllm25paged_attention_v1_kernelIthLi80ELi8ELi128ELNS_18Fp8KVCacheDataTypeE1ELb0EEEvPT_PKS2_PKT0_S8_ifPKiSA_iPKfiiiSC_SC_iiiii,@function
_ZN4vllm25paged_attention_v1_kernelIthLi80ELi8ELi128ELNS_18Fp8KVCacheDataTypeE1ELb0EEEvPT_PKS2_PKT0_S8_ifPKiSA_iPKfiiiSC_SC_iiiii: ; @_ZN4vllm25paged_attention_v1_kernelIthLi80ELi8ELi128ELNS_18Fp8KVCacheDataTypeE1ELb0EEEvPT_PKS2_PKT0_S8_ifPKiSA_iPKfiiiSC_SC_iiiii
; %bb.0:
	s_load_dword s5, s[0:1], 0x80
	s_load_dwordx2 s[6:7], s[0:1], 0x30
	s_load_dwordx2 s[10:11], s[0:1], 0x20
	s_mov_b32 s20, s3
	s_ashr_i32 s21, s3, 31
	s_lshl_b64 s[8:9], s[20:21], 2
	s_waitcnt lgkmcnt(0)
	s_add_u32 s6, s6, s8
	s_addc_u32 s7, s7, s9
	s_abs_i32 s3, s10
	v_cvt_f32_u32_e32 v1, s3
	s_xor_b32 s8, s5, s10
	s_sub_i32 s10, 0, s3
	s_abs_i32 s9, s5
	v_rcp_iflag_f32_e32 v1, v1
	s_ashr_i32 s8, s8, 31
	v_mul_f32_e32 v1, 0x4f7ffffe, v1
	v_cvt_u32_f32_e32 v1, v1
	s_nop 0
	v_readfirstlane_b32 s12, v1
	s_mul_i32 s10, s10, s12
	s_mul_hi_u32 s10, s12, s10
	s_add_i32 s12, s12, s10
	s_mul_hi_u32 s10, s9, s12
	s_mul_i32 s12, s10, s3
	s_sub_i32 s9, s9, s12
	s_add_i32 s12, s10, 1
	s_sub_i32 s13, s9, s3
	s_cmp_ge_u32 s9, s3
	s_cselect_b32 s10, s12, s10
	s_cselect_b32 s9, s13, s9
	s_add_i32 s12, s10, 1
	s_cmp_ge_u32 s9, s3
	s_cselect_b32 s3, s12, s10
	s_xor_b32 s3, s3, s8
	s_sub_i32 s15, s3, s8
	s_abs_i32 s12, s15
	v_cvt_f32_u32_e32 v1, s12
	s_load_dwordx2 s[8:9], s[0:1], 0x40
	s_sub_i32 s3, 0, s12
	s_abs_i32 s13, s2
	v_rcp_iflag_f32_e32 v1, v1
	s_mov_b32 s10, 0
	v_mul_f32_e32 v1, 0x4f7ffffe, v1
	v_cvt_u32_f32_e32 v1, v1
	s_nop 0
	v_readfirstlane_b32 s14, v1
	s_mul_i32 s3, s3, s14
	s_mul_hi_u32 s3, s14, s3
	s_add_i32 s14, s14, s3
	s_waitcnt lgkmcnt(0)
	s_cmp_eq_u64 s[8:9], 0
	s_mul_hi_u32 s14, s13, s14
	s_cbranch_scc1 .LBB227_2
; %bb.1:
	s_ashr_i32 s3, s2, 31
	s_lshl_b64 s[16:17], s[2:3], 2
	s_add_u32 s8, s8, s16
	s_addc_u32 s9, s9, s17
	s_load_dword s10, s[8:9], 0x0
.LBB227_2:
	s_load_dword s21, s[6:7], 0x0
	s_load_dwordx4 s[16:19], s[0:1], 0x48
	s_movk_i32 s3, 0x50
	s_ashr_i32 s8, s2, 31
	s_ashr_i32 s9, s15, 31
	v_and_b32_e32 v6, 7, v0
	s_mul_i32 s22, s2, 0x50
	v_cmp_gt_u32_e64 s[6:7], s3, v0
	v_lshlrev_b32_e32 v2, 1, v0
	s_and_saveexec_b64 s[2:3], s[6:7]
	s_cbranch_execz .LBB227_4
; %bb.3:
	s_load_dwordx2 s[24:25], s[0:1], 0x8
	s_waitcnt lgkmcnt(0)
	s_mul_i32 s26, s16, s20
	s_ashr_i32 s27, s26, 31
	s_lshl_b64 s[26:27], s[26:27], 1
	v_lshrrev_b32_e32 v3, 2, v0
	s_add_u32 s15, s24, s26
	s_addc_u32 s16, s25, s27
	s_ashr_i32 s23, s22, 31
	s_lshl_b64 s[24:25], s[22:23], 1
	s_add_u32 s24, s15, s24
	s_addc_u32 s25, s16, s25
	global_load_ushort v1, v2, s[24:25]
	v_and_b32_e32 v3, 0xfe, v3
	v_mad_u32_u24 v3, v6, 20, v3
	s_waitcnt vmcnt(0)
	ds_write_b16 v3, v1
.LBB227_4:
	s_or_b64 exec, exec, s[2:3]
	s_waitcnt lgkmcnt(0)
	s_add_i32 s3, s21, 7
	s_ashr_i32 s15, s3, 31
	s_lshr_b32 s15, s15, 29
	s_add_i32 s3, s3, s15
	s_ashr_i32 s33, s3, 3
	s_xor_b32 s3, s8, s9
	s_mul_i32 s8, s14, s12
	s_sub_i32 s8, s13, s8
	s_add_i32 s9, s14, 1
	s_sub_i32 s13, s8, s12
	s_load_dwordx2 s[26:27], s[0:1], 0x28
	s_load_dword s2, s[0:1], 0x38
	s_cmp_ge_u32 s8, s12
	s_cselect_b32 s9, s9, s14
	s_cselect_b32 s8, s13, s8
	s_add_i32 s13, s9, 1
	s_cmp_ge_u32 s8, s12
	s_cselect_b32 s8, s13, s9
	v_lshrrev_b32_e32 v25, 6, v0
	s_xor_b32 s8, s8, s3
	s_waitcnt lgkmcnt(0)
	s_mul_i32 s28, s2, s20
	s_sub_i32 s16, s8, s3
	s_ashr_i32 s29, s28, 31
	v_cmp_gt_i32_e64 s[2:3], s33, v25
	v_cmp_le_i32_e32 vcc, s33, v25
	v_mbcnt_lo_u32_b32 v15, -1, 0
	s_barrier
                                        ; implicit-def: $vgpr3
                                        ; implicit-def: $vgpr10
                                        ; implicit-def: $vgpr4
	s_and_saveexec_b64 s[8:9], vcc
	s_xor_b64 s[8:9], exec, s[8:9]
; %bb.5:
	v_mbcnt_hi_u32_b32 v3, -1, v15
	v_and_b32_e32 v10, 64, v3
	v_add_u32_e32 v4, 64, v10
                                        ; implicit-def: $vgpr6
                                        ; implicit-def: $vgpr15
; %bb.6:
	s_or_saveexec_b64 s[34:35], s[8:9]
	s_load_dwordx2 s[24:25], s[0:1], 0x0
	s_load_dwordx2 s[30:31], s[0:1], 0x18
	s_load_dword s23, s[0:1], 0x88
	s_load_dwordx4 s[12:15], s[0:1], 0x58
	v_mov_b32_e32 v11, 0xff7fffff
	s_mul_i32 s16, s16, s18
	v_lshrrev_b32_e32 v1, 4, v0
	s_xor_b64 exec, exec, s[34:35]
	s_cbranch_execz .LBB227_12
; %bb.7:
	s_load_dwordx2 s[0:1], s[0:1], 0x10
	v_bfe_u32 v3, v0, 3, 3
	s_ashr_i32 s8, s16, 31
	v_lshlrev_b32_e32 v4, 4, v3
	v_lshl_or_b32 v13, v25, 3, v3
	s_waitcnt lgkmcnt(0)
	s_add_u32 s0, s0, s16
	v_lshlrev_b32_e32 v3, 2, v3
	s_addc_u32 s1, s1, s8
	s_sub_i32 s39, 1, s21
	v_lshl_or_b32 v3, v25, 5, v3
	s_lshl_b64 s[8:9], s[28:29], 2
	v_mov_b32_e32 v5, 0
	v_add_u32_e32 v14, 0xb0, v3
	s_add_u32 s8, s26, s8
	v_mbcnt_hi_u32_b32 v3, -1, v15
	v_lshl_add_u64 v[8:9], s[0:1], 0, v[4:5]
	v_mov_b32_e32 v7, v5
	v_and_b32_e32 v4, 60, v1
	s_addc_u32 s9, s27, s9
	v_and_b32_e32 v10, 64, v3
	s_mov_b32 s38, s17
	v_mul_u32_u24_e32 v12, 20, v6
	v_cmp_eq_u32_e32 vcc, 0, v6
	v_cmp_neq_f32_e64 s[0:1], s10, 0
	v_lshl_add_u64 v[6:7], v[8:9], 0, v[6:7]
	v_lshl_add_u64 v[8:9], s[8:9], 0, v[4:5]
	v_mov_b32_e32 v11, 0xff7fffff
	s_mov_b64 s[18:19], 0
	v_add_u32_e32 v4, 64, v10
	v_xor_b32_e32 v15, 4, v3
	v_xor_b32_e32 v16, 2, v3
	;; [unrolled: 1-line block ×3, first 2 shown]
	v_mov_b32_e32 v18, v25
	s_branch .LBB227_9
.LBB227_8:                              ;   in Loop: Header=BB227_9 Depth=1
	s_or_b64 exec, exec, s[36:37]
	v_add_u32_e32 v18, 2, v18
	v_cmp_le_i32_e64 s[8:9], s33, v18
	v_add_u32_e32 v13, 16, v13
	v_add_u32_e32 v14, 64, v14
	s_or_b64 s[18:19], s[8:9], s[18:19]
	v_lshl_add_u64 v[8:9], v[8:9], 0, 8
	s_andn2_b64 exec, exec, s[18:19]
	s_cbranch_execz .LBB227_11
.LBB227_9:                              ; =>This Inner Loop Header: Depth=1
	global_load_dword v19, v[8:9], off
	s_waitcnt vmcnt(0) lgkmcnt(0)
	v_mad_i64_i32 v[20:21], s[8:9], v19, s38, v[6:7]
	global_load_ubyte v19, v[20:21], off
	global_load_ubyte v22, v[20:21], off offset:8
	global_load_dword v23, v5, s[12:13]
	global_load_ubyte v24, v[20:21], off offset:128
	global_load_ubyte v26, v[20:21], off offset:136
	;; [unrolled: 1-line block ×8, first 2 shown]
	ds_read_u16 v21, v12
	s_waitcnt lgkmcnt(0)
	;;#ASMSTART
	v_cvt_f32_f16 v21, v21;
	;;#ASMEND
	v_cmp_lt_i32_e64 s[8:9], v15, v4
	s_waitcnt vmcnt(10)
	v_cvt_f32_fp8_e32 v19, v19
	s_waitcnt vmcnt(9)
	v_cvt_f32_fp8_e32 v22, v22
	v_cndmask_b32_e64 v20, v3, v15, s[8:9]
	s_waitcnt vmcnt(7)
	v_cvt_f32_fp8_e32 v24, v24
	v_fma_mixlo_f16 v19, v23, v19, 0
	s_waitcnt vmcnt(6)
	v_cvt_f32_fp8_e32 v26, v26
	v_and_b32_e32 v19, 0xffff, v19
	v_fma_mixlo_f16 v22, v23, v22, 0
	s_waitcnt vmcnt(5)
	v_cvt_f32_fp8_e32 v27, v27
	;;#ASMSTART
	v_cvt_f32_f16 v19, v19;
	;;#ASMEND
	ds_read_u16 v33, v12 offset:2
	v_and_b32_e32 v34, 0xffff, v22
	s_waitcnt lgkmcnt(0)
	;;#ASMSTART
	v_cvt_f32_f16 v22, v33;
	;;#ASMEND
	;;#ASMSTART
	v_cvt_f32_f16 v33, v34;
	;;#ASMEND
	v_fma_mixlo_f16 v24, v23, v24, 0
	s_waitcnt vmcnt(4)
	v_cvt_f32_fp8_e32 v28, v28
	s_waitcnt vmcnt(3)
	v_cvt_f32_fp8_e32 v29, v29
	v_mul_f32_e32 v22, v22, v33
	ds_read_u16 v34, v12 offset:4
	v_and_b32_e32 v35, 0xffff, v24
	v_fma_mixlo_f16 v26, v23, v26, 0
	s_waitcnt vmcnt(2)
	v_cvt_f32_fp8_e32 v30, v30
	s_waitcnt vmcnt(1)
	v_cvt_f32_fp8_e32 v31, v31
	s_waitcnt vmcnt(0)
	v_cvt_f32_fp8_e32 v32, v32
	v_fmac_f32_e32 v22, v21, v19
	s_waitcnt lgkmcnt(0)
	;;#ASMSTART
	v_cvt_f32_f16 v24, v34;
	;;#ASMEND
	;;#ASMSTART
	v_cvt_f32_f16 v34, v35;
	;;#ASMEND
	ds_read_u16 v35, v12 offset:6
	v_and_b32_e32 v36, 0xffff, v26
	v_fma_mixlo_f16 v27, v23, v27, 0
	v_fmac_f32_e32 v22, v24, v34
	s_waitcnt lgkmcnt(0)
	;;#ASMSTART
	v_cvt_f32_f16 v26, v35;
	;;#ASMEND
	;;#ASMSTART
	v_cvt_f32_f16 v35, v36;
	;;#ASMEND
	ds_read_u16 v36, v12 offset:8
	v_and_b32_e32 v37, 0xffff, v27
	v_fmac_f32_e32 v22, v26, v35
	s_waitcnt lgkmcnt(0)
	;;#ASMSTART
	v_cvt_f32_f16 v27, v36;
	;;#ASMEND
	;;#ASMSTART
	v_cvt_f32_f16 v36, v37;
	;;#ASMEND
	ds_read_u16 v37, v12 offset:10
	v_fma_mixlo_f16 v28, v23, v28, 0
	v_fma_mixlo_f16 v29, v23, v29, 0
	v_fmac_f32_e32 v22, v27, v36
	v_and_b32_e32 v38, 0xffff, v28
	s_waitcnt lgkmcnt(0)
	;;#ASMSTART
	v_cvt_f32_f16 v28, v37;
	;;#ASMEND
	;;#ASMSTART
	v_cvt_f32_f16 v37, v38;
	;;#ASMEND
	v_fma_mixlo_f16 v30, v23, v30, 0
	v_fma_mixlo_f16 v31, v23, v31, 0
	;; [unrolled: 1-line block ×3, first 2 shown]
	v_and_b32_e32 v32, 0xffff, v29
	v_fmac_f32_e32 v22, v28, v37
	ds_read_u16 v38, v12 offset:12
	s_waitcnt lgkmcnt(0)
	;;#ASMSTART
	v_cvt_f32_f16 v29, v38;
	;;#ASMEND
	;;#ASMSTART
	v_cvt_f32_f16 v32, v32;
	;;#ASMEND
	v_and_b32_e32 v30, 0xffff, v30
	v_fmac_f32_e32 v22, v29, v32
	ds_read_u16 v38, v12 offset:14
	v_and_b32_e32 v39, 0xffff, v23
	s_waitcnt lgkmcnt(0)
	;;#ASMSTART
	v_cvt_f32_f16 v23, v38;
	;;#ASMEND
	;;#ASMSTART
	v_cvt_f32_f16 v30, v30;
	;;#ASMEND
	v_and_b32_e32 v31, 0xffff, v31
	v_fmac_f32_e32 v22, v23, v30
	ds_read_u16 v33, v12 offset:16
	s_waitcnt lgkmcnt(0)
	;;#ASMSTART
	v_cvt_f32_f16 v19, v33;
	;;#ASMEND
	;;#ASMSTART
	v_cvt_f32_f16 v21, v31;
	;;#ASMEND
	v_lshlrev_b32_e32 v20, 2, v20
	v_fmac_f32_e32 v22, v19, v21
	ds_read_u16 v24, v12 offset:18
	s_waitcnt lgkmcnt(0)
	;;#ASMSTART
	v_cvt_f32_f16 v19, v24;
	;;#ASMEND
	;;#ASMSTART
	v_cvt_f32_f16 v21, v39;
	;;#ASMEND
	v_cmp_lt_i32_e64 s[8:9], v16, v4
	v_fmac_f32_e32 v22, v19, v21
	ds_bpermute_b32 v19, v20, v22
	v_cndmask_b32_e64 v20, v3, v16, s[8:9]
	v_lshlrev_b32_e32 v20, 2, v20
	v_cmp_lt_i32_e64 s[8:9], v17, v4
	s_waitcnt lgkmcnt(0)
	v_add_f32_e32 v19, v22, v19
	ds_bpermute_b32 v20, v20, v19
	v_cndmask_b32_e64 v21, v3, v17, s[8:9]
	s_waitcnt lgkmcnt(0)
	v_add_f32_e32 v19, v19, v20
	v_lshlrev_b32_e32 v20, 2, v21
	ds_bpermute_b32 v20, v20, v19
	s_and_saveexec_b64 s[36:37], vcc
	s_cbranch_execz .LBB227_8
; %bb.10:                               ;   in Loop: Header=BB227_9 Depth=1
	v_add_u32_e32 v21, s39, v13
	v_cvt_f32_i32_e32 v21, v21
	s_waitcnt lgkmcnt(0)
	v_add_f32_e32 v19, v19, v20
	v_cmp_gt_i32_e64 s[8:9], s21, v13
	v_max_f32_e32 v20, v11, v11
	v_mul_f32_e32 v21, s10, v21
	v_cndmask_b32_e64 v21, 0, v21, s[0:1]
	v_fmac_f32_e32 v21, s11, v19
	v_cndmask_b32_e64 v19, 0, v21, s[8:9]
	ds_write_b32 v14, v19
	v_max_f32_e32 v19, v20, v21
	v_cndmask_b32_e64 v11, v11, v19, s[8:9]
	s_branch .LBB227_8
.LBB227_11:
	s_or_b64 exec, exec, s[18:19]
.LBB227_12:
	s_or_b64 exec, exec, s[34:35]
	v_xor_b32_e32 v5, 32, v3
	v_cmp_lt_i32_e32 vcc, v5, v4
	v_xor_b32_e32 v8, 16, v3
	v_max_f32_e32 v7, v11, v11
	v_cndmask_b32_e32 v5, v3, v5, vcc
	v_lshlrev_b32_e32 v6, 2, v5
	ds_bpermute_b32 v5, v6, v11
	v_cmp_lt_i32_e32 vcc, v8, v4
	v_xor_b32_e32 v9, 8, v3
	v_and_b32_e32 v26, 63, v0
	s_waitcnt lgkmcnt(0)
	v_max_f32_e32 v5, v5, v5
	v_max_f32_e32 v5, v7, v5
	v_cndmask_b32_e32 v7, v3, v8, vcc
	v_lshlrev_b32_e32 v8, 2, v7
	ds_bpermute_b32 v7, v8, v5
	v_cmp_lt_i32_e32 vcc, v9, v4
	s_waitcnt lgkmcnt(0)
	v_max_f32_e32 v7, v7, v7
	v_max_f32_e32 v7, v5, v7
	v_cndmask_b32_e32 v5, v3, v9, vcc
	v_lshlrev_b32_e32 v11, 2, v5
	ds_bpermute_b32 v9, v11, v7
	v_cmp_eq_u32_e32 vcc, 0, v26
	v_lshlrev_b32_e32 v5, 2, v25
	s_and_saveexec_b64 s[0:1], vcc
	s_cbranch_execz .LBB227_14
; %bb.13:
	s_waitcnt lgkmcnt(0)
	v_max_f32_e32 v9, v9, v9
	v_max_f32_e32 v7, v7, v7
	;; [unrolled: 1-line block ×3, first 2 shown]
	ds_write_b32 v5, v7 offset:160
.LBB227_14:
	s_or_b64 exec, exec, s[0:1]
	v_cmp_gt_u32_e64 s[0:1], 2, v26
	v_mov_b32_e32 v12, 0xff7fffff
	v_lshlrev_b32_e32 v7, 2, v26
	s_waitcnt lgkmcnt(0)
	s_barrier
	s_and_saveexec_b64 s[8:9], s[0:1]
; %bb.15:
	ds_read_b32 v12, v7 offset:160
; %bb.16:
	s_or_b64 exec, exec, s[8:9]
	v_xor_b32_e32 v9, 1, v3
	v_cmp_lt_i32_e64 s[8:9], v9, v4
	v_lshlrev_b32_e32 v10, 2, v10
	s_nop 0
	v_cndmask_b32_e64 v9, v3, v9, s[8:9]
	v_lshlrev_b32_e32 v9, 2, v9
	s_waitcnt lgkmcnt(0)
	ds_bpermute_b32 v13, v9, v12
	v_max_f32_e32 v12, v12, v12
	s_lshl_b32 s8, s33, 3
	s_min_i32 s34, s8, s21
	v_cmp_gt_i32_e64 s[8:9], s34, v0
	s_waitcnt lgkmcnt(0)
	v_max_f32_e32 v13, v13, v13
	v_max_f32_e32 v12, v12, v13
	ds_bpermute_b32 v12, v10, v12
	v_mov_b32_e32 v10, 0
	s_and_saveexec_b64 s[12:13], s[8:9]
	s_cbranch_execz .LBB227_20
; %bb.17:
	v_mov_b32_e32 v10, 0xb0
	v_lshl_add_u32 v13, v0, 2, v10
	v_mov_b32_e32 v10, 0
	s_mov_b64 s[18:19], 0
	v_mov_b32_e32 v14, v0
.LBB227_18:                             ; =>This Inner Loop Header: Depth=1
	ds_read_b32 v15, v13
	v_add_u32_e32 v14, 0x80, v14
	v_cmp_le_i32_e64 s[10:11], s34, v14
	s_or_b64 s[18:19], s[10:11], s[18:19]
	s_waitcnt lgkmcnt(0)
	v_sub_f32_e32 v15, v15, v12
	v_mul_f32_e32 v15, 0x3fb8aa3b, v15
	v_exp_f32_e32 v15, v15
	ds_write_b32 v13, v15
	v_add_f32_e32 v10, v10, v15
	v_add_u32_e32 v13, 0x200, v13
	s_andn2_b64 exec, exec, s[18:19]
	s_cbranch_execnz .LBB227_18
; %bb.19:
	s_or_b64 exec, exec, s[18:19]
.LBB227_20:
	s_or_b64 exec, exec, s[12:13]
	ds_bpermute_b32 v6, v6, v10
	s_waitcnt lgkmcnt(0)
	v_add_f32_e32 v6, v10, v6
	ds_bpermute_b32 v8, v8, v6
	v_xor_b32_e32 v10, 4, v3
	v_cmp_lt_i32_e64 s[10:11], v10, v4
	s_waitcnt lgkmcnt(0)
	v_add_f32_e32 v6, v6, v8
	ds_bpermute_b32 v8, v11, v6
	v_cndmask_b32_e64 v10, v3, v10, s[10:11]
	v_lshlrev_b32_e32 v10, 2, v10
	s_waitcnt lgkmcnt(0)
	v_add_f32_e32 v6, v6, v8
	ds_bpermute_b32 v8, v10, v6
	v_xor_b32_e32 v10, 2, v3
	v_cmp_lt_i32_e64 s[10:11], v10, v4
	s_waitcnt lgkmcnt(0)
	v_add_f32_e32 v6, v6, v8
	v_cndmask_b32_e64 v4, v3, v10, s[10:11]
	v_lshlrev_b32_e32 v4, 2, v4
	ds_bpermute_b32 v4, v4, v6
	s_waitcnt lgkmcnt(0)
	v_add_f32_e32 v4, v6, v4
	ds_bpermute_b32 v6, v9, v4
	s_waitcnt lgkmcnt(0)
	v_add_f32_e32 v4, v4, v6
	s_and_saveexec_b64 s[10:11], vcc
; %bb.21:
	ds_write_b32 v5, v4 offset:168
; %bb.22:
	s_or_b64 exec, exec, s[10:11]
	s_waitcnt lgkmcnt(0)
	s_barrier
	s_and_saveexec_b64 s[10:11], s[0:1]
; %bb.23:
	ds_read_b32 v4, v7 offset:168
; %bb.24:
	s_or_b64 exec, exec, s[10:11]
	s_waitcnt lgkmcnt(0)
	ds_bpermute_b32 v5, v9, v4
	v_lshlrev_b32_e32 v3, 2, v3
	v_and_b32_e32 v3, 0xffffff00, v3
	s_waitcnt lgkmcnt(0)
	v_add_f32_e32 v4, v4, v5
	ds_bpermute_b32 v3, v3, v4
	s_and_saveexec_b64 s[0:1], s[8:9]
	s_cbranch_execz .LBB227_37
; %bb.25:
	s_waitcnt lgkmcnt(0)
	v_add_f32_e32 v3, 0x358637bd, v3
	v_div_scale_f32 v4, s[8:9], v3, v3, 1.0
	v_rcp_f32_e32 v5, v4
	v_div_scale_f32 v6, vcc, 1.0, v3, 1.0
	s_movk_i32 s8, 0x7f
	v_fma_f32 v7, -v4, v5, 1.0
	v_fmac_f32_e32 v5, v7, v5
	v_mul_f32_e32 v7, v6, v5
	v_fma_f32 v8, -v4, v7, v6
	v_fmac_f32_e32 v7, v8, v5
	v_fma_f32 v4, -v4, v7, v6
	v_div_fmas_f32 v4, v4, v5, v7
	v_xad_u32 v5, v0, -1, s34
	v_div_fixup_f32 v4, v4, v3, 1.0
	v_cmp_lt_u32_e32 vcc, s8, v5
	s_mov_b64 s[10:11], -1
	v_mov_b32_e32 v3, v0
	s_and_saveexec_b64 s[8:9], vcc
	s_cbranch_execz .LBB227_34
; %bb.26:
	v_lshrrev_b32_e32 v3, 7, v5
	v_add_u32_e32 v7, -1, v3
	v_lshrrev_b32_e32 v6, 1, v7
	v_mov_b32_e32 v5, v4
	v_add_u32_e32 v6, 1, v6
	v_cmp_lt_u32_e32 vcc, 13, v7
	v_mov_b32_e32 v9, 0
	s_and_saveexec_b64 s[10:11], vcc
	s_cbranch_execz .LBB227_30
; %bb.27:
	v_mov_b32_e32 v8, 0xb0
	v_and_b32_e32 v7, -8, v6
	v_lshl_add_u32 v8, v0, 2, v8
	s_mov_b32 s18, 0
	s_mov_b64 s[12:13], 0
.LBB227_28:                             ; =>This Inner Loop Header: Depth=1
	ds_read2st64_b32 v[10:11], v8 offset1:2
	ds_read2st64_b32 v[12:13], v8 offset0:4 offset1:6
	ds_read2st64_b32 v[14:15], v8 offset0:8 offset1:10
	;; [unrolled: 1-line block ×3, first 2 shown]
	v_add_u32_e32 v7, -8, v7
	s_waitcnt lgkmcnt(3)
	v_pk_mul_f32 v[10:11], v[4:5], v[10:11]
	s_waitcnt lgkmcnt(2)
	v_pk_mul_f32 v[12:13], v[4:5], v[12:13]
	ds_write2st64_b32 v8, v10, v11 offset1:2
	ds_write2st64_b32 v8, v12, v13 offset0:4 offset1:6
	ds_read2st64_b32 v[12:13], v8 offset0:16 offset1:18
	s_waitcnt lgkmcnt(4)
	v_pk_mul_f32 v[10:11], v[4:5], v[14:15]
	ds_write2st64_b32 v8, v10, v11 offset0:8 offset1:10
	s_waitcnt lgkmcnt(4)
	v_pk_mul_f32 v[10:11], v[4:5], v[16:17]
	ds_write2st64_b32 v8, v10, v11 offset0:12 offset1:14
	ds_read2st64_b32 v[10:11], v8 offset0:20 offset1:22
	s_waitcnt lgkmcnt(3)
	v_pk_mul_f32 v[12:13], v[4:5], v[12:13]
	ds_read2st64_b32 v[14:15], v8 offset0:24 offset1:26
	ds_write2st64_b32 v8, v12, v13 offset0:16 offset1:18
	ds_read2st64_b32 v[12:13], v8 offset0:28 offset1:30
	s_waitcnt lgkmcnt(3)
	v_pk_mul_f32 v[10:11], v[4:5], v[10:11]
	ds_write2st64_b32 v8, v10, v11 offset0:20 offset1:22
	s_waitcnt lgkmcnt(3)
	v_pk_mul_f32 v[10:11], v[4:5], v[14:15]
	ds_write2st64_b32 v8, v10, v11 offset0:24 offset1:26
	s_waitcnt lgkmcnt(2)
	v_pk_mul_f32 v[10:11], v[4:5], v[12:13]
	s_add_i32 s18, s18, 16
	v_cmp_eq_u32_e32 vcc, 0, v7
	ds_write2st64_b32 v8, v10, v11 offset0:28 offset1:30
	v_add_u32_e32 v8, 0x2000, v8
	s_or_b64 s[12:13], vcc, s[12:13]
	v_mov_b32_e32 v9, s18
	s_andn2_b64 exec, exec, s[12:13]
	s_cbranch_execnz .LBB227_28
; %bb.29:
	s_or_b64 exec, exec, s[12:13]
.LBB227_30:
	s_or_b64 exec, exec, s[10:11]
	v_and_b32_e32 v6, 7, v6
	v_cmp_ne_u32_e32 vcc, 0, v6
	s_and_saveexec_b64 s[10:11], vcc
	s_cbranch_execz .LBB227_33
; %bb.31:
	v_lshlrev_b32_e32 v7, 9, v9
	v_lshlrev_b32_e32 v8, 2, v0
	s_movk_i32 s12, 0xb0
	v_add3_u32 v7, v7, v8, s12
	s_mov_b64 s[12:13], 0
.LBB227_32:                             ; =>This Inner Loop Header: Depth=1
	ds_read2st64_b32 v[8:9], v7 offset1:2
	v_add_u32_e32 v6, -1, v6
	v_cmp_eq_u32_e32 vcc, 0, v6
	s_or_b64 s[12:13], vcc, s[12:13]
	s_waitcnt lgkmcnt(0)
	v_pk_mul_f32 v[8:9], v[4:5], v[8:9]
	ds_write2st64_b32 v7, v8, v9 offset1:2
	v_add_u32_e32 v7, 0x400, v7
	s_andn2_b64 exec, exec, s[12:13]
	s_cbranch_execnz .LBB227_32
.LBB227_33:
	s_or_b64 exec, exec, s[10:11]
	v_add_u32_e32 v5, 1, v3
	v_and_b32_e32 v6, 0x3fffffe, v5
	v_cmp_ne_u32_e32 vcc, v5, v6
	v_lshl_add_u32 v3, v6, 7, v0
	s_orn2_b64 s[10:11], vcc, exec
.LBB227_34:
	s_or_b64 exec, exec, s[8:9]
	s_and_b64 exec, exec, s[10:11]
	s_cbranch_execz .LBB227_37
; %bb.35:
	v_mov_b32_e32 v5, 0xb0
	v_lshl_add_u32 v5, v3, 2, v5
	s_mov_b64 s[8:9], 0
.LBB227_36:                             ; =>This Inner Loop Header: Depth=1
	ds_read_b32 v6, v5
	v_add_u32_e32 v3, 0x80, v3
	v_cmp_le_i32_e32 vcc, s34, v3
	s_or_b64 s[8:9], vcc, s[8:9]
	s_waitcnt lgkmcnt(0)
	v_mul_f32_e32 v6, v4, v6
	ds_write_b32 v5, v6
	v_add_u32_e32 v5, 0x200, v5
	s_andn2_b64 exec, exec, s[8:9]
	s_cbranch_execnz .LBB227_36
.LBB227_37:
	s_or_b64 exec, exec, s[0:1]
	v_mov_b32_e32 v28, 0
	v_mov_b32_e32 v27, 0
	s_waitcnt lgkmcnt(0)
	s_barrier
	s_and_saveexec_b64 s[8:9], s[2:3]
	s_cbranch_execz .LBB227_143
; %bb.38:
	s_ashr_i32 s1, s16, 31
	s_add_u32 s0, s30, s16
	v_or_b32_e32 v3, 64, v26
	s_movk_i32 s2, 0x50
	s_addc_u32 s1, s31, s1
	s_add_i32 s30, s33, -1
	v_cmp_gt_u32_e32 vcc, s2, v3
	s_lshl_b64 s[2:3], s[28:29], 2
	s_add_u32 s2, s26, s2
	s_mov_b32 s10, -1
	v_mov_b32_e32 v7, 0
	v_lshlrev_b32_e32 v8, 3, v3
	v_mov_b32_e32 v3, 0xb0
	v_and_b32_e32 v6, 60, v1
	s_addc_u32 s3, s27, s3
	s_mov_b32 s34, s17
	s_mov_b32 s11, 0xffffff
	v_lshlrev_b32_e32 v4, 3, v26
	v_mov_b32_e32 v5, v7
	v_mov_b32_e32 v9, v7
	s_mov_b32 s31, s21
	v_lshlrev_b32_e32 v29, 3, v25
	v_lshl_add_u32 v30, v25, 5, v3
	v_lshl_add_u64 v[10:11], s[2:3], 0, v[6:7]
	s_mov_b64 s[12:13], 0
	v_mov_b64_e32 v[12:13], s[0:1]
	s_movk_i32 s35, 0x80
	s_movk_i32 s36, 0x7f
	s_mov_b32 s37, 0x8000
	v_mov_b32_e32 v31, 0x2000
	v_mov_b32_e32 v27, 0
	;; [unrolled: 1-line block ×3, first 2 shown]
	s_branch .LBB227_41
.LBB227_39:                             ;   in Loop: Header=BB227_41 Depth=1
	s_or_b64 exec, exec, s[18:19]
	;;#ASMSTART
	v_pk_mul_f16 v1, v35, v1;

	;;#ASMEND
	;;#ASMSTART
	v_pk_mul_f16 v3, v34, v16;

	;;#ASMEND
	;; [unrolled: 4-line block ×4, first 2 shown]
	s_nop 0
	;;#ASMSTART
	v_pk_add_f16 v1, v1, v3;

	;;#ASMEND
	s_nop 0
	;;#ASMSTART
	v_pk_add_f16 v1, v1, v6;

	;;#ASMEND
	;; [unrolled: 5-line block ×3, first 2 shown]
	s_nop 0
	v_lshrrev_b32_e32 v3, 16, v1
	v_and_b32_e32 v1, 0xffff, v1
	;;#ASMSTART
	v_cvt_f32_f16 v1, v1;
	;;#ASMEND
	;;#ASMSTART
	v_cvt_f32_f16 v3, v3;
	;;#ASMEND
	s_nop 0
	v_add_f32_e32 v1, v1, v3
	v_add_f32_e32 v27, v27, v1
.LBB227_40:                             ;   in Loop: Header=BB227_41 Depth=1
	s_or_b64 exec, exec, s[16:17]
	v_add_u32_e32 v25, 2, v25
	v_add_f32_e32 v1, v23, v24
	v_cmp_le_i32_e64 s[0:1], s33, v25
	v_add_f32_e32 v28, v28, v1
	v_add_u32_e32 v29, 16, v29
	v_add_u32_e32 v30, 64, v30
	s_or_b64 s[12:13], s[0:1], s[12:13]
	v_lshl_add_u64 v[10:11], v[10:11], 0, 8
	s_andn2_b64 exec, exec, s[12:13]
	s_cbranch_execz .LBB227_142
.LBB227_41:                             ; =>This Inner Loop Header: Depth=1
	global_load_dword v1, v[10:11], off
	ds_read2_b64 v[14:17], v30 offset1:1
	ds_read2_b64 v[18:21], v30 offset0:2 offset1:3
	s_waitcnt lgkmcnt(1)
	;;#ASMSTART
	v_cvt_f16_f32 v32, v14;

	;;#ASMEND
	;;#ASMSTART
	v_cvt_f16_f32 v33, v15;

	;;#ASMEND
	;; [unrolled: 4-line block ×4, first 2 shown]
	s_waitcnt lgkmcnt(0)
	;;#ASMSTART
	v_cvt_f16_f32 v37, v18;

	;;#ASMEND
	;;#ASMSTART
	v_cvt_f16_f32 v38, v19;

	;;#ASMEND
	;; [unrolled: 4-line block ×4, first 2 shown]
	s_waitcnt vmcnt(0)
	v_mad_i64_i32 v[14:15], s[0:1], v1, s34, v[12:13]
	v_lshl_add_u64 v[20:21], v[14:15], 0, v[4:5]
	global_load_dwordx2 v[18:19], v[20:21], off
	global_load_dword v16, v7, s[14:15]
	v_mov_b32_e32 v1, 0
	s_waitcnt vmcnt(1)
	v_cmp_ne_u16_sdwa s[0:1], v18, v7 src0_sel:BYTE_0 src1_sel:DWORD
	s_and_saveexec_b64 s[2:3], s[0:1]
	s_cbranch_execz .LBB227_47
; %bb.42:                               ;   in Loop: Header=BB227_41 Depth=1
	v_cmp_ne_u16_sdwa s[0:1], v18, s35 src0_sel:BYTE_0 src1_sel:DWORD
	v_mov_b32_e32 v1, 0x8000
	s_and_saveexec_b64 s[16:17], s[0:1]
	s_cbranch_execz .LBB227_46
; %bb.43:                               ;   in Loop: Header=BB227_41 Depth=1
	v_and_b32_e32 v3, 0x7f, v18
	v_cmp_ne_u32_e64 s[0:1], s36, v3
	v_mov_b32_e32 v1, 0x7c01
	s_and_saveexec_b64 s[18:19], s[0:1]
	s_cbranch_execz .LBB227_45
; %bb.44:                               ;   in Loop: Header=BB227_41 Depth=1
	v_and_b32_e32 v1, 7, v18
	v_ffbh_u32_e32 v17, v1
	v_min_u32_e32 v17, 32, v17
	v_lshrrev_b32_e32 v6, 3, v3
	v_subrev_u32_e32 v20, 28, v17
	v_sub_u32_e32 v17, 29, v17
	v_cmp_gt_u32_e64 s[0:1], 8, v3
	v_lshlrev_b64 v[20:21], v20, v[18:19]
	s_nop 0
	v_cndmask_b32_e64 v3, v6, v17, s[0:1]
	v_lshl_add_u32 v3, v3, 10, v31
	v_lshlrev_b32_e32 v6, 8, v18
	v_and_b32_e32 v17, 7, v20
	v_and_b32_e32 v3, 0xfc00, v3
	v_cndmask_b32_e64 v1, v1, v17, s[0:1]
	v_and_or_b32 v3, v6, s37, v3
	v_lshl_or_b32 v1, v1, 7, v3
.LBB227_45:                             ;   in Loop: Header=BB227_41 Depth=1
	s_or_b64 exec, exec, s[18:19]
.LBB227_46:                             ;   in Loop: Header=BB227_41 Depth=1
	s_or_b64 exec, exec, s[16:17]
.LBB227_47:                             ;   in Loop: Header=BB227_41 Depth=1
	s_or_b64 exec, exec, s[2:3]
	v_lshrrev_b16_e32 v6, 8, v18
	v_cmp_ne_u16_e64 s[0:1], 0, v6
	v_mov_b32_e32 v3, 0
	v_mov_b32_e32 v17, 0
	s_and_saveexec_b64 s[2:3], s[0:1]
	s_cbranch_execz .LBB227_53
; %bb.48:                               ;   in Loop: Header=BB227_41 Depth=1
	v_cmp_ne_u16_e64 s[0:1], s35, v6
	v_bfrev_b32_e32 v17, 1
	s_and_saveexec_b64 s[16:17], s[0:1]
	s_cbranch_execz .LBB227_52
; %bb.49:                               ;   in Loop: Header=BB227_41 Depth=1
	v_and_b32_e32 v20, 0x7f, v6
	v_cmp_ne_u32_e64 s[0:1], s36, v20
	v_mov_b32_e32 v17, 0x7c010000
	s_and_saveexec_b64 s[18:19], s[0:1]
	s_cbranch_execz .LBB227_51
; %bb.50:                               ;   in Loop: Header=BB227_41 Depth=1
	v_and_b32_e32 v17, 7, v6
	v_ffbh_u32_e32 v22, v17
	v_min_u32_e32 v24, 32, v22
	v_subrev_u32_e32 v22, 28, v24
	v_lshlrev_b64 v[22:23], v22, v[6:7]
	v_lshrrev_b32_e32 v21, 3, v20
	v_sub_u32_e32 v23, 29, v24
	v_cmp_gt_u32_e64 s[0:1], 8, v20
	v_lshlrev_b32_e32 v6, 8, v6
	s_nop 0
	v_cndmask_b32_e64 v20, v21, v23, s[0:1]
	v_lshl_add_u32 v20, v20, 10, v31
	v_and_b32_e32 v21, 7, v22
	v_and_or_b32 v6, v6, s37, v20
	v_cndmask_b32_e64 v17, v17, v21, s[0:1]
	v_lshlrev_b32_e32 v6, 16, v6
	v_lshl_or_b32 v17, v17, 23, v6
.LBB227_51:                             ;   in Loop: Header=BB227_41 Depth=1
	s_or_b64 exec, exec, s[18:19]
.LBB227_52:                             ;   in Loop: Header=BB227_41 Depth=1
	s_or_b64 exec, exec, s[16:17]
.LBB227_53:                             ;   in Loop: Header=BB227_41 Depth=1
	s_or_b64 exec, exec, s[2:3]
	v_lshrrev_b32_e32 v6, 16, v18
	v_cmp_ne_u16_sdwa s[0:1], v6, v7 src0_sel:BYTE_0 src1_sel:DWORD
	s_and_saveexec_b64 s[2:3], s[0:1]
	s_cbranch_execz .LBB227_59
; %bb.54:                               ;   in Loop: Header=BB227_41 Depth=1
	v_cmp_ne_u16_sdwa s[0:1], v6, s35 src0_sel:BYTE_0 src1_sel:DWORD
	v_mov_b32_e32 v3, 0x8000
	s_and_saveexec_b64 s[16:17], s[0:1]
	s_cbranch_execz .LBB227_58
; %bb.55:                               ;   in Loop: Header=BB227_41 Depth=1
	v_bfe_u32 v20, v18, 16, 7
	v_cmp_ne_u32_e64 s[0:1], s36, v20
	v_mov_b32_e32 v3, 0x7c01
	s_and_saveexec_b64 s[18:19], s[0:1]
	s_cbranch_execz .LBB227_57
; %bb.56:                               ;   in Loop: Header=BB227_41 Depth=1
	v_and_b32_e32 v3, 7, v6
	v_ffbh_u32_e32 v22, v3
	v_min_u32_e32 v24, 32, v22
	v_subrev_u32_e32 v22, 28, v24
	v_lshlrev_b64 v[22:23], v22, v[6:7]
	v_lshrrev_b32_e32 v21, 3, v20
	v_sub_u32_e32 v23, 29, v24
	v_cmp_gt_u32_e64 s[0:1], 8, v20
	v_lshlrev_b32_e32 v6, 8, v6
	s_nop 0
	v_cndmask_b32_e64 v20, v21, v23, s[0:1]
	v_lshl_add_u32 v20, v20, 10, v31
	v_and_b32_e32 v21, 7, v22
	v_and_b32_e32 v20, 0xfc00, v20
	v_cndmask_b32_e64 v3, v3, v21, s[0:1]
	v_and_or_b32 v6, v6, s37, v20
	v_lshl_or_b32 v3, v3, 7, v6
.LBB227_57:                             ;   in Loop: Header=BB227_41 Depth=1
	s_or_b64 exec, exec, s[18:19]
.LBB227_58:                             ;   in Loop: Header=BB227_41 Depth=1
	s_or_b64 exec, exec, s[16:17]
.LBB227_59:                             ;   in Loop: Header=BB227_41 Depth=1
	s_or_b64 exec, exec, s[2:3]
	v_cmp_lt_u32_e64 s[0:1], s11, v18
	v_mov_b32_e32 v21, 0
	v_mov_b32_e32 v20, 0
	s_and_saveexec_b64 s[2:3], s[0:1]
	s_cbranch_execz .LBB227_65
; %bb.60:                               ;   in Loop: Header=BB227_41 Depth=1
	v_lshrrev_b32_e32 v6, 24, v18
	v_cmp_ne_u32_e64 s[0:1], s35, v6
	v_bfrev_b32_e32 v20, 1
	s_and_saveexec_b64 s[16:17], s[0:1]
	s_cbranch_execz .LBB227_64
; %bb.61:                               ;   in Loop: Header=BB227_41 Depth=1
	v_and_b32_e32 v22, 0x7f, v6
	v_cmp_ne_u32_e64 s[0:1], s36, v22
	v_mov_b32_e32 v20, 0x7c010000
	s_and_saveexec_b64 s[18:19], s[0:1]
	s_cbranch_execz .LBB227_63
; %bb.62:                               ;   in Loop: Header=BB227_41 Depth=1
	v_and_b32_e32 v20, 7, v6
	v_ffbh_u32_e32 v24, v20
	v_min_u32_e32 v24, 32, v24
	v_lshrrev_b32_e32 v23, 3, v22
	v_subrev_u32_e32 v35, 28, v24
	v_sub_u32_e32 v24, 29, v24
	v_cmp_gt_u32_e64 s[0:1], 8, v22
	v_lshlrev_b64 v[42:43], v35, v[6:7]
	v_lshlrev_b32_e32 v6, 8, v6
	v_cndmask_b32_e64 v22, v23, v24, s[0:1]
	v_lshl_add_u32 v22, v22, 10, v31
	v_and_b32_e32 v23, 7, v42
	v_and_or_b32 v6, v6, s37, v22
	v_cndmask_b32_e64 v20, v20, v23, s[0:1]
	v_lshlrev_b32_e32 v6, 16, v6
	v_lshl_or_b32 v20, v20, 23, v6
.LBB227_63:                             ;   in Loop: Header=BB227_41 Depth=1
	s_or_b64 exec, exec, s[18:19]
.LBB227_64:                             ;   in Loop: Header=BB227_41 Depth=1
	s_or_b64 exec, exec, s[16:17]
.LBB227_65:                             ;   in Loop: Header=BB227_41 Depth=1
	s_or_b64 exec, exec, s[2:3]
	v_mov_b32_e32 v6, v19
	v_cmp_ne_u16_sdwa s[0:1], v19, v7 src0_sel:BYTE_0 src1_sel:DWORD
	s_and_saveexec_b64 s[2:3], s[0:1]
	s_cbranch_execz .LBB227_71
; %bb.66:                               ;   in Loop: Header=BB227_41 Depth=1
	v_cmp_ne_u16_sdwa s[0:1], v19, s35 src0_sel:BYTE_0 src1_sel:DWORD
	v_mov_b32_e32 v21, 0x8000
	s_and_saveexec_b64 s[16:17], s[0:1]
	s_cbranch_execz .LBB227_70
; %bb.67:                               ;   in Loop: Header=BB227_41 Depth=1
	v_and_b32_e32 v22, 0x7f, v19
	v_cmp_ne_u32_e64 s[0:1], s36, v22
	v_mov_b32_e32 v21, 0x7c01
	s_and_saveexec_b64 s[18:19], s[0:1]
	s_cbranch_execz .LBB227_69
; %bb.68:                               ;   in Loop: Header=BB227_41 Depth=1
	v_and_b32_e32 v21, 7, v19
	v_ffbh_u32_e32 v24, v21
	v_min_u32_e32 v24, 32, v24
	v_lshrrev_b32_e32 v23, 3, v22
	v_subrev_u32_e32 v35, 28, v24
	v_sub_u32_e32 v24, 29, v24
	v_cmp_gt_u32_e64 s[0:1], 8, v22
	v_lshlrev_b64 v[42:43], v35, v[6:7]
	s_nop 0
	v_cndmask_b32_e64 v22, v23, v24, s[0:1]
	v_lshl_add_u32 v22, v22, 10, v31
	v_lshlrev_b32_e32 v23, 8, v19
	v_and_b32_e32 v24, 7, v42
	v_and_b32_e32 v22, 0xfc00, v22
	v_cndmask_b32_e64 v21, v21, v24, s[0:1]
	v_and_or_b32 v22, v23, s37, v22
	v_lshl_or_b32 v21, v21, 7, v22
.LBB227_69:                             ;   in Loop: Header=BB227_41 Depth=1
	s_or_b64 exec, exec, s[18:19]
.LBB227_70:                             ;   in Loop: Header=BB227_41 Depth=1
	s_or_b64 exec, exec, s[16:17]
.LBB227_71:                             ;   in Loop: Header=BB227_41 Depth=1
	s_or_b64 exec, exec, s[2:3]
	v_lshrrev_b16_e32 v6, 8, v6
	v_cmp_ne_u16_e64 s[0:1], 0, v6
	v_mov_b32_e32 v23, 0
	v_mov_b32_e32 v22, 0
	s_and_saveexec_b64 s[2:3], s[0:1]
	s_cbranch_execz .LBB227_77
; %bb.72:                               ;   in Loop: Header=BB227_41 Depth=1
	v_cmp_ne_u16_e64 s[0:1], s35, v6
	v_bfrev_b32_e32 v22, 1
	s_and_saveexec_b64 s[16:17], s[0:1]
	s_cbranch_execz .LBB227_76
; %bb.73:                               ;   in Loop: Header=BB227_41 Depth=1
	v_and_b32_e32 v24, 0x7f, v6
	v_cmp_ne_u32_e64 s[0:1], s36, v24
	v_mov_b32_e32 v22, 0x7c010000
	s_and_saveexec_b64 s[18:19], s[0:1]
	s_cbranch_execz .LBB227_75
; %bb.74:                               ;   in Loop: Header=BB227_41 Depth=1
	v_and_b32_e32 v22, 7, v6
	v_ffbh_u32_e32 v41, v22
	v_min_u32_e32 v41, 32, v41
	v_lshrrev_b32_e32 v35, 3, v24
	v_subrev_u32_e32 v42, 28, v41
	v_sub_u32_e32 v41, 29, v41
	v_cmp_gt_u32_e64 s[0:1], 8, v24
	v_lshlrev_b64 v[42:43], v42, v[6:7]
	v_lshlrev_b32_e32 v6, 8, v6
	v_cndmask_b32_e64 v24, v35, v41, s[0:1]
	v_lshl_add_u32 v24, v24, 10, v31
	v_and_b32_e32 v35, 7, v42
	v_and_or_b32 v6, v6, s37, v24
	v_cndmask_b32_e64 v22, v22, v35, s[0:1]
	v_lshlrev_b32_e32 v6, 16, v6
	v_lshl_or_b32 v22, v22, 23, v6
.LBB227_75:                             ;   in Loop: Header=BB227_41 Depth=1
	s_or_b64 exec, exec, s[18:19]
.LBB227_76:                             ;   in Loop: Header=BB227_41 Depth=1
	s_or_b64 exec, exec, s[16:17]
.LBB227_77:                             ;   in Loop: Header=BB227_41 Depth=1
	s_or_b64 exec, exec, s[2:3]
	v_lshrrev_b32_e32 v6, 16, v19
	v_cmp_ne_u16_sdwa s[0:1], v6, v7 src0_sel:BYTE_0 src1_sel:DWORD
	s_and_saveexec_b64 s[2:3], s[0:1]
	s_cbranch_execz .LBB227_83
; %bb.78:                               ;   in Loop: Header=BB227_41 Depth=1
	v_cmp_ne_u16_sdwa s[0:1], v6, s35 src0_sel:BYTE_0 src1_sel:DWORD
	v_mov_b32_e32 v23, 0x8000
	s_and_saveexec_b64 s[16:17], s[0:1]
	s_cbranch_execz .LBB227_82
; %bb.79:                               ;   in Loop: Header=BB227_41 Depth=1
	v_bfe_u32 v24, v19, 16, 7
	v_cmp_ne_u32_e64 s[0:1], s36, v24
	v_mov_b32_e32 v23, 0x7c01
	s_and_saveexec_b64 s[18:19], s[0:1]
	s_cbranch_execz .LBB227_81
; %bb.80:                               ;   in Loop: Header=BB227_41 Depth=1
	v_and_b32_e32 v23, 7, v6
	v_ffbh_u32_e32 v41, v23
	v_min_u32_e32 v41, 32, v41
	v_lshrrev_b32_e32 v35, 3, v24
	v_subrev_u32_e32 v42, 28, v41
	v_sub_u32_e32 v41, 29, v41
	v_cmp_gt_u32_e64 s[0:1], 8, v24
	v_lshlrev_b64 v[42:43], v42, v[6:7]
	v_lshlrev_b32_e32 v6, 8, v6
	v_cndmask_b32_e64 v24, v35, v41, s[0:1]
	v_lshl_add_u32 v24, v24, 10, v31
	v_and_b32_e32 v35, 7, v42
	v_and_b32_e32 v24, 0xfc00, v24
	v_cndmask_b32_e64 v23, v23, v35, s[0:1]
	v_and_or_b32 v6, v6, s37, v24
	v_lshl_or_b32 v23, v23, 7, v6
.LBB227_81:                             ;   in Loop: Header=BB227_41 Depth=1
	s_or_b64 exec, exec, s[18:19]
.LBB227_82:                             ;   in Loop: Header=BB227_41 Depth=1
	s_or_b64 exec, exec, s[16:17]
.LBB227_83:                             ;   in Loop: Header=BB227_41 Depth=1
	s_or_b64 exec, exec, s[2:3]
	v_cmp_lt_u64_e64 s[0:1], s[10:11], v[18:19]
	v_mov_b32_e32 v24, 0
	s_and_saveexec_b64 s[2:3], s[0:1]
	s_cbranch_execz .LBB227_89
; %bb.84:                               ;   in Loop: Header=BB227_41 Depth=1
	v_lshrrev_b32_e32 v6, 24, v19
	v_cmp_ne_u32_e64 s[0:1], s35, v6
	v_bfrev_b32_e32 v24, 1
	s_and_saveexec_b64 s[16:17], s[0:1]
	s_cbranch_execz .LBB227_88
; %bb.85:                               ;   in Loop: Header=BB227_41 Depth=1
	v_and_b32_e32 v18, 0x7f, v6
	v_cmp_ne_u32_e64 s[0:1], s36, v18
	v_mov_b32_e32 v24, 0x7c010000
	s_and_saveexec_b64 s[18:19], s[0:1]
	s_cbranch_execz .LBB227_87
; %bb.86:                               ;   in Loop: Header=BB227_41 Depth=1
	v_and_b32_e32 v19, 7, v6
	v_ffbh_u32_e32 v35, v19
	v_min_u32_e32 v35, 32, v35
	v_lshrrev_b32_e32 v24, 3, v18
	v_subrev_u32_e32 v41, 28, v35
	v_sub_u32_e32 v35, 29, v35
	v_cmp_gt_u32_e64 s[0:1], 8, v18
	v_lshlrev_b64 v[42:43], v41, v[6:7]
	v_lshlrev_b32_e32 v6, 8, v6
	v_cndmask_b32_e64 v18, v24, v35, s[0:1]
	v_lshl_add_u32 v18, v18, 10, v31
	v_and_b32_e32 v24, 7, v42
	v_and_or_b32 v6, v6, s37, v18
	v_cndmask_b32_e64 v19, v19, v24, s[0:1]
	v_lshlrev_b32_e32 v6, 16, v6
	v_lshl_or_b32 v24, v19, 23, v6
.LBB227_87:                             ;   in Loop: Header=BB227_41 Depth=1
	s_or_b64 exec, exec, s[18:19]
.LBB227_88:                             ;   in Loop: Header=BB227_41 Depth=1
	s_or_b64 exec, exec, s[16:17]
.LBB227_89:                             ;   in Loop: Header=BB227_41 Depth=1
	s_or_b64 exec, exec, s[2:3]
	v_cvt_f32_f16_sdwa v19, v17 dst_sel:DWORD dst_unused:UNUSED_PAD src0_sel:WORD_1
	v_cvt_f32_f16_sdwa v18, v20 dst_sel:DWORD dst_unused:UNUSED_PAD src0_sel:WORD_1
	v_or_b32_e32 v1, v17, v1
	v_or_b32_e32 v3, v20, v3
	v_cvt_f32_f16_e32 v42, v3
	v_cvt_f32_f16_e32 v43, v1
	s_waitcnt vmcnt(0)
	v_pk_mul_f32 v[18:19], v[16:17], v[18:19] op_sel_hi:[0,1]
	v_cvt_pk_f16_f32 v1, v18, v19
	v_or_b32_e32 v6, v22, v21
	v_pk_mul_f32 v[42:43], v[16:17], v[42:43] op_sel_hi:[0,1]
	v_or_b32_e32 v19, v24, v23
	v_and_b32_e32 v3, 0xffff0000, v1
	v_lshlrev_b32_e32 v18, 16, v1
	v_cvt_pk_f16_f32 v1, v42, v43
	v_cvt_f32_f16_e32 v42, v19
	v_cvt_f32_f16_e32 v43, v6
	v_cvt_f32_f16_sdwa v23, v22 dst_sel:DWORD dst_unused:UNUSED_PAD src0_sel:WORD_1
	v_cvt_f32_f16_sdwa v22, v24 dst_sel:DWORD dst_unused:UNUSED_PAD src0_sel:WORD_1
	v_lshrrev_b32_e32 v17, 16, v1
	v_pk_mul_f32 v[42:43], v[16:17], v[42:43] op_sel_hi:[0,1]
	v_cvt_pk_f16_f32 v24, v42, v43
	v_pk_mul_f32 v[22:23], v[16:17], v[22:23] op_sel_hi:[0,1]
	v_cvt_pk_f16_f32 v16, v22, v23
	v_and_b32_e32 v20, 0xffff, v1
	v_and_b32_e32 v19, 0xffff0000, v16
	v_lshlrev_b32_e32 v16, 16, v16
	v_lshrrev_b32_e32 v21, 16, v24
	v_and_b32_e32 v22, 0xffff, v24
	v_cmp_eq_u32_e64 s[2:3], s30, v25
	v_or_b32_e32 v1, v3, v17
	v_or_b32_e32 v6, v18, v20
	;; [unrolled: 1-line block ×4, first 2 shown]
	s_and_saveexec_b64 s[16:17], s[2:3]
	s_cbranch_execz .LBB227_91
; %bb.90:                               ;   in Loop: Header=BB227_41 Depth=1
	v_add_u32_e32 v23, 2, v29
	v_cmp_gt_i32_e64 s[0:1], s31, v29
	v_or_b32_e32 v1, 1, v29
	v_or_b32_e32 v6, 3, v29
	v_cndmask_b32_e64 v17, 0, v17, s[0:1]
	v_cmp_gt_i32_e64 s[0:1], s21, v23
	s_nop 1
	v_cndmask_b32_e64 v20, 0, v20, s[0:1]
	v_cmp_gt_i32_e64 s[0:1], s31, v1
	s_nop 1
	v_cndmask_b32_e64 v1, 0, v3, s[0:1]
	v_cmp_gt_i32_e64 s[0:1], s21, v6
	v_or_b32_e32 v1, v1, v17
	v_or_b32_e32 v17, 6, v29
	v_cndmask_b32_e64 v3, 0, v18, s[0:1]
	v_or_b32_e32 v6, v3, v20
	v_or_b32_e32 v3, 4, v29
	v_cmp_gt_i32_e64 s[0:1], s31, v3
	v_or_b32_e32 v18, 5, v29
	v_or_b32_e32 v20, 7, v29
	v_cndmask_b32_e64 v3, 0, v21, s[0:1]
	v_cmp_gt_i32_e64 s[0:1], s21, v17
	s_nop 1
	v_cndmask_b32_e64 v17, 0, v22, s[0:1]
	v_cmp_gt_i32_e64 s[0:1], s31, v18
	s_nop 1
	v_cndmask_b32_e64 v18, 0, v19, s[0:1]
	v_cmp_gt_i32_e64 s[0:1], s21, v20
	v_or_b32_e32 v23, v18, v3
	s_nop 0
	v_cndmask_b32_e64 v16, 0, v16, s[0:1]
	v_or_b32_e32 v24, v16, v17
.LBB227_91:                             ;   in Loop: Header=BB227_41 Depth=1
	s_or_b64 exec, exec, s[16:17]
	v_and_b32_e32 v3, 0xffff, v32
	v_lshl_or_b32 v35, v33, 16, v3
	v_and_b32_e32 v3, 0xffff, v34
	v_lshl_or_b32 v34, v36, 16, v3
	v_and_b32_e32 v3, 0xffff, v37
	v_lshl_or_b32 v33, v38, 16, v3
	v_and_b32_e32 v3, 0xffff, v39
	;;#ASMSTART
	v_pk_mul_f16 v1, v35, v1;

	;;#ASMEND
	v_lshl_or_b32 v32, v40, 16, v3
	;;#ASMSTART
	v_pk_mul_f16 v3, v34, v6;

	;;#ASMEND
	;;#ASMSTART
	v_pk_mul_f16 v6, v33, v23;

	;;#ASMEND
	;; [unrolled: 4-line block ×3, first 2 shown]
	s_nop 0
	;;#ASMSTART
	v_pk_add_f16 v1, v1, v3;

	;;#ASMEND
	s_nop 0
	;;#ASMSTART
	v_pk_add_f16 v1, v1, v6;

	;;#ASMEND
	s_nop 0
	;;#ASMSTART
	v_pk_add_f16 v1, v1, v16;

	;;#ASMEND
	s_nop 0
	v_lshrrev_b32_e32 v3, 16, v1
	v_and_b32_e32 v1, 0xffff, v1
	;;#ASMSTART
	v_cvt_f32_f16 v23, v1;
	;;#ASMEND
	;;#ASMSTART
	v_cvt_f32_f16 v24, v3;
	;;#ASMEND
	s_and_saveexec_b64 s[16:17], vcc
	s_cbranch_execz .LBB227_40
; %bb.92:                               ;   in Loop: Header=BB227_41 Depth=1
	v_lshl_add_u64 v[14:15], v[14:15], 0, v[8:9]
	global_load_dwordx2 v[16:17], v[14:15], off
	v_mov_b32_e32 v1, 0
	global_load_dword v14, v1, s[14:15]
	v_mov_b32_e32 v3, 0
	s_waitcnt vmcnt(1)
	v_cmp_ne_u16_sdwa s[0:1], v16, v7 src0_sel:BYTE_0 src1_sel:DWORD
	s_and_saveexec_b64 s[18:19], s[0:1]
	s_cbranch_execz .LBB227_98
; %bb.93:                               ;   in Loop: Header=BB227_41 Depth=1
	v_cmp_ne_u16_sdwa s[0:1], v16, s35 src0_sel:BYTE_0 src1_sel:DWORD
	v_mov_b32_e32 v3, 0x8000
	s_and_saveexec_b64 s[26:27], s[0:1]
	s_cbranch_execz .LBB227_97
; %bb.94:                               ;   in Loop: Header=BB227_41 Depth=1
	v_and_b32_e32 v6, 0x7f, v16
	v_cmp_ne_u32_e64 s[0:1], s36, v6
	v_mov_b32_e32 v3, 0x7c01
	s_and_saveexec_b64 s[28:29], s[0:1]
	s_cbranch_execz .LBB227_96
; %bb.95:                               ;   in Loop: Header=BB227_41 Depth=1
	v_and_b32_e32 v3, 7, v16
	v_ffbh_u32_e32 v18, v3
	v_min_u32_e32 v20, 32, v18
	v_subrev_u32_e32 v18, 28, v20
	v_lshlrev_b64 v[18:19], v18, v[16:17]
	v_lshrrev_b32_e32 v15, 3, v6
	v_sub_u32_e32 v19, 29, v20
	v_cmp_gt_u32_e64 s[0:1], 8, v6
	v_and_b32_e32 v18, 7, v18
	s_nop 0
	v_cndmask_b32_e64 v6, v15, v19, s[0:1]
	v_lshl_add_u32 v6, v6, 10, v31
	v_lshlrev_b32_e32 v15, 8, v16
	v_and_b32_e32 v6, 0xfc00, v6
	v_cndmask_b32_e64 v3, v3, v18, s[0:1]
	v_and_or_b32 v6, v15, s37, v6
	v_lshl_or_b32 v3, v3, 7, v6
.LBB227_96:                             ;   in Loop: Header=BB227_41 Depth=1
	s_or_b64 exec, exec, s[28:29]
.LBB227_97:                             ;   in Loop: Header=BB227_41 Depth=1
	s_or_b64 exec, exec, s[26:27]
.LBB227_98:                             ;   in Loop: Header=BB227_41 Depth=1
	s_or_b64 exec, exec, s[18:19]
	v_lshrrev_b16_e32 v6, 8, v16
	v_cmp_ne_u16_e64 s[0:1], 0, v6
	s_and_saveexec_b64 s[18:19], s[0:1]
	s_cbranch_execz .LBB227_104
; %bb.99:                               ;   in Loop: Header=BB227_41 Depth=1
	v_cmp_ne_u16_e64 s[0:1], s35, v6
	v_bfrev_b32_e32 v1, 1
	s_and_saveexec_b64 s[26:27], s[0:1]
	s_cbranch_execz .LBB227_103
; %bb.100:                              ;   in Loop: Header=BB227_41 Depth=1
	v_and_b32_e32 v15, 0x7f, v6
	v_cmp_ne_u32_e64 s[0:1], s36, v15
	v_mov_b32_e32 v1, 0x7c010000
	s_and_saveexec_b64 s[28:29], s[0:1]
	s_cbranch_execz .LBB227_102
; %bb.101:                              ;   in Loop: Header=BB227_41 Depth=1
	v_and_b32_e32 v1, 7, v6
	v_ffbh_u32_e32 v18, v1
	v_min_u32_e32 v21, 32, v18
	v_subrev_u32_e32 v18, 28, v21
	v_lshlrev_b64 v[18:19], v18, v[6:7]
	v_lshrrev_b32_e32 v20, 3, v15
	v_sub_u32_e32 v19, 29, v21
	v_cmp_gt_u32_e64 s[0:1], 8, v15
	v_lshlrev_b32_e32 v6, 8, v6
	v_and_b32_e32 v18, 7, v18
	v_cndmask_b32_e64 v15, v20, v19, s[0:1]
	v_lshl_add_u32 v15, v15, 10, v31
	v_and_or_b32 v6, v6, s37, v15
	v_cndmask_b32_e64 v1, v1, v18, s[0:1]
	v_lshlrev_b32_e32 v6, 16, v6
	v_lshl_or_b32 v1, v1, 23, v6
.LBB227_102:                            ;   in Loop: Header=BB227_41 Depth=1
	s_or_b64 exec, exec, s[28:29]
.LBB227_103:                            ;   in Loop: Header=BB227_41 Depth=1
	s_or_b64 exec, exec, s[26:27]
.LBB227_104:                            ;   in Loop: Header=BB227_41 Depth=1
	s_or_b64 exec, exec, s[18:19]
	v_lshrrev_b32_e32 v6, 16, v16
	v_cmp_ne_u16_sdwa s[0:1], v6, v7 src0_sel:BYTE_0 src1_sel:DWORD
	v_mov_b32_e32 v18, 0
	v_mov_b32_e32 v15, 0
	s_and_saveexec_b64 s[18:19], s[0:1]
	s_cbranch_execz .LBB227_110
; %bb.105:                              ;   in Loop: Header=BB227_41 Depth=1
	v_cmp_ne_u16_sdwa s[0:1], v6, s35 src0_sel:BYTE_0 src1_sel:DWORD
	v_mov_b32_e32 v15, 0x8000
	s_and_saveexec_b64 s[26:27], s[0:1]
	s_cbranch_execz .LBB227_109
; %bb.106:                              ;   in Loop: Header=BB227_41 Depth=1
	v_bfe_u32 v19, v16, 16, 7
	v_cmp_ne_u32_e64 s[0:1], s36, v19
	v_mov_b32_e32 v15, 0x7c01
	s_and_saveexec_b64 s[28:29], s[0:1]
	s_cbranch_execz .LBB227_108
; %bb.107:                              ;   in Loop: Header=BB227_41 Depth=1
	v_and_b32_e32 v15, 7, v6
	v_ffbh_u32_e32 v20, v15
	v_min_u32_e32 v36, 32, v20
	v_subrev_u32_e32 v20, 28, v36
	v_lshlrev_b64 v[20:21], v20, v[6:7]
	v_lshrrev_b32_e32 v22, 3, v19
	v_sub_u32_e32 v21, 29, v36
	v_cmp_gt_u32_e64 s[0:1], 8, v19
	v_lshlrev_b32_e32 v6, 8, v6
	v_and_b32_e32 v20, 7, v20
	v_cndmask_b32_e64 v19, v22, v21, s[0:1]
	v_lshl_add_u32 v19, v19, 10, v31
	v_and_b32_e32 v19, 0xfc00, v19
	v_cndmask_b32_e64 v15, v15, v20, s[0:1]
	v_and_or_b32 v6, v6, s37, v19
	v_lshl_or_b32 v15, v15, 7, v6
.LBB227_108:                            ;   in Loop: Header=BB227_41 Depth=1
	s_or_b64 exec, exec, s[28:29]
.LBB227_109:                            ;   in Loop: Header=BB227_41 Depth=1
	s_or_b64 exec, exec, s[26:27]
.LBB227_110:                            ;   in Loop: Header=BB227_41 Depth=1
	s_or_b64 exec, exec, s[18:19]
	v_cmp_lt_u32_e64 s[0:1], s11, v16
	s_and_saveexec_b64 s[18:19], s[0:1]
	s_cbranch_execz .LBB227_116
; %bb.111:                              ;   in Loop: Header=BB227_41 Depth=1
	v_lshrrev_b32_e32 v6, 24, v16
	v_cmp_ne_u32_e64 s[0:1], s35, v6
	v_bfrev_b32_e32 v18, 1
	s_and_saveexec_b64 s[26:27], s[0:1]
	s_cbranch_execz .LBB227_115
; %bb.112:                              ;   in Loop: Header=BB227_41 Depth=1
	v_and_b32_e32 v19, 0x7f, v6
	v_cmp_ne_u32_e64 s[0:1], s36, v19
	v_mov_b32_e32 v18, 0x7c010000
	s_and_saveexec_b64 s[28:29], s[0:1]
	s_cbranch_execz .LBB227_114
; %bb.113:                              ;   in Loop: Header=BB227_41 Depth=1
	v_and_b32_e32 v18, 7, v6
	v_ffbh_u32_e32 v20, v18
	v_min_u32_e32 v36, 32, v20
	v_subrev_u32_e32 v20, 28, v36
	v_lshlrev_b64 v[20:21], v20, v[6:7]
	v_lshrrev_b32_e32 v22, 3, v19
	v_sub_u32_e32 v21, 29, v36
	v_cmp_gt_u32_e64 s[0:1], 8, v19
	v_lshlrev_b32_e32 v6, 8, v6
	v_and_b32_e32 v20, 7, v20
	v_cndmask_b32_e64 v19, v22, v21, s[0:1]
	v_lshl_add_u32 v19, v19, 10, v31
	v_and_or_b32 v6, v6, s37, v19
	v_cndmask_b32_e64 v18, v18, v20, s[0:1]
	v_lshlrev_b32_e32 v6, 16, v6
	v_lshl_or_b32 v18, v18, 23, v6
.LBB227_114:                            ;   in Loop: Header=BB227_41 Depth=1
	s_or_b64 exec, exec, s[28:29]
.LBB227_115:                            ;   in Loop: Header=BB227_41 Depth=1
	s_or_b64 exec, exec, s[26:27]
.LBB227_116:                            ;   in Loop: Header=BB227_41 Depth=1
	s_or_b64 exec, exec, s[18:19]
	v_mov_b32_e32 v6, v17
	v_cmp_ne_u16_sdwa s[0:1], v17, v7 src0_sel:BYTE_0 src1_sel:DWORD
	v_mov_b32_e32 v19, 0
	v_mov_b32_e32 v20, 0
	s_and_saveexec_b64 s[18:19], s[0:1]
	s_cbranch_execz .LBB227_122
; %bb.117:                              ;   in Loop: Header=BB227_41 Depth=1
	v_cmp_ne_u16_sdwa s[0:1], v17, s35 src0_sel:BYTE_0 src1_sel:DWORD
	v_mov_b32_e32 v20, 0x8000
	s_and_saveexec_b64 s[26:27], s[0:1]
	s_cbranch_execz .LBB227_121
; %bb.118:                              ;   in Loop: Header=BB227_41 Depth=1
	v_and_b32_e32 v21, 0x7f, v17
	v_cmp_ne_u32_e64 s[0:1], s36, v21
	v_mov_b32_e32 v20, 0x7c01
	s_and_saveexec_b64 s[28:29], s[0:1]
	s_cbranch_execz .LBB227_120
; %bb.119:                              ;   in Loop: Header=BB227_41 Depth=1
	v_and_b32_e32 v20, 7, v17
	v_ffbh_u32_e32 v36, v20
	v_min_u32_e32 v38, 32, v36
	v_subrev_u32_e32 v36, 28, v38
	v_lshlrev_b64 v[36:37], v36, v[6:7]
	v_lshrrev_b32_e32 v22, 3, v21
	v_sub_u32_e32 v37, 29, v38
	v_cmp_gt_u32_e64 s[0:1], 8, v21
	v_and_b32_e32 v36, 7, v36
	s_nop 0
	v_cndmask_b32_e64 v21, v22, v37, s[0:1]
	v_lshl_add_u32 v21, v21, 10, v31
	v_lshlrev_b32_e32 v22, 8, v17
	v_and_b32_e32 v21, 0xfc00, v21
	v_cndmask_b32_e64 v20, v20, v36, s[0:1]
	v_and_or_b32 v21, v22, s37, v21
	v_lshl_or_b32 v20, v20, 7, v21
.LBB227_120:                            ;   in Loop: Header=BB227_41 Depth=1
	s_or_b64 exec, exec, s[28:29]
.LBB227_121:                            ;   in Loop: Header=BB227_41 Depth=1
	s_or_b64 exec, exec, s[26:27]
.LBB227_122:                            ;   in Loop: Header=BB227_41 Depth=1
	s_or_b64 exec, exec, s[18:19]
	v_lshrrev_b16_e32 v6, 8, v6
	v_cmp_ne_u16_e64 s[0:1], 0, v6
	v_mov_b32_e32 v21, 0
	s_and_saveexec_b64 s[18:19], s[0:1]
	s_cbranch_execz .LBB227_128
; %bb.123:                              ;   in Loop: Header=BB227_41 Depth=1
	v_cmp_ne_u16_e64 s[0:1], s35, v6
	v_bfrev_b32_e32 v21, 1
	s_and_saveexec_b64 s[26:27], s[0:1]
	s_cbranch_execz .LBB227_127
; %bb.124:                              ;   in Loop: Header=BB227_41 Depth=1
	v_and_b32_e32 v22, 0x7f, v6
	v_cmp_ne_u32_e64 s[0:1], s36, v22
	v_mov_b32_e32 v21, 0x7c010000
	s_and_saveexec_b64 s[28:29], s[0:1]
	s_cbranch_execz .LBB227_126
; %bb.125:                              ;   in Loop: Header=BB227_41 Depth=1
	v_and_b32_e32 v21, 7, v6
	v_ffbh_u32_e32 v36, v21
	v_min_u32_e32 v39, 32, v36
	v_subrev_u32_e32 v36, 28, v39
	v_lshlrev_b64 v[36:37], v36, v[6:7]
	v_lshrrev_b32_e32 v38, 3, v22
	v_sub_u32_e32 v37, 29, v39
	v_cmp_gt_u32_e64 s[0:1], 8, v22
	v_lshlrev_b32_e32 v6, 8, v6
	v_and_b32_e32 v36, 7, v36
	v_cndmask_b32_e64 v22, v38, v37, s[0:1]
	v_lshl_add_u32 v22, v22, 10, v31
	v_and_or_b32 v6, v6, s37, v22
	v_cndmask_b32_e64 v21, v21, v36, s[0:1]
	v_lshlrev_b32_e32 v6, 16, v6
	v_lshl_or_b32 v21, v21, 23, v6
.LBB227_126:                            ;   in Loop: Header=BB227_41 Depth=1
	s_or_b64 exec, exec, s[28:29]
.LBB227_127:                            ;   in Loop: Header=BB227_41 Depth=1
	s_or_b64 exec, exec, s[26:27]
.LBB227_128:                            ;   in Loop: Header=BB227_41 Depth=1
	s_or_b64 exec, exec, s[18:19]
	v_lshrrev_b32_e32 v6, 16, v17
	v_cmp_ne_u16_sdwa s[0:1], v6, v7 src0_sel:BYTE_0 src1_sel:DWORD
	s_and_saveexec_b64 s[18:19], s[0:1]
	s_cbranch_execz .LBB227_134
; %bb.129:                              ;   in Loop: Header=BB227_41 Depth=1
	v_cmp_ne_u16_sdwa s[0:1], v6, s35 src0_sel:BYTE_0 src1_sel:DWORD
	v_mov_b32_e32 v19, 0x8000
	s_and_saveexec_b64 s[26:27], s[0:1]
	s_cbranch_execz .LBB227_133
; %bb.130:                              ;   in Loop: Header=BB227_41 Depth=1
	v_bfe_u32 v22, v17, 16, 7
	v_cmp_ne_u32_e64 s[0:1], s36, v22
	v_mov_b32_e32 v19, 0x7c01
	s_and_saveexec_b64 s[28:29], s[0:1]
	s_cbranch_execz .LBB227_132
; %bb.131:                              ;   in Loop: Header=BB227_41 Depth=1
	v_and_b32_e32 v19, 7, v6
	v_ffbh_u32_e32 v36, v19
	v_min_u32_e32 v39, 32, v36
	v_subrev_u32_e32 v36, 28, v39
	v_lshlrev_b64 v[36:37], v36, v[6:7]
	v_lshrrev_b32_e32 v38, 3, v22
	v_sub_u32_e32 v37, 29, v39
	v_cmp_gt_u32_e64 s[0:1], 8, v22
	v_lshlrev_b32_e32 v6, 8, v6
	v_and_b32_e32 v36, 7, v36
	v_cndmask_b32_e64 v22, v38, v37, s[0:1]
	v_lshl_add_u32 v22, v22, 10, v31
	v_and_b32_e32 v22, 0xfc00, v22
	v_cndmask_b32_e64 v19, v19, v36, s[0:1]
	v_and_or_b32 v6, v6, s37, v22
	v_lshl_or_b32 v19, v19, 7, v6
.LBB227_132:                            ;   in Loop: Header=BB227_41 Depth=1
	s_or_b64 exec, exec, s[28:29]
.LBB227_133:                            ;   in Loop: Header=BB227_41 Depth=1
	s_or_b64 exec, exec, s[26:27]
.LBB227_134:                            ;   in Loop: Header=BB227_41 Depth=1
	s_or_b64 exec, exec, s[18:19]
	v_cmp_lt_u64_e64 s[0:1], s[10:11], v[16:17]
	v_mov_b32_e32 v16, 0
	s_and_saveexec_b64 s[18:19], s[0:1]
	s_cbranch_execz .LBB227_140
; %bb.135:                              ;   in Loop: Header=BB227_41 Depth=1
	v_lshrrev_b32_e32 v6, 24, v17
	v_cmp_ne_u32_e64 s[0:1], s35, v6
	v_bfrev_b32_e32 v16, 1
	s_and_saveexec_b64 s[26:27], s[0:1]
	s_cbranch_execz .LBB227_139
; %bb.136:                              ;   in Loop: Header=BB227_41 Depth=1
	v_and_b32_e32 v17, 0x7f, v6
	v_cmp_ne_u32_e64 s[0:1], s36, v17
	v_mov_b32_e32 v16, 0x7c010000
	s_and_saveexec_b64 s[28:29], s[0:1]
	s_cbranch_execz .LBB227_138
; %bb.137:                              ;   in Loop: Header=BB227_41 Depth=1
	v_and_b32_e32 v16, 7, v6
	v_ffbh_u32_e32 v36, v16
	v_min_u32_e32 v38, 32, v36
	v_subrev_u32_e32 v36, 28, v38
	v_lshlrev_b64 v[36:37], v36, v[6:7]
	v_lshrrev_b32_e32 v22, 3, v17
	v_sub_u32_e32 v37, 29, v38
	v_cmp_gt_u32_e64 s[0:1], 8, v17
	v_lshlrev_b32_e32 v6, 8, v6
	s_nop 0
	v_cndmask_b32_e64 v17, v22, v37, s[0:1]
	v_lshl_add_u32 v17, v17, 10, v31
	v_and_b32_e32 v22, 7, v36
	v_and_or_b32 v6, v6, s37, v17
	v_cndmask_b32_e64 v16, v16, v22, s[0:1]
	v_lshlrev_b32_e32 v6, 16, v6
	v_lshl_or_b32 v16, v16, 23, v6
.LBB227_138:                            ;   in Loop: Header=BB227_41 Depth=1
	s_or_b64 exec, exec, s[28:29]
.LBB227_139:                            ;   in Loop: Header=BB227_41 Depth=1
	s_or_b64 exec, exec, s[26:27]
.LBB227_140:                            ;   in Loop: Header=BB227_41 Depth=1
	s_or_b64 exec, exec, s[18:19]
	v_cvt_f32_f16_sdwa v37, v1 dst_sel:DWORD dst_unused:UNUSED_PAD src0_sel:WORD_1
	v_cvt_f32_f16_sdwa v36, v18 dst_sel:DWORD dst_unused:UNUSED_PAD src0_sel:WORD_1
	v_or_b32_e32 v1, v1, v3
	v_or_b32_e32 v3, v18, v15
	v_cvt_f32_f16_e32 v38, v3
	v_cvt_f32_f16_e32 v39, v1
	s_waitcnt vmcnt(0)
	v_pk_mul_f32 v[36:37], v[14:15], v[36:37] op_sel_hi:[0,1]
	v_cvt_pk_f16_f32 v1, v36, v37
	v_or_b32_e32 v17, v21, v20
	v_pk_mul_f32 v[36:37], v[14:15], v[38:39] op_sel_hi:[0,1]
	v_or_b32_e32 v19, v16, v19
	v_and_b32_e32 v3, 0xffff0000, v1
	v_lshlrev_b32_e32 v6, 16, v1
	v_cvt_pk_f16_f32 v1, v36, v37
	v_cvt_f32_f16_e32 v36, v19
	v_cvt_f32_f16_e32 v37, v17
	v_cvt_f32_f16_sdwa v21, v21 dst_sel:DWORD dst_unused:UNUSED_PAD src0_sel:WORD_1
	v_cvt_f32_f16_sdwa v20, v16 dst_sel:DWORD dst_unused:UNUSED_PAD src0_sel:WORD_1
	v_lshrrev_b32_e32 v15, 16, v1
	v_pk_mul_f32 v[36:37], v[14:15], v[36:37] op_sel_hi:[0,1]
	v_cvt_pk_f16_f32 v22, v36, v37
	v_pk_mul_f32 v[20:21], v[14:15], v[20:21] op_sel_hi:[0,1]
	v_cvt_pk_f16_f32 v14, v20, v21
	v_and_b32_e32 v18, 0xffff, v1
	v_and_b32_e32 v17, 0xffff0000, v14
	v_lshlrev_b32_e32 v14, 16, v14
	v_lshrrev_b32_e32 v19, 16, v22
	v_and_b32_e32 v20, 0xffff, v22
	v_or_b32_e32 v1, v3, v15
	v_or_b32_e32 v16, v6, v18
	;; [unrolled: 1-line block ×4, first 2 shown]
	s_and_saveexec_b64 s[18:19], s[2:3]
	s_cbranch_execz .LBB227_39
; %bb.141:                              ;   in Loop: Header=BB227_41 Depth=1
	v_add_u32_e32 v21, 2, v29
	v_cmp_gt_i32_e64 s[0:1], s31, v29
	v_or_b32_e32 v1, 1, v29
	v_or_b32_e32 v16, 3, v29
	v_cndmask_b32_e64 v15, 0, v15, s[0:1]
	v_cmp_gt_i32_e64 s[0:1], s21, v21
	s_nop 1
	v_cndmask_b32_e64 v18, 0, v18, s[0:1]
	v_cmp_gt_i32_e64 s[0:1], s31, v1
	s_nop 1
	v_cndmask_b32_e64 v1, 0, v3, s[0:1]
	v_cmp_gt_i32_e64 s[0:1], s21, v16
	v_or_b32_e32 v1, v1, v15
	v_or_b32_e32 v15, 5, v29
	v_cndmask_b32_e64 v3, 0, v6, s[0:1]
	v_or_b32_e32 v16, v3, v18
	v_or_b32_e32 v3, 4, v29
	;; [unrolled: 1-line block ×3, first 2 shown]
	v_cmp_gt_i32_e64 s[0:1], s31, v3
	v_or_b32_e32 v18, 7, v29
	s_nop 0
	v_cndmask_b32_e64 v3, 0, v19, s[0:1]
	v_cmp_gt_i32_e64 s[0:1], s21, v6
	s_nop 1
	v_cndmask_b32_e64 v6, 0, v20, s[0:1]
	v_cmp_gt_i32_e64 s[0:1], s31, v15
	;; [unrolled: 3-line block ×3, first 2 shown]
	v_or_b32_e32 v21, v15, v3
	s_nop 0
	v_cndmask_b32_e64 v14, 0, v14, s[0:1]
	v_or_b32_e32 v22, v14, v6
	s_branch .LBB227_39
.LBB227_142:
	s_or_b64 exec, exec, s[12:13]
.LBB227_143:
	s_or_b64 exec, exec, s[8:9]
	v_and_b32_e32 v1, 0x3c0, v0
	v_cmp_eq_u32_e32 vcc, 64, v1
	s_barrier
	s_and_saveexec_b64 s[0:1], vcc
	s_cbranch_execz .LBB227_146
; %bb.144:
	v_mov_b32_e32 v1, 0xb0
	v_lshl_add_u32 v3, v26, 2, v1
	ds_write_b32 v3, v28
	s_and_b64 exec, exec, s[6:7]
; %bb.145:
	v_lshl_add_u32 v1, v0, 2, v1
	ds_write_b32 v1, v27
.LBB227_146:
	s_or_b64 exec, exec, s[0:1]
	v_cmp_gt_u32_e32 vcc, 64, v0
	v_or_b32_e32 v1, 64, v0
	s_waitcnt lgkmcnt(0)
	s_barrier
	s_and_saveexec_b64 s[2:3], vcc
	s_cbranch_execz .LBB227_150
; %bb.147:
	v_mov_b32_e32 v3, 0xb0
	v_lshl_add_u32 v3, v0, 2, v3
	ds_read_b32 v0, v3
	s_movk_i32 s0, 0x50
	v_cmp_gt_u32_e64 s[0:1], s0, v1
	s_and_saveexec_b64 s[6:7], s[0:1]
	s_cbranch_execz .LBB227_149
; %bb.148:
	ds_read_b32 v3, v3 offset:256
	s_waitcnt lgkmcnt(0)
	v_add_f32_e32 v27, v27, v3
.LBB227_149:
	s_or_b64 exec, exec, s[6:7]
	s_waitcnt lgkmcnt(0)
	v_add_f32_e32 v28, v28, v0
.LBB227_150:
	s_or_b64 exec, exec, s[2:3]
	s_barrier
	s_and_saveexec_b64 s[0:1], vcc
	s_cbranch_execz .LBB227_153
; %bb.151:
	s_mul_i32 s0, s20, s23
	s_mul_i32 s0, s0, s5
	s_mulk_i32 s0, 0x50
	s_ashr_i32 s1, s0, 31
	s_lshl_b64 s[0:1], s[0:1], 1
	s_add_u32 s3, s24, s0
	s_mul_i32 s0, s23, s22
	s_addc_u32 s5, s25, s1
	s_ashr_i32 s1, s0, 31
	s_lshl_b64 s[0:1], s[0:1], 1
	s_add_u32 s3, s3, s0
	s_mul_i32 s0, s4, 0x50
	s_addc_u32 s5, s5, s1
	s_ashr_i32 s1, s0, 31
	s_lshl_b64 s[0:1], s[0:1], 1
	s_movk_i32 s2, 0x50
	s_add_u32 s0, s3, s0
	s_addc_u32 s1, s5, s1
	v_cmp_gt_u32_e32 vcc, s2, v1
	;;#ASMSTART
	v_cvt_f16_f32 v0, v28;

	;;#ASMEND
	global_store_short v2, v0, s[0:1]
	s_and_b64 exec, exec, vcc
	s_cbranch_execz .LBB227_153
; %bb.152:
	v_mov_b32_e32 v3, 0
	v_lshl_add_u64 v[0:1], s[0:1], 0, v[2:3]
	;;#ASMSTART
	v_cvt_f16_f32 v2, v27;

	;;#ASMEND
	global_store_short v[0:1], v2, off offset:128
.LBB227_153:
	s_endpgm
	.section	.rodata,"a",@progbits
	.p2align	6, 0x0
	.amdhsa_kernel _ZN4vllm25paged_attention_v1_kernelIthLi80ELi8ELi128ELNS_18Fp8KVCacheDataTypeE1ELb0EEEvPT_PKS2_PKT0_S8_ifPKiSA_iPKfiiiSC_SC_iiiii
		.amdhsa_group_segment_fixed_size 176
		.amdhsa_private_segment_fixed_size 0
		.amdhsa_kernarg_size 384
		.amdhsa_user_sgpr_count 2
		.amdhsa_user_sgpr_dispatch_ptr 0
		.amdhsa_user_sgpr_queue_ptr 0
		.amdhsa_user_sgpr_kernarg_segment_ptr 1
		.amdhsa_user_sgpr_dispatch_id 0
		.amdhsa_user_sgpr_kernarg_preload_length 0
		.amdhsa_user_sgpr_kernarg_preload_offset 0
		.amdhsa_user_sgpr_private_segment_size 0
		.amdhsa_uses_dynamic_stack 0
		.amdhsa_enable_private_segment 0
		.amdhsa_system_sgpr_workgroup_id_x 1
		.amdhsa_system_sgpr_workgroup_id_y 1
		.amdhsa_system_sgpr_workgroup_id_z 1
		.amdhsa_system_sgpr_workgroup_info 0
		.amdhsa_system_vgpr_workitem_id 0
		.amdhsa_next_free_vgpr 44
		.amdhsa_next_free_sgpr 40
		.amdhsa_accum_offset 44
		.amdhsa_reserve_vcc 1
		.amdhsa_float_round_mode_32 0
		.amdhsa_float_round_mode_16_64 0
		.amdhsa_float_denorm_mode_32 3
		.amdhsa_float_denorm_mode_16_64 3
		.amdhsa_dx10_clamp 1
		.amdhsa_ieee_mode 1
		.amdhsa_fp16_overflow 0
		.amdhsa_tg_split 0
		.amdhsa_exception_fp_ieee_invalid_op 0
		.amdhsa_exception_fp_denorm_src 0
		.amdhsa_exception_fp_ieee_div_zero 0
		.amdhsa_exception_fp_ieee_overflow 0
		.amdhsa_exception_fp_ieee_underflow 0
		.amdhsa_exception_fp_ieee_inexact 0
		.amdhsa_exception_int_div_zero 0
	.end_amdhsa_kernel
	.section	.text._ZN4vllm25paged_attention_v1_kernelIthLi80ELi8ELi128ELNS_18Fp8KVCacheDataTypeE1ELb0EEEvPT_PKS2_PKT0_S8_ifPKiSA_iPKfiiiSC_SC_iiiii,"axG",@progbits,_ZN4vllm25paged_attention_v1_kernelIthLi80ELi8ELi128ELNS_18Fp8KVCacheDataTypeE1ELb0EEEvPT_PKS2_PKT0_S8_ifPKiSA_iPKfiiiSC_SC_iiiii,comdat
.Lfunc_end227:
	.size	_ZN4vllm25paged_attention_v1_kernelIthLi80ELi8ELi128ELNS_18Fp8KVCacheDataTypeE1ELb0EEEvPT_PKS2_PKT0_S8_ifPKiSA_iPKfiiiSC_SC_iiiii, .Lfunc_end227-_ZN4vllm25paged_attention_v1_kernelIthLi80ELi8ELi128ELNS_18Fp8KVCacheDataTypeE1ELb0EEEvPT_PKS2_PKT0_S8_ifPKiSA_iPKfiiiSC_SC_iiiii
                                        ; -- End function
	.set _ZN4vllm25paged_attention_v1_kernelIthLi80ELi8ELi128ELNS_18Fp8KVCacheDataTypeE1ELb0EEEvPT_PKS2_PKT0_S8_ifPKiSA_iPKfiiiSC_SC_iiiii.num_vgpr, 44
	.set _ZN4vllm25paged_attention_v1_kernelIthLi80ELi8ELi128ELNS_18Fp8KVCacheDataTypeE1ELb0EEEvPT_PKS2_PKT0_S8_ifPKiSA_iPKfiiiSC_SC_iiiii.num_agpr, 0
	.set _ZN4vllm25paged_attention_v1_kernelIthLi80ELi8ELi128ELNS_18Fp8KVCacheDataTypeE1ELb0EEEvPT_PKS2_PKT0_S8_ifPKiSA_iPKfiiiSC_SC_iiiii.numbered_sgpr, 40
	.set _ZN4vllm25paged_attention_v1_kernelIthLi80ELi8ELi128ELNS_18Fp8KVCacheDataTypeE1ELb0EEEvPT_PKS2_PKT0_S8_ifPKiSA_iPKfiiiSC_SC_iiiii.num_named_barrier, 0
	.set _ZN4vllm25paged_attention_v1_kernelIthLi80ELi8ELi128ELNS_18Fp8KVCacheDataTypeE1ELb0EEEvPT_PKS2_PKT0_S8_ifPKiSA_iPKfiiiSC_SC_iiiii.private_seg_size, 0
	.set _ZN4vllm25paged_attention_v1_kernelIthLi80ELi8ELi128ELNS_18Fp8KVCacheDataTypeE1ELb0EEEvPT_PKS2_PKT0_S8_ifPKiSA_iPKfiiiSC_SC_iiiii.uses_vcc, 1
	.set _ZN4vllm25paged_attention_v1_kernelIthLi80ELi8ELi128ELNS_18Fp8KVCacheDataTypeE1ELb0EEEvPT_PKS2_PKT0_S8_ifPKiSA_iPKfiiiSC_SC_iiiii.uses_flat_scratch, 0
	.set _ZN4vllm25paged_attention_v1_kernelIthLi80ELi8ELi128ELNS_18Fp8KVCacheDataTypeE1ELb0EEEvPT_PKS2_PKT0_S8_ifPKiSA_iPKfiiiSC_SC_iiiii.has_dyn_sized_stack, 0
	.set _ZN4vllm25paged_attention_v1_kernelIthLi80ELi8ELi128ELNS_18Fp8KVCacheDataTypeE1ELb0EEEvPT_PKS2_PKT0_S8_ifPKiSA_iPKfiiiSC_SC_iiiii.has_recursion, 0
	.set _ZN4vllm25paged_attention_v1_kernelIthLi80ELi8ELi128ELNS_18Fp8KVCacheDataTypeE1ELb0EEEvPT_PKS2_PKT0_S8_ifPKiSA_iPKfiiiSC_SC_iiiii.has_indirect_call, 0
	.section	.AMDGPU.csdata,"",@progbits
; Kernel info:
; codeLenInByte = 8192
; TotalNumSgprs: 46
; NumVgprs: 44
; NumAgprs: 0
; TotalNumVgprs: 44
; ScratchSize: 0
; MemoryBound: 0
; FloatMode: 240
; IeeeMode: 1
; LDSByteSize: 176 bytes/workgroup (compile time only)
; SGPRBlocks: 5
; VGPRBlocks: 5
; NumSGPRsForWavesPerEU: 46
; NumVGPRsForWavesPerEU: 44
; AccumOffset: 44
; Occupancy: 8
; WaveLimiterHint : 1
; COMPUTE_PGM_RSRC2:SCRATCH_EN: 0
; COMPUTE_PGM_RSRC2:USER_SGPR: 2
; COMPUTE_PGM_RSRC2:TRAP_HANDLER: 0
; COMPUTE_PGM_RSRC2:TGID_X_EN: 1
; COMPUTE_PGM_RSRC2:TGID_Y_EN: 1
; COMPUTE_PGM_RSRC2:TGID_Z_EN: 1
; COMPUTE_PGM_RSRC2:TIDIG_COMP_CNT: 0
; COMPUTE_PGM_RSRC3_GFX90A:ACCUM_OFFSET: 10
; COMPUTE_PGM_RSRC3_GFX90A:TG_SPLIT: 0
	.section	.text._ZN4vllm25paged_attention_v1_kernelIthLi96ELi8ELi128ELNS_18Fp8KVCacheDataTypeE1ELb0EEEvPT_PKS2_PKT0_S8_ifPKiSA_iPKfiiiSC_SC_iiiii,"axG",@progbits,_ZN4vllm25paged_attention_v1_kernelIthLi96ELi8ELi128ELNS_18Fp8KVCacheDataTypeE1ELb0EEEvPT_PKS2_PKT0_S8_ifPKiSA_iPKfiiiSC_SC_iiiii,comdat
	.protected	_ZN4vllm25paged_attention_v1_kernelIthLi96ELi8ELi128ELNS_18Fp8KVCacheDataTypeE1ELb0EEEvPT_PKS2_PKT0_S8_ifPKiSA_iPKfiiiSC_SC_iiiii ; -- Begin function _ZN4vllm25paged_attention_v1_kernelIthLi96ELi8ELi128ELNS_18Fp8KVCacheDataTypeE1ELb0EEEvPT_PKS2_PKT0_S8_ifPKiSA_iPKfiiiSC_SC_iiiii
	.globl	_ZN4vllm25paged_attention_v1_kernelIthLi96ELi8ELi128ELNS_18Fp8KVCacheDataTypeE1ELb0EEEvPT_PKS2_PKT0_S8_ifPKiSA_iPKfiiiSC_SC_iiiii
	.p2align	8
	.type	_ZN4vllm25paged_attention_v1_kernelIthLi96ELi8ELi128ELNS_18Fp8KVCacheDataTypeE1ELb0EEEvPT_PKS2_PKT0_S8_ifPKiSA_iPKfiiiSC_SC_iiiii,@function
_ZN4vllm25paged_attention_v1_kernelIthLi96ELi8ELi128ELNS_18Fp8KVCacheDataTypeE1ELb0EEEvPT_PKS2_PKT0_S8_ifPKiSA_iPKfiiiSC_SC_iiiii: ; @_ZN4vllm25paged_attention_v1_kernelIthLi96ELi8ELi128ELNS_18Fp8KVCacheDataTypeE1ELb0EEEvPT_PKS2_PKT0_S8_ifPKiSA_iPKfiiiSC_SC_iiiii
; %bb.0:
	s_load_dword s5, s[0:1], 0x80
	s_load_dwordx2 s[6:7], s[0:1], 0x30
	s_load_dwordx2 s[10:11], s[0:1], 0x20
	s_mov_b32 s20, s3
	s_ashr_i32 s21, s3, 31
	s_lshl_b64 s[8:9], s[20:21], 2
	s_waitcnt lgkmcnt(0)
	s_add_u32 s6, s6, s8
	s_addc_u32 s7, s7, s9
	s_abs_i32 s3, s10
	v_cvt_f32_u32_e32 v1, s3
	s_xor_b32 s8, s5, s10
	s_sub_i32 s10, 0, s3
	s_abs_i32 s9, s5
	v_rcp_iflag_f32_e32 v1, v1
	s_ashr_i32 s8, s8, 31
	v_mul_f32_e32 v1, 0x4f7ffffe, v1
	v_cvt_u32_f32_e32 v1, v1
	s_nop 0
	v_readfirstlane_b32 s12, v1
	s_mul_i32 s10, s10, s12
	s_mul_hi_u32 s10, s12, s10
	s_add_i32 s12, s12, s10
	s_mul_hi_u32 s10, s9, s12
	s_mul_i32 s12, s10, s3
	s_sub_i32 s9, s9, s12
	s_add_i32 s12, s10, 1
	s_sub_i32 s13, s9, s3
	s_cmp_ge_u32 s9, s3
	s_cselect_b32 s10, s12, s10
	s_cselect_b32 s9, s13, s9
	s_add_i32 s12, s10, 1
	s_cmp_ge_u32 s9, s3
	s_cselect_b32 s3, s12, s10
	s_xor_b32 s3, s3, s8
	s_sub_i32 s15, s3, s8
	s_abs_i32 s12, s15
	v_cvt_f32_u32_e32 v1, s12
	s_load_dwordx2 s[8:9], s[0:1], 0x40
	s_sub_i32 s3, 0, s12
	s_abs_i32 s13, s2
	v_rcp_iflag_f32_e32 v1, v1
	s_mov_b32 s10, 0
	v_mul_f32_e32 v1, 0x4f7ffffe, v1
	v_cvt_u32_f32_e32 v1, v1
	s_nop 0
	v_readfirstlane_b32 s14, v1
	s_mul_i32 s3, s3, s14
	s_mul_hi_u32 s3, s14, s3
	s_add_i32 s14, s14, s3
	s_waitcnt lgkmcnt(0)
	s_cmp_eq_u64 s[8:9], 0
	s_mul_hi_u32 s14, s13, s14
	s_cbranch_scc1 .LBB228_2
; %bb.1:
	s_ashr_i32 s3, s2, 31
	s_lshl_b64 s[16:17], s[2:3], 2
	s_add_u32 s8, s8, s16
	s_addc_u32 s9, s9, s17
	s_load_dword s10, s[8:9], 0x0
.LBB228_2:
	s_load_dword s21, s[6:7], 0x0
	s_load_dwordx4 s[16:19], s[0:1], 0x48
	s_movk_i32 s3, 0x60
	s_ashr_i32 s8, s2, 31
	s_ashr_i32 s9, s15, 31
	v_and_b32_e32 v6, 7, v0
	s_mul_i32 s22, s2, 0x60
	v_cmp_gt_u32_e64 s[6:7], s3, v0
	v_lshlrev_b32_e32 v2, 1, v0
	s_and_saveexec_b64 s[2:3], s[6:7]
	s_cbranch_execz .LBB228_4
; %bb.3:
	s_load_dwordx2 s[24:25], s[0:1], 0x8
	s_waitcnt lgkmcnt(0)
	s_mul_i32 s26, s16, s20
	s_ashr_i32 s27, s26, 31
	s_lshl_b64 s[26:27], s[26:27], 1
	v_lshrrev_b32_e32 v3, 2, v0
	s_add_u32 s15, s24, s26
	s_addc_u32 s16, s25, s27
	s_ashr_i32 s23, s22, 31
	s_lshl_b64 s[24:25], s[22:23], 1
	s_add_u32 s24, s15, s24
	s_addc_u32 s25, s16, s25
	global_load_ushort v1, v2, s[24:25]
	v_and_b32_e32 v3, 0xfe, v3
	v_mad_u32_u24 v3, v6, 24, v3
	s_waitcnt vmcnt(0)
	ds_write_b16 v3, v1
.LBB228_4:
	s_or_b64 exec, exec, s[2:3]
	s_waitcnt lgkmcnt(0)
	s_add_i32 s3, s21, 7
	s_ashr_i32 s15, s3, 31
	s_lshr_b32 s15, s15, 29
	s_add_i32 s3, s3, s15
	s_ashr_i32 s33, s3, 3
	s_xor_b32 s3, s8, s9
	s_mul_i32 s8, s14, s12
	s_sub_i32 s8, s13, s8
	s_add_i32 s9, s14, 1
	s_sub_i32 s13, s8, s12
	s_load_dwordx2 s[26:27], s[0:1], 0x28
	s_load_dword s2, s[0:1], 0x38
	s_cmp_ge_u32 s8, s12
	s_cselect_b32 s9, s9, s14
	s_cselect_b32 s8, s13, s8
	s_add_i32 s13, s9, 1
	s_cmp_ge_u32 s8, s12
	s_cselect_b32 s8, s13, s9
	v_lshrrev_b32_e32 v25, 6, v0
	s_xor_b32 s8, s8, s3
	s_waitcnt lgkmcnt(0)
	s_mul_i32 s28, s2, s20
	s_sub_i32 s16, s8, s3
	s_ashr_i32 s29, s28, 31
	v_cmp_gt_i32_e64 s[2:3], s33, v25
	v_cmp_le_i32_e32 vcc, s33, v25
	v_mbcnt_lo_u32_b32 v15, -1, 0
	s_barrier
                                        ; implicit-def: $vgpr3
                                        ; implicit-def: $vgpr10
                                        ; implicit-def: $vgpr4
	s_and_saveexec_b64 s[8:9], vcc
	s_xor_b64 s[8:9], exec, s[8:9]
; %bb.5:
	v_mbcnt_hi_u32_b32 v3, -1, v15
	v_and_b32_e32 v10, 64, v3
	v_add_u32_e32 v4, 64, v10
                                        ; implicit-def: $vgpr6
                                        ; implicit-def: $vgpr15
; %bb.6:
	s_or_saveexec_b64 s[34:35], s[8:9]
	s_load_dwordx2 s[24:25], s[0:1], 0x0
	s_load_dwordx2 s[30:31], s[0:1], 0x18
	s_load_dword s23, s[0:1], 0x88
	s_load_dwordx4 s[12:15], s[0:1], 0x58
	v_mov_b32_e32 v11, 0xff7fffff
	s_mul_i32 s16, s16, s18
	v_lshrrev_b32_e32 v1, 4, v0
	s_xor_b64 exec, exec, s[34:35]
	s_cbranch_execz .LBB228_12
; %bb.7:
	s_load_dwordx2 s[0:1], s[0:1], 0x10
	v_bfe_u32 v3, v0, 3, 3
	s_ashr_i32 s8, s16, 31
	v_lshlrev_b32_e32 v4, 4, v3
	v_lshl_or_b32 v13, v25, 3, v3
	s_waitcnt lgkmcnt(0)
	s_add_u32 s0, s0, s16
	v_lshlrev_b32_e32 v3, 2, v3
	s_addc_u32 s1, s1, s8
	s_sub_i32 s39, 1, s21
	v_lshl_or_b32 v3, v25, 5, v3
	s_lshl_b64 s[8:9], s[28:29], 2
	v_mov_b32_e32 v5, 0
	v_add_u32_e32 v14, 0xd0, v3
	s_add_u32 s8, s26, s8
	v_mbcnt_hi_u32_b32 v3, -1, v15
	v_lshl_add_u64 v[8:9], s[0:1], 0, v[4:5]
	v_mov_b32_e32 v7, v5
	v_and_b32_e32 v4, 60, v1
	s_addc_u32 s9, s27, s9
	v_and_b32_e32 v10, 64, v3
	s_mov_b32 s38, s17
	v_mul_u32_u24_e32 v12, 24, v6
	v_cmp_eq_u32_e32 vcc, 0, v6
	v_cmp_neq_f32_e64 s[0:1], s10, 0
	v_lshl_add_u64 v[6:7], v[8:9], 0, v[6:7]
	v_lshl_add_u64 v[8:9], s[8:9], 0, v[4:5]
	v_mov_b32_e32 v11, 0xff7fffff
	s_mov_b64 s[18:19], 0
	v_add_u32_e32 v4, 64, v10
	v_xor_b32_e32 v15, 4, v3
	v_xor_b32_e32 v16, 2, v3
	;; [unrolled: 1-line block ×3, first 2 shown]
	v_mov_b32_e32 v18, v25
	s_branch .LBB228_9
.LBB228_8:                              ;   in Loop: Header=BB228_9 Depth=1
	s_or_b64 exec, exec, s[36:37]
	v_add_u32_e32 v18, 2, v18
	v_cmp_le_i32_e64 s[8:9], s33, v18
	v_add_u32_e32 v13, 16, v13
	v_add_u32_e32 v14, 64, v14
	s_or_b64 s[18:19], s[8:9], s[18:19]
	v_lshl_add_u64 v[8:9], v[8:9], 0, 8
	s_andn2_b64 exec, exec, s[18:19]
	s_cbranch_execz .LBB228_11
.LBB228_9:                              ; =>This Inner Loop Header: Depth=1
	global_load_dword v19, v[8:9], off
	s_waitcnt vmcnt(0) lgkmcnt(0)
	v_mad_i64_i32 v[20:21], s[8:9], v19, s38, v[6:7]
	global_load_ubyte v19, v[20:21], off
	global_load_ubyte v22, v[20:21], off offset:8
	global_load_dword v23, v5, s[12:13]
	global_load_ubyte v24, v[20:21], off offset:128
	global_load_ubyte v26, v[20:21], off offset:136
	;; [unrolled: 1-line block ×10, first 2 shown]
	ds_read_u16 v21, v12
	s_waitcnt lgkmcnt(0)
	;;#ASMSTART
	v_cvt_f32_f16 v21, v21;
	;;#ASMEND
	v_cmp_lt_i32_e64 s[8:9], v15, v4
	s_waitcnt vmcnt(12)
	v_cvt_f32_fp8_e32 v19, v19
	s_waitcnt vmcnt(11)
	v_cvt_f32_fp8_e32 v22, v22
	v_cndmask_b32_e64 v20, v3, v15, s[8:9]
	s_waitcnt vmcnt(9)
	v_cvt_f32_fp8_e32 v24, v24
	v_fma_mixlo_f16 v19, v23, v19, 0
	s_waitcnt vmcnt(8)
	v_cvt_f32_fp8_e32 v26, v26
	v_and_b32_e32 v19, 0xffff, v19
	v_fma_mixlo_f16 v22, v23, v22, 0
	s_waitcnt vmcnt(7)
	v_cvt_f32_fp8_e32 v27, v27
	;;#ASMSTART
	v_cvt_f32_f16 v19, v19;
	;;#ASMEND
	ds_read_u16 v35, v12 offset:2
	v_and_b32_e32 v36, 0xffff, v22
	s_waitcnt lgkmcnt(0)
	;;#ASMSTART
	v_cvt_f32_f16 v22, v35;
	;;#ASMEND
	s_waitcnt vmcnt(6)
	v_cvt_f32_fp8_e32 v28, v28
	;;#ASMSTART
	v_cvt_f32_f16 v35, v36;
	;;#ASMEND
	v_fma_mixlo_f16 v24, v23, v24, 0
	s_waitcnt vmcnt(5)
	v_cvt_f32_fp8_e32 v29, v29
	v_mul_f32_e32 v22, v22, v35
	ds_read_u16 v36, v12 offset:4
	v_and_b32_e32 v37, 0xffff, v24
	v_fma_mixlo_f16 v26, v23, v26, 0
	v_fmac_f32_e32 v22, v21, v19
	s_waitcnt lgkmcnt(0)
	;;#ASMSTART
	v_cvt_f32_f16 v24, v36;
	;;#ASMEND
	;;#ASMSTART
	v_cvt_f32_f16 v36, v37;
	;;#ASMEND
	ds_read_u16 v37, v12 offset:6
	v_and_b32_e32 v38, 0xffff, v26
	s_waitcnt vmcnt(4)
	v_cvt_f32_fp8_e32 v30, v30
	v_fma_mixlo_f16 v27, v23, v27, 0
	v_fmac_f32_e32 v22, v24, v36
	s_waitcnt lgkmcnt(0)
	;;#ASMSTART
	v_cvt_f32_f16 v26, v37;
	;;#ASMEND
	;;#ASMSTART
	v_cvt_f32_f16 v37, v38;
	;;#ASMEND
	ds_read_u16 v38, v12 offset:8
	s_waitcnt vmcnt(3)
	v_cvt_f32_fp8_e32 v31, v31
	v_and_b32_e32 v39, 0xffff, v27
	s_waitcnt vmcnt(2)
	v_cvt_f32_fp8_e32 v32, v32
	v_fma_mixlo_f16 v28, v23, v28, 0
	v_fmac_f32_e32 v22, v26, v37
	s_waitcnt lgkmcnt(0)
	;;#ASMSTART
	v_cvt_f32_f16 v27, v38;
	;;#ASMEND
	;;#ASMSTART
	v_cvt_f32_f16 v38, v39;
	;;#ASMEND
	ds_read_u16 v39, v12 offset:10
	s_waitcnt vmcnt(1)
	v_cvt_f32_fp8_e32 v33, v33
	v_and_b32_e32 v40, 0xffff, v28
	s_waitcnt vmcnt(0)
	v_cvt_f32_fp8_e32 v34, v34
	v_fma_mixlo_f16 v29, v23, v29, 0
	v_fmac_f32_e32 v22, v27, v38
	s_waitcnt lgkmcnt(0)
	;;#ASMSTART
	v_cvt_f32_f16 v28, v39;
	;;#ASMEND
	;;#ASMSTART
	v_cvt_f32_f16 v39, v40;
	;;#ASMEND
	ds_read_u16 v40, v12 offset:12
	v_and_b32_e32 v41, 0xffff, v29
	v_fmac_f32_e32 v22, v28, v39
	v_fma_mixlo_f16 v30, v23, v30, 0
	s_waitcnt lgkmcnt(0)
	;;#ASMSTART
	v_cvt_f32_f16 v29, v40;
	;;#ASMEND
	;;#ASMSTART
	v_cvt_f32_f16 v40, v41;
	;;#ASMEND
	ds_read_u16 v41, v12 offset:14
	v_fmac_f32_e32 v22, v29, v40
	v_fma_mixlo_f16 v31, v23, v31, 0
	v_fma_mixlo_f16 v32, v23, v32, 0
	v_and_b32_e32 v42, 0xffff, v30
	s_waitcnt lgkmcnt(0)
	;;#ASMSTART
	v_cvt_f32_f16 v30, v41;
	;;#ASMEND
	;;#ASMSTART
	v_cvt_f32_f16 v41, v42;
	;;#ASMEND
	v_fma_mixlo_f16 v33, v23, v33, 0
	v_fmac_f32_e32 v22, v30, v41
	ds_read_u16 v42, v12 offset:16
	v_fma_mixlo_f16 v23, v23, v34, 0
	v_and_b32_e32 v34, 0xffff, v31
	v_and_b32_e32 v43, 0xffff, v32
	s_waitcnt lgkmcnt(0)
	;;#ASMSTART
	v_cvt_f32_f16 v31, v42;
	;;#ASMEND
	;;#ASMSTART
	v_cvt_f32_f16 v32, v34;
	;;#ASMEND
	ds_read_u16 v34, v12 offset:18
	v_fmac_f32_e32 v22, v31, v32
	v_and_b32_e32 v42, 0xffff, v23
	s_waitcnt lgkmcnt(0)
	;;#ASMSTART
	v_cvt_f32_f16 v19, v34;
	;;#ASMEND
	;;#ASMSTART
	v_cvt_f32_f16 v21, v43;
	;;#ASMEND
	ds_read_u16 v23, v12 offset:20
	v_fmac_f32_e32 v22, v19, v21
	v_and_b32_e32 v33, 0xffff, v33
	s_waitcnt lgkmcnt(0)
	;;#ASMSTART
	v_cvt_f32_f16 v23, v23;
	;;#ASMEND
	;;#ASMSTART
	v_cvt_f32_f16 v24, v33;
	;;#ASMEND
	v_lshlrev_b32_e32 v20, 2, v20
	v_fmac_f32_e32 v22, v23, v24
	ds_read_u16 v26, v12 offset:22
	s_waitcnt lgkmcnt(0)
	;;#ASMSTART
	v_cvt_f32_f16 v19, v26;
	;;#ASMEND
	;;#ASMSTART
	v_cvt_f32_f16 v21, v42;
	;;#ASMEND
	v_cmp_lt_i32_e64 s[8:9], v16, v4
	v_fmac_f32_e32 v22, v19, v21
	ds_bpermute_b32 v19, v20, v22
	v_cndmask_b32_e64 v20, v3, v16, s[8:9]
	v_lshlrev_b32_e32 v20, 2, v20
	v_cmp_lt_i32_e64 s[8:9], v17, v4
	s_waitcnt lgkmcnt(0)
	v_add_f32_e32 v19, v22, v19
	ds_bpermute_b32 v20, v20, v19
	v_cndmask_b32_e64 v21, v3, v17, s[8:9]
	s_waitcnt lgkmcnt(0)
	v_add_f32_e32 v19, v19, v20
	v_lshlrev_b32_e32 v20, 2, v21
	ds_bpermute_b32 v20, v20, v19
	s_and_saveexec_b64 s[36:37], vcc
	s_cbranch_execz .LBB228_8
; %bb.10:                               ;   in Loop: Header=BB228_9 Depth=1
	v_add_u32_e32 v21, s39, v13
	v_cvt_f32_i32_e32 v21, v21
	s_waitcnt lgkmcnt(0)
	v_add_f32_e32 v19, v19, v20
	v_cmp_gt_i32_e64 s[8:9], s21, v13
	v_max_f32_e32 v20, v11, v11
	v_mul_f32_e32 v21, s10, v21
	v_cndmask_b32_e64 v21, 0, v21, s[0:1]
	v_fmac_f32_e32 v21, s11, v19
	v_cndmask_b32_e64 v19, 0, v21, s[8:9]
	ds_write_b32 v14, v19
	v_max_f32_e32 v19, v20, v21
	v_cndmask_b32_e64 v11, v11, v19, s[8:9]
	s_branch .LBB228_8
.LBB228_11:
	s_or_b64 exec, exec, s[18:19]
.LBB228_12:
	s_or_b64 exec, exec, s[34:35]
	v_xor_b32_e32 v5, 32, v3
	v_cmp_lt_i32_e32 vcc, v5, v4
	v_xor_b32_e32 v8, 16, v3
	v_max_f32_e32 v7, v11, v11
	v_cndmask_b32_e32 v5, v3, v5, vcc
	v_lshlrev_b32_e32 v6, 2, v5
	ds_bpermute_b32 v5, v6, v11
	v_cmp_lt_i32_e32 vcc, v8, v4
	v_xor_b32_e32 v9, 8, v3
	v_and_b32_e32 v26, 63, v0
	s_waitcnt lgkmcnt(0)
	v_max_f32_e32 v5, v5, v5
	v_max_f32_e32 v5, v7, v5
	v_cndmask_b32_e32 v7, v3, v8, vcc
	v_lshlrev_b32_e32 v8, 2, v7
	ds_bpermute_b32 v7, v8, v5
	v_cmp_lt_i32_e32 vcc, v9, v4
	s_waitcnt lgkmcnt(0)
	v_max_f32_e32 v7, v7, v7
	v_max_f32_e32 v7, v5, v7
	v_cndmask_b32_e32 v5, v3, v9, vcc
	v_lshlrev_b32_e32 v11, 2, v5
	ds_bpermute_b32 v9, v11, v7
	v_cmp_eq_u32_e32 vcc, 0, v26
	v_lshlrev_b32_e32 v5, 2, v25
	s_and_saveexec_b64 s[0:1], vcc
	s_cbranch_execz .LBB228_14
; %bb.13:
	s_waitcnt lgkmcnt(0)
	v_max_f32_e32 v9, v9, v9
	v_max_f32_e32 v7, v7, v7
	;; [unrolled: 1-line block ×3, first 2 shown]
	ds_write_b32 v5, v7 offset:192
.LBB228_14:
	s_or_b64 exec, exec, s[0:1]
	v_cmp_gt_u32_e64 s[0:1], 2, v26
	v_mov_b32_e32 v12, 0xff7fffff
	v_lshlrev_b32_e32 v7, 2, v26
	s_waitcnt lgkmcnt(0)
	s_barrier
	s_and_saveexec_b64 s[8:9], s[0:1]
; %bb.15:
	ds_read_b32 v12, v7 offset:192
; %bb.16:
	s_or_b64 exec, exec, s[8:9]
	v_xor_b32_e32 v9, 1, v3
	v_cmp_lt_i32_e64 s[8:9], v9, v4
	v_lshlrev_b32_e32 v10, 2, v10
	s_nop 0
	v_cndmask_b32_e64 v9, v3, v9, s[8:9]
	v_lshlrev_b32_e32 v9, 2, v9
	s_waitcnt lgkmcnt(0)
	ds_bpermute_b32 v13, v9, v12
	v_max_f32_e32 v12, v12, v12
	s_lshl_b32 s8, s33, 3
	s_min_i32 s34, s8, s21
	v_cmp_gt_i32_e64 s[8:9], s34, v0
	s_waitcnt lgkmcnt(0)
	v_max_f32_e32 v13, v13, v13
	v_max_f32_e32 v12, v12, v13
	ds_bpermute_b32 v12, v10, v12
	v_mov_b32_e32 v10, 0
	s_and_saveexec_b64 s[12:13], s[8:9]
	s_cbranch_execz .LBB228_20
; %bb.17:
	v_mov_b32_e32 v10, 0xd0
	v_lshl_add_u32 v13, v0, 2, v10
	v_mov_b32_e32 v10, 0
	s_mov_b64 s[18:19], 0
	v_mov_b32_e32 v14, v0
.LBB228_18:                             ; =>This Inner Loop Header: Depth=1
	ds_read_b32 v15, v13
	v_add_u32_e32 v14, 0x80, v14
	v_cmp_le_i32_e64 s[10:11], s34, v14
	s_or_b64 s[18:19], s[10:11], s[18:19]
	s_waitcnt lgkmcnt(0)
	v_sub_f32_e32 v15, v15, v12
	v_mul_f32_e32 v15, 0x3fb8aa3b, v15
	v_exp_f32_e32 v15, v15
	ds_write_b32 v13, v15
	v_add_f32_e32 v10, v10, v15
	v_add_u32_e32 v13, 0x200, v13
	s_andn2_b64 exec, exec, s[18:19]
	s_cbranch_execnz .LBB228_18
; %bb.19:
	s_or_b64 exec, exec, s[18:19]
.LBB228_20:
	s_or_b64 exec, exec, s[12:13]
	ds_bpermute_b32 v6, v6, v10
	s_waitcnt lgkmcnt(0)
	v_add_f32_e32 v6, v10, v6
	ds_bpermute_b32 v8, v8, v6
	v_xor_b32_e32 v10, 4, v3
	v_cmp_lt_i32_e64 s[10:11], v10, v4
	s_waitcnt lgkmcnt(0)
	v_add_f32_e32 v6, v6, v8
	ds_bpermute_b32 v8, v11, v6
	v_cndmask_b32_e64 v10, v3, v10, s[10:11]
	v_lshlrev_b32_e32 v10, 2, v10
	s_waitcnt lgkmcnt(0)
	v_add_f32_e32 v6, v6, v8
	ds_bpermute_b32 v8, v10, v6
	v_xor_b32_e32 v10, 2, v3
	v_cmp_lt_i32_e64 s[10:11], v10, v4
	s_waitcnt lgkmcnt(0)
	v_add_f32_e32 v6, v6, v8
	v_cndmask_b32_e64 v4, v3, v10, s[10:11]
	v_lshlrev_b32_e32 v4, 2, v4
	ds_bpermute_b32 v4, v4, v6
	s_waitcnt lgkmcnt(0)
	v_add_f32_e32 v4, v6, v4
	ds_bpermute_b32 v6, v9, v4
	s_waitcnt lgkmcnt(0)
	v_add_f32_e32 v4, v4, v6
	s_and_saveexec_b64 s[10:11], vcc
; %bb.21:
	ds_write_b32 v5, v4 offset:200
; %bb.22:
	s_or_b64 exec, exec, s[10:11]
	s_waitcnt lgkmcnt(0)
	s_barrier
	s_and_saveexec_b64 s[10:11], s[0:1]
; %bb.23:
	ds_read_b32 v4, v7 offset:200
; %bb.24:
	s_or_b64 exec, exec, s[10:11]
	s_waitcnt lgkmcnt(0)
	ds_bpermute_b32 v5, v9, v4
	v_lshlrev_b32_e32 v3, 2, v3
	v_and_b32_e32 v3, 0xffffff00, v3
	s_waitcnt lgkmcnt(0)
	v_add_f32_e32 v4, v4, v5
	ds_bpermute_b32 v3, v3, v4
	s_and_saveexec_b64 s[0:1], s[8:9]
	s_cbranch_execz .LBB228_37
; %bb.25:
	s_waitcnt lgkmcnt(0)
	v_add_f32_e32 v3, 0x358637bd, v3
	v_div_scale_f32 v4, s[8:9], v3, v3, 1.0
	v_rcp_f32_e32 v5, v4
	v_div_scale_f32 v6, vcc, 1.0, v3, 1.0
	s_movk_i32 s8, 0x7f
	v_fma_f32 v7, -v4, v5, 1.0
	v_fmac_f32_e32 v5, v7, v5
	v_mul_f32_e32 v7, v6, v5
	v_fma_f32 v8, -v4, v7, v6
	v_fmac_f32_e32 v7, v8, v5
	v_fma_f32 v4, -v4, v7, v6
	v_div_fmas_f32 v4, v4, v5, v7
	v_xad_u32 v5, v0, -1, s34
	v_div_fixup_f32 v4, v4, v3, 1.0
	v_cmp_lt_u32_e32 vcc, s8, v5
	s_mov_b64 s[10:11], -1
	v_mov_b32_e32 v3, v0
	s_and_saveexec_b64 s[8:9], vcc
	s_cbranch_execz .LBB228_34
; %bb.26:
	v_lshrrev_b32_e32 v3, 7, v5
	v_add_u32_e32 v7, -1, v3
	v_lshrrev_b32_e32 v6, 1, v7
	v_mov_b32_e32 v5, v4
	v_add_u32_e32 v6, 1, v6
	v_cmp_lt_u32_e32 vcc, 13, v7
	v_mov_b32_e32 v9, 0
	s_and_saveexec_b64 s[10:11], vcc
	s_cbranch_execz .LBB228_30
; %bb.27:
	v_mov_b32_e32 v8, 0xd0
	v_and_b32_e32 v7, -8, v6
	v_lshl_add_u32 v8, v0, 2, v8
	s_mov_b32 s18, 0
	s_mov_b64 s[12:13], 0
.LBB228_28:                             ; =>This Inner Loop Header: Depth=1
	ds_read2st64_b32 v[10:11], v8 offset1:2
	ds_read2st64_b32 v[12:13], v8 offset0:4 offset1:6
	ds_read2st64_b32 v[14:15], v8 offset0:8 offset1:10
	;; [unrolled: 1-line block ×3, first 2 shown]
	v_add_u32_e32 v7, -8, v7
	s_waitcnt lgkmcnt(3)
	v_pk_mul_f32 v[10:11], v[4:5], v[10:11]
	s_waitcnt lgkmcnt(2)
	v_pk_mul_f32 v[12:13], v[4:5], v[12:13]
	ds_write2st64_b32 v8, v10, v11 offset1:2
	ds_write2st64_b32 v8, v12, v13 offset0:4 offset1:6
	ds_read2st64_b32 v[12:13], v8 offset0:16 offset1:18
	s_waitcnt lgkmcnt(4)
	v_pk_mul_f32 v[10:11], v[4:5], v[14:15]
	ds_write2st64_b32 v8, v10, v11 offset0:8 offset1:10
	s_waitcnt lgkmcnt(4)
	v_pk_mul_f32 v[10:11], v[4:5], v[16:17]
	ds_write2st64_b32 v8, v10, v11 offset0:12 offset1:14
	ds_read2st64_b32 v[10:11], v8 offset0:20 offset1:22
	s_waitcnt lgkmcnt(3)
	v_pk_mul_f32 v[12:13], v[4:5], v[12:13]
	ds_read2st64_b32 v[14:15], v8 offset0:24 offset1:26
	ds_write2st64_b32 v8, v12, v13 offset0:16 offset1:18
	ds_read2st64_b32 v[12:13], v8 offset0:28 offset1:30
	s_waitcnt lgkmcnt(3)
	v_pk_mul_f32 v[10:11], v[4:5], v[10:11]
	ds_write2st64_b32 v8, v10, v11 offset0:20 offset1:22
	s_waitcnt lgkmcnt(3)
	v_pk_mul_f32 v[10:11], v[4:5], v[14:15]
	ds_write2st64_b32 v8, v10, v11 offset0:24 offset1:26
	s_waitcnt lgkmcnt(2)
	v_pk_mul_f32 v[10:11], v[4:5], v[12:13]
	s_add_i32 s18, s18, 16
	v_cmp_eq_u32_e32 vcc, 0, v7
	ds_write2st64_b32 v8, v10, v11 offset0:28 offset1:30
	v_add_u32_e32 v8, 0x2000, v8
	s_or_b64 s[12:13], vcc, s[12:13]
	v_mov_b32_e32 v9, s18
	s_andn2_b64 exec, exec, s[12:13]
	s_cbranch_execnz .LBB228_28
; %bb.29:
	s_or_b64 exec, exec, s[12:13]
.LBB228_30:
	s_or_b64 exec, exec, s[10:11]
	v_and_b32_e32 v6, 7, v6
	v_cmp_ne_u32_e32 vcc, 0, v6
	s_and_saveexec_b64 s[10:11], vcc
	s_cbranch_execz .LBB228_33
; %bb.31:
	v_lshlrev_b32_e32 v7, 9, v9
	v_lshlrev_b32_e32 v8, 2, v0
	s_movk_i32 s12, 0xd0
	v_add3_u32 v7, v7, v8, s12
	s_mov_b64 s[12:13], 0
.LBB228_32:                             ; =>This Inner Loop Header: Depth=1
	ds_read2st64_b32 v[8:9], v7 offset1:2
	v_add_u32_e32 v6, -1, v6
	v_cmp_eq_u32_e32 vcc, 0, v6
	s_or_b64 s[12:13], vcc, s[12:13]
	s_waitcnt lgkmcnt(0)
	v_pk_mul_f32 v[8:9], v[4:5], v[8:9]
	ds_write2st64_b32 v7, v8, v9 offset1:2
	v_add_u32_e32 v7, 0x400, v7
	s_andn2_b64 exec, exec, s[12:13]
	s_cbranch_execnz .LBB228_32
.LBB228_33:
	s_or_b64 exec, exec, s[10:11]
	v_add_u32_e32 v5, 1, v3
	v_and_b32_e32 v6, 0x3fffffe, v5
	v_cmp_ne_u32_e32 vcc, v5, v6
	v_lshl_add_u32 v3, v6, 7, v0
	s_orn2_b64 s[10:11], vcc, exec
.LBB228_34:
	s_or_b64 exec, exec, s[8:9]
	s_and_b64 exec, exec, s[10:11]
	s_cbranch_execz .LBB228_37
; %bb.35:
	v_mov_b32_e32 v5, 0xd0
	v_lshl_add_u32 v5, v3, 2, v5
	s_mov_b64 s[8:9], 0
.LBB228_36:                             ; =>This Inner Loop Header: Depth=1
	ds_read_b32 v6, v5
	v_add_u32_e32 v3, 0x80, v3
	v_cmp_le_i32_e32 vcc, s34, v3
	s_or_b64 s[8:9], vcc, s[8:9]
	s_waitcnt lgkmcnt(0)
	v_mul_f32_e32 v6, v4, v6
	ds_write_b32 v5, v6
	v_add_u32_e32 v5, 0x200, v5
	s_andn2_b64 exec, exec, s[8:9]
	s_cbranch_execnz .LBB228_36
.LBB228_37:
	s_or_b64 exec, exec, s[0:1]
	v_mov_b32_e32 v28, 0
	v_mov_b32_e32 v27, 0
	s_waitcnt lgkmcnt(0)
	s_barrier
	s_and_saveexec_b64 s[8:9], s[2:3]
	s_cbranch_execz .LBB228_143
; %bb.38:
	s_ashr_i32 s1, s16, 31
	s_add_u32 s0, s30, s16
	v_or_b32_e32 v3, 64, v26
	s_movk_i32 s2, 0x60
	s_addc_u32 s1, s31, s1
	s_add_i32 s30, s33, -1
	v_cmp_gt_u32_e32 vcc, s2, v3
	s_lshl_b64 s[2:3], s[28:29], 2
	s_add_u32 s2, s26, s2
	s_mov_b32 s10, -1
	v_mov_b32_e32 v7, 0
	v_lshlrev_b32_e32 v8, 3, v3
	v_mov_b32_e32 v3, 0xd0
	v_and_b32_e32 v6, 60, v1
	s_addc_u32 s3, s27, s3
	s_mov_b32 s34, s17
	s_mov_b32 s11, 0xffffff
	v_lshlrev_b32_e32 v4, 3, v26
	v_mov_b32_e32 v5, v7
	v_mov_b32_e32 v9, v7
	s_mov_b32 s31, s21
	v_lshlrev_b32_e32 v29, 3, v25
	v_lshl_add_u32 v30, v25, 5, v3
	v_lshl_add_u64 v[10:11], s[2:3], 0, v[6:7]
	s_mov_b64 s[12:13], 0
	v_mov_b64_e32 v[12:13], s[0:1]
	s_movk_i32 s35, 0x80
	s_movk_i32 s36, 0x7f
	s_mov_b32 s37, 0x8000
	v_mov_b32_e32 v31, 0x2000
	v_mov_b32_e32 v27, 0
	;; [unrolled: 1-line block ×3, first 2 shown]
	s_branch .LBB228_41
.LBB228_39:                             ;   in Loop: Header=BB228_41 Depth=1
	s_or_b64 exec, exec, s[18:19]
	;;#ASMSTART
	v_pk_mul_f16 v1, v35, v1;

	;;#ASMEND
	;;#ASMSTART
	v_pk_mul_f16 v3, v34, v16;

	;;#ASMEND
	;; [unrolled: 4-line block ×4, first 2 shown]
	s_nop 0
	;;#ASMSTART
	v_pk_add_f16 v1, v1, v3;

	;;#ASMEND
	s_nop 0
	;;#ASMSTART
	v_pk_add_f16 v1, v1, v6;

	;;#ASMEND
	;; [unrolled: 5-line block ×3, first 2 shown]
	s_nop 0
	v_lshrrev_b32_e32 v3, 16, v1
	v_and_b32_e32 v1, 0xffff, v1
	;;#ASMSTART
	v_cvt_f32_f16 v1, v1;
	;;#ASMEND
	;;#ASMSTART
	v_cvt_f32_f16 v3, v3;
	;;#ASMEND
	s_nop 0
	v_add_f32_e32 v1, v1, v3
	v_add_f32_e32 v27, v27, v1
.LBB228_40:                             ;   in Loop: Header=BB228_41 Depth=1
	s_or_b64 exec, exec, s[16:17]
	v_add_u32_e32 v25, 2, v25
	v_add_f32_e32 v1, v23, v24
	v_cmp_le_i32_e64 s[0:1], s33, v25
	v_add_f32_e32 v28, v28, v1
	v_add_u32_e32 v29, 16, v29
	v_add_u32_e32 v30, 64, v30
	s_or_b64 s[12:13], s[0:1], s[12:13]
	v_lshl_add_u64 v[10:11], v[10:11], 0, 8
	s_andn2_b64 exec, exec, s[12:13]
	s_cbranch_execz .LBB228_142
.LBB228_41:                             ; =>This Inner Loop Header: Depth=1
	global_load_dword v1, v[10:11], off
	ds_read2_b64 v[14:17], v30 offset1:1
	ds_read2_b64 v[18:21], v30 offset0:2 offset1:3
	s_waitcnt lgkmcnt(1)
	;;#ASMSTART
	v_cvt_f16_f32 v32, v14;

	;;#ASMEND
	;;#ASMSTART
	v_cvt_f16_f32 v33, v15;

	;;#ASMEND
	;; [unrolled: 4-line block ×4, first 2 shown]
	s_waitcnt lgkmcnt(0)
	;;#ASMSTART
	v_cvt_f16_f32 v37, v18;

	;;#ASMEND
	;;#ASMSTART
	v_cvt_f16_f32 v38, v19;

	;;#ASMEND
	;; [unrolled: 4-line block ×4, first 2 shown]
	s_waitcnt vmcnt(0)
	v_mad_i64_i32 v[14:15], s[0:1], v1, s34, v[12:13]
	v_lshl_add_u64 v[20:21], v[14:15], 0, v[4:5]
	global_load_dwordx2 v[18:19], v[20:21], off
	global_load_dword v16, v7, s[14:15]
	v_mov_b32_e32 v1, 0
	s_waitcnt vmcnt(1)
	v_cmp_ne_u16_sdwa s[0:1], v18, v7 src0_sel:BYTE_0 src1_sel:DWORD
	s_and_saveexec_b64 s[2:3], s[0:1]
	s_cbranch_execz .LBB228_47
; %bb.42:                               ;   in Loop: Header=BB228_41 Depth=1
	v_cmp_ne_u16_sdwa s[0:1], v18, s35 src0_sel:BYTE_0 src1_sel:DWORD
	v_mov_b32_e32 v1, 0x8000
	s_and_saveexec_b64 s[16:17], s[0:1]
	s_cbranch_execz .LBB228_46
; %bb.43:                               ;   in Loop: Header=BB228_41 Depth=1
	v_and_b32_e32 v3, 0x7f, v18
	v_cmp_ne_u32_e64 s[0:1], s36, v3
	v_mov_b32_e32 v1, 0x7c01
	s_and_saveexec_b64 s[18:19], s[0:1]
	s_cbranch_execz .LBB228_45
; %bb.44:                               ;   in Loop: Header=BB228_41 Depth=1
	v_and_b32_e32 v1, 7, v18
	v_ffbh_u32_e32 v17, v1
	v_min_u32_e32 v17, 32, v17
	v_lshrrev_b32_e32 v6, 3, v3
	v_subrev_u32_e32 v20, 28, v17
	v_sub_u32_e32 v17, 29, v17
	v_cmp_gt_u32_e64 s[0:1], 8, v3
	v_lshlrev_b64 v[20:21], v20, v[18:19]
	s_nop 0
	v_cndmask_b32_e64 v3, v6, v17, s[0:1]
	v_lshl_add_u32 v3, v3, 10, v31
	v_lshlrev_b32_e32 v6, 8, v18
	v_and_b32_e32 v17, 7, v20
	v_and_b32_e32 v3, 0xfc00, v3
	v_cndmask_b32_e64 v1, v1, v17, s[0:1]
	v_and_or_b32 v3, v6, s37, v3
	v_lshl_or_b32 v1, v1, 7, v3
.LBB228_45:                             ;   in Loop: Header=BB228_41 Depth=1
	s_or_b64 exec, exec, s[18:19]
.LBB228_46:                             ;   in Loop: Header=BB228_41 Depth=1
	s_or_b64 exec, exec, s[16:17]
.LBB228_47:                             ;   in Loop: Header=BB228_41 Depth=1
	s_or_b64 exec, exec, s[2:3]
	v_lshrrev_b16_e32 v6, 8, v18
	v_cmp_ne_u16_e64 s[0:1], 0, v6
	v_mov_b32_e32 v3, 0
	v_mov_b32_e32 v17, 0
	s_and_saveexec_b64 s[2:3], s[0:1]
	s_cbranch_execz .LBB228_53
; %bb.48:                               ;   in Loop: Header=BB228_41 Depth=1
	v_cmp_ne_u16_e64 s[0:1], s35, v6
	v_bfrev_b32_e32 v17, 1
	s_and_saveexec_b64 s[16:17], s[0:1]
	s_cbranch_execz .LBB228_52
; %bb.49:                               ;   in Loop: Header=BB228_41 Depth=1
	v_and_b32_e32 v20, 0x7f, v6
	v_cmp_ne_u32_e64 s[0:1], s36, v20
	v_mov_b32_e32 v17, 0x7c010000
	s_and_saveexec_b64 s[18:19], s[0:1]
	s_cbranch_execz .LBB228_51
; %bb.50:                               ;   in Loop: Header=BB228_41 Depth=1
	v_and_b32_e32 v17, 7, v6
	v_ffbh_u32_e32 v22, v17
	v_min_u32_e32 v24, 32, v22
	v_subrev_u32_e32 v22, 28, v24
	v_lshlrev_b64 v[22:23], v22, v[6:7]
	v_lshrrev_b32_e32 v21, 3, v20
	v_sub_u32_e32 v23, 29, v24
	v_cmp_gt_u32_e64 s[0:1], 8, v20
	v_lshlrev_b32_e32 v6, 8, v6
	s_nop 0
	v_cndmask_b32_e64 v20, v21, v23, s[0:1]
	v_lshl_add_u32 v20, v20, 10, v31
	v_and_b32_e32 v21, 7, v22
	v_and_or_b32 v6, v6, s37, v20
	v_cndmask_b32_e64 v17, v17, v21, s[0:1]
	v_lshlrev_b32_e32 v6, 16, v6
	v_lshl_or_b32 v17, v17, 23, v6
.LBB228_51:                             ;   in Loop: Header=BB228_41 Depth=1
	s_or_b64 exec, exec, s[18:19]
.LBB228_52:                             ;   in Loop: Header=BB228_41 Depth=1
	s_or_b64 exec, exec, s[16:17]
.LBB228_53:                             ;   in Loop: Header=BB228_41 Depth=1
	s_or_b64 exec, exec, s[2:3]
	v_lshrrev_b32_e32 v6, 16, v18
	v_cmp_ne_u16_sdwa s[0:1], v6, v7 src0_sel:BYTE_0 src1_sel:DWORD
	s_and_saveexec_b64 s[2:3], s[0:1]
	s_cbranch_execz .LBB228_59
; %bb.54:                               ;   in Loop: Header=BB228_41 Depth=1
	v_cmp_ne_u16_sdwa s[0:1], v6, s35 src0_sel:BYTE_0 src1_sel:DWORD
	v_mov_b32_e32 v3, 0x8000
	s_and_saveexec_b64 s[16:17], s[0:1]
	s_cbranch_execz .LBB228_58
; %bb.55:                               ;   in Loop: Header=BB228_41 Depth=1
	v_bfe_u32 v20, v18, 16, 7
	v_cmp_ne_u32_e64 s[0:1], s36, v20
	v_mov_b32_e32 v3, 0x7c01
	s_and_saveexec_b64 s[18:19], s[0:1]
	s_cbranch_execz .LBB228_57
; %bb.56:                               ;   in Loop: Header=BB228_41 Depth=1
	v_and_b32_e32 v3, 7, v6
	v_ffbh_u32_e32 v22, v3
	v_min_u32_e32 v24, 32, v22
	v_subrev_u32_e32 v22, 28, v24
	v_lshlrev_b64 v[22:23], v22, v[6:7]
	v_lshrrev_b32_e32 v21, 3, v20
	v_sub_u32_e32 v23, 29, v24
	v_cmp_gt_u32_e64 s[0:1], 8, v20
	v_lshlrev_b32_e32 v6, 8, v6
	s_nop 0
	v_cndmask_b32_e64 v20, v21, v23, s[0:1]
	v_lshl_add_u32 v20, v20, 10, v31
	v_and_b32_e32 v21, 7, v22
	v_and_b32_e32 v20, 0xfc00, v20
	v_cndmask_b32_e64 v3, v3, v21, s[0:1]
	v_and_or_b32 v6, v6, s37, v20
	v_lshl_or_b32 v3, v3, 7, v6
.LBB228_57:                             ;   in Loop: Header=BB228_41 Depth=1
	s_or_b64 exec, exec, s[18:19]
.LBB228_58:                             ;   in Loop: Header=BB228_41 Depth=1
	s_or_b64 exec, exec, s[16:17]
.LBB228_59:                             ;   in Loop: Header=BB228_41 Depth=1
	s_or_b64 exec, exec, s[2:3]
	v_cmp_lt_u32_e64 s[0:1], s11, v18
	v_mov_b32_e32 v21, 0
	v_mov_b32_e32 v20, 0
	s_and_saveexec_b64 s[2:3], s[0:1]
	s_cbranch_execz .LBB228_65
; %bb.60:                               ;   in Loop: Header=BB228_41 Depth=1
	v_lshrrev_b32_e32 v6, 24, v18
	v_cmp_ne_u32_e64 s[0:1], s35, v6
	v_bfrev_b32_e32 v20, 1
	s_and_saveexec_b64 s[16:17], s[0:1]
	s_cbranch_execz .LBB228_64
; %bb.61:                               ;   in Loop: Header=BB228_41 Depth=1
	v_and_b32_e32 v22, 0x7f, v6
	v_cmp_ne_u32_e64 s[0:1], s36, v22
	v_mov_b32_e32 v20, 0x7c010000
	s_and_saveexec_b64 s[18:19], s[0:1]
	s_cbranch_execz .LBB228_63
; %bb.62:                               ;   in Loop: Header=BB228_41 Depth=1
	v_and_b32_e32 v20, 7, v6
	v_ffbh_u32_e32 v24, v20
	v_min_u32_e32 v24, 32, v24
	v_lshrrev_b32_e32 v23, 3, v22
	v_subrev_u32_e32 v35, 28, v24
	v_sub_u32_e32 v24, 29, v24
	v_cmp_gt_u32_e64 s[0:1], 8, v22
	v_lshlrev_b64 v[42:43], v35, v[6:7]
	v_lshlrev_b32_e32 v6, 8, v6
	v_cndmask_b32_e64 v22, v23, v24, s[0:1]
	v_lshl_add_u32 v22, v22, 10, v31
	v_and_b32_e32 v23, 7, v42
	v_and_or_b32 v6, v6, s37, v22
	v_cndmask_b32_e64 v20, v20, v23, s[0:1]
	v_lshlrev_b32_e32 v6, 16, v6
	v_lshl_or_b32 v20, v20, 23, v6
.LBB228_63:                             ;   in Loop: Header=BB228_41 Depth=1
	s_or_b64 exec, exec, s[18:19]
.LBB228_64:                             ;   in Loop: Header=BB228_41 Depth=1
	s_or_b64 exec, exec, s[16:17]
.LBB228_65:                             ;   in Loop: Header=BB228_41 Depth=1
	s_or_b64 exec, exec, s[2:3]
	v_mov_b32_e32 v6, v19
	v_cmp_ne_u16_sdwa s[0:1], v19, v7 src0_sel:BYTE_0 src1_sel:DWORD
	s_and_saveexec_b64 s[2:3], s[0:1]
	s_cbranch_execz .LBB228_71
; %bb.66:                               ;   in Loop: Header=BB228_41 Depth=1
	v_cmp_ne_u16_sdwa s[0:1], v19, s35 src0_sel:BYTE_0 src1_sel:DWORD
	v_mov_b32_e32 v21, 0x8000
	s_and_saveexec_b64 s[16:17], s[0:1]
	s_cbranch_execz .LBB228_70
; %bb.67:                               ;   in Loop: Header=BB228_41 Depth=1
	v_and_b32_e32 v22, 0x7f, v19
	v_cmp_ne_u32_e64 s[0:1], s36, v22
	v_mov_b32_e32 v21, 0x7c01
	s_and_saveexec_b64 s[18:19], s[0:1]
	s_cbranch_execz .LBB228_69
; %bb.68:                               ;   in Loop: Header=BB228_41 Depth=1
	v_and_b32_e32 v21, 7, v19
	v_ffbh_u32_e32 v24, v21
	v_min_u32_e32 v24, 32, v24
	v_lshrrev_b32_e32 v23, 3, v22
	v_subrev_u32_e32 v35, 28, v24
	v_sub_u32_e32 v24, 29, v24
	v_cmp_gt_u32_e64 s[0:1], 8, v22
	v_lshlrev_b64 v[42:43], v35, v[6:7]
	s_nop 0
	v_cndmask_b32_e64 v22, v23, v24, s[0:1]
	v_lshl_add_u32 v22, v22, 10, v31
	v_lshlrev_b32_e32 v23, 8, v19
	v_and_b32_e32 v24, 7, v42
	v_and_b32_e32 v22, 0xfc00, v22
	v_cndmask_b32_e64 v21, v21, v24, s[0:1]
	v_and_or_b32 v22, v23, s37, v22
	v_lshl_or_b32 v21, v21, 7, v22
.LBB228_69:                             ;   in Loop: Header=BB228_41 Depth=1
	s_or_b64 exec, exec, s[18:19]
.LBB228_70:                             ;   in Loop: Header=BB228_41 Depth=1
	s_or_b64 exec, exec, s[16:17]
.LBB228_71:                             ;   in Loop: Header=BB228_41 Depth=1
	s_or_b64 exec, exec, s[2:3]
	v_lshrrev_b16_e32 v6, 8, v6
	v_cmp_ne_u16_e64 s[0:1], 0, v6
	v_mov_b32_e32 v23, 0
	v_mov_b32_e32 v22, 0
	s_and_saveexec_b64 s[2:3], s[0:1]
	s_cbranch_execz .LBB228_77
; %bb.72:                               ;   in Loop: Header=BB228_41 Depth=1
	v_cmp_ne_u16_e64 s[0:1], s35, v6
	v_bfrev_b32_e32 v22, 1
	s_and_saveexec_b64 s[16:17], s[0:1]
	s_cbranch_execz .LBB228_76
; %bb.73:                               ;   in Loop: Header=BB228_41 Depth=1
	v_and_b32_e32 v24, 0x7f, v6
	v_cmp_ne_u32_e64 s[0:1], s36, v24
	v_mov_b32_e32 v22, 0x7c010000
	s_and_saveexec_b64 s[18:19], s[0:1]
	s_cbranch_execz .LBB228_75
; %bb.74:                               ;   in Loop: Header=BB228_41 Depth=1
	v_and_b32_e32 v22, 7, v6
	v_ffbh_u32_e32 v41, v22
	v_min_u32_e32 v41, 32, v41
	v_lshrrev_b32_e32 v35, 3, v24
	v_subrev_u32_e32 v42, 28, v41
	v_sub_u32_e32 v41, 29, v41
	v_cmp_gt_u32_e64 s[0:1], 8, v24
	v_lshlrev_b64 v[42:43], v42, v[6:7]
	v_lshlrev_b32_e32 v6, 8, v6
	v_cndmask_b32_e64 v24, v35, v41, s[0:1]
	v_lshl_add_u32 v24, v24, 10, v31
	v_and_b32_e32 v35, 7, v42
	v_and_or_b32 v6, v6, s37, v24
	v_cndmask_b32_e64 v22, v22, v35, s[0:1]
	v_lshlrev_b32_e32 v6, 16, v6
	v_lshl_or_b32 v22, v22, 23, v6
.LBB228_75:                             ;   in Loop: Header=BB228_41 Depth=1
	s_or_b64 exec, exec, s[18:19]
.LBB228_76:                             ;   in Loop: Header=BB228_41 Depth=1
	s_or_b64 exec, exec, s[16:17]
.LBB228_77:                             ;   in Loop: Header=BB228_41 Depth=1
	s_or_b64 exec, exec, s[2:3]
	v_lshrrev_b32_e32 v6, 16, v19
	v_cmp_ne_u16_sdwa s[0:1], v6, v7 src0_sel:BYTE_0 src1_sel:DWORD
	s_and_saveexec_b64 s[2:3], s[0:1]
	s_cbranch_execz .LBB228_83
; %bb.78:                               ;   in Loop: Header=BB228_41 Depth=1
	v_cmp_ne_u16_sdwa s[0:1], v6, s35 src0_sel:BYTE_0 src1_sel:DWORD
	v_mov_b32_e32 v23, 0x8000
	s_and_saveexec_b64 s[16:17], s[0:1]
	s_cbranch_execz .LBB228_82
; %bb.79:                               ;   in Loop: Header=BB228_41 Depth=1
	v_bfe_u32 v24, v19, 16, 7
	v_cmp_ne_u32_e64 s[0:1], s36, v24
	v_mov_b32_e32 v23, 0x7c01
	s_and_saveexec_b64 s[18:19], s[0:1]
	s_cbranch_execz .LBB228_81
; %bb.80:                               ;   in Loop: Header=BB228_41 Depth=1
	v_and_b32_e32 v23, 7, v6
	v_ffbh_u32_e32 v41, v23
	v_min_u32_e32 v41, 32, v41
	v_lshrrev_b32_e32 v35, 3, v24
	v_subrev_u32_e32 v42, 28, v41
	v_sub_u32_e32 v41, 29, v41
	v_cmp_gt_u32_e64 s[0:1], 8, v24
	v_lshlrev_b64 v[42:43], v42, v[6:7]
	v_lshlrev_b32_e32 v6, 8, v6
	v_cndmask_b32_e64 v24, v35, v41, s[0:1]
	v_lshl_add_u32 v24, v24, 10, v31
	v_and_b32_e32 v35, 7, v42
	v_and_b32_e32 v24, 0xfc00, v24
	v_cndmask_b32_e64 v23, v23, v35, s[0:1]
	v_and_or_b32 v6, v6, s37, v24
	v_lshl_or_b32 v23, v23, 7, v6
.LBB228_81:                             ;   in Loop: Header=BB228_41 Depth=1
	s_or_b64 exec, exec, s[18:19]
.LBB228_82:                             ;   in Loop: Header=BB228_41 Depth=1
	s_or_b64 exec, exec, s[16:17]
.LBB228_83:                             ;   in Loop: Header=BB228_41 Depth=1
	s_or_b64 exec, exec, s[2:3]
	v_cmp_lt_u64_e64 s[0:1], s[10:11], v[18:19]
	v_mov_b32_e32 v24, 0
	s_and_saveexec_b64 s[2:3], s[0:1]
	s_cbranch_execz .LBB228_89
; %bb.84:                               ;   in Loop: Header=BB228_41 Depth=1
	v_lshrrev_b32_e32 v6, 24, v19
	v_cmp_ne_u32_e64 s[0:1], s35, v6
	v_bfrev_b32_e32 v24, 1
	s_and_saveexec_b64 s[16:17], s[0:1]
	s_cbranch_execz .LBB228_88
; %bb.85:                               ;   in Loop: Header=BB228_41 Depth=1
	v_and_b32_e32 v18, 0x7f, v6
	v_cmp_ne_u32_e64 s[0:1], s36, v18
	v_mov_b32_e32 v24, 0x7c010000
	s_and_saveexec_b64 s[18:19], s[0:1]
	s_cbranch_execz .LBB228_87
; %bb.86:                               ;   in Loop: Header=BB228_41 Depth=1
	v_and_b32_e32 v19, 7, v6
	v_ffbh_u32_e32 v35, v19
	v_min_u32_e32 v35, 32, v35
	v_lshrrev_b32_e32 v24, 3, v18
	v_subrev_u32_e32 v41, 28, v35
	v_sub_u32_e32 v35, 29, v35
	v_cmp_gt_u32_e64 s[0:1], 8, v18
	v_lshlrev_b64 v[42:43], v41, v[6:7]
	v_lshlrev_b32_e32 v6, 8, v6
	v_cndmask_b32_e64 v18, v24, v35, s[0:1]
	v_lshl_add_u32 v18, v18, 10, v31
	v_and_b32_e32 v24, 7, v42
	v_and_or_b32 v6, v6, s37, v18
	v_cndmask_b32_e64 v19, v19, v24, s[0:1]
	v_lshlrev_b32_e32 v6, 16, v6
	v_lshl_or_b32 v24, v19, 23, v6
.LBB228_87:                             ;   in Loop: Header=BB228_41 Depth=1
	s_or_b64 exec, exec, s[18:19]
.LBB228_88:                             ;   in Loop: Header=BB228_41 Depth=1
	s_or_b64 exec, exec, s[16:17]
.LBB228_89:                             ;   in Loop: Header=BB228_41 Depth=1
	s_or_b64 exec, exec, s[2:3]
	v_cvt_f32_f16_sdwa v19, v17 dst_sel:DWORD dst_unused:UNUSED_PAD src0_sel:WORD_1
	v_cvt_f32_f16_sdwa v18, v20 dst_sel:DWORD dst_unused:UNUSED_PAD src0_sel:WORD_1
	v_or_b32_e32 v1, v17, v1
	v_or_b32_e32 v3, v20, v3
	v_cvt_f32_f16_e32 v42, v3
	v_cvt_f32_f16_e32 v43, v1
	s_waitcnt vmcnt(0)
	v_pk_mul_f32 v[18:19], v[16:17], v[18:19] op_sel_hi:[0,1]
	v_cvt_pk_f16_f32 v1, v18, v19
	v_or_b32_e32 v6, v22, v21
	v_pk_mul_f32 v[42:43], v[16:17], v[42:43] op_sel_hi:[0,1]
	v_or_b32_e32 v19, v24, v23
	v_and_b32_e32 v3, 0xffff0000, v1
	v_lshlrev_b32_e32 v18, 16, v1
	v_cvt_pk_f16_f32 v1, v42, v43
	v_cvt_f32_f16_e32 v42, v19
	v_cvt_f32_f16_e32 v43, v6
	v_cvt_f32_f16_sdwa v23, v22 dst_sel:DWORD dst_unused:UNUSED_PAD src0_sel:WORD_1
	v_cvt_f32_f16_sdwa v22, v24 dst_sel:DWORD dst_unused:UNUSED_PAD src0_sel:WORD_1
	v_lshrrev_b32_e32 v17, 16, v1
	v_pk_mul_f32 v[42:43], v[16:17], v[42:43] op_sel_hi:[0,1]
	v_cvt_pk_f16_f32 v24, v42, v43
	v_pk_mul_f32 v[22:23], v[16:17], v[22:23] op_sel_hi:[0,1]
	v_cvt_pk_f16_f32 v16, v22, v23
	v_and_b32_e32 v20, 0xffff, v1
	v_and_b32_e32 v19, 0xffff0000, v16
	v_lshlrev_b32_e32 v16, 16, v16
	v_lshrrev_b32_e32 v21, 16, v24
	v_and_b32_e32 v22, 0xffff, v24
	v_cmp_eq_u32_e64 s[2:3], s30, v25
	v_or_b32_e32 v1, v3, v17
	v_or_b32_e32 v6, v18, v20
	;; [unrolled: 1-line block ×4, first 2 shown]
	s_and_saveexec_b64 s[16:17], s[2:3]
	s_cbranch_execz .LBB228_91
; %bb.90:                               ;   in Loop: Header=BB228_41 Depth=1
	v_add_u32_e32 v23, 2, v29
	v_cmp_gt_i32_e64 s[0:1], s31, v29
	v_or_b32_e32 v1, 1, v29
	v_or_b32_e32 v6, 3, v29
	v_cndmask_b32_e64 v17, 0, v17, s[0:1]
	v_cmp_gt_i32_e64 s[0:1], s21, v23
	s_nop 1
	v_cndmask_b32_e64 v20, 0, v20, s[0:1]
	v_cmp_gt_i32_e64 s[0:1], s31, v1
	s_nop 1
	v_cndmask_b32_e64 v1, 0, v3, s[0:1]
	v_cmp_gt_i32_e64 s[0:1], s21, v6
	v_or_b32_e32 v1, v1, v17
	v_or_b32_e32 v17, 6, v29
	v_cndmask_b32_e64 v3, 0, v18, s[0:1]
	v_or_b32_e32 v6, v3, v20
	v_or_b32_e32 v3, 4, v29
	v_cmp_gt_i32_e64 s[0:1], s31, v3
	v_or_b32_e32 v18, 5, v29
	v_or_b32_e32 v20, 7, v29
	v_cndmask_b32_e64 v3, 0, v21, s[0:1]
	v_cmp_gt_i32_e64 s[0:1], s21, v17
	s_nop 1
	v_cndmask_b32_e64 v17, 0, v22, s[0:1]
	v_cmp_gt_i32_e64 s[0:1], s31, v18
	s_nop 1
	v_cndmask_b32_e64 v18, 0, v19, s[0:1]
	v_cmp_gt_i32_e64 s[0:1], s21, v20
	v_or_b32_e32 v23, v18, v3
	s_nop 0
	v_cndmask_b32_e64 v16, 0, v16, s[0:1]
	v_or_b32_e32 v24, v16, v17
.LBB228_91:                             ;   in Loop: Header=BB228_41 Depth=1
	s_or_b64 exec, exec, s[16:17]
	v_and_b32_e32 v3, 0xffff, v32
	v_lshl_or_b32 v35, v33, 16, v3
	v_and_b32_e32 v3, 0xffff, v34
	v_lshl_or_b32 v34, v36, 16, v3
	;; [unrolled: 2-line block ×3, first 2 shown]
	v_and_b32_e32 v3, 0xffff, v39
	;;#ASMSTART
	v_pk_mul_f16 v1, v35, v1;

	;;#ASMEND
	v_lshl_or_b32 v32, v40, 16, v3
	;;#ASMSTART
	v_pk_mul_f16 v3, v34, v6;

	;;#ASMEND
	;;#ASMSTART
	v_pk_mul_f16 v6, v33, v23;

	;;#ASMEND
	;;#ASMSTART
	v_pk_mul_f16 v16, v32, v24;

	;;#ASMEND
	s_nop 0
	;;#ASMSTART
	v_pk_add_f16 v1, v1, v3;

	;;#ASMEND
	s_nop 0
	;;#ASMSTART
	v_pk_add_f16 v1, v1, v6;

	;;#ASMEND
	;; [unrolled: 5-line block ×3, first 2 shown]
	s_nop 0
	v_lshrrev_b32_e32 v3, 16, v1
	v_and_b32_e32 v1, 0xffff, v1
	;;#ASMSTART
	v_cvt_f32_f16 v23, v1;
	;;#ASMEND
	;;#ASMSTART
	v_cvt_f32_f16 v24, v3;
	;;#ASMEND
	s_and_saveexec_b64 s[16:17], vcc
	s_cbranch_execz .LBB228_40
; %bb.92:                               ;   in Loop: Header=BB228_41 Depth=1
	v_lshl_add_u64 v[14:15], v[14:15], 0, v[8:9]
	global_load_dwordx2 v[16:17], v[14:15], off
	v_mov_b32_e32 v1, 0
	global_load_dword v14, v1, s[14:15]
	v_mov_b32_e32 v3, 0
	s_waitcnt vmcnt(1)
	v_cmp_ne_u16_sdwa s[0:1], v16, v7 src0_sel:BYTE_0 src1_sel:DWORD
	s_and_saveexec_b64 s[18:19], s[0:1]
	s_cbranch_execz .LBB228_98
; %bb.93:                               ;   in Loop: Header=BB228_41 Depth=1
	v_cmp_ne_u16_sdwa s[0:1], v16, s35 src0_sel:BYTE_0 src1_sel:DWORD
	v_mov_b32_e32 v3, 0x8000
	s_and_saveexec_b64 s[26:27], s[0:1]
	s_cbranch_execz .LBB228_97
; %bb.94:                               ;   in Loop: Header=BB228_41 Depth=1
	v_and_b32_e32 v6, 0x7f, v16
	v_cmp_ne_u32_e64 s[0:1], s36, v6
	v_mov_b32_e32 v3, 0x7c01
	s_and_saveexec_b64 s[28:29], s[0:1]
	s_cbranch_execz .LBB228_96
; %bb.95:                               ;   in Loop: Header=BB228_41 Depth=1
	v_and_b32_e32 v3, 7, v16
	v_ffbh_u32_e32 v18, v3
	v_min_u32_e32 v20, 32, v18
	v_subrev_u32_e32 v18, 28, v20
	v_lshlrev_b64 v[18:19], v18, v[16:17]
	v_lshrrev_b32_e32 v15, 3, v6
	v_sub_u32_e32 v19, 29, v20
	v_cmp_gt_u32_e64 s[0:1], 8, v6
	v_and_b32_e32 v18, 7, v18
	s_nop 0
	v_cndmask_b32_e64 v6, v15, v19, s[0:1]
	v_lshl_add_u32 v6, v6, 10, v31
	v_lshlrev_b32_e32 v15, 8, v16
	v_and_b32_e32 v6, 0xfc00, v6
	v_cndmask_b32_e64 v3, v3, v18, s[0:1]
	v_and_or_b32 v6, v15, s37, v6
	v_lshl_or_b32 v3, v3, 7, v6
.LBB228_96:                             ;   in Loop: Header=BB228_41 Depth=1
	s_or_b64 exec, exec, s[28:29]
.LBB228_97:                             ;   in Loop: Header=BB228_41 Depth=1
	s_or_b64 exec, exec, s[26:27]
.LBB228_98:                             ;   in Loop: Header=BB228_41 Depth=1
	s_or_b64 exec, exec, s[18:19]
	v_lshrrev_b16_e32 v6, 8, v16
	v_cmp_ne_u16_e64 s[0:1], 0, v6
	s_and_saveexec_b64 s[18:19], s[0:1]
	s_cbranch_execz .LBB228_104
; %bb.99:                               ;   in Loop: Header=BB228_41 Depth=1
	v_cmp_ne_u16_e64 s[0:1], s35, v6
	v_bfrev_b32_e32 v1, 1
	s_and_saveexec_b64 s[26:27], s[0:1]
	s_cbranch_execz .LBB228_103
; %bb.100:                              ;   in Loop: Header=BB228_41 Depth=1
	v_and_b32_e32 v15, 0x7f, v6
	v_cmp_ne_u32_e64 s[0:1], s36, v15
	v_mov_b32_e32 v1, 0x7c010000
	s_and_saveexec_b64 s[28:29], s[0:1]
	s_cbranch_execz .LBB228_102
; %bb.101:                              ;   in Loop: Header=BB228_41 Depth=1
	v_and_b32_e32 v1, 7, v6
	v_ffbh_u32_e32 v18, v1
	v_min_u32_e32 v21, 32, v18
	v_subrev_u32_e32 v18, 28, v21
	v_lshlrev_b64 v[18:19], v18, v[6:7]
	v_lshrrev_b32_e32 v20, 3, v15
	v_sub_u32_e32 v19, 29, v21
	v_cmp_gt_u32_e64 s[0:1], 8, v15
	v_lshlrev_b32_e32 v6, 8, v6
	v_and_b32_e32 v18, 7, v18
	v_cndmask_b32_e64 v15, v20, v19, s[0:1]
	v_lshl_add_u32 v15, v15, 10, v31
	v_and_or_b32 v6, v6, s37, v15
	v_cndmask_b32_e64 v1, v1, v18, s[0:1]
	v_lshlrev_b32_e32 v6, 16, v6
	v_lshl_or_b32 v1, v1, 23, v6
.LBB228_102:                            ;   in Loop: Header=BB228_41 Depth=1
	s_or_b64 exec, exec, s[28:29]
.LBB228_103:                            ;   in Loop: Header=BB228_41 Depth=1
	s_or_b64 exec, exec, s[26:27]
.LBB228_104:                            ;   in Loop: Header=BB228_41 Depth=1
	s_or_b64 exec, exec, s[18:19]
	v_lshrrev_b32_e32 v6, 16, v16
	v_cmp_ne_u16_sdwa s[0:1], v6, v7 src0_sel:BYTE_0 src1_sel:DWORD
	v_mov_b32_e32 v18, 0
	v_mov_b32_e32 v15, 0
	s_and_saveexec_b64 s[18:19], s[0:1]
	s_cbranch_execz .LBB228_110
; %bb.105:                              ;   in Loop: Header=BB228_41 Depth=1
	v_cmp_ne_u16_sdwa s[0:1], v6, s35 src0_sel:BYTE_0 src1_sel:DWORD
	v_mov_b32_e32 v15, 0x8000
	s_and_saveexec_b64 s[26:27], s[0:1]
	s_cbranch_execz .LBB228_109
; %bb.106:                              ;   in Loop: Header=BB228_41 Depth=1
	v_bfe_u32 v19, v16, 16, 7
	v_cmp_ne_u32_e64 s[0:1], s36, v19
	v_mov_b32_e32 v15, 0x7c01
	s_and_saveexec_b64 s[28:29], s[0:1]
	s_cbranch_execz .LBB228_108
; %bb.107:                              ;   in Loop: Header=BB228_41 Depth=1
	v_and_b32_e32 v15, 7, v6
	v_ffbh_u32_e32 v20, v15
	v_min_u32_e32 v36, 32, v20
	v_subrev_u32_e32 v20, 28, v36
	v_lshlrev_b64 v[20:21], v20, v[6:7]
	v_lshrrev_b32_e32 v22, 3, v19
	v_sub_u32_e32 v21, 29, v36
	v_cmp_gt_u32_e64 s[0:1], 8, v19
	v_lshlrev_b32_e32 v6, 8, v6
	v_and_b32_e32 v20, 7, v20
	v_cndmask_b32_e64 v19, v22, v21, s[0:1]
	v_lshl_add_u32 v19, v19, 10, v31
	v_and_b32_e32 v19, 0xfc00, v19
	v_cndmask_b32_e64 v15, v15, v20, s[0:1]
	v_and_or_b32 v6, v6, s37, v19
	v_lshl_or_b32 v15, v15, 7, v6
.LBB228_108:                            ;   in Loop: Header=BB228_41 Depth=1
	s_or_b64 exec, exec, s[28:29]
.LBB228_109:                            ;   in Loop: Header=BB228_41 Depth=1
	s_or_b64 exec, exec, s[26:27]
.LBB228_110:                            ;   in Loop: Header=BB228_41 Depth=1
	s_or_b64 exec, exec, s[18:19]
	v_cmp_lt_u32_e64 s[0:1], s11, v16
	s_and_saveexec_b64 s[18:19], s[0:1]
	s_cbranch_execz .LBB228_116
; %bb.111:                              ;   in Loop: Header=BB228_41 Depth=1
	v_lshrrev_b32_e32 v6, 24, v16
	v_cmp_ne_u32_e64 s[0:1], s35, v6
	v_bfrev_b32_e32 v18, 1
	s_and_saveexec_b64 s[26:27], s[0:1]
	s_cbranch_execz .LBB228_115
; %bb.112:                              ;   in Loop: Header=BB228_41 Depth=1
	v_and_b32_e32 v19, 0x7f, v6
	v_cmp_ne_u32_e64 s[0:1], s36, v19
	v_mov_b32_e32 v18, 0x7c010000
	s_and_saveexec_b64 s[28:29], s[0:1]
	s_cbranch_execz .LBB228_114
; %bb.113:                              ;   in Loop: Header=BB228_41 Depth=1
	v_and_b32_e32 v18, 7, v6
	v_ffbh_u32_e32 v20, v18
	v_min_u32_e32 v36, 32, v20
	v_subrev_u32_e32 v20, 28, v36
	v_lshlrev_b64 v[20:21], v20, v[6:7]
	v_lshrrev_b32_e32 v22, 3, v19
	v_sub_u32_e32 v21, 29, v36
	v_cmp_gt_u32_e64 s[0:1], 8, v19
	v_lshlrev_b32_e32 v6, 8, v6
	v_and_b32_e32 v20, 7, v20
	v_cndmask_b32_e64 v19, v22, v21, s[0:1]
	v_lshl_add_u32 v19, v19, 10, v31
	v_and_or_b32 v6, v6, s37, v19
	v_cndmask_b32_e64 v18, v18, v20, s[0:1]
	v_lshlrev_b32_e32 v6, 16, v6
	v_lshl_or_b32 v18, v18, 23, v6
.LBB228_114:                            ;   in Loop: Header=BB228_41 Depth=1
	s_or_b64 exec, exec, s[28:29]
.LBB228_115:                            ;   in Loop: Header=BB228_41 Depth=1
	s_or_b64 exec, exec, s[26:27]
.LBB228_116:                            ;   in Loop: Header=BB228_41 Depth=1
	s_or_b64 exec, exec, s[18:19]
	v_mov_b32_e32 v6, v17
	v_cmp_ne_u16_sdwa s[0:1], v17, v7 src0_sel:BYTE_0 src1_sel:DWORD
	v_mov_b32_e32 v19, 0
	v_mov_b32_e32 v20, 0
	s_and_saveexec_b64 s[18:19], s[0:1]
	s_cbranch_execz .LBB228_122
; %bb.117:                              ;   in Loop: Header=BB228_41 Depth=1
	v_cmp_ne_u16_sdwa s[0:1], v17, s35 src0_sel:BYTE_0 src1_sel:DWORD
	v_mov_b32_e32 v20, 0x8000
	s_and_saveexec_b64 s[26:27], s[0:1]
	s_cbranch_execz .LBB228_121
; %bb.118:                              ;   in Loop: Header=BB228_41 Depth=1
	v_and_b32_e32 v21, 0x7f, v17
	v_cmp_ne_u32_e64 s[0:1], s36, v21
	v_mov_b32_e32 v20, 0x7c01
	s_and_saveexec_b64 s[28:29], s[0:1]
	s_cbranch_execz .LBB228_120
; %bb.119:                              ;   in Loop: Header=BB228_41 Depth=1
	v_and_b32_e32 v20, 7, v17
	v_ffbh_u32_e32 v36, v20
	v_min_u32_e32 v38, 32, v36
	v_subrev_u32_e32 v36, 28, v38
	v_lshlrev_b64 v[36:37], v36, v[6:7]
	v_lshrrev_b32_e32 v22, 3, v21
	v_sub_u32_e32 v37, 29, v38
	v_cmp_gt_u32_e64 s[0:1], 8, v21
	v_and_b32_e32 v36, 7, v36
	s_nop 0
	v_cndmask_b32_e64 v21, v22, v37, s[0:1]
	v_lshl_add_u32 v21, v21, 10, v31
	v_lshlrev_b32_e32 v22, 8, v17
	v_and_b32_e32 v21, 0xfc00, v21
	v_cndmask_b32_e64 v20, v20, v36, s[0:1]
	v_and_or_b32 v21, v22, s37, v21
	v_lshl_or_b32 v20, v20, 7, v21
.LBB228_120:                            ;   in Loop: Header=BB228_41 Depth=1
	s_or_b64 exec, exec, s[28:29]
.LBB228_121:                            ;   in Loop: Header=BB228_41 Depth=1
	s_or_b64 exec, exec, s[26:27]
.LBB228_122:                            ;   in Loop: Header=BB228_41 Depth=1
	s_or_b64 exec, exec, s[18:19]
	v_lshrrev_b16_e32 v6, 8, v6
	v_cmp_ne_u16_e64 s[0:1], 0, v6
	v_mov_b32_e32 v21, 0
	s_and_saveexec_b64 s[18:19], s[0:1]
	s_cbranch_execz .LBB228_128
; %bb.123:                              ;   in Loop: Header=BB228_41 Depth=1
	v_cmp_ne_u16_e64 s[0:1], s35, v6
	v_bfrev_b32_e32 v21, 1
	s_and_saveexec_b64 s[26:27], s[0:1]
	s_cbranch_execz .LBB228_127
; %bb.124:                              ;   in Loop: Header=BB228_41 Depth=1
	v_and_b32_e32 v22, 0x7f, v6
	v_cmp_ne_u32_e64 s[0:1], s36, v22
	v_mov_b32_e32 v21, 0x7c010000
	s_and_saveexec_b64 s[28:29], s[0:1]
	s_cbranch_execz .LBB228_126
; %bb.125:                              ;   in Loop: Header=BB228_41 Depth=1
	v_and_b32_e32 v21, 7, v6
	v_ffbh_u32_e32 v36, v21
	v_min_u32_e32 v39, 32, v36
	v_subrev_u32_e32 v36, 28, v39
	v_lshlrev_b64 v[36:37], v36, v[6:7]
	v_lshrrev_b32_e32 v38, 3, v22
	v_sub_u32_e32 v37, 29, v39
	v_cmp_gt_u32_e64 s[0:1], 8, v22
	v_lshlrev_b32_e32 v6, 8, v6
	v_and_b32_e32 v36, 7, v36
	v_cndmask_b32_e64 v22, v38, v37, s[0:1]
	v_lshl_add_u32 v22, v22, 10, v31
	v_and_or_b32 v6, v6, s37, v22
	v_cndmask_b32_e64 v21, v21, v36, s[0:1]
	v_lshlrev_b32_e32 v6, 16, v6
	v_lshl_or_b32 v21, v21, 23, v6
.LBB228_126:                            ;   in Loop: Header=BB228_41 Depth=1
	s_or_b64 exec, exec, s[28:29]
.LBB228_127:                            ;   in Loop: Header=BB228_41 Depth=1
	s_or_b64 exec, exec, s[26:27]
.LBB228_128:                            ;   in Loop: Header=BB228_41 Depth=1
	s_or_b64 exec, exec, s[18:19]
	v_lshrrev_b32_e32 v6, 16, v17
	v_cmp_ne_u16_sdwa s[0:1], v6, v7 src0_sel:BYTE_0 src1_sel:DWORD
	s_and_saveexec_b64 s[18:19], s[0:1]
	s_cbranch_execz .LBB228_134
; %bb.129:                              ;   in Loop: Header=BB228_41 Depth=1
	v_cmp_ne_u16_sdwa s[0:1], v6, s35 src0_sel:BYTE_0 src1_sel:DWORD
	v_mov_b32_e32 v19, 0x8000
	s_and_saveexec_b64 s[26:27], s[0:1]
	s_cbranch_execz .LBB228_133
; %bb.130:                              ;   in Loop: Header=BB228_41 Depth=1
	v_bfe_u32 v22, v17, 16, 7
	v_cmp_ne_u32_e64 s[0:1], s36, v22
	v_mov_b32_e32 v19, 0x7c01
	s_and_saveexec_b64 s[28:29], s[0:1]
	s_cbranch_execz .LBB228_132
; %bb.131:                              ;   in Loop: Header=BB228_41 Depth=1
	v_and_b32_e32 v19, 7, v6
	v_ffbh_u32_e32 v36, v19
	v_min_u32_e32 v39, 32, v36
	v_subrev_u32_e32 v36, 28, v39
	v_lshlrev_b64 v[36:37], v36, v[6:7]
	v_lshrrev_b32_e32 v38, 3, v22
	v_sub_u32_e32 v37, 29, v39
	v_cmp_gt_u32_e64 s[0:1], 8, v22
	v_lshlrev_b32_e32 v6, 8, v6
	v_and_b32_e32 v36, 7, v36
	v_cndmask_b32_e64 v22, v38, v37, s[0:1]
	v_lshl_add_u32 v22, v22, 10, v31
	v_and_b32_e32 v22, 0xfc00, v22
	v_cndmask_b32_e64 v19, v19, v36, s[0:1]
	v_and_or_b32 v6, v6, s37, v22
	v_lshl_or_b32 v19, v19, 7, v6
.LBB228_132:                            ;   in Loop: Header=BB228_41 Depth=1
	s_or_b64 exec, exec, s[28:29]
.LBB228_133:                            ;   in Loop: Header=BB228_41 Depth=1
	s_or_b64 exec, exec, s[26:27]
.LBB228_134:                            ;   in Loop: Header=BB228_41 Depth=1
	s_or_b64 exec, exec, s[18:19]
	v_cmp_lt_u64_e64 s[0:1], s[10:11], v[16:17]
	v_mov_b32_e32 v16, 0
	s_and_saveexec_b64 s[18:19], s[0:1]
	s_cbranch_execz .LBB228_140
; %bb.135:                              ;   in Loop: Header=BB228_41 Depth=1
	v_lshrrev_b32_e32 v6, 24, v17
	v_cmp_ne_u32_e64 s[0:1], s35, v6
	v_bfrev_b32_e32 v16, 1
	s_and_saveexec_b64 s[26:27], s[0:1]
	s_cbranch_execz .LBB228_139
; %bb.136:                              ;   in Loop: Header=BB228_41 Depth=1
	v_and_b32_e32 v17, 0x7f, v6
	v_cmp_ne_u32_e64 s[0:1], s36, v17
	v_mov_b32_e32 v16, 0x7c010000
	s_and_saveexec_b64 s[28:29], s[0:1]
	s_cbranch_execz .LBB228_138
; %bb.137:                              ;   in Loop: Header=BB228_41 Depth=1
	v_and_b32_e32 v16, 7, v6
	v_ffbh_u32_e32 v36, v16
	v_min_u32_e32 v38, 32, v36
	v_subrev_u32_e32 v36, 28, v38
	v_lshlrev_b64 v[36:37], v36, v[6:7]
	v_lshrrev_b32_e32 v22, 3, v17
	v_sub_u32_e32 v37, 29, v38
	v_cmp_gt_u32_e64 s[0:1], 8, v17
	v_lshlrev_b32_e32 v6, 8, v6
	s_nop 0
	v_cndmask_b32_e64 v17, v22, v37, s[0:1]
	v_lshl_add_u32 v17, v17, 10, v31
	v_and_b32_e32 v22, 7, v36
	v_and_or_b32 v6, v6, s37, v17
	v_cndmask_b32_e64 v16, v16, v22, s[0:1]
	v_lshlrev_b32_e32 v6, 16, v6
	v_lshl_or_b32 v16, v16, 23, v6
.LBB228_138:                            ;   in Loop: Header=BB228_41 Depth=1
	s_or_b64 exec, exec, s[28:29]
.LBB228_139:                            ;   in Loop: Header=BB228_41 Depth=1
	s_or_b64 exec, exec, s[26:27]
.LBB228_140:                            ;   in Loop: Header=BB228_41 Depth=1
	s_or_b64 exec, exec, s[18:19]
	v_cvt_f32_f16_sdwa v37, v1 dst_sel:DWORD dst_unused:UNUSED_PAD src0_sel:WORD_1
	v_cvt_f32_f16_sdwa v36, v18 dst_sel:DWORD dst_unused:UNUSED_PAD src0_sel:WORD_1
	v_or_b32_e32 v1, v1, v3
	v_or_b32_e32 v3, v18, v15
	v_cvt_f32_f16_e32 v38, v3
	v_cvt_f32_f16_e32 v39, v1
	s_waitcnt vmcnt(0)
	v_pk_mul_f32 v[36:37], v[14:15], v[36:37] op_sel_hi:[0,1]
	v_cvt_pk_f16_f32 v1, v36, v37
	v_or_b32_e32 v17, v21, v20
	v_pk_mul_f32 v[36:37], v[14:15], v[38:39] op_sel_hi:[0,1]
	v_or_b32_e32 v19, v16, v19
	v_and_b32_e32 v3, 0xffff0000, v1
	v_lshlrev_b32_e32 v6, 16, v1
	v_cvt_pk_f16_f32 v1, v36, v37
	v_cvt_f32_f16_e32 v36, v19
	v_cvt_f32_f16_e32 v37, v17
	v_cvt_f32_f16_sdwa v21, v21 dst_sel:DWORD dst_unused:UNUSED_PAD src0_sel:WORD_1
	v_cvt_f32_f16_sdwa v20, v16 dst_sel:DWORD dst_unused:UNUSED_PAD src0_sel:WORD_1
	v_lshrrev_b32_e32 v15, 16, v1
	v_pk_mul_f32 v[36:37], v[14:15], v[36:37] op_sel_hi:[0,1]
	v_cvt_pk_f16_f32 v22, v36, v37
	v_pk_mul_f32 v[20:21], v[14:15], v[20:21] op_sel_hi:[0,1]
	v_cvt_pk_f16_f32 v14, v20, v21
	v_and_b32_e32 v18, 0xffff, v1
	v_and_b32_e32 v17, 0xffff0000, v14
	v_lshlrev_b32_e32 v14, 16, v14
	v_lshrrev_b32_e32 v19, 16, v22
	v_and_b32_e32 v20, 0xffff, v22
	v_or_b32_e32 v1, v3, v15
	v_or_b32_e32 v16, v6, v18
	;; [unrolled: 1-line block ×4, first 2 shown]
	s_and_saveexec_b64 s[18:19], s[2:3]
	s_cbranch_execz .LBB228_39
; %bb.141:                              ;   in Loop: Header=BB228_41 Depth=1
	v_add_u32_e32 v21, 2, v29
	v_cmp_gt_i32_e64 s[0:1], s31, v29
	v_or_b32_e32 v1, 1, v29
	v_or_b32_e32 v16, 3, v29
	v_cndmask_b32_e64 v15, 0, v15, s[0:1]
	v_cmp_gt_i32_e64 s[0:1], s21, v21
	s_nop 1
	v_cndmask_b32_e64 v18, 0, v18, s[0:1]
	v_cmp_gt_i32_e64 s[0:1], s31, v1
	s_nop 1
	v_cndmask_b32_e64 v1, 0, v3, s[0:1]
	v_cmp_gt_i32_e64 s[0:1], s21, v16
	v_or_b32_e32 v1, v1, v15
	v_or_b32_e32 v15, 5, v29
	v_cndmask_b32_e64 v3, 0, v6, s[0:1]
	v_or_b32_e32 v16, v3, v18
	v_or_b32_e32 v3, 4, v29
	;; [unrolled: 1-line block ×3, first 2 shown]
	v_cmp_gt_i32_e64 s[0:1], s31, v3
	v_or_b32_e32 v18, 7, v29
	s_nop 0
	v_cndmask_b32_e64 v3, 0, v19, s[0:1]
	v_cmp_gt_i32_e64 s[0:1], s21, v6
	s_nop 1
	v_cndmask_b32_e64 v6, 0, v20, s[0:1]
	v_cmp_gt_i32_e64 s[0:1], s31, v15
	;; [unrolled: 3-line block ×3, first 2 shown]
	v_or_b32_e32 v21, v15, v3
	s_nop 0
	v_cndmask_b32_e64 v14, 0, v14, s[0:1]
	v_or_b32_e32 v22, v14, v6
	s_branch .LBB228_39
.LBB228_142:
	s_or_b64 exec, exec, s[12:13]
.LBB228_143:
	s_or_b64 exec, exec, s[8:9]
	v_and_b32_e32 v1, 0x3c0, v0
	v_cmp_eq_u32_e32 vcc, 64, v1
	s_barrier
	s_and_saveexec_b64 s[0:1], vcc
	s_cbranch_execz .LBB228_146
; %bb.144:
	v_mov_b32_e32 v1, 0xd0
	v_lshl_add_u32 v3, v26, 2, v1
	ds_write_b32 v3, v28
	s_and_b64 exec, exec, s[6:7]
; %bb.145:
	v_lshl_add_u32 v1, v0, 2, v1
	ds_write_b32 v1, v27
.LBB228_146:
	s_or_b64 exec, exec, s[0:1]
	v_cmp_gt_u32_e32 vcc, 64, v0
	v_or_b32_e32 v1, 64, v0
	s_waitcnt lgkmcnt(0)
	s_barrier
	s_and_saveexec_b64 s[2:3], vcc
	s_cbranch_execz .LBB228_150
; %bb.147:
	v_mov_b32_e32 v3, 0xd0
	v_lshl_add_u32 v3, v0, 2, v3
	ds_read_b32 v0, v3
	s_movk_i32 s0, 0x60
	v_cmp_gt_u32_e64 s[0:1], s0, v1
	s_and_saveexec_b64 s[6:7], s[0:1]
	s_cbranch_execz .LBB228_149
; %bb.148:
	ds_read_b32 v3, v3 offset:256
	s_waitcnt lgkmcnt(0)
	v_add_f32_e32 v27, v27, v3
.LBB228_149:
	s_or_b64 exec, exec, s[6:7]
	s_waitcnt lgkmcnt(0)
	v_add_f32_e32 v28, v28, v0
.LBB228_150:
	s_or_b64 exec, exec, s[2:3]
	s_barrier
	s_and_saveexec_b64 s[0:1], vcc
	s_cbranch_execz .LBB228_153
; %bb.151:
	s_mul_i32 s0, s20, s23
	s_mul_i32 s0, s0, s5
	s_mulk_i32 s0, 0x60
	s_ashr_i32 s1, s0, 31
	s_lshl_b64 s[0:1], s[0:1], 1
	s_add_u32 s3, s24, s0
	s_mul_i32 s0, s23, s22
	s_addc_u32 s5, s25, s1
	s_ashr_i32 s1, s0, 31
	s_lshl_b64 s[0:1], s[0:1], 1
	s_add_u32 s3, s3, s0
	s_mul_i32 s0, s4, 0x60
	s_addc_u32 s5, s5, s1
	s_ashr_i32 s1, s0, 31
	s_lshl_b64 s[0:1], s[0:1], 1
	s_movk_i32 s2, 0x60
	s_add_u32 s0, s3, s0
	s_addc_u32 s1, s5, s1
	v_cmp_gt_u32_e32 vcc, s2, v1
	;;#ASMSTART
	v_cvt_f16_f32 v0, v28;

	;;#ASMEND
	global_store_short v2, v0, s[0:1]
	s_and_b64 exec, exec, vcc
	s_cbranch_execz .LBB228_153
; %bb.152:
	v_mov_b32_e32 v3, 0
	v_lshl_add_u64 v[0:1], s[0:1], 0, v[2:3]
	;;#ASMSTART
	v_cvt_f16_f32 v2, v27;

	;;#ASMEND
	global_store_short v[0:1], v2, off offset:128
.LBB228_153:
	s_endpgm
	.section	.rodata,"a",@progbits
	.p2align	6, 0x0
	.amdhsa_kernel _ZN4vllm25paged_attention_v1_kernelIthLi96ELi8ELi128ELNS_18Fp8KVCacheDataTypeE1ELb0EEEvPT_PKS2_PKT0_S8_ifPKiSA_iPKfiiiSC_SC_iiiii
		.amdhsa_group_segment_fixed_size 208
		.amdhsa_private_segment_fixed_size 0
		.amdhsa_kernarg_size 384
		.amdhsa_user_sgpr_count 2
		.amdhsa_user_sgpr_dispatch_ptr 0
		.amdhsa_user_sgpr_queue_ptr 0
		.amdhsa_user_sgpr_kernarg_segment_ptr 1
		.amdhsa_user_sgpr_dispatch_id 0
		.amdhsa_user_sgpr_kernarg_preload_length 0
		.amdhsa_user_sgpr_kernarg_preload_offset 0
		.amdhsa_user_sgpr_private_segment_size 0
		.amdhsa_uses_dynamic_stack 0
		.amdhsa_enable_private_segment 0
		.amdhsa_system_sgpr_workgroup_id_x 1
		.amdhsa_system_sgpr_workgroup_id_y 1
		.amdhsa_system_sgpr_workgroup_id_z 1
		.amdhsa_system_sgpr_workgroup_info 0
		.amdhsa_system_vgpr_workitem_id 0
		.amdhsa_next_free_vgpr 44
		.amdhsa_next_free_sgpr 40
		.amdhsa_accum_offset 44
		.amdhsa_reserve_vcc 1
		.amdhsa_float_round_mode_32 0
		.amdhsa_float_round_mode_16_64 0
		.amdhsa_float_denorm_mode_32 3
		.amdhsa_float_denorm_mode_16_64 3
		.amdhsa_dx10_clamp 1
		.amdhsa_ieee_mode 1
		.amdhsa_fp16_overflow 0
		.amdhsa_tg_split 0
		.amdhsa_exception_fp_ieee_invalid_op 0
		.amdhsa_exception_fp_denorm_src 0
		.amdhsa_exception_fp_ieee_div_zero 0
		.amdhsa_exception_fp_ieee_overflow 0
		.amdhsa_exception_fp_ieee_underflow 0
		.amdhsa_exception_fp_ieee_inexact 0
		.amdhsa_exception_int_div_zero 0
	.end_amdhsa_kernel
	.section	.text._ZN4vllm25paged_attention_v1_kernelIthLi96ELi8ELi128ELNS_18Fp8KVCacheDataTypeE1ELb0EEEvPT_PKS2_PKT0_S8_ifPKiSA_iPKfiiiSC_SC_iiiii,"axG",@progbits,_ZN4vllm25paged_attention_v1_kernelIthLi96ELi8ELi128ELNS_18Fp8KVCacheDataTypeE1ELb0EEEvPT_PKS2_PKT0_S8_ifPKiSA_iPKfiiiSC_SC_iiiii,comdat
.Lfunc_end228:
	.size	_ZN4vllm25paged_attention_v1_kernelIthLi96ELi8ELi128ELNS_18Fp8KVCacheDataTypeE1ELb0EEEvPT_PKS2_PKT0_S8_ifPKiSA_iPKfiiiSC_SC_iiiii, .Lfunc_end228-_ZN4vllm25paged_attention_v1_kernelIthLi96ELi8ELi128ELNS_18Fp8KVCacheDataTypeE1ELb0EEEvPT_PKS2_PKT0_S8_ifPKiSA_iPKfiiiSC_SC_iiiii
                                        ; -- End function
	.set _ZN4vllm25paged_attention_v1_kernelIthLi96ELi8ELi128ELNS_18Fp8KVCacheDataTypeE1ELb0EEEvPT_PKS2_PKT0_S8_ifPKiSA_iPKfiiiSC_SC_iiiii.num_vgpr, 44
	.set _ZN4vllm25paged_attention_v1_kernelIthLi96ELi8ELi128ELNS_18Fp8KVCacheDataTypeE1ELb0EEEvPT_PKS2_PKT0_S8_ifPKiSA_iPKfiiiSC_SC_iiiii.num_agpr, 0
	.set _ZN4vllm25paged_attention_v1_kernelIthLi96ELi8ELi128ELNS_18Fp8KVCacheDataTypeE1ELb0EEEvPT_PKS2_PKT0_S8_ifPKiSA_iPKfiiiSC_SC_iiiii.numbered_sgpr, 40
	.set _ZN4vllm25paged_attention_v1_kernelIthLi96ELi8ELi128ELNS_18Fp8KVCacheDataTypeE1ELb0EEEvPT_PKS2_PKT0_S8_ifPKiSA_iPKfiiiSC_SC_iiiii.num_named_barrier, 0
	.set _ZN4vllm25paged_attention_v1_kernelIthLi96ELi8ELi128ELNS_18Fp8KVCacheDataTypeE1ELb0EEEvPT_PKS2_PKT0_S8_ifPKiSA_iPKfiiiSC_SC_iiiii.private_seg_size, 0
	.set _ZN4vllm25paged_attention_v1_kernelIthLi96ELi8ELi128ELNS_18Fp8KVCacheDataTypeE1ELb0EEEvPT_PKS2_PKT0_S8_ifPKiSA_iPKfiiiSC_SC_iiiii.uses_vcc, 1
	.set _ZN4vllm25paged_attention_v1_kernelIthLi96ELi8ELi128ELNS_18Fp8KVCacheDataTypeE1ELb0EEEvPT_PKS2_PKT0_S8_ifPKiSA_iPKfiiiSC_SC_iiiii.uses_flat_scratch, 0
	.set _ZN4vllm25paged_attention_v1_kernelIthLi96ELi8ELi128ELNS_18Fp8KVCacheDataTypeE1ELb0EEEvPT_PKS2_PKT0_S8_ifPKiSA_iPKfiiiSC_SC_iiiii.has_dyn_sized_stack, 0
	.set _ZN4vllm25paged_attention_v1_kernelIthLi96ELi8ELi128ELNS_18Fp8KVCacheDataTypeE1ELb0EEEvPT_PKS2_PKT0_S8_ifPKiSA_iPKfiiiSC_SC_iiiii.has_recursion, 0
	.set _ZN4vllm25paged_attention_v1_kernelIthLi96ELi8ELi128ELNS_18Fp8KVCacheDataTypeE1ELb0EEEvPT_PKS2_PKT0_S8_ifPKiSA_iPKfiiiSC_SC_iiiii.has_indirect_call, 0
	.section	.AMDGPU.csdata,"",@progbits
; Kernel info:
; codeLenInByte = 8352
; TotalNumSgprs: 46
; NumVgprs: 44
; NumAgprs: 0
; TotalNumVgprs: 44
; ScratchSize: 0
; MemoryBound: 0
; FloatMode: 240
; IeeeMode: 1
; LDSByteSize: 208 bytes/workgroup (compile time only)
; SGPRBlocks: 5
; VGPRBlocks: 5
; NumSGPRsForWavesPerEU: 46
; NumVGPRsForWavesPerEU: 44
; AccumOffset: 44
; Occupancy: 8
; WaveLimiterHint : 1
; COMPUTE_PGM_RSRC2:SCRATCH_EN: 0
; COMPUTE_PGM_RSRC2:USER_SGPR: 2
; COMPUTE_PGM_RSRC2:TRAP_HANDLER: 0
; COMPUTE_PGM_RSRC2:TGID_X_EN: 1
; COMPUTE_PGM_RSRC2:TGID_Y_EN: 1
; COMPUTE_PGM_RSRC2:TGID_Z_EN: 1
; COMPUTE_PGM_RSRC2:TIDIG_COMP_CNT: 0
; COMPUTE_PGM_RSRC3_GFX90A:ACCUM_OFFSET: 10
; COMPUTE_PGM_RSRC3_GFX90A:TG_SPLIT: 0
	.section	.text._ZN4vllm25paged_attention_v1_kernelIthLi112ELi8ELi128ELNS_18Fp8KVCacheDataTypeE1ELb0EEEvPT_PKS2_PKT0_S8_ifPKiSA_iPKfiiiSC_SC_iiiii,"axG",@progbits,_ZN4vllm25paged_attention_v1_kernelIthLi112ELi8ELi128ELNS_18Fp8KVCacheDataTypeE1ELb0EEEvPT_PKS2_PKT0_S8_ifPKiSA_iPKfiiiSC_SC_iiiii,comdat
	.protected	_ZN4vllm25paged_attention_v1_kernelIthLi112ELi8ELi128ELNS_18Fp8KVCacheDataTypeE1ELb0EEEvPT_PKS2_PKT0_S8_ifPKiSA_iPKfiiiSC_SC_iiiii ; -- Begin function _ZN4vllm25paged_attention_v1_kernelIthLi112ELi8ELi128ELNS_18Fp8KVCacheDataTypeE1ELb0EEEvPT_PKS2_PKT0_S8_ifPKiSA_iPKfiiiSC_SC_iiiii
	.globl	_ZN4vllm25paged_attention_v1_kernelIthLi112ELi8ELi128ELNS_18Fp8KVCacheDataTypeE1ELb0EEEvPT_PKS2_PKT0_S8_ifPKiSA_iPKfiiiSC_SC_iiiii
	.p2align	8
	.type	_ZN4vllm25paged_attention_v1_kernelIthLi112ELi8ELi128ELNS_18Fp8KVCacheDataTypeE1ELb0EEEvPT_PKS2_PKT0_S8_ifPKiSA_iPKfiiiSC_SC_iiiii,@function
_ZN4vllm25paged_attention_v1_kernelIthLi112ELi8ELi128ELNS_18Fp8KVCacheDataTypeE1ELb0EEEvPT_PKS2_PKT0_S8_ifPKiSA_iPKfiiiSC_SC_iiiii: ; @_ZN4vllm25paged_attention_v1_kernelIthLi112ELi8ELi128ELNS_18Fp8KVCacheDataTypeE1ELb0EEEvPT_PKS2_PKT0_S8_ifPKiSA_iPKfiiiSC_SC_iiiii
; %bb.0:
	s_load_dword s5, s[0:1], 0x80
	s_load_dwordx2 s[6:7], s[0:1], 0x30
	s_load_dwordx2 s[10:11], s[0:1], 0x20
	s_mov_b32 s20, s3
	s_ashr_i32 s21, s3, 31
	s_lshl_b64 s[8:9], s[20:21], 2
	s_waitcnt lgkmcnt(0)
	s_add_u32 s6, s6, s8
	s_addc_u32 s7, s7, s9
	s_abs_i32 s3, s10
	v_cvt_f32_u32_e32 v1, s3
	s_xor_b32 s8, s5, s10
	s_sub_i32 s10, 0, s3
	s_abs_i32 s9, s5
	v_rcp_iflag_f32_e32 v1, v1
	s_ashr_i32 s8, s8, 31
	v_mul_f32_e32 v1, 0x4f7ffffe, v1
	v_cvt_u32_f32_e32 v1, v1
	s_nop 0
	v_readfirstlane_b32 s12, v1
	s_mul_i32 s10, s10, s12
	s_mul_hi_u32 s10, s12, s10
	s_add_i32 s12, s12, s10
	s_mul_hi_u32 s10, s9, s12
	s_mul_i32 s12, s10, s3
	s_sub_i32 s9, s9, s12
	s_add_i32 s12, s10, 1
	s_sub_i32 s13, s9, s3
	s_cmp_ge_u32 s9, s3
	s_cselect_b32 s10, s12, s10
	s_cselect_b32 s9, s13, s9
	s_add_i32 s12, s10, 1
	s_cmp_ge_u32 s9, s3
	s_cselect_b32 s3, s12, s10
	s_xor_b32 s3, s3, s8
	s_sub_i32 s15, s3, s8
	s_abs_i32 s12, s15
	v_cvt_f32_u32_e32 v1, s12
	s_load_dwordx2 s[8:9], s[0:1], 0x40
	s_sub_i32 s3, 0, s12
	s_abs_i32 s13, s2
	v_rcp_iflag_f32_e32 v1, v1
	s_mov_b32 s10, 0
	v_mul_f32_e32 v1, 0x4f7ffffe, v1
	v_cvt_u32_f32_e32 v1, v1
	s_nop 0
	v_readfirstlane_b32 s14, v1
	s_mul_i32 s3, s3, s14
	s_mul_hi_u32 s3, s14, s3
	s_add_i32 s14, s14, s3
	s_waitcnt lgkmcnt(0)
	s_cmp_eq_u64 s[8:9], 0
	s_mul_hi_u32 s14, s13, s14
	s_cbranch_scc1 .LBB229_2
; %bb.1:
	s_ashr_i32 s3, s2, 31
	s_lshl_b64 s[16:17], s[2:3], 2
	s_add_u32 s8, s8, s16
	s_addc_u32 s9, s9, s17
	s_load_dword s10, s[8:9], 0x0
.LBB229_2:
	s_load_dword s21, s[6:7], 0x0
	s_load_dwordx4 s[16:19], s[0:1], 0x48
	s_movk_i32 s3, 0x70
	s_ashr_i32 s8, s2, 31
	s_ashr_i32 s9, s15, 31
	v_and_b32_e32 v6, 7, v0
	s_mul_i32 s22, s2, 0x70
	v_cmp_gt_u32_e64 s[6:7], s3, v0
	v_lshlrev_b32_e32 v2, 1, v0
	s_and_saveexec_b64 s[2:3], s[6:7]
	s_cbranch_execz .LBB229_4
; %bb.3:
	s_load_dwordx2 s[24:25], s[0:1], 0x8
	s_waitcnt lgkmcnt(0)
	s_mul_i32 s26, s16, s20
	s_ashr_i32 s27, s26, 31
	s_lshl_b64 s[26:27], s[26:27], 1
	v_lshrrev_b32_e32 v3, 2, v0
	s_add_u32 s15, s24, s26
	s_addc_u32 s16, s25, s27
	s_ashr_i32 s23, s22, 31
	s_lshl_b64 s[24:25], s[22:23], 1
	s_add_u32 s24, s15, s24
	s_addc_u32 s25, s16, s25
	global_load_ushort v1, v2, s[24:25]
	v_and_b32_e32 v3, 0xfe, v3
	v_mad_u32_u24 v3, v6, 28, v3
	s_waitcnt vmcnt(0)
	ds_write_b16 v3, v1
.LBB229_4:
	s_or_b64 exec, exec, s[2:3]
	s_waitcnt lgkmcnt(0)
	s_add_i32 s3, s21, 7
	s_ashr_i32 s15, s3, 31
	s_lshr_b32 s15, s15, 29
	s_add_i32 s3, s3, s15
	s_ashr_i32 s33, s3, 3
	s_xor_b32 s3, s8, s9
	s_mul_i32 s8, s14, s12
	s_sub_i32 s8, s13, s8
	s_add_i32 s9, s14, 1
	s_sub_i32 s13, s8, s12
	s_load_dwordx2 s[26:27], s[0:1], 0x28
	s_load_dword s2, s[0:1], 0x38
	s_cmp_ge_u32 s8, s12
	s_cselect_b32 s9, s9, s14
	s_cselect_b32 s8, s13, s8
	s_add_i32 s13, s9, 1
	s_cmp_ge_u32 s8, s12
	s_cselect_b32 s8, s13, s9
	v_lshrrev_b32_e32 v25, 6, v0
	s_xor_b32 s8, s8, s3
	s_waitcnt lgkmcnt(0)
	s_mul_i32 s28, s2, s20
	s_sub_i32 s16, s8, s3
	s_ashr_i32 s29, s28, 31
	v_cmp_gt_i32_e64 s[2:3], s33, v25
	v_cmp_le_i32_e32 vcc, s33, v25
	v_mbcnt_lo_u32_b32 v15, -1, 0
	s_barrier
                                        ; implicit-def: $vgpr3
                                        ; implicit-def: $vgpr10
                                        ; implicit-def: $vgpr4
	s_and_saveexec_b64 s[8:9], vcc
	s_xor_b64 s[8:9], exec, s[8:9]
; %bb.5:
	v_mbcnt_hi_u32_b32 v3, -1, v15
	v_and_b32_e32 v10, 64, v3
	v_add_u32_e32 v4, 64, v10
                                        ; implicit-def: $vgpr6
                                        ; implicit-def: $vgpr15
; %bb.6:
	s_or_saveexec_b64 s[34:35], s[8:9]
	s_load_dwordx2 s[24:25], s[0:1], 0x0
	s_load_dwordx2 s[30:31], s[0:1], 0x18
	s_load_dword s23, s[0:1], 0x88
	s_load_dwordx4 s[12:15], s[0:1], 0x58
	v_mov_b32_e32 v11, 0xff7fffff
	s_mul_i32 s16, s16, s18
	v_lshrrev_b32_e32 v1, 4, v0
	s_xor_b64 exec, exec, s[34:35]
	s_cbranch_execz .LBB229_12
; %bb.7:
	s_load_dwordx2 s[0:1], s[0:1], 0x10
	v_bfe_u32 v3, v0, 3, 3
	s_ashr_i32 s8, s16, 31
	v_lshlrev_b32_e32 v4, 4, v3
	v_lshl_or_b32 v13, v25, 3, v3
	s_waitcnt lgkmcnt(0)
	s_add_u32 s0, s0, s16
	v_lshlrev_b32_e32 v3, 2, v3
	s_addc_u32 s1, s1, s8
	s_sub_i32 s39, 1, s21
	v_lshl_or_b32 v3, v25, 5, v3
	s_lshl_b64 s[8:9], s[28:29], 2
	v_mov_b32_e32 v5, 0
	v_add_u32_e32 v14, 0xf0, v3
	s_add_u32 s8, s26, s8
	v_mbcnt_hi_u32_b32 v3, -1, v15
	v_lshl_add_u64 v[8:9], s[0:1], 0, v[4:5]
	v_mov_b32_e32 v7, v5
	v_and_b32_e32 v4, 60, v1
	s_addc_u32 s9, s27, s9
	v_and_b32_e32 v10, 64, v3
	s_mov_b32 s38, s17
	v_mul_u32_u24_e32 v12, 28, v6
	v_cmp_eq_u32_e32 vcc, 0, v6
	v_cmp_neq_f32_e64 s[0:1], s10, 0
	v_lshl_add_u64 v[6:7], v[8:9], 0, v[6:7]
	v_lshl_add_u64 v[8:9], s[8:9], 0, v[4:5]
	v_mov_b32_e32 v11, 0xff7fffff
	s_mov_b64 s[18:19], 0
	v_add_u32_e32 v4, 64, v10
	v_xor_b32_e32 v15, 4, v3
	v_xor_b32_e32 v16, 2, v3
	;; [unrolled: 1-line block ×3, first 2 shown]
	v_mov_b32_e32 v18, v25
	s_branch .LBB229_9
.LBB229_8:                              ;   in Loop: Header=BB229_9 Depth=1
	s_or_b64 exec, exec, s[36:37]
	v_add_u32_e32 v18, 2, v18
	v_cmp_le_i32_e64 s[8:9], s33, v18
	v_add_u32_e32 v13, 16, v13
	v_add_u32_e32 v14, 64, v14
	s_or_b64 s[18:19], s[8:9], s[18:19]
	v_lshl_add_u64 v[8:9], v[8:9], 0, 8
	s_andn2_b64 exec, exec, s[18:19]
	s_cbranch_execz .LBB229_11
.LBB229_9:                              ; =>This Inner Loop Header: Depth=1
	global_load_dword v19, v[8:9], off
	s_waitcnt vmcnt(0) lgkmcnt(0)
	v_mad_i64_i32 v[20:21], s[8:9], v19, s38, v[6:7]
	global_load_ubyte v19, v[20:21], off
	global_load_ubyte v22, v[20:21], off offset:8
	global_load_dword v23, v5, s[12:13]
	global_load_ubyte v24, v[20:21], off offset:128
	global_load_ubyte v26, v[20:21], off offset:136
	;; [unrolled: 1-line block ×12, first 2 shown]
	ds_read_u16 v21, v12
	s_waitcnt lgkmcnt(0)
	;;#ASMSTART
	v_cvt_f32_f16 v21, v21;
	;;#ASMEND
	v_cmp_lt_i32_e64 s[8:9], v15, v4
	s_waitcnt vmcnt(14)
	v_cvt_f32_fp8_e32 v19, v19
	s_waitcnt vmcnt(13)
	v_cvt_f32_fp8_e32 v22, v22
	v_cndmask_b32_e64 v20, v3, v15, s[8:9]
	s_waitcnt vmcnt(11)
	v_cvt_f32_fp8_e32 v24, v24
	v_fma_mixlo_f16 v19, v23, v19, 0
	s_waitcnt vmcnt(10)
	v_cvt_f32_fp8_e32 v26, v26
	v_and_b32_e32 v19, 0xffff, v19
	v_fma_mixlo_f16 v22, v23, v22, 0
	s_waitcnt vmcnt(9)
	v_cvt_f32_fp8_e32 v27, v27
	;;#ASMSTART
	v_cvt_f32_f16 v19, v19;
	;;#ASMEND
	ds_read_u16 v37, v12 offset:2
	v_and_b32_e32 v38, 0xffff, v22
	s_waitcnt lgkmcnt(0)
	;;#ASMSTART
	v_cvt_f32_f16 v22, v37;
	;;#ASMEND
	s_waitcnt vmcnt(8)
	v_cvt_f32_fp8_e32 v28, v28
	;;#ASMSTART
	v_cvt_f32_f16 v37, v38;
	;;#ASMEND
	v_fma_mixlo_f16 v24, v23, v24, 0
	s_waitcnt vmcnt(7)
	v_cvt_f32_fp8_e32 v29, v29
	v_mul_f32_e32 v22, v22, v37
	ds_read_u16 v38, v12 offset:4
	v_and_b32_e32 v39, 0xffff, v24
	v_fma_mixlo_f16 v26, v23, v26, 0
	s_waitcnt vmcnt(6)
	v_cvt_f32_fp8_e32 v30, v30
	v_fmac_f32_e32 v22, v21, v19
	s_waitcnt lgkmcnt(0)
	;;#ASMSTART
	v_cvt_f32_f16 v24, v38;
	;;#ASMEND
	;;#ASMSTART
	v_cvt_f32_f16 v38, v39;
	;;#ASMEND
	ds_read_u16 v39, v12 offset:6
	v_and_b32_e32 v40, 0xffff, v26
	v_fma_mixlo_f16 v27, v23, v27, 0
	v_fmac_f32_e32 v22, v24, v38
	s_waitcnt lgkmcnt(0)
	;;#ASMSTART
	v_cvt_f32_f16 v26, v39;
	;;#ASMEND
	;;#ASMSTART
	v_cvt_f32_f16 v39, v40;
	;;#ASMEND
	ds_read_u16 v40, v12 offset:8
	s_waitcnt vmcnt(5)
	v_cvt_f32_fp8_e32 v31, v31
	v_and_b32_e32 v41, 0xffff, v27
	v_fma_mixlo_f16 v28, v23, v28, 0
	v_fmac_f32_e32 v22, v26, v39
	s_waitcnt lgkmcnt(0)
	;;#ASMSTART
	v_cvt_f32_f16 v27, v40;
	;;#ASMEND
	;;#ASMSTART
	v_cvt_f32_f16 v40, v41;
	;;#ASMEND
	ds_read_u16 v41, v12 offset:10
	s_waitcnt vmcnt(4)
	v_cvt_f32_fp8_e32 v32, v32
	s_waitcnt vmcnt(3)
	v_cvt_f32_fp8_e32 v33, v33
	v_and_b32_e32 v42, 0xffff, v28
	v_fma_mixlo_f16 v29, v23, v29, 0
	v_fmac_f32_e32 v22, v27, v40
	s_waitcnt lgkmcnt(0)
	;;#ASMSTART
	v_cvt_f32_f16 v28, v41;
	;;#ASMEND
	;;#ASMSTART
	v_cvt_f32_f16 v41, v42;
	;;#ASMEND
	ds_read_u16 v42, v12 offset:12
	s_waitcnt vmcnt(2)
	v_cvt_f32_fp8_e32 v34, v34
	s_waitcnt vmcnt(1)
	v_cvt_f32_fp8_e32 v35, v35
	v_and_b32_e32 v43, 0xffff, v29
	s_waitcnt vmcnt(0)
	v_cvt_f32_fp8_e32 v36, v36
	v_fma_mixlo_f16 v30, v23, v30, 0
	v_fmac_f32_e32 v22, v28, v41
	s_waitcnt lgkmcnt(0)
	;;#ASMSTART
	v_cvt_f32_f16 v29, v42;
	;;#ASMEND
	;;#ASMSTART
	v_cvt_f32_f16 v42, v43;
	;;#ASMEND
	ds_read_u16 v43, v12 offset:14
	v_and_b32_e32 v44, 0xffff, v30
	v_fmac_f32_e32 v22, v29, v42
	v_fma_mixlo_f16 v31, v23, v31, 0
	s_waitcnt lgkmcnt(0)
	;;#ASMSTART
	v_cvt_f32_f16 v30, v43;
	;;#ASMEND
	;;#ASMSTART
	v_cvt_f32_f16 v43, v44;
	;;#ASMEND
	ds_read_u16 v44, v12 offset:16
	v_fmac_f32_e32 v22, v30, v43
	v_fma_mixlo_f16 v32, v23, v32, 0
	v_fma_mixlo_f16 v33, v23, v33, 0
	v_and_b32_e32 v45, 0xffff, v31
	s_waitcnt lgkmcnt(0)
	;;#ASMSTART
	v_cvt_f32_f16 v31, v44;
	;;#ASMEND
	;;#ASMSTART
	v_cvt_f32_f16 v44, v45;
	;;#ASMEND
	v_fma_mixlo_f16 v34, v23, v34, 0
	v_fmac_f32_e32 v22, v31, v44
	ds_read_u16 v45, v12 offset:18
	v_fma_mixlo_f16 v35, v23, v35, 0
	v_fma_mixlo_f16 v23, v23, v36, 0
	v_and_b32_e32 v36, 0xffff, v32
	v_and_b32_e32 v46, 0xffff, v33
	s_waitcnt lgkmcnt(0)
	;;#ASMSTART
	v_cvt_f32_f16 v32, v45;
	;;#ASMEND
	;;#ASMSTART
	v_cvt_f32_f16 v33, v36;
	;;#ASMEND
	ds_read_u16 v36, v12 offset:20
	v_fmac_f32_e32 v22, v32, v33
	v_and_b32_e32 v45, 0xffff, v34
	v_and_b32_e32 v47, 0xffff, v23
	s_waitcnt lgkmcnt(0)
	;;#ASMSTART
	v_cvt_f32_f16 v23, v36;
	;;#ASMEND
	;;#ASMSTART
	v_cvt_f32_f16 v34, v46;
	;;#ASMEND
	ds_read_u16 v36, v12 offset:22
	v_fmac_f32_e32 v22, v23, v34
	s_waitcnt lgkmcnt(0)
	;;#ASMSTART
	v_cvt_f32_f16 v19, v36;
	;;#ASMEND
	;;#ASMSTART
	v_cvt_f32_f16 v21, v45;
	;;#ASMEND
	ds_read_u16 v24, v12 offset:24
	v_fmac_f32_e32 v22, v19, v21
	v_and_b32_e32 v35, 0xffff, v35
	s_waitcnt lgkmcnt(0)
	;;#ASMSTART
	v_cvt_f32_f16 v24, v24;
	;;#ASMEND
	;;#ASMSTART
	v_cvt_f32_f16 v26, v35;
	;;#ASMEND
	v_lshlrev_b32_e32 v20, 2, v20
	v_fmac_f32_e32 v22, v24, v26
	ds_read_u16 v27, v12 offset:26
	s_waitcnt lgkmcnt(0)
	;;#ASMSTART
	v_cvt_f32_f16 v19, v27;
	;;#ASMEND
	;;#ASMSTART
	v_cvt_f32_f16 v21, v47;
	;;#ASMEND
	v_cmp_lt_i32_e64 s[8:9], v16, v4
	v_fmac_f32_e32 v22, v19, v21
	ds_bpermute_b32 v19, v20, v22
	v_cndmask_b32_e64 v20, v3, v16, s[8:9]
	v_lshlrev_b32_e32 v20, 2, v20
	v_cmp_lt_i32_e64 s[8:9], v17, v4
	s_waitcnt lgkmcnt(0)
	v_add_f32_e32 v19, v22, v19
	ds_bpermute_b32 v20, v20, v19
	v_cndmask_b32_e64 v21, v3, v17, s[8:9]
	s_waitcnt lgkmcnt(0)
	v_add_f32_e32 v19, v19, v20
	v_lshlrev_b32_e32 v20, 2, v21
	ds_bpermute_b32 v20, v20, v19
	s_and_saveexec_b64 s[36:37], vcc
	s_cbranch_execz .LBB229_8
; %bb.10:                               ;   in Loop: Header=BB229_9 Depth=1
	v_add_u32_e32 v21, s39, v13
	v_cvt_f32_i32_e32 v21, v21
	s_waitcnt lgkmcnt(0)
	v_add_f32_e32 v19, v19, v20
	v_cmp_gt_i32_e64 s[8:9], s21, v13
	v_max_f32_e32 v20, v11, v11
	v_mul_f32_e32 v21, s10, v21
	v_cndmask_b32_e64 v21, 0, v21, s[0:1]
	v_fmac_f32_e32 v21, s11, v19
	v_cndmask_b32_e64 v19, 0, v21, s[8:9]
	ds_write_b32 v14, v19
	v_max_f32_e32 v19, v20, v21
	v_cndmask_b32_e64 v11, v11, v19, s[8:9]
	s_branch .LBB229_8
.LBB229_11:
	s_or_b64 exec, exec, s[18:19]
.LBB229_12:
	s_or_b64 exec, exec, s[34:35]
	v_xor_b32_e32 v5, 32, v3
	v_cmp_lt_i32_e32 vcc, v5, v4
	v_xor_b32_e32 v8, 16, v3
	v_max_f32_e32 v7, v11, v11
	v_cndmask_b32_e32 v5, v3, v5, vcc
	v_lshlrev_b32_e32 v6, 2, v5
	ds_bpermute_b32 v5, v6, v11
	v_cmp_lt_i32_e32 vcc, v8, v4
	v_xor_b32_e32 v9, 8, v3
	v_and_b32_e32 v26, 63, v0
	s_waitcnt lgkmcnt(0)
	v_max_f32_e32 v5, v5, v5
	v_max_f32_e32 v5, v7, v5
	v_cndmask_b32_e32 v7, v3, v8, vcc
	v_lshlrev_b32_e32 v8, 2, v7
	ds_bpermute_b32 v7, v8, v5
	v_cmp_lt_i32_e32 vcc, v9, v4
	s_waitcnt lgkmcnt(0)
	v_max_f32_e32 v7, v7, v7
	v_max_f32_e32 v7, v5, v7
	v_cndmask_b32_e32 v5, v3, v9, vcc
	v_lshlrev_b32_e32 v11, 2, v5
	ds_bpermute_b32 v9, v11, v7
	v_cmp_eq_u32_e32 vcc, 0, v26
	v_lshlrev_b32_e32 v5, 2, v25
	s_and_saveexec_b64 s[0:1], vcc
	s_cbranch_execz .LBB229_14
; %bb.13:
	s_waitcnt lgkmcnt(0)
	v_max_f32_e32 v9, v9, v9
	v_max_f32_e32 v7, v7, v7
	;; [unrolled: 1-line block ×3, first 2 shown]
	ds_write_b32 v5, v7 offset:224
.LBB229_14:
	s_or_b64 exec, exec, s[0:1]
	v_cmp_gt_u32_e64 s[0:1], 2, v26
	v_mov_b32_e32 v12, 0xff7fffff
	v_lshlrev_b32_e32 v7, 2, v26
	s_waitcnt lgkmcnt(0)
	s_barrier
	s_and_saveexec_b64 s[8:9], s[0:1]
; %bb.15:
	ds_read_b32 v12, v7 offset:224
; %bb.16:
	s_or_b64 exec, exec, s[8:9]
	v_xor_b32_e32 v9, 1, v3
	v_cmp_lt_i32_e64 s[8:9], v9, v4
	v_lshlrev_b32_e32 v10, 2, v10
	s_nop 0
	v_cndmask_b32_e64 v9, v3, v9, s[8:9]
	v_lshlrev_b32_e32 v9, 2, v9
	s_waitcnt lgkmcnt(0)
	ds_bpermute_b32 v13, v9, v12
	v_max_f32_e32 v12, v12, v12
	s_lshl_b32 s8, s33, 3
	s_min_i32 s34, s8, s21
	v_cmp_gt_i32_e64 s[8:9], s34, v0
	s_waitcnt lgkmcnt(0)
	v_max_f32_e32 v13, v13, v13
	v_max_f32_e32 v12, v12, v13
	ds_bpermute_b32 v12, v10, v12
	v_mov_b32_e32 v10, 0
	s_and_saveexec_b64 s[12:13], s[8:9]
	s_cbranch_execz .LBB229_20
; %bb.17:
	v_mov_b32_e32 v10, 0xf0
	v_lshl_add_u32 v13, v0, 2, v10
	v_mov_b32_e32 v10, 0
	s_mov_b64 s[18:19], 0
	v_mov_b32_e32 v14, v0
.LBB229_18:                             ; =>This Inner Loop Header: Depth=1
	ds_read_b32 v15, v13
	v_add_u32_e32 v14, 0x80, v14
	v_cmp_le_i32_e64 s[10:11], s34, v14
	s_or_b64 s[18:19], s[10:11], s[18:19]
	s_waitcnt lgkmcnt(0)
	v_sub_f32_e32 v15, v15, v12
	v_mul_f32_e32 v15, 0x3fb8aa3b, v15
	v_exp_f32_e32 v15, v15
	ds_write_b32 v13, v15
	v_add_f32_e32 v10, v10, v15
	v_add_u32_e32 v13, 0x200, v13
	s_andn2_b64 exec, exec, s[18:19]
	s_cbranch_execnz .LBB229_18
; %bb.19:
	s_or_b64 exec, exec, s[18:19]
.LBB229_20:
	s_or_b64 exec, exec, s[12:13]
	ds_bpermute_b32 v6, v6, v10
	s_waitcnt lgkmcnt(0)
	v_add_f32_e32 v6, v10, v6
	ds_bpermute_b32 v8, v8, v6
	v_xor_b32_e32 v10, 4, v3
	v_cmp_lt_i32_e64 s[10:11], v10, v4
	s_waitcnt lgkmcnt(0)
	v_add_f32_e32 v6, v6, v8
	ds_bpermute_b32 v8, v11, v6
	v_cndmask_b32_e64 v10, v3, v10, s[10:11]
	v_lshlrev_b32_e32 v10, 2, v10
	s_waitcnt lgkmcnt(0)
	v_add_f32_e32 v6, v6, v8
	ds_bpermute_b32 v8, v10, v6
	v_xor_b32_e32 v10, 2, v3
	v_cmp_lt_i32_e64 s[10:11], v10, v4
	s_waitcnt lgkmcnt(0)
	v_add_f32_e32 v6, v6, v8
	v_cndmask_b32_e64 v4, v3, v10, s[10:11]
	v_lshlrev_b32_e32 v4, 2, v4
	ds_bpermute_b32 v4, v4, v6
	s_waitcnt lgkmcnt(0)
	v_add_f32_e32 v4, v6, v4
	ds_bpermute_b32 v6, v9, v4
	s_waitcnt lgkmcnt(0)
	v_add_f32_e32 v4, v4, v6
	s_and_saveexec_b64 s[10:11], vcc
; %bb.21:
	ds_write_b32 v5, v4 offset:232
; %bb.22:
	s_or_b64 exec, exec, s[10:11]
	s_waitcnt lgkmcnt(0)
	s_barrier
	s_and_saveexec_b64 s[10:11], s[0:1]
; %bb.23:
	ds_read_b32 v4, v7 offset:232
; %bb.24:
	s_or_b64 exec, exec, s[10:11]
	s_waitcnt lgkmcnt(0)
	ds_bpermute_b32 v5, v9, v4
	v_lshlrev_b32_e32 v3, 2, v3
	v_and_b32_e32 v3, 0xffffff00, v3
	s_waitcnt lgkmcnt(0)
	v_add_f32_e32 v4, v4, v5
	ds_bpermute_b32 v3, v3, v4
	s_and_saveexec_b64 s[0:1], s[8:9]
	s_cbranch_execz .LBB229_37
; %bb.25:
	s_waitcnt lgkmcnt(0)
	v_add_f32_e32 v3, 0x358637bd, v3
	v_div_scale_f32 v4, s[8:9], v3, v3, 1.0
	v_rcp_f32_e32 v5, v4
	v_div_scale_f32 v6, vcc, 1.0, v3, 1.0
	s_movk_i32 s8, 0x7f
	v_fma_f32 v7, -v4, v5, 1.0
	v_fmac_f32_e32 v5, v7, v5
	v_mul_f32_e32 v7, v6, v5
	v_fma_f32 v8, -v4, v7, v6
	v_fmac_f32_e32 v7, v8, v5
	v_fma_f32 v4, -v4, v7, v6
	v_div_fmas_f32 v4, v4, v5, v7
	v_xad_u32 v5, v0, -1, s34
	v_div_fixup_f32 v4, v4, v3, 1.0
	v_cmp_lt_u32_e32 vcc, s8, v5
	s_mov_b64 s[10:11], -1
	v_mov_b32_e32 v3, v0
	s_and_saveexec_b64 s[8:9], vcc
	s_cbranch_execz .LBB229_34
; %bb.26:
	v_lshrrev_b32_e32 v3, 7, v5
	v_add_u32_e32 v7, -1, v3
	v_lshrrev_b32_e32 v6, 1, v7
	v_mov_b32_e32 v5, v4
	v_add_u32_e32 v6, 1, v6
	v_cmp_lt_u32_e32 vcc, 13, v7
	v_mov_b32_e32 v9, 0
	s_and_saveexec_b64 s[10:11], vcc
	s_cbranch_execz .LBB229_30
; %bb.27:
	v_mov_b32_e32 v8, 0xf0
	v_and_b32_e32 v7, -8, v6
	v_lshl_add_u32 v8, v0, 2, v8
	s_mov_b32 s18, 0
	s_mov_b64 s[12:13], 0
.LBB229_28:                             ; =>This Inner Loop Header: Depth=1
	ds_read2st64_b32 v[10:11], v8 offset1:2
	ds_read2st64_b32 v[12:13], v8 offset0:4 offset1:6
	ds_read2st64_b32 v[14:15], v8 offset0:8 offset1:10
	;; [unrolled: 1-line block ×3, first 2 shown]
	v_add_u32_e32 v7, -8, v7
	s_waitcnt lgkmcnt(3)
	v_pk_mul_f32 v[10:11], v[4:5], v[10:11]
	s_waitcnt lgkmcnt(2)
	v_pk_mul_f32 v[12:13], v[4:5], v[12:13]
	ds_write2st64_b32 v8, v10, v11 offset1:2
	ds_write2st64_b32 v8, v12, v13 offset0:4 offset1:6
	ds_read2st64_b32 v[12:13], v8 offset0:16 offset1:18
	s_waitcnt lgkmcnt(4)
	v_pk_mul_f32 v[10:11], v[4:5], v[14:15]
	ds_write2st64_b32 v8, v10, v11 offset0:8 offset1:10
	s_waitcnt lgkmcnt(4)
	v_pk_mul_f32 v[10:11], v[4:5], v[16:17]
	ds_write2st64_b32 v8, v10, v11 offset0:12 offset1:14
	ds_read2st64_b32 v[10:11], v8 offset0:20 offset1:22
	s_waitcnt lgkmcnt(3)
	v_pk_mul_f32 v[12:13], v[4:5], v[12:13]
	ds_read2st64_b32 v[14:15], v8 offset0:24 offset1:26
	ds_write2st64_b32 v8, v12, v13 offset0:16 offset1:18
	ds_read2st64_b32 v[12:13], v8 offset0:28 offset1:30
	s_waitcnt lgkmcnt(3)
	v_pk_mul_f32 v[10:11], v[4:5], v[10:11]
	ds_write2st64_b32 v8, v10, v11 offset0:20 offset1:22
	s_waitcnt lgkmcnt(3)
	v_pk_mul_f32 v[10:11], v[4:5], v[14:15]
	ds_write2st64_b32 v8, v10, v11 offset0:24 offset1:26
	s_waitcnt lgkmcnt(2)
	v_pk_mul_f32 v[10:11], v[4:5], v[12:13]
	s_add_i32 s18, s18, 16
	v_cmp_eq_u32_e32 vcc, 0, v7
	ds_write2st64_b32 v8, v10, v11 offset0:28 offset1:30
	v_add_u32_e32 v8, 0x2000, v8
	s_or_b64 s[12:13], vcc, s[12:13]
	v_mov_b32_e32 v9, s18
	s_andn2_b64 exec, exec, s[12:13]
	s_cbranch_execnz .LBB229_28
; %bb.29:
	s_or_b64 exec, exec, s[12:13]
.LBB229_30:
	s_or_b64 exec, exec, s[10:11]
	v_and_b32_e32 v6, 7, v6
	v_cmp_ne_u32_e32 vcc, 0, v6
	s_and_saveexec_b64 s[10:11], vcc
	s_cbranch_execz .LBB229_33
; %bb.31:
	v_lshlrev_b32_e32 v7, 9, v9
	v_lshlrev_b32_e32 v8, 2, v0
	s_movk_i32 s12, 0xf0
	v_add3_u32 v7, v7, v8, s12
	s_mov_b64 s[12:13], 0
.LBB229_32:                             ; =>This Inner Loop Header: Depth=1
	ds_read2st64_b32 v[8:9], v7 offset1:2
	v_add_u32_e32 v6, -1, v6
	v_cmp_eq_u32_e32 vcc, 0, v6
	s_or_b64 s[12:13], vcc, s[12:13]
	s_waitcnt lgkmcnt(0)
	v_pk_mul_f32 v[8:9], v[4:5], v[8:9]
	ds_write2st64_b32 v7, v8, v9 offset1:2
	v_add_u32_e32 v7, 0x400, v7
	s_andn2_b64 exec, exec, s[12:13]
	s_cbranch_execnz .LBB229_32
.LBB229_33:
	s_or_b64 exec, exec, s[10:11]
	v_add_u32_e32 v5, 1, v3
	v_and_b32_e32 v6, 0x3fffffe, v5
	v_cmp_ne_u32_e32 vcc, v5, v6
	v_lshl_add_u32 v3, v6, 7, v0
	s_orn2_b64 s[10:11], vcc, exec
.LBB229_34:
	s_or_b64 exec, exec, s[8:9]
	s_and_b64 exec, exec, s[10:11]
	s_cbranch_execz .LBB229_37
; %bb.35:
	v_mov_b32_e32 v5, 0xf0
	v_lshl_add_u32 v5, v3, 2, v5
	s_mov_b64 s[8:9], 0
.LBB229_36:                             ; =>This Inner Loop Header: Depth=1
	ds_read_b32 v6, v5
	v_add_u32_e32 v3, 0x80, v3
	v_cmp_le_i32_e32 vcc, s34, v3
	s_or_b64 s[8:9], vcc, s[8:9]
	s_waitcnt lgkmcnt(0)
	v_mul_f32_e32 v6, v4, v6
	ds_write_b32 v5, v6
	v_add_u32_e32 v5, 0x200, v5
	s_andn2_b64 exec, exec, s[8:9]
	s_cbranch_execnz .LBB229_36
.LBB229_37:
	s_or_b64 exec, exec, s[0:1]
	v_mov_b32_e32 v28, 0
	v_mov_b32_e32 v27, 0
	s_waitcnt lgkmcnt(0)
	s_barrier
	s_and_saveexec_b64 s[8:9], s[2:3]
	s_cbranch_execz .LBB229_143
; %bb.38:
	s_ashr_i32 s1, s16, 31
	s_add_u32 s0, s30, s16
	v_or_b32_e32 v3, 64, v26
	s_movk_i32 s2, 0x70
	s_addc_u32 s1, s31, s1
	s_add_i32 s30, s33, -1
	v_cmp_gt_u32_e32 vcc, s2, v3
	s_lshl_b64 s[2:3], s[28:29], 2
	s_add_u32 s2, s26, s2
	s_mov_b32 s10, -1
	v_mov_b32_e32 v7, 0
	v_lshlrev_b32_e32 v8, 3, v3
	v_mov_b32_e32 v3, 0xf0
	v_and_b32_e32 v6, 60, v1
	s_addc_u32 s3, s27, s3
	s_mov_b32 s34, s17
	s_mov_b32 s11, 0xffffff
	v_lshlrev_b32_e32 v4, 3, v26
	v_mov_b32_e32 v5, v7
	v_mov_b32_e32 v9, v7
	s_mov_b32 s31, s21
	v_lshlrev_b32_e32 v29, 3, v25
	v_lshl_add_u32 v30, v25, 5, v3
	v_lshl_add_u64 v[10:11], s[2:3], 0, v[6:7]
	s_mov_b64 s[12:13], 0
	v_mov_b64_e32 v[12:13], s[0:1]
	s_movk_i32 s35, 0x80
	s_movk_i32 s36, 0x7f
	s_mov_b32 s37, 0x8000
	v_mov_b32_e32 v31, 0x2000
	v_mov_b32_e32 v27, 0
	;; [unrolled: 1-line block ×3, first 2 shown]
	s_branch .LBB229_41
.LBB229_39:                             ;   in Loop: Header=BB229_41 Depth=1
	s_or_b64 exec, exec, s[18:19]
	;;#ASMSTART
	v_pk_mul_f16 v1, v35, v1;

	;;#ASMEND
	;;#ASMSTART
	v_pk_mul_f16 v3, v34, v16;

	;;#ASMEND
	;; [unrolled: 4-line block ×4, first 2 shown]
	s_nop 0
	;;#ASMSTART
	v_pk_add_f16 v1, v1, v3;

	;;#ASMEND
	s_nop 0
	;;#ASMSTART
	v_pk_add_f16 v1, v1, v6;

	;;#ASMEND
	;; [unrolled: 5-line block ×3, first 2 shown]
	s_nop 0
	v_lshrrev_b32_e32 v3, 16, v1
	v_and_b32_e32 v1, 0xffff, v1
	;;#ASMSTART
	v_cvt_f32_f16 v1, v1;
	;;#ASMEND
	;;#ASMSTART
	v_cvt_f32_f16 v3, v3;
	;;#ASMEND
	s_nop 0
	v_add_f32_e32 v1, v1, v3
	v_add_f32_e32 v27, v27, v1
.LBB229_40:                             ;   in Loop: Header=BB229_41 Depth=1
	s_or_b64 exec, exec, s[16:17]
	v_add_u32_e32 v25, 2, v25
	v_add_f32_e32 v1, v23, v24
	v_cmp_le_i32_e64 s[0:1], s33, v25
	v_add_f32_e32 v28, v28, v1
	v_add_u32_e32 v29, 16, v29
	v_add_u32_e32 v30, 64, v30
	s_or_b64 s[12:13], s[0:1], s[12:13]
	v_lshl_add_u64 v[10:11], v[10:11], 0, 8
	s_andn2_b64 exec, exec, s[12:13]
	s_cbranch_execz .LBB229_142
.LBB229_41:                             ; =>This Inner Loop Header: Depth=1
	global_load_dword v1, v[10:11], off
	ds_read2_b64 v[14:17], v30 offset1:1
	ds_read2_b64 v[18:21], v30 offset0:2 offset1:3
	s_waitcnt lgkmcnt(1)
	;;#ASMSTART
	v_cvt_f16_f32 v32, v14;

	;;#ASMEND
	;;#ASMSTART
	v_cvt_f16_f32 v33, v15;

	;;#ASMEND
	;; [unrolled: 4-line block ×4, first 2 shown]
	s_waitcnt lgkmcnt(0)
	;;#ASMSTART
	v_cvt_f16_f32 v37, v18;

	;;#ASMEND
	;;#ASMSTART
	v_cvt_f16_f32 v38, v19;

	;;#ASMEND
	;; [unrolled: 4-line block ×4, first 2 shown]
	s_waitcnt vmcnt(0)
	v_mad_i64_i32 v[14:15], s[0:1], v1, s34, v[12:13]
	v_lshl_add_u64 v[20:21], v[14:15], 0, v[4:5]
	global_load_dwordx2 v[18:19], v[20:21], off
	global_load_dword v16, v7, s[14:15]
	v_mov_b32_e32 v1, 0
	s_waitcnt vmcnt(1)
	v_cmp_ne_u16_sdwa s[0:1], v18, v7 src0_sel:BYTE_0 src1_sel:DWORD
	s_and_saveexec_b64 s[2:3], s[0:1]
	s_cbranch_execz .LBB229_47
; %bb.42:                               ;   in Loop: Header=BB229_41 Depth=1
	v_cmp_ne_u16_sdwa s[0:1], v18, s35 src0_sel:BYTE_0 src1_sel:DWORD
	v_mov_b32_e32 v1, 0x8000
	s_and_saveexec_b64 s[16:17], s[0:1]
	s_cbranch_execz .LBB229_46
; %bb.43:                               ;   in Loop: Header=BB229_41 Depth=1
	v_and_b32_e32 v3, 0x7f, v18
	v_cmp_ne_u32_e64 s[0:1], s36, v3
	v_mov_b32_e32 v1, 0x7c01
	s_and_saveexec_b64 s[18:19], s[0:1]
	s_cbranch_execz .LBB229_45
; %bb.44:                               ;   in Loop: Header=BB229_41 Depth=1
	v_and_b32_e32 v1, 7, v18
	v_ffbh_u32_e32 v17, v1
	v_min_u32_e32 v17, 32, v17
	v_lshrrev_b32_e32 v6, 3, v3
	v_subrev_u32_e32 v20, 28, v17
	v_sub_u32_e32 v17, 29, v17
	v_cmp_gt_u32_e64 s[0:1], 8, v3
	v_lshlrev_b64 v[20:21], v20, v[18:19]
	s_nop 0
	v_cndmask_b32_e64 v3, v6, v17, s[0:1]
	v_lshl_add_u32 v3, v3, 10, v31
	v_lshlrev_b32_e32 v6, 8, v18
	v_and_b32_e32 v17, 7, v20
	v_and_b32_e32 v3, 0xfc00, v3
	v_cndmask_b32_e64 v1, v1, v17, s[0:1]
	v_and_or_b32 v3, v6, s37, v3
	v_lshl_or_b32 v1, v1, 7, v3
.LBB229_45:                             ;   in Loop: Header=BB229_41 Depth=1
	s_or_b64 exec, exec, s[18:19]
.LBB229_46:                             ;   in Loop: Header=BB229_41 Depth=1
	s_or_b64 exec, exec, s[16:17]
.LBB229_47:                             ;   in Loop: Header=BB229_41 Depth=1
	s_or_b64 exec, exec, s[2:3]
	v_lshrrev_b16_e32 v6, 8, v18
	v_cmp_ne_u16_e64 s[0:1], 0, v6
	v_mov_b32_e32 v3, 0
	v_mov_b32_e32 v17, 0
	s_and_saveexec_b64 s[2:3], s[0:1]
	s_cbranch_execz .LBB229_53
; %bb.48:                               ;   in Loop: Header=BB229_41 Depth=1
	v_cmp_ne_u16_e64 s[0:1], s35, v6
	v_bfrev_b32_e32 v17, 1
	s_and_saveexec_b64 s[16:17], s[0:1]
	s_cbranch_execz .LBB229_52
; %bb.49:                               ;   in Loop: Header=BB229_41 Depth=1
	v_and_b32_e32 v20, 0x7f, v6
	v_cmp_ne_u32_e64 s[0:1], s36, v20
	v_mov_b32_e32 v17, 0x7c010000
	s_and_saveexec_b64 s[18:19], s[0:1]
	s_cbranch_execz .LBB229_51
; %bb.50:                               ;   in Loop: Header=BB229_41 Depth=1
	v_and_b32_e32 v17, 7, v6
	v_ffbh_u32_e32 v22, v17
	v_min_u32_e32 v24, 32, v22
	v_subrev_u32_e32 v22, 28, v24
	v_lshlrev_b64 v[22:23], v22, v[6:7]
	v_lshrrev_b32_e32 v21, 3, v20
	v_sub_u32_e32 v23, 29, v24
	v_cmp_gt_u32_e64 s[0:1], 8, v20
	v_lshlrev_b32_e32 v6, 8, v6
	s_nop 0
	v_cndmask_b32_e64 v20, v21, v23, s[0:1]
	v_lshl_add_u32 v20, v20, 10, v31
	v_and_b32_e32 v21, 7, v22
	v_and_or_b32 v6, v6, s37, v20
	v_cndmask_b32_e64 v17, v17, v21, s[0:1]
	v_lshlrev_b32_e32 v6, 16, v6
	v_lshl_or_b32 v17, v17, 23, v6
.LBB229_51:                             ;   in Loop: Header=BB229_41 Depth=1
	s_or_b64 exec, exec, s[18:19]
.LBB229_52:                             ;   in Loop: Header=BB229_41 Depth=1
	s_or_b64 exec, exec, s[16:17]
.LBB229_53:                             ;   in Loop: Header=BB229_41 Depth=1
	s_or_b64 exec, exec, s[2:3]
	v_lshrrev_b32_e32 v6, 16, v18
	v_cmp_ne_u16_sdwa s[0:1], v6, v7 src0_sel:BYTE_0 src1_sel:DWORD
	s_and_saveexec_b64 s[2:3], s[0:1]
	s_cbranch_execz .LBB229_59
; %bb.54:                               ;   in Loop: Header=BB229_41 Depth=1
	v_cmp_ne_u16_sdwa s[0:1], v6, s35 src0_sel:BYTE_0 src1_sel:DWORD
	v_mov_b32_e32 v3, 0x8000
	s_and_saveexec_b64 s[16:17], s[0:1]
	s_cbranch_execz .LBB229_58
; %bb.55:                               ;   in Loop: Header=BB229_41 Depth=1
	v_bfe_u32 v20, v18, 16, 7
	v_cmp_ne_u32_e64 s[0:1], s36, v20
	v_mov_b32_e32 v3, 0x7c01
	s_and_saveexec_b64 s[18:19], s[0:1]
	s_cbranch_execz .LBB229_57
; %bb.56:                               ;   in Loop: Header=BB229_41 Depth=1
	v_and_b32_e32 v3, 7, v6
	v_ffbh_u32_e32 v22, v3
	v_min_u32_e32 v24, 32, v22
	v_subrev_u32_e32 v22, 28, v24
	v_lshlrev_b64 v[22:23], v22, v[6:7]
	v_lshrrev_b32_e32 v21, 3, v20
	v_sub_u32_e32 v23, 29, v24
	v_cmp_gt_u32_e64 s[0:1], 8, v20
	v_lshlrev_b32_e32 v6, 8, v6
	s_nop 0
	v_cndmask_b32_e64 v20, v21, v23, s[0:1]
	v_lshl_add_u32 v20, v20, 10, v31
	v_and_b32_e32 v21, 7, v22
	v_and_b32_e32 v20, 0xfc00, v20
	v_cndmask_b32_e64 v3, v3, v21, s[0:1]
	v_and_or_b32 v6, v6, s37, v20
	v_lshl_or_b32 v3, v3, 7, v6
.LBB229_57:                             ;   in Loop: Header=BB229_41 Depth=1
	s_or_b64 exec, exec, s[18:19]
.LBB229_58:                             ;   in Loop: Header=BB229_41 Depth=1
	s_or_b64 exec, exec, s[16:17]
.LBB229_59:                             ;   in Loop: Header=BB229_41 Depth=1
	s_or_b64 exec, exec, s[2:3]
	v_cmp_lt_u32_e64 s[0:1], s11, v18
	v_mov_b32_e32 v21, 0
	v_mov_b32_e32 v20, 0
	s_and_saveexec_b64 s[2:3], s[0:1]
	s_cbranch_execz .LBB229_65
; %bb.60:                               ;   in Loop: Header=BB229_41 Depth=1
	v_lshrrev_b32_e32 v6, 24, v18
	v_cmp_ne_u32_e64 s[0:1], s35, v6
	v_bfrev_b32_e32 v20, 1
	s_and_saveexec_b64 s[16:17], s[0:1]
	s_cbranch_execz .LBB229_64
; %bb.61:                               ;   in Loop: Header=BB229_41 Depth=1
	v_and_b32_e32 v22, 0x7f, v6
	v_cmp_ne_u32_e64 s[0:1], s36, v22
	v_mov_b32_e32 v20, 0x7c010000
	s_and_saveexec_b64 s[18:19], s[0:1]
	s_cbranch_execz .LBB229_63
; %bb.62:                               ;   in Loop: Header=BB229_41 Depth=1
	v_and_b32_e32 v20, 7, v6
	v_ffbh_u32_e32 v24, v20
	v_min_u32_e32 v24, 32, v24
	v_lshrrev_b32_e32 v23, 3, v22
	v_subrev_u32_e32 v35, 28, v24
	v_sub_u32_e32 v24, 29, v24
	v_cmp_gt_u32_e64 s[0:1], 8, v22
	v_lshlrev_b64 v[42:43], v35, v[6:7]
	v_lshlrev_b32_e32 v6, 8, v6
	v_cndmask_b32_e64 v22, v23, v24, s[0:1]
	v_lshl_add_u32 v22, v22, 10, v31
	v_and_b32_e32 v23, 7, v42
	v_and_or_b32 v6, v6, s37, v22
	v_cndmask_b32_e64 v20, v20, v23, s[0:1]
	v_lshlrev_b32_e32 v6, 16, v6
	v_lshl_or_b32 v20, v20, 23, v6
.LBB229_63:                             ;   in Loop: Header=BB229_41 Depth=1
	s_or_b64 exec, exec, s[18:19]
.LBB229_64:                             ;   in Loop: Header=BB229_41 Depth=1
	s_or_b64 exec, exec, s[16:17]
.LBB229_65:                             ;   in Loop: Header=BB229_41 Depth=1
	s_or_b64 exec, exec, s[2:3]
	v_mov_b32_e32 v6, v19
	v_cmp_ne_u16_sdwa s[0:1], v19, v7 src0_sel:BYTE_0 src1_sel:DWORD
	s_and_saveexec_b64 s[2:3], s[0:1]
	s_cbranch_execz .LBB229_71
; %bb.66:                               ;   in Loop: Header=BB229_41 Depth=1
	v_cmp_ne_u16_sdwa s[0:1], v19, s35 src0_sel:BYTE_0 src1_sel:DWORD
	v_mov_b32_e32 v21, 0x8000
	s_and_saveexec_b64 s[16:17], s[0:1]
	s_cbranch_execz .LBB229_70
; %bb.67:                               ;   in Loop: Header=BB229_41 Depth=1
	v_and_b32_e32 v22, 0x7f, v19
	v_cmp_ne_u32_e64 s[0:1], s36, v22
	v_mov_b32_e32 v21, 0x7c01
	s_and_saveexec_b64 s[18:19], s[0:1]
	s_cbranch_execz .LBB229_69
; %bb.68:                               ;   in Loop: Header=BB229_41 Depth=1
	v_and_b32_e32 v21, 7, v19
	v_ffbh_u32_e32 v24, v21
	v_min_u32_e32 v24, 32, v24
	v_lshrrev_b32_e32 v23, 3, v22
	v_subrev_u32_e32 v35, 28, v24
	v_sub_u32_e32 v24, 29, v24
	v_cmp_gt_u32_e64 s[0:1], 8, v22
	v_lshlrev_b64 v[42:43], v35, v[6:7]
	s_nop 0
	v_cndmask_b32_e64 v22, v23, v24, s[0:1]
	v_lshl_add_u32 v22, v22, 10, v31
	v_lshlrev_b32_e32 v23, 8, v19
	v_and_b32_e32 v24, 7, v42
	v_and_b32_e32 v22, 0xfc00, v22
	v_cndmask_b32_e64 v21, v21, v24, s[0:1]
	v_and_or_b32 v22, v23, s37, v22
	v_lshl_or_b32 v21, v21, 7, v22
.LBB229_69:                             ;   in Loop: Header=BB229_41 Depth=1
	s_or_b64 exec, exec, s[18:19]
.LBB229_70:                             ;   in Loop: Header=BB229_41 Depth=1
	s_or_b64 exec, exec, s[16:17]
.LBB229_71:                             ;   in Loop: Header=BB229_41 Depth=1
	s_or_b64 exec, exec, s[2:3]
	v_lshrrev_b16_e32 v6, 8, v6
	v_cmp_ne_u16_e64 s[0:1], 0, v6
	v_mov_b32_e32 v23, 0
	v_mov_b32_e32 v22, 0
	s_and_saveexec_b64 s[2:3], s[0:1]
	s_cbranch_execz .LBB229_77
; %bb.72:                               ;   in Loop: Header=BB229_41 Depth=1
	v_cmp_ne_u16_e64 s[0:1], s35, v6
	v_bfrev_b32_e32 v22, 1
	s_and_saveexec_b64 s[16:17], s[0:1]
	s_cbranch_execz .LBB229_76
; %bb.73:                               ;   in Loop: Header=BB229_41 Depth=1
	v_and_b32_e32 v24, 0x7f, v6
	v_cmp_ne_u32_e64 s[0:1], s36, v24
	v_mov_b32_e32 v22, 0x7c010000
	s_and_saveexec_b64 s[18:19], s[0:1]
	s_cbranch_execz .LBB229_75
; %bb.74:                               ;   in Loop: Header=BB229_41 Depth=1
	v_and_b32_e32 v22, 7, v6
	v_ffbh_u32_e32 v41, v22
	v_min_u32_e32 v41, 32, v41
	v_lshrrev_b32_e32 v35, 3, v24
	v_subrev_u32_e32 v42, 28, v41
	v_sub_u32_e32 v41, 29, v41
	v_cmp_gt_u32_e64 s[0:1], 8, v24
	v_lshlrev_b64 v[42:43], v42, v[6:7]
	v_lshlrev_b32_e32 v6, 8, v6
	v_cndmask_b32_e64 v24, v35, v41, s[0:1]
	v_lshl_add_u32 v24, v24, 10, v31
	v_and_b32_e32 v35, 7, v42
	v_and_or_b32 v6, v6, s37, v24
	v_cndmask_b32_e64 v22, v22, v35, s[0:1]
	v_lshlrev_b32_e32 v6, 16, v6
	v_lshl_or_b32 v22, v22, 23, v6
.LBB229_75:                             ;   in Loop: Header=BB229_41 Depth=1
	s_or_b64 exec, exec, s[18:19]
.LBB229_76:                             ;   in Loop: Header=BB229_41 Depth=1
	s_or_b64 exec, exec, s[16:17]
.LBB229_77:                             ;   in Loop: Header=BB229_41 Depth=1
	s_or_b64 exec, exec, s[2:3]
	v_lshrrev_b32_e32 v6, 16, v19
	v_cmp_ne_u16_sdwa s[0:1], v6, v7 src0_sel:BYTE_0 src1_sel:DWORD
	s_and_saveexec_b64 s[2:3], s[0:1]
	s_cbranch_execz .LBB229_83
; %bb.78:                               ;   in Loop: Header=BB229_41 Depth=1
	v_cmp_ne_u16_sdwa s[0:1], v6, s35 src0_sel:BYTE_0 src1_sel:DWORD
	v_mov_b32_e32 v23, 0x8000
	s_and_saveexec_b64 s[16:17], s[0:1]
	s_cbranch_execz .LBB229_82
; %bb.79:                               ;   in Loop: Header=BB229_41 Depth=1
	v_bfe_u32 v24, v19, 16, 7
	v_cmp_ne_u32_e64 s[0:1], s36, v24
	v_mov_b32_e32 v23, 0x7c01
	s_and_saveexec_b64 s[18:19], s[0:1]
	s_cbranch_execz .LBB229_81
; %bb.80:                               ;   in Loop: Header=BB229_41 Depth=1
	v_and_b32_e32 v23, 7, v6
	v_ffbh_u32_e32 v41, v23
	v_min_u32_e32 v41, 32, v41
	v_lshrrev_b32_e32 v35, 3, v24
	v_subrev_u32_e32 v42, 28, v41
	v_sub_u32_e32 v41, 29, v41
	v_cmp_gt_u32_e64 s[0:1], 8, v24
	v_lshlrev_b64 v[42:43], v42, v[6:7]
	v_lshlrev_b32_e32 v6, 8, v6
	v_cndmask_b32_e64 v24, v35, v41, s[0:1]
	v_lshl_add_u32 v24, v24, 10, v31
	v_and_b32_e32 v35, 7, v42
	v_and_b32_e32 v24, 0xfc00, v24
	v_cndmask_b32_e64 v23, v23, v35, s[0:1]
	v_and_or_b32 v6, v6, s37, v24
	v_lshl_or_b32 v23, v23, 7, v6
.LBB229_81:                             ;   in Loop: Header=BB229_41 Depth=1
	s_or_b64 exec, exec, s[18:19]
.LBB229_82:                             ;   in Loop: Header=BB229_41 Depth=1
	s_or_b64 exec, exec, s[16:17]
.LBB229_83:                             ;   in Loop: Header=BB229_41 Depth=1
	s_or_b64 exec, exec, s[2:3]
	v_cmp_lt_u64_e64 s[0:1], s[10:11], v[18:19]
	v_mov_b32_e32 v24, 0
	s_and_saveexec_b64 s[2:3], s[0:1]
	s_cbranch_execz .LBB229_89
; %bb.84:                               ;   in Loop: Header=BB229_41 Depth=1
	v_lshrrev_b32_e32 v6, 24, v19
	v_cmp_ne_u32_e64 s[0:1], s35, v6
	v_bfrev_b32_e32 v24, 1
	s_and_saveexec_b64 s[16:17], s[0:1]
	s_cbranch_execz .LBB229_88
; %bb.85:                               ;   in Loop: Header=BB229_41 Depth=1
	v_and_b32_e32 v18, 0x7f, v6
	v_cmp_ne_u32_e64 s[0:1], s36, v18
	v_mov_b32_e32 v24, 0x7c010000
	s_and_saveexec_b64 s[18:19], s[0:1]
	s_cbranch_execz .LBB229_87
; %bb.86:                               ;   in Loop: Header=BB229_41 Depth=1
	v_and_b32_e32 v19, 7, v6
	v_ffbh_u32_e32 v35, v19
	v_min_u32_e32 v35, 32, v35
	v_lshrrev_b32_e32 v24, 3, v18
	v_subrev_u32_e32 v41, 28, v35
	v_sub_u32_e32 v35, 29, v35
	v_cmp_gt_u32_e64 s[0:1], 8, v18
	v_lshlrev_b64 v[42:43], v41, v[6:7]
	v_lshlrev_b32_e32 v6, 8, v6
	v_cndmask_b32_e64 v18, v24, v35, s[0:1]
	v_lshl_add_u32 v18, v18, 10, v31
	v_and_b32_e32 v24, 7, v42
	v_and_or_b32 v6, v6, s37, v18
	v_cndmask_b32_e64 v19, v19, v24, s[0:1]
	v_lshlrev_b32_e32 v6, 16, v6
	v_lshl_or_b32 v24, v19, 23, v6
.LBB229_87:                             ;   in Loop: Header=BB229_41 Depth=1
	s_or_b64 exec, exec, s[18:19]
.LBB229_88:                             ;   in Loop: Header=BB229_41 Depth=1
	s_or_b64 exec, exec, s[16:17]
.LBB229_89:                             ;   in Loop: Header=BB229_41 Depth=1
	s_or_b64 exec, exec, s[2:3]
	v_cvt_f32_f16_sdwa v19, v17 dst_sel:DWORD dst_unused:UNUSED_PAD src0_sel:WORD_1
	v_cvt_f32_f16_sdwa v18, v20 dst_sel:DWORD dst_unused:UNUSED_PAD src0_sel:WORD_1
	v_or_b32_e32 v1, v17, v1
	v_or_b32_e32 v3, v20, v3
	v_cvt_f32_f16_e32 v42, v3
	v_cvt_f32_f16_e32 v43, v1
	s_waitcnt vmcnt(0)
	v_pk_mul_f32 v[18:19], v[16:17], v[18:19] op_sel_hi:[0,1]
	v_cvt_pk_f16_f32 v1, v18, v19
	v_or_b32_e32 v6, v22, v21
	v_pk_mul_f32 v[42:43], v[16:17], v[42:43] op_sel_hi:[0,1]
	v_or_b32_e32 v19, v24, v23
	v_and_b32_e32 v3, 0xffff0000, v1
	v_lshlrev_b32_e32 v18, 16, v1
	v_cvt_pk_f16_f32 v1, v42, v43
	v_cvt_f32_f16_e32 v42, v19
	v_cvt_f32_f16_e32 v43, v6
	v_cvt_f32_f16_sdwa v23, v22 dst_sel:DWORD dst_unused:UNUSED_PAD src0_sel:WORD_1
	v_cvt_f32_f16_sdwa v22, v24 dst_sel:DWORD dst_unused:UNUSED_PAD src0_sel:WORD_1
	v_lshrrev_b32_e32 v17, 16, v1
	v_pk_mul_f32 v[42:43], v[16:17], v[42:43] op_sel_hi:[0,1]
	v_cvt_pk_f16_f32 v24, v42, v43
	v_pk_mul_f32 v[22:23], v[16:17], v[22:23] op_sel_hi:[0,1]
	v_cvt_pk_f16_f32 v16, v22, v23
	v_and_b32_e32 v20, 0xffff, v1
	v_and_b32_e32 v19, 0xffff0000, v16
	v_lshlrev_b32_e32 v16, 16, v16
	v_lshrrev_b32_e32 v21, 16, v24
	v_and_b32_e32 v22, 0xffff, v24
	v_cmp_eq_u32_e64 s[2:3], s30, v25
	v_or_b32_e32 v1, v3, v17
	v_or_b32_e32 v6, v18, v20
	;; [unrolled: 1-line block ×4, first 2 shown]
	s_and_saveexec_b64 s[16:17], s[2:3]
	s_cbranch_execz .LBB229_91
; %bb.90:                               ;   in Loop: Header=BB229_41 Depth=1
	v_add_u32_e32 v23, 2, v29
	v_cmp_gt_i32_e64 s[0:1], s31, v29
	v_or_b32_e32 v1, 1, v29
	v_or_b32_e32 v6, 3, v29
	v_cndmask_b32_e64 v17, 0, v17, s[0:1]
	v_cmp_gt_i32_e64 s[0:1], s21, v23
	s_nop 1
	v_cndmask_b32_e64 v20, 0, v20, s[0:1]
	v_cmp_gt_i32_e64 s[0:1], s31, v1
	s_nop 1
	v_cndmask_b32_e64 v1, 0, v3, s[0:1]
	v_cmp_gt_i32_e64 s[0:1], s21, v6
	v_or_b32_e32 v1, v1, v17
	v_or_b32_e32 v17, 6, v29
	v_cndmask_b32_e64 v3, 0, v18, s[0:1]
	v_or_b32_e32 v6, v3, v20
	v_or_b32_e32 v3, 4, v29
	v_cmp_gt_i32_e64 s[0:1], s31, v3
	v_or_b32_e32 v18, 5, v29
	v_or_b32_e32 v20, 7, v29
	v_cndmask_b32_e64 v3, 0, v21, s[0:1]
	v_cmp_gt_i32_e64 s[0:1], s21, v17
	s_nop 1
	v_cndmask_b32_e64 v17, 0, v22, s[0:1]
	v_cmp_gt_i32_e64 s[0:1], s31, v18
	s_nop 1
	v_cndmask_b32_e64 v18, 0, v19, s[0:1]
	v_cmp_gt_i32_e64 s[0:1], s21, v20
	v_or_b32_e32 v23, v18, v3
	s_nop 0
	v_cndmask_b32_e64 v16, 0, v16, s[0:1]
	v_or_b32_e32 v24, v16, v17
.LBB229_91:                             ;   in Loop: Header=BB229_41 Depth=1
	s_or_b64 exec, exec, s[16:17]
	v_and_b32_e32 v3, 0xffff, v32
	v_lshl_or_b32 v35, v33, 16, v3
	v_and_b32_e32 v3, 0xffff, v34
	v_lshl_or_b32 v34, v36, 16, v3
	;; [unrolled: 2-line block ×3, first 2 shown]
	v_and_b32_e32 v3, 0xffff, v39
	;;#ASMSTART
	v_pk_mul_f16 v1, v35, v1;

	;;#ASMEND
	v_lshl_or_b32 v32, v40, 16, v3
	;;#ASMSTART
	v_pk_mul_f16 v3, v34, v6;

	;;#ASMEND
	;;#ASMSTART
	v_pk_mul_f16 v6, v33, v23;

	;;#ASMEND
	;; [unrolled: 4-line block ×3, first 2 shown]
	s_nop 0
	;;#ASMSTART
	v_pk_add_f16 v1, v1, v3;

	;;#ASMEND
	s_nop 0
	;;#ASMSTART
	v_pk_add_f16 v1, v1, v6;

	;;#ASMEND
	;; [unrolled: 5-line block ×3, first 2 shown]
	s_nop 0
	v_lshrrev_b32_e32 v3, 16, v1
	v_and_b32_e32 v1, 0xffff, v1
	;;#ASMSTART
	v_cvt_f32_f16 v23, v1;
	;;#ASMEND
	;;#ASMSTART
	v_cvt_f32_f16 v24, v3;
	;;#ASMEND
	s_and_saveexec_b64 s[16:17], vcc
	s_cbranch_execz .LBB229_40
; %bb.92:                               ;   in Loop: Header=BB229_41 Depth=1
	v_lshl_add_u64 v[14:15], v[14:15], 0, v[8:9]
	global_load_dwordx2 v[16:17], v[14:15], off
	v_mov_b32_e32 v1, 0
	global_load_dword v14, v1, s[14:15]
	v_mov_b32_e32 v3, 0
	s_waitcnt vmcnt(1)
	v_cmp_ne_u16_sdwa s[0:1], v16, v7 src0_sel:BYTE_0 src1_sel:DWORD
	s_and_saveexec_b64 s[18:19], s[0:1]
	s_cbranch_execz .LBB229_98
; %bb.93:                               ;   in Loop: Header=BB229_41 Depth=1
	v_cmp_ne_u16_sdwa s[0:1], v16, s35 src0_sel:BYTE_0 src1_sel:DWORD
	v_mov_b32_e32 v3, 0x8000
	s_and_saveexec_b64 s[26:27], s[0:1]
	s_cbranch_execz .LBB229_97
; %bb.94:                               ;   in Loop: Header=BB229_41 Depth=1
	v_and_b32_e32 v6, 0x7f, v16
	v_cmp_ne_u32_e64 s[0:1], s36, v6
	v_mov_b32_e32 v3, 0x7c01
	s_and_saveexec_b64 s[28:29], s[0:1]
	s_cbranch_execz .LBB229_96
; %bb.95:                               ;   in Loop: Header=BB229_41 Depth=1
	v_and_b32_e32 v3, 7, v16
	v_ffbh_u32_e32 v18, v3
	v_min_u32_e32 v20, 32, v18
	v_subrev_u32_e32 v18, 28, v20
	v_lshlrev_b64 v[18:19], v18, v[16:17]
	v_lshrrev_b32_e32 v15, 3, v6
	v_sub_u32_e32 v19, 29, v20
	v_cmp_gt_u32_e64 s[0:1], 8, v6
	v_and_b32_e32 v18, 7, v18
	s_nop 0
	v_cndmask_b32_e64 v6, v15, v19, s[0:1]
	v_lshl_add_u32 v6, v6, 10, v31
	v_lshlrev_b32_e32 v15, 8, v16
	v_and_b32_e32 v6, 0xfc00, v6
	v_cndmask_b32_e64 v3, v3, v18, s[0:1]
	v_and_or_b32 v6, v15, s37, v6
	v_lshl_or_b32 v3, v3, 7, v6
.LBB229_96:                             ;   in Loop: Header=BB229_41 Depth=1
	s_or_b64 exec, exec, s[28:29]
.LBB229_97:                             ;   in Loop: Header=BB229_41 Depth=1
	s_or_b64 exec, exec, s[26:27]
.LBB229_98:                             ;   in Loop: Header=BB229_41 Depth=1
	s_or_b64 exec, exec, s[18:19]
	v_lshrrev_b16_e32 v6, 8, v16
	v_cmp_ne_u16_e64 s[0:1], 0, v6
	s_and_saveexec_b64 s[18:19], s[0:1]
	s_cbranch_execz .LBB229_104
; %bb.99:                               ;   in Loop: Header=BB229_41 Depth=1
	v_cmp_ne_u16_e64 s[0:1], s35, v6
	v_bfrev_b32_e32 v1, 1
	s_and_saveexec_b64 s[26:27], s[0:1]
	s_cbranch_execz .LBB229_103
; %bb.100:                              ;   in Loop: Header=BB229_41 Depth=1
	v_and_b32_e32 v15, 0x7f, v6
	v_cmp_ne_u32_e64 s[0:1], s36, v15
	v_mov_b32_e32 v1, 0x7c010000
	s_and_saveexec_b64 s[28:29], s[0:1]
	s_cbranch_execz .LBB229_102
; %bb.101:                              ;   in Loop: Header=BB229_41 Depth=1
	v_and_b32_e32 v1, 7, v6
	v_ffbh_u32_e32 v18, v1
	v_min_u32_e32 v21, 32, v18
	v_subrev_u32_e32 v18, 28, v21
	v_lshlrev_b64 v[18:19], v18, v[6:7]
	v_lshrrev_b32_e32 v20, 3, v15
	v_sub_u32_e32 v19, 29, v21
	v_cmp_gt_u32_e64 s[0:1], 8, v15
	v_lshlrev_b32_e32 v6, 8, v6
	v_and_b32_e32 v18, 7, v18
	v_cndmask_b32_e64 v15, v20, v19, s[0:1]
	v_lshl_add_u32 v15, v15, 10, v31
	v_and_or_b32 v6, v6, s37, v15
	v_cndmask_b32_e64 v1, v1, v18, s[0:1]
	v_lshlrev_b32_e32 v6, 16, v6
	v_lshl_or_b32 v1, v1, 23, v6
.LBB229_102:                            ;   in Loop: Header=BB229_41 Depth=1
	s_or_b64 exec, exec, s[28:29]
.LBB229_103:                            ;   in Loop: Header=BB229_41 Depth=1
	s_or_b64 exec, exec, s[26:27]
.LBB229_104:                            ;   in Loop: Header=BB229_41 Depth=1
	s_or_b64 exec, exec, s[18:19]
	v_lshrrev_b32_e32 v6, 16, v16
	v_cmp_ne_u16_sdwa s[0:1], v6, v7 src0_sel:BYTE_0 src1_sel:DWORD
	v_mov_b32_e32 v18, 0
	v_mov_b32_e32 v15, 0
	s_and_saveexec_b64 s[18:19], s[0:1]
	s_cbranch_execz .LBB229_110
; %bb.105:                              ;   in Loop: Header=BB229_41 Depth=1
	v_cmp_ne_u16_sdwa s[0:1], v6, s35 src0_sel:BYTE_0 src1_sel:DWORD
	v_mov_b32_e32 v15, 0x8000
	s_and_saveexec_b64 s[26:27], s[0:1]
	s_cbranch_execz .LBB229_109
; %bb.106:                              ;   in Loop: Header=BB229_41 Depth=1
	v_bfe_u32 v19, v16, 16, 7
	v_cmp_ne_u32_e64 s[0:1], s36, v19
	v_mov_b32_e32 v15, 0x7c01
	s_and_saveexec_b64 s[28:29], s[0:1]
	s_cbranch_execz .LBB229_108
; %bb.107:                              ;   in Loop: Header=BB229_41 Depth=1
	v_and_b32_e32 v15, 7, v6
	v_ffbh_u32_e32 v20, v15
	v_min_u32_e32 v36, 32, v20
	v_subrev_u32_e32 v20, 28, v36
	v_lshlrev_b64 v[20:21], v20, v[6:7]
	v_lshrrev_b32_e32 v22, 3, v19
	v_sub_u32_e32 v21, 29, v36
	v_cmp_gt_u32_e64 s[0:1], 8, v19
	v_lshlrev_b32_e32 v6, 8, v6
	v_and_b32_e32 v20, 7, v20
	v_cndmask_b32_e64 v19, v22, v21, s[0:1]
	v_lshl_add_u32 v19, v19, 10, v31
	v_and_b32_e32 v19, 0xfc00, v19
	v_cndmask_b32_e64 v15, v15, v20, s[0:1]
	v_and_or_b32 v6, v6, s37, v19
	v_lshl_or_b32 v15, v15, 7, v6
.LBB229_108:                            ;   in Loop: Header=BB229_41 Depth=1
	s_or_b64 exec, exec, s[28:29]
.LBB229_109:                            ;   in Loop: Header=BB229_41 Depth=1
	s_or_b64 exec, exec, s[26:27]
.LBB229_110:                            ;   in Loop: Header=BB229_41 Depth=1
	s_or_b64 exec, exec, s[18:19]
	v_cmp_lt_u32_e64 s[0:1], s11, v16
	s_and_saveexec_b64 s[18:19], s[0:1]
	s_cbranch_execz .LBB229_116
; %bb.111:                              ;   in Loop: Header=BB229_41 Depth=1
	v_lshrrev_b32_e32 v6, 24, v16
	v_cmp_ne_u32_e64 s[0:1], s35, v6
	v_bfrev_b32_e32 v18, 1
	s_and_saveexec_b64 s[26:27], s[0:1]
	s_cbranch_execz .LBB229_115
; %bb.112:                              ;   in Loop: Header=BB229_41 Depth=1
	v_and_b32_e32 v19, 0x7f, v6
	v_cmp_ne_u32_e64 s[0:1], s36, v19
	v_mov_b32_e32 v18, 0x7c010000
	s_and_saveexec_b64 s[28:29], s[0:1]
	s_cbranch_execz .LBB229_114
; %bb.113:                              ;   in Loop: Header=BB229_41 Depth=1
	v_and_b32_e32 v18, 7, v6
	v_ffbh_u32_e32 v20, v18
	v_min_u32_e32 v36, 32, v20
	v_subrev_u32_e32 v20, 28, v36
	v_lshlrev_b64 v[20:21], v20, v[6:7]
	v_lshrrev_b32_e32 v22, 3, v19
	v_sub_u32_e32 v21, 29, v36
	v_cmp_gt_u32_e64 s[0:1], 8, v19
	v_lshlrev_b32_e32 v6, 8, v6
	v_and_b32_e32 v20, 7, v20
	v_cndmask_b32_e64 v19, v22, v21, s[0:1]
	v_lshl_add_u32 v19, v19, 10, v31
	v_and_or_b32 v6, v6, s37, v19
	v_cndmask_b32_e64 v18, v18, v20, s[0:1]
	v_lshlrev_b32_e32 v6, 16, v6
	v_lshl_or_b32 v18, v18, 23, v6
.LBB229_114:                            ;   in Loop: Header=BB229_41 Depth=1
	s_or_b64 exec, exec, s[28:29]
.LBB229_115:                            ;   in Loop: Header=BB229_41 Depth=1
	s_or_b64 exec, exec, s[26:27]
.LBB229_116:                            ;   in Loop: Header=BB229_41 Depth=1
	s_or_b64 exec, exec, s[18:19]
	v_mov_b32_e32 v6, v17
	v_cmp_ne_u16_sdwa s[0:1], v17, v7 src0_sel:BYTE_0 src1_sel:DWORD
	v_mov_b32_e32 v19, 0
	v_mov_b32_e32 v20, 0
	s_and_saveexec_b64 s[18:19], s[0:1]
	s_cbranch_execz .LBB229_122
; %bb.117:                              ;   in Loop: Header=BB229_41 Depth=1
	v_cmp_ne_u16_sdwa s[0:1], v17, s35 src0_sel:BYTE_0 src1_sel:DWORD
	v_mov_b32_e32 v20, 0x8000
	s_and_saveexec_b64 s[26:27], s[0:1]
	s_cbranch_execz .LBB229_121
; %bb.118:                              ;   in Loop: Header=BB229_41 Depth=1
	v_and_b32_e32 v21, 0x7f, v17
	v_cmp_ne_u32_e64 s[0:1], s36, v21
	v_mov_b32_e32 v20, 0x7c01
	s_and_saveexec_b64 s[28:29], s[0:1]
	s_cbranch_execz .LBB229_120
; %bb.119:                              ;   in Loop: Header=BB229_41 Depth=1
	v_and_b32_e32 v20, 7, v17
	v_ffbh_u32_e32 v36, v20
	v_min_u32_e32 v38, 32, v36
	v_subrev_u32_e32 v36, 28, v38
	v_lshlrev_b64 v[36:37], v36, v[6:7]
	v_lshrrev_b32_e32 v22, 3, v21
	v_sub_u32_e32 v37, 29, v38
	v_cmp_gt_u32_e64 s[0:1], 8, v21
	v_and_b32_e32 v36, 7, v36
	s_nop 0
	v_cndmask_b32_e64 v21, v22, v37, s[0:1]
	v_lshl_add_u32 v21, v21, 10, v31
	v_lshlrev_b32_e32 v22, 8, v17
	v_and_b32_e32 v21, 0xfc00, v21
	v_cndmask_b32_e64 v20, v20, v36, s[0:1]
	v_and_or_b32 v21, v22, s37, v21
	v_lshl_or_b32 v20, v20, 7, v21
.LBB229_120:                            ;   in Loop: Header=BB229_41 Depth=1
	s_or_b64 exec, exec, s[28:29]
.LBB229_121:                            ;   in Loop: Header=BB229_41 Depth=1
	s_or_b64 exec, exec, s[26:27]
.LBB229_122:                            ;   in Loop: Header=BB229_41 Depth=1
	s_or_b64 exec, exec, s[18:19]
	v_lshrrev_b16_e32 v6, 8, v6
	v_cmp_ne_u16_e64 s[0:1], 0, v6
	v_mov_b32_e32 v21, 0
	s_and_saveexec_b64 s[18:19], s[0:1]
	s_cbranch_execz .LBB229_128
; %bb.123:                              ;   in Loop: Header=BB229_41 Depth=1
	v_cmp_ne_u16_e64 s[0:1], s35, v6
	v_bfrev_b32_e32 v21, 1
	s_and_saveexec_b64 s[26:27], s[0:1]
	s_cbranch_execz .LBB229_127
; %bb.124:                              ;   in Loop: Header=BB229_41 Depth=1
	v_and_b32_e32 v22, 0x7f, v6
	v_cmp_ne_u32_e64 s[0:1], s36, v22
	v_mov_b32_e32 v21, 0x7c010000
	s_and_saveexec_b64 s[28:29], s[0:1]
	s_cbranch_execz .LBB229_126
; %bb.125:                              ;   in Loop: Header=BB229_41 Depth=1
	v_and_b32_e32 v21, 7, v6
	v_ffbh_u32_e32 v36, v21
	v_min_u32_e32 v39, 32, v36
	v_subrev_u32_e32 v36, 28, v39
	v_lshlrev_b64 v[36:37], v36, v[6:7]
	v_lshrrev_b32_e32 v38, 3, v22
	v_sub_u32_e32 v37, 29, v39
	v_cmp_gt_u32_e64 s[0:1], 8, v22
	v_lshlrev_b32_e32 v6, 8, v6
	v_and_b32_e32 v36, 7, v36
	v_cndmask_b32_e64 v22, v38, v37, s[0:1]
	v_lshl_add_u32 v22, v22, 10, v31
	v_and_or_b32 v6, v6, s37, v22
	v_cndmask_b32_e64 v21, v21, v36, s[0:1]
	v_lshlrev_b32_e32 v6, 16, v6
	v_lshl_or_b32 v21, v21, 23, v6
.LBB229_126:                            ;   in Loop: Header=BB229_41 Depth=1
	s_or_b64 exec, exec, s[28:29]
.LBB229_127:                            ;   in Loop: Header=BB229_41 Depth=1
	s_or_b64 exec, exec, s[26:27]
.LBB229_128:                            ;   in Loop: Header=BB229_41 Depth=1
	s_or_b64 exec, exec, s[18:19]
	v_lshrrev_b32_e32 v6, 16, v17
	v_cmp_ne_u16_sdwa s[0:1], v6, v7 src0_sel:BYTE_0 src1_sel:DWORD
	s_and_saveexec_b64 s[18:19], s[0:1]
	s_cbranch_execz .LBB229_134
; %bb.129:                              ;   in Loop: Header=BB229_41 Depth=1
	v_cmp_ne_u16_sdwa s[0:1], v6, s35 src0_sel:BYTE_0 src1_sel:DWORD
	v_mov_b32_e32 v19, 0x8000
	s_and_saveexec_b64 s[26:27], s[0:1]
	s_cbranch_execz .LBB229_133
; %bb.130:                              ;   in Loop: Header=BB229_41 Depth=1
	v_bfe_u32 v22, v17, 16, 7
	v_cmp_ne_u32_e64 s[0:1], s36, v22
	v_mov_b32_e32 v19, 0x7c01
	s_and_saveexec_b64 s[28:29], s[0:1]
	s_cbranch_execz .LBB229_132
; %bb.131:                              ;   in Loop: Header=BB229_41 Depth=1
	v_and_b32_e32 v19, 7, v6
	v_ffbh_u32_e32 v36, v19
	v_min_u32_e32 v39, 32, v36
	v_subrev_u32_e32 v36, 28, v39
	v_lshlrev_b64 v[36:37], v36, v[6:7]
	v_lshrrev_b32_e32 v38, 3, v22
	v_sub_u32_e32 v37, 29, v39
	v_cmp_gt_u32_e64 s[0:1], 8, v22
	v_lshlrev_b32_e32 v6, 8, v6
	v_and_b32_e32 v36, 7, v36
	v_cndmask_b32_e64 v22, v38, v37, s[0:1]
	v_lshl_add_u32 v22, v22, 10, v31
	v_and_b32_e32 v22, 0xfc00, v22
	v_cndmask_b32_e64 v19, v19, v36, s[0:1]
	v_and_or_b32 v6, v6, s37, v22
	v_lshl_or_b32 v19, v19, 7, v6
.LBB229_132:                            ;   in Loop: Header=BB229_41 Depth=1
	s_or_b64 exec, exec, s[28:29]
.LBB229_133:                            ;   in Loop: Header=BB229_41 Depth=1
	s_or_b64 exec, exec, s[26:27]
.LBB229_134:                            ;   in Loop: Header=BB229_41 Depth=1
	s_or_b64 exec, exec, s[18:19]
	v_cmp_lt_u64_e64 s[0:1], s[10:11], v[16:17]
	v_mov_b32_e32 v16, 0
	s_and_saveexec_b64 s[18:19], s[0:1]
	s_cbranch_execz .LBB229_140
; %bb.135:                              ;   in Loop: Header=BB229_41 Depth=1
	v_lshrrev_b32_e32 v6, 24, v17
	v_cmp_ne_u32_e64 s[0:1], s35, v6
	v_bfrev_b32_e32 v16, 1
	s_and_saveexec_b64 s[26:27], s[0:1]
	s_cbranch_execz .LBB229_139
; %bb.136:                              ;   in Loop: Header=BB229_41 Depth=1
	v_and_b32_e32 v17, 0x7f, v6
	v_cmp_ne_u32_e64 s[0:1], s36, v17
	v_mov_b32_e32 v16, 0x7c010000
	s_and_saveexec_b64 s[28:29], s[0:1]
	s_cbranch_execz .LBB229_138
; %bb.137:                              ;   in Loop: Header=BB229_41 Depth=1
	v_and_b32_e32 v16, 7, v6
	v_ffbh_u32_e32 v36, v16
	v_min_u32_e32 v38, 32, v36
	v_subrev_u32_e32 v36, 28, v38
	v_lshlrev_b64 v[36:37], v36, v[6:7]
	v_lshrrev_b32_e32 v22, 3, v17
	v_sub_u32_e32 v37, 29, v38
	v_cmp_gt_u32_e64 s[0:1], 8, v17
	v_lshlrev_b32_e32 v6, 8, v6
	s_nop 0
	v_cndmask_b32_e64 v17, v22, v37, s[0:1]
	v_lshl_add_u32 v17, v17, 10, v31
	v_and_b32_e32 v22, 7, v36
	v_and_or_b32 v6, v6, s37, v17
	v_cndmask_b32_e64 v16, v16, v22, s[0:1]
	v_lshlrev_b32_e32 v6, 16, v6
	v_lshl_or_b32 v16, v16, 23, v6
.LBB229_138:                            ;   in Loop: Header=BB229_41 Depth=1
	s_or_b64 exec, exec, s[28:29]
.LBB229_139:                            ;   in Loop: Header=BB229_41 Depth=1
	s_or_b64 exec, exec, s[26:27]
.LBB229_140:                            ;   in Loop: Header=BB229_41 Depth=1
	s_or_b64 exec, exec, s[18:19]
	v_cvt_f32_f16_sdwa v37, v1 dst_sel:DWORD dst_unused:UNUSED_PAD src0_sel:WORD_1
	v_cvt_f32_f16_sdwa v36, v18 dst_sel:DWORD dst_unused:UNUSED_PAD src0_sel:WORD_1
	v_or_b32_e32 v1, v1, v3
	v_or_b32_e32 v3, v18, v15
	v_cvt_f32_f16_e32 v38, v3
	v_cvt_f32_f16_e32 v39, v1
	s_waitcnt vmcnt(0)
	v_pk_mul_f32 v[36:37], v[14:15], v[36:37] op_sel_hi:[0,1]
	v_cvt_pk_f16_f32 v1, v36, v37
	v_or_b32_e32 v17, v21, v20
	v_pk_mul_f32 v[36:37], v[14:15], v[38:39] op_sel_hi:[0,1]
	v_or_b32_e32 v19, v16, v19
	v_and_b32_e32 v3, 0xffff0000, v1
	v_lshlrev_b32_e32 v6, 16, v1
	v_cvt_pk_f16_f32 v1, v36, v37
	v_cvt_f32_f16_e32 v36, v19
	v_cvt_f32_f16_e32 v37, v17
	v_cvt_f32_f16_sdwa v21, v21 dst_sel:DWORD dst_unused:UNUSED_PAD src0_sel:WORD_1
	v_cvt_f32_f16_sdwa v20, v16 dst_sel:DWORD dst_unused:UNUSED_PAD src0_sel:WORD_1
	v_lshrrev_b32_e32 v15, 16, v1
	v_pk_mul_f32 v[36:37], v[14:15], v[36:37] op_sel_hi:[0,1]
	v_cvt_pk_f16_f32 v22, v36, v37
	v_pk_mul_f32 v[20:21], v[14:15], v[20:21] op_sel_hi:[0,1]
	v_cvt_pk_f16_f32 v14, v20, v21
	v_and_b32_e32 v18, 0xffff, v1
	v_and_b32_e32 v17, 0xffff0000, v14
	v_lshlrev_b32_e32 v14, 16, v14
	v_lshrrev_b32_e32 v19, 16, v22
	v_and_b32_e32 v20, 0xffff, v22
	v_or_b32_e32 v1, v3, v15
	v_or_b32_e32 v16, v6, v18
	;; [unrolled: 1-line block ×4, first 2 shown]
	s_and_saveexec_b64 s[18:19], s[2:3]
	s_cbranch_execz .LBB229_39
; %bb.141:                              ;   in Loop: Header=BB229_41 Depth=1
	v_add_u32_e32 v21, 2, v29
	v_cmp_gt_i32_e64 s[0:1], s31, v29
	v_or_b32_e32 v1, 1, v29
	v_or_b32_e32 v16, 3, v29
	v_cndmask_b32_e64 v15, 0, v15, s[0:1]
	v_cmp_gt_i32_e64 s[0:1], s21, v21
	s_nop 1
	v_cndmask_b32_e64 v18, 0, v18, s[0:1]
	v_cmp_gt_i32_e64 s[0:1], s31, v1
	s_nop 1
	v_cndmask_b32_e64 v1, 0, v3, s[0:1]
	v_cmp_gt_i32_e64 s[0:1], s21, v16
	v_or_b32_e32 v1, v1, v15
	v_or_b32_e32 v15, 5, v29
	v_cndmask_b32_e64 v3, 0, v6, s[0:1]
	v_or_b32_e32 v16, v3, v18
	v_or_b32_e32 v3, 4, v29
	;; [unrolled: 1-line block ×3, first 2 shown]
	v_cmp_gt_i32_e64 s[0:1], s31, v3
	v_or_b32_e32 v18, 7, v29
	s_nop 0
	v_cndmask_b32_e64 v3, 0, v19, s[0:1]
	v_cmp_gt_i32_e64 s[0:1], s21, v6
	s_nop 1
	v_cndmask_b32_e64 v6, 0, v20, s[0:1]
	v_cmp_gt_i32_e64 s[0:1], s31, v15
	;; [unrolled: 3-line block ×3, first 2 shown]
	v_or_b32_e32 v21, v15, v3
	s_nop 0
	v_cndmask_b32_e64 v14, 0, v14, s[0:1]
	v_or_b32_e32 v22, v14, v6
	s_branch .LBB229_39
.LBB229_142:
	s_or_b64 exec, exec, s[12:13]
.LBB229_143:
	s_or_b64 exec, exec, s[8:9]
	v_and_b32_e32 v1, 0x3c0, v0
	v_cmp_eq_u32_e32 vcc, 64, v1
	s_barrier
	s_and_saveexec_b64 s[0:1], vcc
	s_cbranch_execz .LBB229_146
; %bb.144:
	v_mov_b32_e32 v1, 0xf0
	v_lshl_add_u32 v3, v26, 2, v1
	ds_write_b32 v3, v28
	s_and_b64 exec, exec, s[6:7]
; %bb.145:
	v_lshl_add_u32 v1, v0, 2, v1
	ds_write_b32 v1, v27
.LBB229_146:
	s_or_b64 exec, exec, s[0:1]
	v_cmp_gt_u32_e32 vcc, 64, v0
	v_or_b32_e32 v1, 64, v0
	s_waitcnt lgkmcnt(0)
	s_barrier
	s_and_saveexec_b64 s[2:3], vcc
	s_cbranch_execz .LBB229_150
; %bb.147:
	v_mov_b32_e32 v3, 0xf0
	v_lshl_add_u32 v3, v0, 2, v3
	ds_read_b32 v0, v3
	s_movk_i32 s0, 0x70
	v_cmp_gt_u32_e64 s[0:1], s0, v1
	s_and_saveexec_b64 s[6:7], s[0:1]
	s_cbranch_execz .LBB229_149
; %bb.148:
	ds_read_b32 v3, v3 offset:256
	s_waitcnt lgkmcnt(0)
	v_add_f32_e32 v27, v27, v3
.LBB229_149:
	s_or_b64 exec, exec, s[6:7]
	s_waitcnt lgkmcnt(0)
	v_add_f32_e32 v28, v28, v0
.LBB229_150:
	s_or_b64 exec, exec, s[2:3]
	s_barrier
	s_and_saveexec_b64 s[0:1], vcc
	s_cbranch_execz .LBB229_153
; %bb.151:
	s_mul_i32 s0, s20, s23
	s_mul_i32 s0, s0, s5
	s_mulk_i32 s0, 0x70
	s_ashr_i32 s1, s0, 31
	s_lshl_b64 s[0:1], s[0:1], 1
	s_add_u32 s3, s24, s0
	s_mul_i32 s0, s23, s22
	s_addc_u32 s5, s25, s1
	s_ashr_i32 s1, s0, 31
	s_lshl_b64 s[0:1], s[0:1], 1
	s_add_u32 s3, s3, s0
	s_mul_i32 s0, s4, 0x70
	s_addc_u32 s5, s5, s1
	s_ashr_i32 s1, s0, 31
	s_lshl_b64 s[0:1], s[0:1], 1
	s_movk_i32 s2, 0x70
	s_add_u32 s0, s3, s0
	s_addc_u32 s1, s5, s1
	v_cmp_gt_u32_e32 vcc, s2, v1
	;;#ASMSTART
	v_cvt_f16_f32 v0, v28;

	;;#ASMEND
	global_store_short v2, v0, s[0:1]
	s_and_b64 exec, exec, vcc
	s_cbranch_execz .LBB229_153
; %bb.152:
	v_mov_b32_e32 v3, 0
	v_lshl_add_u64 v[0:1], s[0:1], 0, v[2:3]
	;;#ASMSTART
	v_cvt_f16_f32 v2, v27;

	;;#ASMEND
	global_store_short v[0:1], v2, off offset:128
.LBB229_153:
	s_endpgm
	.section	.rodata,"a",@progbits
	.p2align	6, 0x0
	.amdhsa_kernel _ZN4vllm25paged_attention_v1_kernelIthLi112ELi8ELi128ELNS_18Fp8KVCacheDataTypeE1ELb0EEEvPT_PKS2_PKT0_S8_ifPKiSA_iPKfiiiSC_SC_iiiii
		.amdhsa_group_segment_fixed_size 240
		.amdhsa_private_segment_fixed_size 0
		.amdhsa_kernarg_size 384
		.amdhsa_user_sgpr_count 2
		.amdhsa_user_sgpr_dispatch_ptr 0
		.amdhsa_user_sgpr_queue_ptr 0
		.amdhsa_user_sgpr_kernarg_segment_ptr 1
		.amdhsa_user_sgpr_dispatch_id 0
		.amdhsa_user_sgpr_kernarg_preload_length 0
		.amdhsa_user_sgpr_kernarg_preload_offset 0
		.amdhsa_user_sgpr_private_segment_size 0
		.amdhsa_uses_dynamic_stack 0
		.amdhsa_enable_private_segment 0
		.amdhsa_system_sgpr_workgroup_id_x 1
		.amdhsa_system_sgpr_workgroup_id_y 1
		.amdhsa_system_sgpr_workgroup_id_z 1
		.amdhsa_system_sgpr_workgroup_info 0
		.amdhsa_system_vgpr_workitem_id 0
		.amdhsa_next_free_vgpr 48
		.amdhsa_next_free_sgpr 40
		.amdhsa_accum_offset 48
		.amdhsa_reserve_vcc 1
		.amdhsa_float_round_mode_32 0
		.amdhsa_float_round_mode_16_64 0
		.amdhsa_float_denorm_mode_32 3
		.amdhsa_float_denorm_mode_16_64 3
		.amdhsa_dx10_clamp 1
		.amdhsa_ieee_mode 1
		.amdhsa_fp16_overflow 0
		.amdhsa_tg_split 0
		.amdhsa_exception_fp_ieee_invalid_op 0
		.amdhsa_exception_fp_denorm_src 0
		.amdhsa_exception_fp_ieee_div_zero 0
		.amdhsa_exception_fp_ieee_overflow 0
		.amdhsa_exception_fp_ieee_underflow 0
		.amdhsa_exception_fp_ieee_inexact 0
		.amdhsa_exception_int_div_zero 0
	.end_amdhsa_kernel
	.section	.text._ZN4vllm25paged_attention_v1_kernelIthLi112ELi8ELi128ELNS_18Fp8KVCacheDataTypeE1ELb0EEEvPT_PKS2_PKT0_S8_ifPKiSA_iPKfiiiSC_SC_iiiii,"axG",@progbits,_ZN4vllm25paged_attention_v1_kernelIthLi112ELi8ELi128ELNS_18Fp8KVCacheDataTypeE1ELb0EEEvPT_PKS2_PKT0_S8_ifPKiSA_iPKfiiiSC_SC_iiiii,comdat
.Lfunc_end229:
	.size	_ZN4vllm25paged_attention_v1_kernelIthLi112ELi8ELi128ELNS_18Fp8KVCacheDataTypeE1ELb0EEEvPT_PKS2_PKT0_S8_ifPKiSA_iPKfiiiSC_SC_iiiii, .Lfunc_end229-_ZN4vllm25paged_attention_v1_kernelIthLi112ELi8ELi128ELNS_18Fp8KVCacheDataTypeE1ELb0EEEvPT_PKS2_PKT0_S8_ifPKiSA_iPKfiiiSC_SC_iiiii
                                        ; -- End function
	.set _ZN4vllm25paged_attention_v1_kernelIthLi112ELi8ELi128ELNS_18Fp8KVCacheDataTypeE1ELb0EEEvPT_PKS2_PKT0_S8_ifPKiSA_iPKfiiiSC_SC_iiiii.num_vgpr, 48
	.set _ZN4vllm25paged_attention_v1_kernelIthLi112ELi8ELi128ELNS_18Fp8KVCacheDataTypeE1ELb0EEEvPT_PKS2_PKT0_S8_ifPKiSA_iPKfiiiSC_SC_iiiii.num_agpr, 0
	.set _ZN4vllm25paged_attention_v1_kernelIthLi112ELi8ELi128ELNS_18Fp8KVCacheDataTypeE1ELb0EEEvPT_PKS2_PKT0_S8_ifPKiSA_iPKfiiiSC_SC_iiiii.numbered_sgpr, 40
	.set _ZN4vllm25paged_attention_v1_kernelIthLi112ELi8ELi128ELNS_18Fp8KVCacheDataTypeE1ELb0EEEvPT_PKS2_PKT0_S8_ifPKiSA_iPKfiiiSC_SC_iiiii.num_named_barrier, 0
	.set _ZN4vllm25paged_attention_v1_kernelIthLi112ELi8ELi128ELNS_18Fp8KVCacheDataTypeE1ELb0EEEvPT_PKS2_PKT0_S8_ifPKiSA_iPKfiiiSC_SC_iiiii.private_seg_size, 0
	.set _ZN4vllm25paged_attention_v1_kernelIthLi112ELi8ELi128ELNS_18Fp8KVCacheDataTypeE1ELb0EEEvPT_PKS2_PKT0_S8_ifPKiSA_iPKfiiiSC_SC_iiiii.uses_vcc, 1
	.set _ZN4vllm25paged_attention_v1_kernelIthLi112ELi8ELi128ELNS_18Fp8KVCacheDataTypeE1ELb0EEEvPT_PKS2_PKT0_S8_ifPKiSA_iPKfiiiSC_SC_iiiii.uses_flat_scratch, 0
	.set _ZN4vllm25paged_attention_v1_kernelIthLi112ELi8ELi128ELNS_18Fp8KVCacheDataTypeE1ELb0EEEvPT_PKS2_PKT0_S8_ifPKiSA_iPKfiiiSC_SC_iiiii.has_dyn_sized_stack, 0
	.set _ZN4vllm25paged_attention_v1_kernelIthLi112ELi8ELi128ELNS_18Fp8KVCacheDataTypeE1ELb0EEEvPT_PKS2_PKT0_S8_ifPKiSA_iPKfiiiSC_SC_iiiii.has_recursion, 0
	.set _ZN4vllm25paged_attention_v1_kernelIthLi112ELi8ELi128ELNS_18Fp8KVCacheDataTypeE1ELb0EEEvPT_PKS2_PKT0_S8_ifPKiSA_iPKfiiiSC_SC_iiiii.has_indirect_call, 0
	.section	.AMDGPU.csdata,"",@progbits
; Kernel info:
; codeLenInByte = 8512
; TotalNumSgprs: 46
; NumVgprs: 48
; NumAgprs: 0
; TotalNumVgprs: 48
; ScratchSize: 0
; MemoryBound: 0
; FloatMode: 240
; IeeeMode: 1
; LDSByteSize: 240 bytes/workgroup (compile time only)
; SGPRBlocks: 5
; VGPRBlocks: 5
; NumSGPRsForWavesPerEU: 46
; NumVGPRsForWavesPerEU: 48
; AccumOffset: 48
; Occupancy: 8
; WaveLimiterHint : 1
; COMPUTE_PGM_RSRC2:SCRATCH_EN: 0
; COMPUTE_PGM_RSRC2:USER_SGPR: 2
; COMPUTE_PGM_RSRC2:TRAP_HANDLER: 0
; COMPUTE_PGM_RSRC2:TGID_X_EN: 1
; COMPUTE_PGM_RSRC2:TGID_Y_EN: 1
; COMPUTE_PGM_RSRC2:TGID_Z_EN: 1
; COMPUTE_PGM_RSRC2:TIDIG_COMP_CNT: 0
; COMPUTE_PGM_RSRC3_GFX90A:ACCUM_OFFSET: 11
; COMPUTE_PGM_RSRC3_GFX90A:TG_SPLIT: 0
	.section	.text._ZN4vllm25paged_attention_v1_kernelIthLi120ELi8ELi128ELNS_18Fp8KVCacheDataTypeE1ELb0EEEvPT_PKS2_PKT0_S8_ifPKiSA_iPKfiiiSC_SC_iiiii,"axG",@progbits,_ZN4vllm25paged_attention_v1_kernelIthLi120ELi8ELi128ELNS_18Fp8KVCacheDataTypeE1ELb0EEEvPT_PKS2_PKT0_S8_ifPKiSA_iPKfiiiSC_SC_iiiii,comdat
	.protected	_ZN4vllm25paged_attention_v1_kernelIthLi120ELi8ELi128ELNS_18Fp8KVCacheDataTypeE1ELb0EEEvPT_PKS2_PKT0_S8_ifPKiSA_iPKfiiiSC_SC_iiiii ; -- Begin function _ZN4vllm25paged_attention_v1_kernelIthLi120ELi8ELi128ELNS_18Fp8KVCacheDataTypeE1ELb0EEEvPT_PKS2_PKT0_S8_ifPKiSA_iPKfiiiSC_SC_iiiii
	.globl	_ZN4vllm25paged_attention_v1_kernelIthLi120ELi8ELi128ELNS_18Fp8KVCacheDataTypeE1ELb0EEEvPT_PKS2_PKT0_S8_ifPKiSA_iPKfiiiSC_SC_iiiii
	.p2align	8
	.type	_ZN4vllm25paged_attention_v1_kernelIthLi120ELi8ELi128ELNS_18Fp8KVCacheDataTypeE1ELb0EEEvPT_PKS2_PKT0_S8_ifPKiSA_iPKfiiiSC_SC_iiiii,@function
_ZN4vllm25paged_attention_v1_kernelIthLi120ELi8ELi128ELNS_18Fp8KVCacheDataTypeE1ELb0EEEvPT_PKS2_PKT0_S8_ifPKiSA_iPKfiiiSC_SC_iiiii: ; @_ZN4vllm25paged_attention_v1_kernelIthLi120ELi8ELi128ELNS_18Fp8KVCacheDataTypeE1ELb0EEEvPT_PKS2_PKT0_S8_ifPKiSA_iPKfiiiSC_SC_iiiii
; %bb.0:
	s_load_dword s5, s[0:1], 0x80
	s_load_dwordx2 s[6:7], s[0:1], 0x30
	s_load_dwordx2 s[10:11], s[0:1], 0x20
	s_mov_b32 s20, s3
	s_ashr_i32 s21, s3, 31
	s_lshl_b64 s[8:9], s[20:21], 2
	s_waitcnt lgkmcnt(0)
	s_add_u32 s6, s6, s8
	s_addc_u32 s7, s7, s9
	s_abs_i32 s3, s10
	v_cvt_f32_u32_e32 v1, s3
	s_xor_b32 s8, s5, s10
	s_sub_i32 s10, 0, s3
	s_abs_i32 s9, s5
	v_rcp_iflag_f32_e32 v1, v1
	s_ashr_i32 s8, s8, 31
	v_mul_f32_e32 v1, 0x4f7ffffe, v1
	v_cvt_u32_f32_e32 v1, v1
	s_nop 0
	v_readfirstlane_b32 s12, v1
	s_mul_i32 s10, s10, s12
	s_mul_hi_u32 s10, s12, s10
	s_add_i32 s12, s12, s10
	s_mul_hi_u32 s10, s9, s12
	s_mul_i32 s12, s10, s3
	s_sub_i32 s9, s9, s12
	s_add_i32 s12, s10, 1
	s_sub_i32 s13, s9, s3
	s_cmp_ge_u32 s9, s3
	s_cselect_b32 s10, s12, s10
	s_cselect_b32 s9, s13, s9
	s_add_i32 s12, s10, 1
	s_cmp_ge_u32 s9, s3
	s_cselect_b32 s3, s12, s10
	s_xor_b32 s3, s3, s8
	s_sub_i32 s15, s3, s8
	s_abs_i32 s12, s15
	v_cvt_f32_u32_e32 v1, s12
	s_load_dwordx2 s[8:9], s[0:1], 0x40
	s_sub_i32 s3, 0, s12
	s_abs_i32 s13, s2
	v_rcp_iflag_f32_e32 v1, v1
	s_mov_b32 s10, 0
	v_mul_f32_e32 v1, 0x4f7ffffe, v1
	v_cvt_u32_f32_e32 v1, v1
	s_nop 0
	v_readfirstlane_b32 s14, v1
	s_mul_i32 s3, s3, s14
	s_mul_hi_u32 s3, s14, s3
	s_add_i32 s14, s14, s3
	s_waitcnt lgkmcnt(0)
	s_cmp_eq_u64 s[8:9], 0
	s_mul_hi_u32 s14, s13, s14
	s_cbranch_scc1 .LBB230_2
; %bb.1:
	s_ashr_i32 s3, s2, 31
	s_lshl_b64 s[16:17], s[2:3], 2
	s_add_u32 s8, s8, s16
	s_addc_u32 s9, s9, s17
	s_load_dword s10, s[8:9], 0x0
.LBB230_2:
	s_load_dword s21, s[6:7], 0x0
	s_load_dwordx4 s[16:19], s[0:1], 0x48
	s_movk_i32 s3, 0x78
	s_ashr_i32 s8, s2, 31
	s_ashr_i32 s9, s15, 31
	v_and_b32_e32 v6, 7, v0
	s_mul_i32 s22, s2, 0x78
	v_cmp_gt_u32_e64 s[6:7], s3, v0
	v_lshlrev_b32_e32 v2, 1, v0
	s_and_saveexec_b64 s[2:3], s[6:7]
	s_cbranch_execz .LBB230_4
; %bb.3:
	s_load_dwordx2 s[24:25], s[0:1], 0x8
	s_waitcnt lgkmcnt(0)
	s_mul_i32 s26, s16, s20
	s_ashr_i32 s27, s26, 31
	s_lshl_b64 s[26:27], s[26:27], 1
	v_lshrrev_b32_e32 v3, 2, v0
	s_add_u32 s15, s24, s26
	s_addc_u32 s16, s25, s27
	s_ashr_i32 s23, s22, 31
	s_lshl_b64 s[24:25], s[22:23], 1
	s_add_u32 s24, s15, s24
	s_addc_u32 s25, s16, s25
	global_load_ushort v1, v2, s[24:25]
	v_and_b32_e32 v3, 0xfe, v3
	v_mad_u32_u24 v3, v6, 30, v3
	s_waitcnt vmcnt(0)
	ds_write_b16 v3, v1
.LBB230_4:
	s_or_b64 exec, exec, s[2:3]
	s_waitcnt lgkmcnt(0)
	s_add_i32 s3, s21, 7
	s_ashr_i32 s15, s3, 31
	s_lshr_b32 s15, s15, 29
	s_add_i32 s3, s3, s15
	s_ashr_i32 s33, s3, 3
	s_xor_b32 s3, s8, s9
	s_mul_i32 s8, s14, s12
	s_sub_i32 s8, s13, s8
	s_add_i32 s9, s14, 1
	s_sub_i32 s13, s8, s12
	s_load_dwordx2 s[26:27], s[0:1], 0x28
	s_load_dword s2, s[0:1], 0x38
	s_cmp_ge_u32 s8, s12
	s_cselect_b32 s9, s9, s14
	s_cselect_b32 s8, s13, s8
	s_add_i32 s13, s9, 1
	s_cmp_ge_u32 s8, s12
	s_cselect_b32 s8, s13, s9
	v_lshrrev_b32_e32 v25, 6, v0
	s_xor_b32 s8, s8, s3
	s_waitcnt lgkmcnt(0)
	s_mul_i32 s28, s2, s20
	s_sub_i32 s16, s8, s3
	s_ashr_i32 s29, s28, 31
	v_cmp_gt_i32_e64 s[2:3], s33, v25
	v_cmp_le_i32_e32 vcc, s33, v25
	v_mbcnt_lo_u32_b32 v15, -1, 0
	s_barrier
                                        ; implicit-def: $vgpr3
                                        ; implicit-def: $vgpr10
                                        ; implicit-def: $vgpr4
	s_and_saveexec_b64 s[8:9], vcc
	s_xor_b64 s[8:9], exec, s[8:9]
; %bb.5:
	v_mbcnt_hi_u32_b32 v3, -1, v15
	v_and_b32_e32 v10, 64, v3
	v_add_u32_e32 v4, 64, v10
                                        ; implicit-def: $vgpr6
                                        ; implicit-def: $vgpr15
; %bb.6:
	s_or_saveexec_b64 s[34:35], s[8:9]
	s_load_dwordx2 s[24:25], s[0:1], 0x0
	s_load_dwordx2 s[30:31], s[0:1], 0x18
	s_load_dword s23, s[0:1], 0x88
	s_load_dwordx4 s[12:15], s[0:1], 0x58
	v_mov_b32_e32 v11, 0xff7fffff
	s_mul_i32 s16, s16, s18
	v_lshrrev_b32_e32 v1, 4, v0
	s_xor_b64 exec, exec, s[34:35]
	s_cbranch_execz .LBB230_12
; %bb.7:
	s_load_dwordx2 s[0:1], s[0:1], 0x10
	v_bfe_u32 v3, v0, 3, 3
	s_ashr_i32 s8, s16, 31
	v_lshlrev_b32_e32 v4, 4, v3
	v_lshl_or_b32 v13, v25, 3, v3
	s_waitcnt lgkmcnt(0)
	s_add_u32 s0, s0, s16
	v_lshlrev_b32_e32 v3, 2, v3
	s_addc_u32 s1, s1, s8
	s_sub_i32 s39, 1, s21
	v_lshl_or_b32 v3, v25, 5, v3
	s_lshl_b64 s[8:9], s[28:29], 2
	v_mov_b32_e32 v5, 0
	v_add_u32_e32 v14, 0x100, v3
	s_add_u32 s8, s26, s8
	v_mbcnt_hi_u32_b32 v3, -1, v15
	v_lshl_add_u64 v[8:9], s[0:1], 0, v[4:5]
	v_mov_b32_e32 v7, v5
	v_and_b32_e32 v4, 60, v1
	s_addc_u32 s9, s27, s9
	v_and_b32_e32 v10, 64, v3
	s_mov_b32 s38, s17
	v_mul_u32_u24_e32 v12, 30, v6
	v_cmp_eq_u32_e32 vcc, 0, v6
	v_cmp_neq_f32_e64 s[0:1], s10, 0
	v_lshl_add_u64 v[6:7], v[8:9], 0, v[6:7]
	v_lshl_add_u64 v[8:9], s[8:9], 0, v[4:5]
	v_mov_b32_e32 v11, 0xff7fffff
	s_mov_b64 s[18:19], 0
	v_add_u32_e32 v4, 64, v10
	v_xor_b32_e32 v15, 4, v3
	v_xor_b32_e32 v16, 2, v3
	;; [unrolled: 1-line block ×3, first 2 shown]
	v_mov_b32_e32 v18, v25
	s_branch .LBB230_9
.LBB230_8:                              ;   in Loop: Header=BB230_9 Depth=1
	s_or_b64 exec, exec, s[36:37]
	v_add_u32_e32 v18, 2, v18
	v_cmp_le_i32_e64 s[8:9], s33, v18
	v_add_u32_e32 v13, 16, v13
	v_add_u32_e32 v14, 64, v14
	s_or_b64 s[18:19], s[8:9], s[18:19]
	v_lshl_add_u64 v[8:9], v[8:9], 0, 8
	s_andn2_b64 exec, exec, s[18:19]
	s_cbranch_execz .LBB230_11
.LBB230_9:                              ; =>This Inner Loop Header: Depth=1
	global_load_dword v19, v[8:9], off
	s_waitcnt vmcnt(0) lgkmcnt(0)
	v_mad_i64_i32 v[20:21], s[8:9], v19, s38, v[6:7]
	global_load_ubyte v19, v[20:21], off
	global_load_ubyte v22, v[20:21], off offset:8
	global_load_dword v23, v5, s[12:13]
	global_load_ubyte v24, v[20:21], off offset:128
	global_load_ubyte v26, v[20:21], off offset:136
	;; [unrolled: 1-line block ×12, first 2 shown]
	s_nop 0
	global_load_ubyte v20, v[20:21], off offset:896
	ds_read_u16 v37, v12
	s_waitcnt lgkmcnt(0)
	;;#ASMSTART
	v_cvt_f32_f16 v37, v37;
	;;#ASMEND
	v_cmp_lt_i32_e64 s[8:9], v15, v4
	s_waitcnt vmcnt(15)
	v_cvt_f32_fp8_e32 v19, v19
	s_waitcnt vmcnt(14)
	v_cvt_f32_fp8_e32 v22, v22
	v_cndmask_b32_e64 v21, v3, v15, s[8:9]
	s_waitcnt vmcnt(12)
	v_cvt_f32_fp8_e32 v24, v24
	v_fma_mixlo_f16 v19, v23, v19, 0
	s_waitcnt vmcnt(11)
	v_cvt_f32_fp8_e32 v26, v26
	v_and_b32_e32 v19, 0xffff, v19
	s_waitcnt vmcnt(10)
	v_cvt_f32_fp8_e32 v27, v27
	;;#ASMSTART
	v_cvt_f32_f16 v19, v19;
	;;#ASMEND
	ds_read_u16 v38, v12 offset:2
	v_fma_mixlo_f16 v22, v23, v22, 0
	s_waitcnt vmcnt(9)
	v_cvt_f32_fp8_e32 v28, v28
	v_and_b32_e32 v39, 0xffff, v22
	s_waitcnt lgkmcnt(0)
	;;#ASMSTART
	v_cvt_f32_f16 v22, v38;
	;;#ASMEND
	;;#ASMSTART
	v_cvt_f32_f16 v38, v39;
	;;#ASMEND
	s_waitcnt vmcnt(0)
	v_cvt_f32_fp8_e32 v20, v20
	v_fma_mixlo_f16 v24, v23, v24, 0
	v_cvt_f32_fp8_e32 v29, v29
	ds_read_u16 v39, v12 offset:4
	v_fma_mixlo_f16 v20, v23, v20, 0
	v_and_b32_e32 v48, 0xffff, v20
	v_mul_f32_e32 v20, v22, v38
	v_and_b32_e32 v40, 0xffff, v24
	v_fma_mixlo_f16 v26, v23, v26, 0
	v_cvt_f32_fp8_e32 v30, v30
	v_fmac_f32_e32 v20, v37, v19
	s_waitcnt lgkmcnt(0)
	;;#ASMSTART
	v_cvt_f32_f16 v24, v39;
	;;#ASMEND
	;;#ASMSTART
	v_cvt_f32_f16 v39, v40;
	;;#ASMEND
	ds_read_u16 v40, v12 offset:6
	v_and_b32_e32 v41, 0xffff, v26
	v_cvt_f32_fp8_e32 v31, v31
	v_fma_mixlo_f16 v27, v23, v27, 0
	v_fmac_f32_e32 v20, v24, v39
	s_waitcnt lgkmcnt(0)
	;;#ASMSTART
	v_cvt_f32_f16 v26, v40;
	;;#ASMEND
	;;#ASMSTART
	v_cvt_f32_f16 v40, v41;
	;;#ASMEND
	ds_read_u16 v41, v12 offset:8
	v_and_b32_e32 v42, 0xffff, v27
	v_fma_mixlo_f16 v28, v23, v28, 0
	v_fmac_f32_e32 v20, v26, v40
	s_waitcnt lgkmcnt(0)
	;;#ASMSTART
	v_cvt_f32_f16 v27, v41;
	;;#ASMEND
	;;#ASMSTART
	v_cvt_f32_f16 v41, v42;
	;;#ASMEND
	ds_read_u16 v42, v12 offset:10
	v_cvt_f32_fp8_e32 v32, v32
	v_cvt_f32_fp8_e32 v33, v33
	v_and_b32_e32 v43, 0xffff, v28
	v_fma_mixlo_f16 v29, v23, v29, 0
	v_fmac_f32_e32 v20, v27, v41
	s_waitcnt lgkmcnt(0)
	;;#ASMSTART
	v_cvt_f32_f16 v28, v42;
	;;#ASMEND
	;;#ASMSTART
	v_cvt_f32_f16 v42, v43;
	;;#ASMEND
	ds_read_u16 v43, v12 offset:12
	v_and_b32_e32 v44, 0xffff, v29
	v_fma_mixlo_f16 v30, v23, v30, 0
	v_fmac_f32_e32 v20, v28, v42
	v_cvt_f32_fp8_e32 v34, v34
	v_cvt_f32_fp8_e32 v35, v35
	s_waitcnt lgkmcnt(0)
	;;#ASMSTART
	v_cvt_f32_f16 v29, v43;
	;;#ASMEND
	;;#ASMSTART
	v_cvt_f32_f16 v43, v44;
	;;#ASMEND
	ds_read_u16 v44, v12 offset:14
	v_cvt_f32_fp8_e32 v36, v36
	v_and_b32_e32 v45, 0xffff, v30
	v_fma_mixlo_f16 v31, v23, v31, 0
	v_fmac_f32_e32 v20, v29, v43
	s_waitcnt lgkmcnt(0)
	;;#ASMSTART
	v_cvt_f32_f16 v30, v44;
	;;#ASMEND
	;;#ASMSTART
	v_cvt_f32_f16 v44, v45;
	;;#ASMEND
	ds_read_u16 v45, v12 offset:16
	v_and_b32_e32 v46, 0xffff, v31
	v_fmac_f32_e32 v20, v30, v44
	v_fma_mixlo_f16 v32, v23, v32, 0
	v_fma_mixlo_f16 v33, v23, v33, 0
	s_waitcnt lgkmcnt(0)
	;;#ASMSTART
	v_cvt_f32_f16 v31, v45;
	;;#ASMEND
	;;#ASMSTART
	v_cvt_f32_f16 v45, v46;
	;;#ASMEND
	ds_read_u16 v46, v12 offset:18
	v_fmac_f32_e32 v20, v31, v45
	v_and_b32_e32 v47, 0xffff, v32
	s_waitcnt lgkmcnt(0)
	;;#ASMSTART
	v_cvt_f32_f16 v32, v46;
	;;#ASMEND
	;;#ASMSTART
	v_cvt_f32_f16 v46, v47;
	;;#ASMEND
	v_and_b32_e32 v33, 0xffff, v33
	v_fmac_f32_e32 v20, v32, v46
	v_fma_mixlo_f16 v34, v23, v34, 0
	v_fma_mixlo_f16 v35, v23, v35, 0
	;; [unrolled: 1-line block ×3, first 2 shown]
	ds_read_u16 v47, v12 offset:20
	s_waitcnt lgkmcnt(0)
	;;#ASMSTART
	v_cvt_f32_f16 v23, v47;
	;;#ASMEND
	;;#ASMSTART
	v_cvt_f32_f16 v33, v33;
	;;#ASMEND
	v_and_b32_e32 v34, 0xffff, v34
	v_fmac_f32_e32 v20, v23, v33
	ds_read_u16 v47, v12 offset:22
	s_waitcnt lgkmcnt(0)
	;;#ASMSTART
	v_cvt_f32_f16 v19, v47;
	;;#ASMEND
	;;#ASMSTART
	v_cvt_f32_f16 v22, v34;
	;;#ASMEND
	v_and_b32_e32 v35, 0xffff, v35
	v_fmac_f32_e32 v20, v19, v22
	ds_read_u16 v34, v12 offset:24
	s_waitcnt lgkmcnt(0)
	;;#ASMSTART
	v_cvt_f32_f16 v24, v34;
	;;#ASMEND
	;;#ASMSTART
	v_cvt_f32_f16 v26, v35;
	;;#ASMEND
	ds_read_u16 v27, v12 offset:26
	v_fmac_f32_e32 v20, v24, v26
	v_and_b32_e32 v36, 0xffff, v36
	s_waitcnt lgkmcnt(0)
	;;#ASMSTART
	v_cvt_f32_f16 v27, v27;
	;;#ASMEND
	;;#ASMSTART
	v_cvt_f32_f16 v28, v36;
	;;#ASMEND
	v_lshlrev_b32_e32 v21, 2, v21
	v_fmac_f32_e32 v20, v27, v28
	ds_read_u16 v29, v12 offset:28
	s_waitcnt lgkmcnt(0)
	;;#ASMSTART
	v_cvt_f32_f16 v19, v29;
	;;#ASMEND
	;;#ASMSTART
	v_cvt_f32_f16 v22, v48;
	;;#ASMEND
	v_cmp_lt_i32_e64 s[8:9], v16, v4
	v_fmac_f32_e32 v20, v19, v22
	ds_bpermute_b32 v19, v21, v20
	v_cndmask_b32_e64 v21, v3, v16, s[8:9]
	v_lshlrev_b32_e32 v21, 2, v21
	v_cmp_lt_i32_e64 s[8:9], v17, v4
	s_waitcnt lgkmcnt(0)
	v_add_f32_e32 v19, v20, v19
	ds_bpermute_b32 v20, v21, v19
	v_cndmask_b32_e64 v21, v3, v17, s[8:9]
	s_waitcnt lgkmcnt(0)
	v_add_f32_e32 v19, v19, v20
	v_lshlrev_b32_e32 v20, 2, v21
	ds_bpermute_b32 v20, v20, v19
	s_and_saveexec_b64 s[36:37], vcc
	s_cbranch_execz .LBB230_8
; %bb.10:                               ;   in Loop: Header=BB230_9 Depth=1
	v_add_u32_e32 v21, s39, v13
	v_cvt_f32_i32_e32 v21, v21
	s_waitcnt lgkmcnt(0)
	v_add_f32_e32 v19, v19, v20
	v_cmp_gt_i32_e64 s[8:9], s21, v13
	v_max_f32_e32 v20, v11, v11
	v_mul_f32_e32 v21, s10, v21
	v_cndmask_b32_e64 v21, 0, v21, s[0:1]
	v_fmac_f32_e32 v21, s11, v19
	v_cndmask_b32_e64 v19, 0, v21, s[8:9]
	ds_write_b32 v14, v19
	v_max_f32_e32 v19, v20, v21
	v_cndmask_b32_e64 v11, v11, v19, s[8:9]
	s_branch .LBB230_8
.LBB230_11:
	s_or_b64 exec, exec, s[18:19]
.LBB230_12:
	s_or_b64 exec, exec, s[34:35]
	v_xor_b32_e32 v5, 32, v3
	v_cmp_lt_i32_e32 vcc, v5, v4
	v_xor_b32_e32 v8, 16, v3
	v_max_f32_e32 v7, v11, v11
	v_cndmask_b32_e32 v5, v3, v5, vcc
	v_lshlrev_b32_e32 v6, 2, v5
	ds_bpermute_b32 v5, v6, v11
	v_cmp_lt_i32_e32 vcc, v8, v4
	v_xor_b32_e32 v9, 8, v3
	v_and_b32_e32 v26, 63, v0
	s_waitcnt lgkmcnt(0)
	v_max_f32_e32 v5, v5, v5
	v_max_f32_e32 v5, v7, v5
	v_cndmask_b32_e32 v7, v3, v8, vcc
	v_lshlrev_b32_e32 v8, 2, v7
	ds_bpermute_b32 v7, v8, v5
	v_cmp_lt_i32_e32 vcc, v9, v4
	s_waitcnt lgkmcnt(0)
	v_max_f32_e32 v7, v7, v7
	v_max_f32_e32 v7, v5, v7
	v_cndmask_b32_e32 v5, v3, v9, vcc
	v_lshlrev_b32_e32 v11, 2, v5
	ds_bpermute_b32 v9, v11, v7
	v_cmp_eq_u32_e32 vcc, 0, v26
	v_lshlrev_b32_e32 v5, 2, v25
	s_and_saveexec_b64 s[0:1], vcc
	s_cbranch_execz .LBB230_14
; %bb.13:
	s_waitcnt lgkmcnt(0)
	v_max_f32_e32 v9, v9, v9
	v_max_f32_e32 v7, v7, v7
	;; [unrolled: 1-line block ×3, first 2 shown]
	ds_write_b32 v5, v7 offset:240
.LBB230_14:
	s_or_b64 exec, exec, s[0:1]
	v_cmp_gt_u32_e64 s[0:1], 2, v26
	v_mov_b32_e32 v12, 0xff7fffff
	v_lshlrev_b32_e32 v7, 2, v26
	s_waitcnt lgkmcnt(0)
	s_barrier
	s_and_saveexec_b64 s[8:9], s[0:1]
; %bb.15:
	ds_read_b32 v12, v7 offset:240
; %bb.16:
	s_or_b64 exec, exec, s[8:9]
	v_xor_b32_e32 v9, 1, v3
	v_cmp_lt_i32_e64 s[8:9], v9, v4
	v_lshlrev_b32_e32 v10, 2, v10
	s_nop 0
	v_cndmask_b32_e64 v9, v3, v9, s[8:9]
	v_lshlrev_b32_e32 v9, 2, v9
	s_waitcnt lgkmcnt(0)
	ds_bpermute_b32 v13, v9, v12
	v_max_f32_e32 v12, v12, v12
	s_lshl_b32 s8, s33, 3
	s_min_i32 s34, s8, s21
	v_cmp_gt_i32_e64 s[8:9], s34, v0
	s_waitcnt lgkmcnt(0)
	v_max_f32_e32 v13, v13, v13
	v_max_f32_e32 v12, v12, v13
	ds_bpermute_b32 v12, v10, v12
	v_mov_b32_e32 v10, 0
	s_and_saveexec_b64 s[12:13], s[8:9]
	s_cbranch_execz .LBB230_20
; %bb.17:
	v_mov_b32_e32 v10, 0x100
	v_lshl_add_u32 v13, v0, 2, v10
	v_mov_b32_e32 v10, 0
	s_mov_b64 s[18:19], 0
	v_mov_b32_e32 v14, v0
.LBB230_18:                             ; =>This Inner Loop Header: Depth=1
	ds_read_b32 v15, v13
	v_add_u32_e32 v14, 0x80, v14
	v_cmp_le_i32_e64 s[10:11], s34, v14
	s_or_b64 s[18:19], s[10:11], s[18:19]
	s_waitcnt lgkmcnt(0)
	v_sub_f32_e32 v15, v15, v12
	v_mul_f32_e32 v15, 0x3fb8aa3b, v15
	v_exp_f32_e32 v15, v15
	ds_write_b32 v13, v15
	v_add_f32_e32 v10, v10, v15
	v_add_u32_e32 v13, 0x200, v13
	s_andn2_b64 exec, exec, s[18:19]
	s_cbranch_execnz .LBB230_18
; %bb.19:
	s_or_b64 exec, exec, s[18:19]
.LBB230_20:
	s_or_b64 exec, exec, s[12:13]
	ds_bpermute_b32 v6, v6, v10
	s_waitcnt lgkmcnt(0)
	v_add_f32_e32 v6, v10, v6
	ds_bpermute_b32 v8, v8, v6
	v_xor_b32_e32 v10, 4, v3
	v_cmp_lt_i32_e64 s[10:11], v10, v4
	s_waitcnt lgkmcnt(0)
	v_add_f32_e32 v6, v6, v8
	ds_bpermute_b32 v8, v11, v6
	v_cndmask_b32_e64 v10, v3, v10, s[10:11]
	v_lshlrev_b32_e32 v10, 2, v10
	s_waitcnt lgkmcnt(0)
	v_add_f32_e32 v6, v6, v8
	ds_bpermute_b32 v8, v10, v6
	v_xor_b32_e32 v10, 2, v3
	v_cmp_lt_i32_e64 s[10:11], v10, v4
	s_waitcnt lgkmcnt(0)
	v_add_f32_e32 v6, v6, v8
	v_cndmask_b32_e64 v4, v3, v10, s[10:11]
	v_lshlrev_b32_e32 v4, 2, v4
	ds_bpermute_b32 v4, v4, v6
	s_waitcnt lgkmcnt(0)
	v_add_f32_e32 v4, v6, v4
	ds_bpermute_b32 v6, v9, v4
	s_waitcnt lgkmcnt(0)
	v_add_f32_e32 v4, v4, v6
	s_and_saveexec_b64 s[10:11], vcc
; %bb.21:
	ds_write_b32 v5, v4 offset:248
; %bb.22:
	s_or_b64 exec, exec, s[10:11]
	s_waitcnt lgkmcnt(0)
	s_barrier
	s_and_saveexec_b64 s[10:11], s[0:1]
; %bb.23:
	ds_read_b32 v4, v7 offset:248
; %bb.24:
	s_or_b64 exec, exec, s[10:11]
	s_waitcnt lgkmcnt(0)
	ds_bpermute_b32 v5, v9, v4
	v_lshlrev_b32_e32 v3, 2, v3
	v_and_b32_e32 v3, 0xffffff00, v3
	s_waitcnt lgkmcnt(0)
	v_add_f32_e32 v4, v4, v5
	ds_bpermute_b32 v3, v3, v4
	s_and_saveexec_b64 s[0:1], s[8:9]
	s_cbranch_execz .LBB230_37
; %bb.25:
	s_waitcnt lgkmcnt(0)
	v_add_f32_e32 v3, 0x358637bd, v3
	v_div_scale_f32 v4, s[8:9], v3, v3, 1.0
	v_rcp_f32_e32 v5, v4
	v_div_scale_f32 v6, vcc, 1.0, v3, 1.0
	s_movk_i32 s8, 0x7f
	v_fma_f32 v7, -v4, v5, 1.0
	v_fmac_f32_e32 v5, v7, v5
	v_mul_f32_e32 v7, v6, v5
	v_fma_f32 v8, -v4, v7, v6
	v_fmac_f32_e32 v7, v8, v5
	v_fma_f32 v4, -v4, v7, v6
	v_div_fmas_f32 v4, v4, v5, v7
	v_xad_u32 v5, v0, -1, s34
	v_div_fixup_f32 v4, v4, v3, 1.0
	v_cmp_lt_u32_e32 vcc, s8, v5
	s_mov_b64 s[10:11], -1
	v_mov_b32_e32 v3, v0
	s_and_saveexec_b64 s[8:9], vcc
	s_cbranch_execz .LBB230_34
; %bb.26:
	v_lshrrev_b32_e32 v3, 7, v5
	v_add_u32_e32 v7, -1, v3
	v_lshrrev_b32_e32 v6, 1, v7
	v_mov_b32_e32 v5, v4
	v_add_u32_e32 v6, 1, v6
	v_cmp_lt_u32_e32 vcc, 13, v7
	v_mov_b32_e32 v9, 0
	s_and_saveexec_b64 s[10:11], vcc
	s_cbranch_execz .LBB230_30
; %bb.27:
	v_mov_b32_e32 v8, 0x100
	v_and_b32_e32 v7, -8, v6
	v_lshl_add_u32 v8, v0, 2, v8
	s_mov_b32 s18, 0
	s_mov_b64 s[12:13], 0
.LBB230_28:                             ; =>This Inner Loop Header: Depth=1
	ds_read2st64_b32 v[10:11], v8 offset1:2
	ds_read2st64_b32 v[12:13], v8 offset0:4 offset1:6
	ds_read2st64_b32 v[14:15], v8 offset0:8 offset1:10
	;; [unrolled: 1-line block ×3, first 2 shown]
	v_add_u32_e32 v7, -8, v7
	s_waitcnt lgkmcnt(3)
	v_pk_mul_f32 v[10:11], v[4:5], v[10:11]
	s_waitcnt lgkmcnt(2)
	v_pk_mul_f32 v[12:13], v[4:5], v[12:13]
	ds_write2st64_b32 v8, v10, v11 offset1:2
	ds_write2st64_b32 v8, v12, v13 offset0:4 offset1:6
	ds_read2st64_b32 v[12:13], v8 offset0:16 offset1:18
	s_waitcnt lgkmcnt(4)
	v_pk_mul_f32 v[10:11], v[4:5], v[14:15]
	ds_write2st64_b32 v8, v10, v11 offset0:8 offset1:10
	s_waitcnt lgkmcnt(4)
	v_pk_mul_f32 v[10:11], v[4:5], v[16:17]
	ds_write2st64_b32 v8, v10, v11 offset0:12 offset1:14
	ds_read2st64_b32 v[10:11], v8 offset0:20 offset1:22
	s_waitcnt lgkmcnt(3)
	v_pk_mul_f32 v[12:13], v[4:5], v[12:13]
	ds_read2st64_b32 v[14:15], v8 offset0:24 offset1:26
	ds_write2st64_b32 v8, v12, v13 offset0:16 offset1:18
	ds_read2st64_b32 v[12:13], v8 offset0:28 offset1:30
	s_waitcnt lgkmcnt(3)
	v_pk_mul_f32 v[10:11], v[4:5], v[10:11]
	ds_write2st64_b32 v8, v10, v11 offset0:20 offset1:22
	s_waitcnt lgkmcnt(3)
	v_pk_mul_f32 v[10:11], v[4:5], v[14:15]
	ds_write2st64_b32 v8, v10, v11 offset0:24 offset1:26
	s_waitcnt lgkmcnt(2)
	v_pk_mul_f32 v[10:11], v[4:5], v[12:13]
	s_add_i32 s18, s18, 16
	v_cmp_eq_u32_e32 vcc, 0, v7
	ds_write2st64_b32 v8, v10, v11 offset0:28 offset1:30
	v_add_u32_e32 v8, 0x2000, v8
	s_or_b64 s[12:13], vcc, s[12:13]
	v_mov_b32_e32 v9, s18
	s_andn2_b64 exec, exec, s[12:13]
	s_cbranch_execnz .LBB230_28
; %bb.29:
	s_or_b64 exec, exec, s[12:13]
.LBB230_30:
	s_or_b64 exec, exec, s[10:11]
	v_and_b32_e32 v6, 7, v6
	v_cmp_ne_u32_e32 vcc, 0, v6
	s_and_saveexec_b64 s[10:11], vcc
	s_cbranch_execz .LBB230_33
; %bb.31:
	v_lshlrev_b32_e32 v7, 9, v9
	v_lshlrev_b32_e32 v8, 2, v0
	s_movk_i32 s12, 0x100
	v_add3_u32 v7, v7, v8, s12
	s_mov_b64 s[12:13], 0
.LBB230_32:                             ; =>This Inner Loop Header: Depth=1
	ds_read2st64_b32 v[8:9], v7 offset1:2
	v_add_u32_e32 v6, -1, v6
	v_cmp_eq_u32_e32 vcc, 0, v6
	s_or_b64 s[12:13], vcc, s[12:13]
	s_waitcnt lgkmcnt(0)
	v_pk_mul_f32 v[8:9], v[4:5], v[8:9]
	ds_write2st64_b32 v7, v8, v9 offset1:2
	v_add_u32_e32 v7, 0x400, v7
	s_andn2_b64 exec, exec, s[12:13]
	s_cbranch_execnz .LBB230_32
.LBB230_33:
	s_or_b64 exec, exec, s[10:11]
	v_add_u32_e32 v5, 1, v3
	v_and_b32_e32 v6, 0x3fffffe, v5
	v_cmp_ne_u32_e32 vcc, v5, v6
	v_lshl_add_u32 v3, v6, 7, v0
	s_orn2_b64 s[10:11], vcc, exec
.LBB230_34:
	s_or_b64 exec, exec, s[8:9]
	s_and_b64 exec, exec, s[10:11]
	s_cbranch_execz .LBB230_37
; %bb.35:
	v_mov_b32_e32 v5, 0x100
	v_lshl_add_u32 v5, v3, 2, v5
	s_mov_b64 s[8:9], 0
.LBB230_36:                             ; =>This Inner Loop Header: Depth=1
	ds_read_b32 v6, v5
	v_add_u32_e32 v3, 0x80, v3
	v_cmp_le_i32_e32 vcc, s34, v3
	s_or_b64 s[8:9], vcc, s[8:9]
	s_waitcnt lgkmcnt(0)
	v_mul_f32_e32 v6, v4, v6
	ds_write_b32 v5, v6
	v_add_u32_e32 v5, 0x200, v5
	s_andn2_b64 exec, exec, s[8:9]
	s_cbranch_execnz .LBB230_36
.LBB230_37:
	s_or_b64 exec, exec, s[0:1]
	v_mov_b32_e32 v28, 0
	v_mov_b32_e32 v27, 0
	s_waitcnt lgkmcnt(0)
	s_barrier
	s_and_saveexec_b64 s[8:9], s[2:3]
	s_cbranch_execz .LBB230_143
; %bb.38:
	s_ashr_i32 s1, s16, 31
	s_add_u32 s0, s30, s16
	v_or_b32_e32 v3, 64, v26
	s_movk_i32 s2, 0x78
	s_addc_u32 s1, s31, s1
	s_add_i32 s30, s33, -1
	v_cmp_gt_u32_e32 vcc, s2, v3
	s_lshl_b64 s[2:3], s[28:29], 2
	s_add_u32 s2, s26, s2
	s_mov_b32 s10, -1
	v_mov_b32_e32 v7, 0
	v_lshlrev_b32_e32 v8, 3, v3
	v_mov_b32_e32 v3, 0x100
	v_and_b32_e32 v6, 60, v1
	s_addc_u32 s3, s27, s3
	s_mov_b32 s34, s17
	s_mov_b32 s11, 0xffffff
	v_lshlrev_b32_e32 v4, 3, v26
	v_mov_b32_e32 v5, v7
	v_mov_b32_e32 v9, v7
	s_mov_b32 s31, s21
	v_lshlrev_b32_e32 v29, 3, v25
	v_lshl_add_u32 v30, v25, 5, v3
	v_lshl_add_u64 v[10:11], s[2:3], 0, v[6:7]
	s_mov_b64 s[12:13], 0
	v_mov_b64_e32 v[12:13], s[0:1]
	s_movk_i32 s35, 0x80
	s_movk_i32 s36, 0x7f
	s_mov_b32 s37, 0x8000
	v_mov_b32_e32 v31, 0x2000
	v_mov_b32_e32 v27, 0
	;; [unrolled: 1-line block ×3, first 2 shown]
	s_branch .LBB230_41
.LBB230_39:                             ;   in Loop: Header=BB230_41 Depth=1
	s_or_b64 exec, exec, s[18:19]
	;;#ASMSTART
	v_pk_mul_f16 v1, v35, v1;

	;;#ASMEND
	;;#ASMSTART
	v_pk_mul_f16 v3, v34, v16;

	;;#ASMEND
	;; [unrolled: 4-line block ×4, first 2 shown]
	s_nop 0
	;;#ASMSTART
	v_pk_add_f16 v1, v1, v3;

	;;#ASMEND
	s_nop 0
	;;#ASMSTART
	v_pk_add_f16 v1, v1, v6;

	;;#ASMEND
	;; [unrolled: 5-line block ×3, first 2 shown]
	s_nop 0
	v_lshrrev_b32_e32 v3, 16, v1
	v_and_b32_e32 v1, 0xffff, v1
	;;#ASMSTART
	v_cvt_f32_f16 v1, v1;
	;;#ASMEND
	;;#ASMSTART
	v_cvt_f32_f16 v3, v3;
	;;#ASMEND
	s_nop 0
	v_add_f32_e32 v1, v1, v3
	v_add_f32_e32 v27, v27, v1
.LBB230_40:                             ;   in Loop: Header=BB230_41 Depth=1
	s_or_b64 exec, exec, s[16:17]
	v_add_u32_e32 v25, 2, v25
	v_add_f32_e32 v1, v23, v24
	v_cmp_le_i32_e64 s[0:1], s33, v25
	v_add_f32_e32 v28, v28, v1
	v_add_u32_e32 v29, 16, v29
	v_add_u32_e32 v30, 64, v30
	s_or_b64 s[12:13], s[0:1], s[12:13]
	v_lshl_add_u64 v[10:11], v[10:11], 0, 8
	s_andn2_b64 exec, exec, s[12:13]
	s_cbranch_execz .LBB230_142
.LBB230_41:                             ; =>This Inner Loop Header: Depth=1
	global_load_dword v1, v[10:11], off
	ds_read2_b64 v[14:17], v30 offset1:1
	ds_read2_b64 v[18:21], v30 offset0:2 offset1:3
	s_waitcnt lgkmcnt(1)
	;;#ASMSTART
	v_cvt_f16_f32 v32, v14;

	;;#ASMEND
	;;#ASMSTART
	v_cvt_f16_f32 v33, v15;

	;;#ASMEND
	;; [unrolled: 4-line block ×4, first 2 shown]
	s_waitcnt lgkmcnt(0)
	;;#ASMSTART
	v_cvt_f16_f32 v37, v18;

	;;#ASMEND
	;;#ASMSTART
	v_cvt_f16_f32 v38, v19;

	;;#ASMEND
	;; [unrolled: 4-line block ×4, first 2 shown]
	s_waitcnt vmcnt(0)
	v_mad_i64_i32 v[14:15], s[0:1], v1, s34, v[12:13]
	v_lshl_add_u64 v[20:21], v[14:15], 0, v[4:5]
	global_load_dwordx2 v[18:19], v[20:21], off
	global_load_dword v16, v7, s[14:15]
	v_mov_b32_e32 v1, 0
	s_waitcnt vmcnt(1)
	v_cmp_ne_u16_sdwa s[0:1], v18, v7 src0_sel:BYTE_0 src1_sel:DWORD
	s_and_saveexec_b64 s[2:3], s[0:1]
	s_cbranch_execz .LBB230_47
; %bb.42:                               ;   in Loop: Header=BB230_41 Depth=1
	v_cmp_ne_u16_sdwa s[0:1], v18, s35 src0_sel:BYTE_0 src1_sel:DWORD
	v_mov_b32_e32 v1, 0x8000
	s_and_saveexec_b64 s[16:17], s[0:1]
	s_cbranch_execz .LBB230_46
; %bb.43:                               ;   in Loop: Header=BB230_41 Depth=1
	v_and_b32_e32 v3, 0x7f, v18
	v_cmp_ne_u32_e64 s[0:1], s36, v3
	v_mov_b32_e32 v1, 0x7c01
	s_and_saveexec_b64 s[18:19], s[0:1]
	s_cbranch_execz .LBB230_45
; %bb.44:                               ;   in Loop: Header=BB230_41 Depth=1
	v_and_b32_e32 v1, 7, v18
	v_ffbh_u32_e32 v17, v1
	v_min_u32_e32 v17, 32, v17
	v_lshrrev_b32_e32 v6, 3, v3
	v_subrev_u32_e32 v20, 28, v17
	v_sub_u32_e32 v17, 29, v17
	v_cmp_gt_u32_e64 s[0:1], 8, v3
	v_lshlrev_b64 v[20:21], v20, v[18:19]
	s_nop 0
	v_cndmask_b32_e64 v3, v6, v17, s[0:1]
	v_lshl_add_u32 v3, v3, 10, v31
	v_lshlrev_b32_e32 v6, 8, v18
	v_and_b32_e32 v17, 7, v20
	v_and_b32_e32 v3, 0xfc00, v3
	v_cndmask_b32_e64 v1, v1, v17, s[0:1]
	v_and_or_b32 v3, v6, s37, v3
	v_lshl_or_b32 v1, v1, 7, v3
.LBB230_45:                             ;   in Loop: Header=BB230_41 Depth=1
	s_or_b64 exec, exec, s[18:19]
.LBB230_46:                             ;   in Loop: Header=BB230_41 Depth=1
	s_or_b64 exec, exec, s[16:17]
.LBB230_47:                             ;   in Loop: Header=BB230_41 Depth=1
	s_or_b64 exec, exec, s[2:3]
	v_lshrrev_b16_e32 v6, 8, v18
	v_cmp_ne_u16_e64 s[0:1], 0, v6
	v_mov_b32_e32 v3, 0
	v_mov_b32_e32 v17, 0
	s_and_saveexec_b64 s[2:3], s[0:1]
	s_cbranch_execz .LBB230_53
; %bb.48:                               ;   in Loop: Header=BB230_41 Depth=1
	v_cmp_ne_u16_e64 s[0:1], s35, v6
	v_bfrev_b32_e32 v17, 1
	s_and_saveexec_b64 s[16:17], s[0:1]
	s_cbranch_execz .LBB230_52
; %bb.49:                               ;   in Loop: Header=BB230_41 Depth=1
	v_and_b32_e32 v20, 0x7f, v6
	v_cmp_ne_u32_e64 s[0:1], s36, v20
	v_mov_b32_e32 v17, 0x7c010000
	s_and_saveexec_b64 s[18:19], s[0:1]
	s_cbranch_execz .LBB230_51
; %bb.50:                               ;   in Loop: Header=BB230_41 Depth=1
	v_and_b32_e32 v17, 7, v6
	v_ffbh_u32_e32 v22, v17
	v_min_u32_e32 v24, 32, v22
	v_subrev_u32_e32 v22, 28, v24
	v_lshlrev_b64 v[22:23], v22, v[6:7]
	v_lshrrev_b32_e32 v21, 3, v20
	v_sub_u32_e32 v23, 29, v24
	v_cmp_gt_u32_e64 s[0:1], 8, v20
	v_lshlrev_b32_e32 v6, 8, v6
	s_nop 0
	v_cndmask_b32_e64 v20, v21, v23, s[0:1]
	v_lshl_add_u32 v20, v20, 10, v31
	v_and_b32_e32 v21, 7, v22
	v_and_or_b32 v6, v6, s37, v20
	v_cndmask_b32_e64 v17, v17, v21, s[0:1]
	v_lshlrev_b32_e32 v6, 16, v6
	v_lshl_or_b32 v17, v17, 23, v6
.LBB230_51:                             ;   in Loop: Header=BB230_41 Depth=1
	s_or_b64 exec, exec, s[18:19]
.LBB230_52:                             ;   in Loop: Header=BB230_41 Depth=1
	s_or_b64 exec, exec, s[16:17]
.LBB230_53:                             ;   in Loop: Header=BB230_41 Depth=1
	s_or_b64 exec, exec, s[2:3]
	v_lshrrev_b32_e32 v6, 16, v18
	v_cmp_ne_u16_sdwa s[0:1], v6, v7 src0_sel:BYTE_0 src1_sel:DWORD
	s_and_saveexec_b64 s[2:3], s[0:1]
	s_cbranch_execz .LBB230_59
; %bb.54:                               ;   in Loop: Header=BB230_41 Depth=1
	v_cmp_ne_u16_sdwa s[0:1], v6, s35 src0_sel:BYTE_0 src1_sel:DWORD
	v_mov_b32_e32 v3, 0x8000
	s_and_saveexec_b64 s[16:17], s[0:1]
	s_cbranch_execz .LBB230_58
; %bb.55:                               ;   in Loop: Header=BB230_41 Depth=1
	v_bfe_u32 v20, v18, 16, 7
	v_cmp_ne_u32_e64 s[0:1], s36, v20
	v_mov_b32_e32 v3, 0x7c01
	s_and_saveexec_b64 s[18:19], s[0:1]
	s_cbranch_execz .LBB230_57
; %bb.56:                               ;   in Loop: Header=BB230_41 Depth=1
	v_and_b32_e32 v3, 7, v6
	v_ffbh_u32_e32 v22, v3
	v_min_u32_e32 v24, 32, v22
	v_subrev_u32_e32 v22, 28, v24
	v_lshlrev_b64 v[22:23], v22, v[6:7]
	v_lshrrev_b32_e32 v21, 3, v20
	v_sub_u32_e32 v23, 29, v24
	v_cmp_gt_u32_e64 s[0:1], 8, v20
	v_lshlrev_b32_e32 v6, 8, v6
	s_nop 0
	v_cndmask_b32_e64 v20, v21, v23, s[0:1]
	v_lshl_add_u32 v20, v20, 10, v31
	v_and_b32_e32 v21, 7, v22
	v_and_b32_e32 v20, 0xfc00, v20
	v_cndmask_b32_e64 v3, v3, v21, s[0:1]
	v_and_or_b32 v6, v6, s37, v20
	v_lshl_or_b32 v3, v3, 7, v6
.LBB230_57:                             ;   in Loop: Header=BB230_41 Depth=1
	s_or_b64 exec, exec, s[18:19]
.LBB230_58:                             ;   in Loop: Header=BB230_41 Depth=1
	s_or_b64 exec, exec, s[16:17]
.LBB230_59:                             ;   in Loop: Header=BB230_41 Depth=1
	s_or_b64 exec, exec, s[2:3]
	v_cmp_lt_u32_e64 s[0:1], s11, v18
	v_mov_b32_e32 v21, 0
	v_mov_b32_e32 v20, 0
	s_and_saveexec_b64 s[2:3], s[0:1]
	s_cbranch_execz .LBB230_65
; %bb.60:                               ;   in Loop: Header=BB230_41 Depth=1
	v_lshrrev_b32_e32 v6, 24, v18
	v_cmp_ne_u32_e64 s[0:1], s35, v6
	v_bfrev_b32_e32 v20, 1
	s_and_saveexec_b64 s[16:17], s[0:1]
	s_cbranch_execz .LBB230_64
; %bb.61:                               ;   in Loop: Header=BB230_41 Depth=1
	v_and_b32_e32 v22, 0x7f, v6
	v_cmp_ne_u32_e64 s[0:1], s36, v22
	v_mov_b32_e32 v20, 0x7c010000
	s_and_saveexec_b64 s[18:19], s[0:1]
	s_cbranch_execz .LBB230_63
; %bb.62:                               ;   in Loop: Header=BB230_41 Depth=1
	v_and_b32_e32 v20, 7, v6
	v_ffbh_u32_e32 v24, v20
	v_min_u32_e32 v24, 32, v24
	v_lshrrev_b32_e32 v23, 3, v22
	v_subrev_u32_e32 v35, 28, v24
	v_sub_u32_e32 v24, 29, v24
	v_cmp_gt_u32_e64 s[0:1], 8, v22
	v_lshlrev_b64 v[42:43], v35, v[6:7]
	v_lshlrev_b32_e32 v6, 8, v6
	v_cndmask_b32_e64 v22, v23, v24, s[0:1]
	v_lshl_add_u32 v22, v22, 10, v31
	v_and_b32_e32 v23, 7, v42
	v_and_or_b32 v6, v6, s37, v22
	v_cndmask_b32_e64 v20, v20, v23, s[0:1]
	v_lshlrev_b32_e32 v6, 16, v6
	v_lshl_or_b32 v20, v20, 23, v6
.LBB230_63:                             ;   in Loop: Header=BB230_41 Depth=1
	s_or_b64 exec, exec, s[18:19]
.LBB230_64:                             ;   in Loop: Header=BB230_41 Depth=1
	s_or_b64 exec, exec, s[16:17]
.LBB230_65:                             ;   in Loop: Header=BB230_41 Depth=1
	s_or_b64 exec, exec, s[2:3]
	v_mov_b32_e32 v6, v19
	v_cmp_ne_u16_sdwa s[0:1], v19, v7 src0_sel:BYTE_0 src1_sel:DWORD
	s_and_saveexec_b64 s[2:3], s[0:1]
	s_cbranch_execz .LBB230_71
; %bb.66:                               ;   in Loop: Header=BB230_41 Depth=1
	v_cmp_ne_u16_sdwa s[0:1], v19, s35 src0_sel:BYTE_0 src1_sel:DWORD
	v_mov_b32_e32 v21, 0x8000
	s_and_saveexec_b64 s[16:17], s[0:1]
	s_cbranch_execz .LBB230_70
; %bb.67:                               ;   in Loop: Header=BB230_41 Depth=1
	v_and_b32_e32 v22, 0x7f, v19
	v_cmp_ne_u32_e64 s[0:1], s36, v22
	v_mov_b32_e32 v21, 0x7c01
	s_and_saveexec_b64 s[18:19], s[0:1]
	s_cbranch_execz .LBB230_69
; %bb.68:                               ;   in Loop: Header=BB230_41 Depth=1
	v_and_b32_e32 v21, 7, v19
	v_ffbh_u32_e32 v24, v21
	v_min_u32_e32 v24, 32, v24
	v_lshrrev_b32_e32 v23, 3, v22
	v_subrev_u32_e32 v35, 28, v24
	v_sub_u32_e32 v24, 29, v24
	v_cmp_gt_u32_e64 s[0:1], 8, v22
	v_lshlrev_b64 v[42:43], v35, v[6:7]
	s_nop 0
	v_cndmask_b32_e64 v22, v23, v24, s[0:1]
	v_lshl_add_u32 v22, v22, 10, v31
	v_lshlrev_b32_e32 v23, 8, v19
	v_and_b32_e32 v24, 7, v42
	v_and_b32_e32 v22, 0xfc00, v22
	v_cndmask_b32_e64 v21, v21, v24, s[0:1]
	v_and_or_b32 v22, v23, s37, v22
	v_lshl_or_b32 v21, v21, 7, v22
.LBB230_69:                             ;   in Loop: Header=BB230_41 Depth=1
	s_or_b64 exec, exec, s[18:19]
.LBB230_70:                             ;   in Loop: Header=BB230_41 Depth=1
	s_or_b64 exec, exec, s[16:17]
.LBB230_71:                             ;   in Loop: Header=BB230_41 Depth=1
	s_or_b64 exec, exec, s[2:3]
	v_lshrrev_b16_e32 v6, 8, v6
	v_cmp_ne_u16_e64 s[0:1], 0, v6
	v_mov_b32_e32 v23, 0
	v_mov_b32_e32 v22, 0
	s_and_saveexec_b64 s[2:3], s[0:1]
	s_cbranch_execz .LBB230_77
; %bb.72:                               ;   in Loop: Header=BB230_41 Depth=1
	v_cmp_ne_u16_e64 s[0:1], s35, v6
	v_bfrev_b32_e32 v22, 1
	s_and_saveexec_b64 s[16:17], s[0:1]
	s_cbranch_execz .LBB230_76
; %bb.73:                               ;   in Loop: Header=BB230_41 Depth=1
	v_and_b32_e32 v24, 0x7f, v6
	v_cmp_ne_u32_e64 s[0:1], s36, v24
	v_mov_b32_e32 v22, 0x7c010000
	s_and_saveexec_b64 s[18:19], s[0:1]
	s_cbranch_execz .LBB230_75
; %bb.74:                               ;   in Loop: Header=BB230_41 Depth=1
	v_and_b32_e32 v22, 7, v6
	v_ffbh_u32_e32 v41, v22
	v_min_u32_e32 v41, 32, v41
	v_lshrrev_b32_e32 v35, 3, v24
	v_subrev_u32_e32 v42, 28, v41
	v_sub_u32_e32 v41, 29, v41
	v_cmp_gt_u32_e64 s[0:1], 8, v24
	v_lshlrev_b64 v[42:43], v42, v[6:7]
	v_lshlrev_b32_e32 v6, 8, v6
	v_cndmask_b32_e64 v24, v35, v41, s[0:1]
	v_lshl_add_u32 v24, v24, 10, v31
	v_and_b32_e32 v35, 7, v42
	v_and_or_b32 v6, v6, s37, v24
	v_cndmask_b32_e64 v22, v22, v35, s[0:1]
	v_lshlrev_b32_e32 v6, 16, v6
	v_lshl_or_b32 v22, v22, 23, v6
.LBB230_75:                             ;   in Loop: Header=BB230_41 Depth=1
	s_or_b64 exec, exec, s[18:19]
.LBB230_76:                             ;   in Loop: Header=BB230_41 Depth=1
	s_or_b64 exec, exec, s[16:17]
.LBB230_77:                             ;   in Loop: Header=BB230_41 Depth=1
	s_or_b64 exec, exec, s[2:3]
	v_lshrrev_b32_e32 v6, 16, v19
	v_cmp_ne_u16_sdwa s[0:1], v6, v7 src0_sel:BYTE_0 src1_sel:DWORD
	s_and_saveexec_b64 s[2:3], s[0:1]
	s_cbranch_execz .LBB230_83
; %bb.78:                               ;   in Loop: Header=BB230_41 Depth=1
	v_cmp_ne_u16_sdwa s[0:1], v6, s35 src0_sel:BYTE_0 src1_sel:DWORD
	v_mov_b32_e32 v23, 0x8000
	s_and_saveexec_b64 s[16:17], s[0:1]
	s_cbranch_execz .LBB230_82
; %bb.79:                               ;   in Loop: Header=BB230_41 Depth=1
	v_bfe_u32 v24, v19, 16, 7
	v_cmp_ne_u32_e64 s[0:1], s36, v24
	v_mov_b32_e32 v23, 0x7c01
	s_and_saveexec_b64 s[18:19], s[0:1]
	s_cbranch_execz .LBB230_81
; %bb.80:                               ;   in Loop: Header=BB230_41 Depth=1
	v_and_b32_e32 v23, 7, v6
	v_ffbh_u32_e32 v41, v23
	v_min_u32_e32 v41, 32, v41
	v_lshrrev_b32_e32 v35, 3, v24
	v_subrev_u32_e32 v42, 28, v41
	v_sub_u32_e32 v41, 29, v41
	v_cmp_gt_u32_e64 s[0:1], 8, v24
	v_lshlrev_b64 v[42:43], v42, v[6:7]
	v_lshlrev_b32_e32 v6, 8, v6
	v_cndmask_b32_e64 v24, v35, v41, s[0:1]
	v_lshl_add_u32 v24, v24, 10, v31
	v_and_b32_e32 v35, 7, v42
	v_and_b32_e32 v24, 0xfc00, v24
	v_cndmask_b32_e64 v23, v23, v35, s[0:1]
	v_and_or_b32 v6, v6, s37, v24
	v_lshl_or_b32 v23, v23, 7, v6
.LBB230_81:                             ;   in Loop: Header=BB230_41 Depth=1
	s_or_b64 exec, exec, s[18:19]
.LBB230_82:                             ;   in Loop: Header=BB230_41 Depth=1
	s_or_b64 exec, exec, s[16:17]
.LBB230_83:                             ;   in Loop: Header=BB230_41 Depth=1
	s_or_b64 exec, exec, s[2:3]
	v_cmp_lt_u64_e64 s[0:1], s[10:11], v[18:19]
	v_mov_b32_e32 v24, 0
	s_and_saveexec_b64 s[2:3], s[0:1]
	s_cbranch_execz .LBB230_89
; %bb.84:                               ;   in Loop: Header=BB230_41 Depth=1
	v_lshrrev_b32_e32 v6, 24, v19
	v_cmp_ne_u32_e64 s[0:1], s35, v6
	v_bfrev_b32_e32 v24, 1
	s_and_saveexec_b64 s[16:17], s[0:1]
	s_cbranch_execz .LBB230_88
; %bb.85:                               ;   in Loop: Header=BB230_41 Depth=1
	v_and_b32_e32 v18, 0x7f, v6
	v_cmp_ne_u32_e64 s[0:1], s36, v18
	v_mov_b32_e32 v24, 0x7c010000
	s_and_saveexec_b64 s[18:19], s[0:1]
	s_cbranch_execz .LBB230_87
; %bb.86:                               ;   in Loop: Header=BB230_41 Depth=1
	v_and_b32_e32 v19, 7, v6
	v_ffbh_u32_e32 v35, v19
	v_min_u32_e32 v35, 32, v35
	v_lshrrev_b32_e32 v24, 3, v18
	v_subrev_u32_e32 v41, 28, v35
	v_sub_u32_e32 v35, 29, v35
	v_cmp_gt_u32_e64 s[0:1], 8, v18
	v_lshlrev_b64 v[42:43], v41, v[6:7]
	v_lshlrev_b32_e32 v6, 8, v6
	v_cndmask_b32_e64 v18, v24, v35, s[0:1]
	v_lshl_add_u32 v18, v18, 10, v31
	v_and_b32_e32 v24, 7, v42
	v_and_or_b32 v6, v6, s37, v18
	v_cndmask_b32_e64 v19, v19, v24, s[0:1]
	v_lshlrev_b32_e32 v6, 16, v6
	v_lshl_or_b32 v24, v19, 23, v6
.LBB230_87:                             ;   in Loop: Header=BB230_41 Depth=1
	s_or_b64 exec, exec, s[18:19]
.LBB230_88:                             ;   in Loop: Header=BB230_41 Depth=1
	s_or_b64 exec, exec, s[16:17]
.LBB230_89:                             ;   in Loop: Header=BB230_41 Depth=1
	s_or_b64 exec, exec, s[2:3]
	v_cvt_f32_f16_sdwa v19, v17 dst_sel:DWORD dst_unused:UNUSED_PAD src0_sel:WORD_1
	v_cvt_f32_f16_sdwa v18, v20 dst_sel:DWORD dst_unused:UNUSED_PAD src0_sel:WORD_1
	v_or_b32_e32 v1, v17, v1
	v_or_b32_e32 v3, v20, v3
	v_cvt_f32_f16_e32 v42, v3
	v_cvt_f32_f16_e32 v43, v1
	s_waitcnt vmcnt(0)
	v_pk_mul_f32 v[18:19], v[16:17], v[18:19] op_sel_hi:[0,1]
	v_cvt_pk_f16_f32 v1, v18, v19
	v_or_b32_e32 v6, v22, v21
	v_pk_mul_f32 v[42:43], v[16:17], v[42:43] op_sel_hi:[0,1]
	v_or_b32_e32 v19, v24, v23
	v_and_b32_e32 v3, 0xffff0000, v1
	v_lshlrev_b32_e32 v18, 16, v1
	v_cvt_pk_f16_f32 v1, v42, v43
	v_cvt_f32_f16_e32 v42, v19
	v_cvt_f32_f16_e32 v43, v6
	v_cvt_f32_f16_sdwa v23, v22 dst_sel:DWORD dst_unused:UNUSED_PAD src0_sel:WORD_1
	v_cvt_f32_f16_sdwa v22, v24 dst_sel:DWORD dst_unused:UNUSED_PAD src0_sel:WORD_1
	v_lshrrev_b32_e32 v17, 16, v1
	v_pk_mul_f32 v[42:43], v[16:17], v[42:43] op_sel_hi:[0,1]
	v_cvt_pk_f16_f32 v24, v42, v43
	v_pk_mul_f32 v[22:23], v[16:17], v[22:23] op_sel_hi:[0,1]
	v_cvt_pk_f16_f32 v16, v22, v23
	v_and_b32_e32 v20, 0xffff, v1
	v_and_b32_e32 v19, 0xffff0000, v16
	v_lshlrev_b32_e32 v16, 16, v16
	v_lshrrev_b32_e32 v21, 16, v24
	v_and_b32_e32 v22, 0xffff, v24
	v_cmp_eq_u32_e64 s[2:3], s30, v25
	v_or_b32_e32 v1, v3, v17
	v_or_b32_e32 v6, v18, v20
	;; [unrolled: 1-line block ×4, first 2 shown]
	s_and_saveexec_b64 s[16:17], s[2:3]
	s_cbranch_execz .LBB230_91
; %bb.90:                               ;   in Loop: Header=BB230_41 Depth=1
	v_add_u32_e32 v23, 2, v29
	v_cmp_gt_i32_e64 s[0:1], s31, v29
	v_or_b32_e32 v1, 1, v29
	v_or_b32_e32 v6, 3, v29
	v_cndmask_b32_e64 v17, 0, v17, s[0:1]
	v_cmp_gt_i32_e64 s[0:1], s21, v23
	s_nop 1
	v_cndmask_b32_e64 v20, 0, v20, s[0:1]
	v_cmp_gt_i32_e64 s[0:1], s31, v1
	s_nop 1
	v_cndmask_b32_e64 v1, 0, v3, s[0:1]
	v_cmp_gt_i32_e64 s[0:1], s21, v6
	v_or_b32_e32 v1, v1, v17
	v_or_b32_e32 v17, 6, v29
	v_cndmask_b32_e64 v3, 0, v18, s[0:1]
	v_or_b32_e32 v6, v3, v20
	v_or_b32_e32 v3, 4, v29
	v_cmp_gt_i32_e64 s[0:1], s31, v3
	v_or_b32_e32 v18, 5, v29
	v_or_b32_e32 v20, 7, v29
	v_cndmask_b32_e64 v3, 0, v21, s[0:1]
	v_cmp_gt_i32_e64 s[0:1], s21, v17
	s_nop 1
	v_cndmask_b32_e64 v17, 0, v22, s[0:1]
	v_cmp_gt_i32_e64 s[0:1], s31, v18
	s_nop 1
	v_cndmask_b32_e64 v18, 0, v19, s[0:1]
	v_cmp_gt_i32_e64 s[0:1], s21, v20
	v_or_b32_e32 v23, v18, v3
	s_nop 0
	v_cndmask_b32_e64 v16, 0, v16, s[0:1]
	v_or_b32_e32 v24, v16, v17
.LBB230_91:                             ;   in Loop: Header=BB230_41 Depth=1
	s_or_b64 exec, exec, s[16:17]
	v_and_b32_e32 v3, 0xffff, v32
	v_lshl_or_b32 v35, v33, 16, v3
	v_and_b32_e32 v3, 0xffff, v34
	v_lshl_or_b32 v34, v36, 16, v3
	;; [unrolled: 2-line block ×3, first 2 shown]
	v_and_b32_e32 v3, 0xffff, v39
	;;#ASMSTART
	v_pk_mul_f16 v1, v35, v1;

	;;#ASMEND
	v_lshl_or_b32 v32, v40, 16, v3
	;;#ASMSTART
	v_pk_mul_f16 v3, v34, v6;

	;;#ASMEND
	;;#ASMSTART
	v_pk_mul_f16 v6, v33, v23;

	;;#ASMEND
	;; [unrolled: 4-line block ×3, first 2 shown]
	s_nop 0
	;;#ASMSTART
	v_pk_add_f16 v1, v1, v3;

	;;#ASMEND
	s_nop 0
	;;#ASMSTART
	v_pk_add_f16 v1, v1, v6;

	;;#ASMEND
	;; [unrolled: 5-line block ×3, first 2 shown]
	s_nop 0
	v_lshrrev_b32_e32 v3, 16, v1
	v_and_b32_e32 v1, 0xffff, v1
	;;#ASMSTART
	v_cvt_f32_f16 v23, v1;
	;;#ASMEND
	;;#ASMSTART
	v_cvt_f32_f16 v24, v3;
	;;#ASMEND
	s_and_saveexec_b64 s[16:17], vcc
	s_cbranch_execz .LBB230_40
; %bb.92:                               ;   in Loop: Header=BB230_41 Depth=1
	v_lshl_add_u64 v[14:15], v[14:15], 0, v[8:9]
	global_load_dwordx2 v[16:17], v[14:15], off
	v_mov_b32_e32 v1, 0
	global_load_dword v14, v1, s[14:15]
	v_mov_b32_e32 v3, 0
	s_waitcnt vmcnt(1)
	v_cmp_ne_u16_sdwa s[0:1], v16, v7 src0_sel:BYTE_0 src1_sel:DWORD
	s_and_saveexec_b64 s[18:19], s[0:1]
	s_cbranch_execz .LBB230_98
; %bb.93:                               ;   in Loop: Header=BB230_41 Depth=1
	v_cmp_ne_u16_sdwa s[0:1], v16, s35 src0_sel:BYTE_0 src1_sel:DWORD
	v_mov_b32_e32 v3, 0x8000
	s_and_saveexec_b64 s[26:27], s[0:1]
	s_cbranch_execz .LBB230_97
; %bb.94:                               ;   in Loop: Header=BB230_41 Depth=1
	v_and_b32_e32 v6, 0x7f, v16
	v_cmp_ne_u32_e64 s[0:1], s36, v6
	v_mov_b32_e32 v3, 0x7c01
	s_and_saveexec_b64 s[28:29], s[0:1]
	s_cbranch_execz .LBB230_96
; %bb.95:                               ;   in Loop: Header=BB230_41 Depth=1
	v_and_b32_e32 v3, 7, v16
	v_ffbh_u32_e32 v18, v3
	v_min_u32_e32 v20, 32, v18
	v_subrev_u32_e32 v18, 28, v20
	v_lshlrev_b64 v[18:19], v18, v[16:17]
	v_lshrrev_b32_e32 v15, 3, v6
	v_sub_u32_e32 v19, 29, v20
	v_cmp_gt_u32_e64 s[0:1], 8, v6
	v_and_b32_e32 v18, 7, v18
	s_nop 0
	v_cndmask_b32_e64 v6, v15, v19, s[0:1]
	v_lshl_add_u32 v6, v6, 10, v31
	v_lshlrev_b32_e32 v15, 8, v16
	v_and_b32_e32 v6, 0xfc00, v6
	v_cndmask_b32_e64 v3, v3, v18, s[0:1]
	v_and_or_b32 v6, v15, s37, v6
	v_lshl_or_b32 v3, v3, 7, v6
.LBB230_96:                             ;   in Loop: Header=BB230_41 Depth=1
	s_or_b64 exec, exec, s[28:29]
.LBB230_97:                             ;   in Loop: Header=BB230_41 Depth=1
	s_or_b64 exec, exec, s[26:27]
.LBB230_98:                             ;   in Loop: Header=BB230_41 Depth=1
	s_or_b64 exec, exec, s[18:19]
	v_lshrrev_b16_e32 v6, 8, v16
	v_cmp_ne_u16_e64 s[0:1], 0, v6
	s_and_saveexec_b64 s[18:19], s[0:1]
	s_cbranch_execz .LBB230_104
; %bb.99:                               ;   in Loop: Header=BB230_41 Depth=1
	v_cmp_ne_u16_e64 s[0:1], s35, v6
	v_bfrev_b32_e32 v1, 1
	s_and_saveexec_b64 s[26:27], s[0:1]
	s_cbranch_execz .LBB230_103
; %bb.100:                              ;   in Loop: Header=BB230_41 Depth=1
	v_and_b32_e32 v15, 0x7f, v6
	v_cmp_ne_u32_e64 s[0:1], s36, v15
	v_mov_b32_e32 v1, 0x7c010000
	s_and_saveexec_b64 s[28:29], s[0:1]
	s_cbranch_execz .LBB230_102
; %bb.101:                              ;   in Loop: Header=BB230_41 Depth=1
	v_and_b32_e32 v1, 7, v6
	v_ffbh_u32_e32 v18, v1
	v_min_u32_e32 v21, 32, v18
	v_subrev_u32_e32 v18, 28, v21
	v_lshlrev_b64 v[18:19], v18, v[6:7]
	v_lshrrev_b32_e32 v20, 3, v15
	v_sub_u32_e32 v19, 29, v21
	v_cmp_gt_u32_e64 s[0:1], 8, v15
	v_lshlrev_b32_e32 v6, 8, v6
	v_and_b32_e32 v18, 7, v18
	v_cndmask_b32_e64 v15, v20, v19, s[0:1]
	v_lshl_add_u32 v15, v15, 10, v31
	v_and_or_b32 v6, v6, s37, v15
	v_cndmask_b32_e64 v1, v1, v18, s[0:1]
	v_lshlrev_b32_e32 v6, 16, v6
	v_lshl_or_b32 v1, v1, 23, v6
.LBB230_102:                            ;   in Loop: Header=BB230_41 Depth=1
	s_or_b64 exec, exec, s[28:29]
.LBB230_103:                            ;   in Loop: Header=BB230_41 Depth=1
	s_or_b64 exec, exec, s[26:27]
.LBB230_104:                            ;   in Loop: Header=BB230_41 Depth=1
	s_or_b64 exec, exec, s[18:19]
	v_lshrrev_b32_e32 v6, 16, v16
	v_cmp_ne_u16_sdwa s[0:1], v6, v7 src0_sel:BYTE_0 src1_sel:DWORD
	v_mov_b32_e32 v18, 0
	v_mov_b32_e32 v15, 0
	s_and_saveexec_b64 s[18:19], s[0:1]
	s_cbranch_execz .LBB230_110
; %bb.105:                              ;   in Loop: Header=BB230_41 Depth=1
	v_cmp_ne_u16_sdwa s[0:1], v6, s35 src0_sel:BYTE_0 src1_sel:DWORD
	v_mov_b32_e32 v15, 0x8000
	s_and_saveexec_b64 s[26:27], s[0:1]
	s_cbranch_execz .LBB230_109
; %bb.106:                              ;   in Loop: Header=BB230_41 Depth=1
	v_bfe_u32 v19, v16, 16, 7
	v_cmp_ne_u32_e64 s[0:1], s36, v19
	v_mov_b32_e32 v15, 0x7c01
	s_and_saveexec_b64 s[28:29], s[0:1]
	s_cbranch_execz .LBB230_108
; %bb.107:                              ;   in Loop: Header=BB230_41 Depth=1
	v_and_b32_e32 v15, 7, v6
	v_ffbh_u32_e32 v20, v15
	v_min_u32_e32 v36, 32, v20
	v_subrev_u32_e32 v20, 28, v36
	v_lshlrev_b64 v[20:21], v20, v[6:7]
	v_lshrrev_b32_e32 v22, 3, v19
	v_sub_u32_e32 v21, 29, v36
	v_cmp_gt_u32_e64 s[0:1], 8, v19
	v_lshlrev_b32_e32 v6, 8, v6
	v_and_b32_e32 v20, 7, v20
	v_cndmask_b32_e64 v19, v22, v21, s[0:1]
	v_lshl_add_u32 v19, v19, 10, v31
	v_and_b32_e32 v19, 0xfc00, v19
	v_cndmask_b32_e64 v15, v15, v20, s[0:1]
	v_and_or_b32 v6, v6, s37, v19
	v_lshl_or_b32 v15, v15, 7, v6
.LBB230_108:                            ;   in Loop: Header=BB230_41 Depth=1
	s_or_b64 exec, exec, s[28:29]
.LBB230_109:                            ;   in Loop: Header=BB230_41 Depth=1
	s_or_b64 exec, exec, s[26:27]
.LBB230_110:                            ;   in Loop: Header=BB230_41 Depth=1
	s_or_b64 exec, exec, s[18:19]
	v_cmp_lt_u32_e64 s[0:1], s11, v16
	s_and_saveexec_b64 s[18:19], s[0:1]
	s_cbranch_execz .LBB230_116
; %bb.111:                              ;   in Loop: Header=BB230_41 Depth=1
	v_lshrrev_b32_e32 v6, 24, v16
	v_cmp_ne_u32_e64 s[0:1], s35, v6
	v_bfrev_b32_e32 v18, 1
	s_and_saveexec_b64 s[26:27], s[0:1]
	s_cbranch_execz .LBB230_115
; %bb.112:                              ;   in Loop: Header=BB230_41 Depth=1
	v_and_b32_e32 v19, 0x7f, v6
	v_cmp_ne_u32_e64 s[0:1], s36, v19
	v_mov_b32_e32 v18, 0x7c010000
	s_and_saveexec_b64 s[28:29], s[0:1]
	s_cbranch_execz .LBB230_114
; %bb.113:                              ;   in Loop: Header=BB230_41 Depth=1
	v_and_b32_e32 v18, 7, v6
	v_ffbh_u32_e32 v20, v18
	v_min_u32_e32 v36, 32, v20
	v_subrev_u32_e32 v20, 28, v36
	v_lshlrev_b64 v[20:21], v20, v[6:7]
	v_lshrrev_b32_e32 v22, 3, v19
	v_sub_u32_e32 v21, 29, v36
	v_cmp_gt_u32_e64 s[0:1], 8, v19
	v_lshlrev_b32_e32 v6, 8, v6
	v_and_b32_e32 v20, 7, v20
	v_cndmask_b32_e64 v19, v22, v21, s[0:1]
	v_lshl_add_u32 v19, v19, 10, v31
	v_and_or_b32 v6, v6, s37, v19
	v_cndmask_b32_e64 v18, v18, v20, s[0:1]
	v_lshlrev_b32_e32 v6, 16, v6
	v_lshl_or_b32 v18, v18, 23, v6
.LBB230_114:                            ;   in Loop: Header=BB230_41 Depth=1
	s_or_b64 exec, exec, s[28:29]
.LBB230_115:                            ;   in Loop: Header=BB230_41 Depth=1
	s_or_b64 exec, exec, s[26:27]
.LBB230_116:                            ;   in Loop: Header=BB230_41 Depth=1
	s_or_b64 exec, exec, s[18:19]
	v_mov_b32_e32 v6, v17
	v_cmp_ne_u16_sdwa s[0:1], v17, v7 src0_sel:BYTE_0 src1_sel:DWORD
	v_mov_b32_e32 v19, 0
	v_mov_b32_e32 v20, 0
	s_and_saveexec_b64 s[18:19], s[0:1]
	s_cbranch_execz .LBB230_122
; %bb.117:                              ;   in Loop: Header=BB230_41 Depth=1
	v_cmp_ne_u16_sdwa s[0:1], v17, s35 src0_sel:BYTE_0 src1_sel:DWORD
	v_mov_b32_e32 v20, 0x8000
	s_and_saveexec_b64 s[26:27], s[0:1]
	s_cbranch_execz .LBB230_121
; %bb.118:                              ;   in Loop: Header=BB230_41 Depth=1
	v_and_b32_e32 v21, 0x7f, v17
	v_cmp_ne_u32_e64 s[0:1], s36, v21
	v_mov_b32_e32 v20, 0x7c01
	s_and_saveexec_b64 s[28:29], s[0:1]
	s_cbranch_execz .LBB230_120
; %bb.119:                              ;   in Loop: Header=BB230_41 Depth=1
	v_and_b32_e32 v20, 7, v17
	v_ffbh_u32_e32 v36, v20
	v_min_u32_e32 v38, 32, v36
	v_subrev_u32_e32 v36, 28, v38
	v_lshlrev_b64 v[36:37], v36, v[6:7]
	v_lshrrev_b32_e32 v22, 3, v21
	v_sub_u32_e32 v37, 29, v38
	v_cmp_gt_u32_e64 s[0:1], 8, v21
	v_and_b32_e32 v36, 7, v36
	s_nop 0
	v_cndmask_b32_e64 v21, v22, v37, s[0:1]
	v_lshl_add_u32 v21, v21, 10, v31
	v_lshlrev_b32_e32 v22, 8, v17
	v_and_b32_e32 v21, 0xfc00, v21
	v_cndmask_b32_e64 v20, v20, v36, s[0:1]
	v_and_or_b32 v21, v22, s37, v21
	v_lshl_or_b32 v20, v20, 7, v21
.LBB230_120:                            ;   in Loop: Header=BB230_41 Depth=1
	s_or_b64 exec, exec, s[28:29]
.LBB230_121:                            ;   in Loop: Header=BB230_41 Depth=1
	s_or_b64 exec, exec, s[26:27]
.LBB230_122:                            ;   in Loop: Header=BB230_41 Depth=1
	s_or_b64 exec, exec, s[18:19]
	v_lshrrev_b16_e32 v6, 8, v6
	v_cmp_ne_u16_e64 s[0:1], 0, v6
	v_mov_b32_e32 v21, 0
	s_and_saveexec_b64 s[18:19], s[0:1]
	s_cbranch_execz .LBB230_128
; %bb.123:                              ;   in Loop: Header=BB230_41 Depth=1
	v_cmp_ne_u16_e64 s[0:1], s35, v6
	v_bfrev_b32_e32 v21, 1
	s_and_saveexec_b64 s[26:27], s[0:1]
	s_cbranch_execz .LBB230_127
; %bb.124:                              ;   in Loop: Header=BB230_41 Depth=1
	v_and_b32_e32 v22, 0x7f, v6
	v_cmp_ne_u32_e64 s[0:1], s36, v22
	v_mov_b32_e32 v21, 0x7c010000
	s_and_saveexec_b64 s[28:29], s[0:1]
	s_cbranch_execz .LBB230_126
; %bb.125:                              ;   in Loop: Header=BB230_41 Depth=1
	v_and_b32_e32 v21, 7, v6
	v_ffbh_u32_e32 v36, v21
	v_min_u32_e32 v39, 32, v36
	v_subrev_u32_e32 v36, 28, v39
	v_lshlrev_b64 v[36:37], v36, v[6:7]
	v_lshrrev_b32_e32 v38, 3, v22
	v_sub_u32_e32 v37, 29, v39
	v_cmp_gt_u32_e64 s[0:1], 8, v22
	v_lshlrev_b32_e32 v6, 8, v6
	v_and_b32_e32 v36, 7, v36
	v_cndmask_b32_e64 v22, v38, v37, s[0:1]
	v_lshl_add_u32 v22, v22, 10, v31
	v_and_or_b32 v6, v6, s37, v22
	v_cndmask_b32_e64 v21, v21, v36, s[0:1]
	v_lshlrev_b32_e32 v6, 16, v6
	v_lshl_or_b32 v21, v21, 23, v6
.LBB230_126:                            ;   in Loop: Header=BB230_41 Depth=1
	s_or_b64 exec, exec, s[28:29]
.LBB230_127:                            ;   in Loop: Header=BB230_41 Depth=1
	s_or_b64 exec, exec, s[26:27]
.LBB230_128:                            ;   in Loop: Header=BB230_41 Depth=1
	s_or_b64 exec, exec, s[18:19]
	v_lshrrev_b32_e32 v6, 16, v17
	v_cmp_ne_u16_sdwa s[0:1], v6, v7 src0_sel:BYTE_0 src1_sel:DWORD
	s_and_saveexec_b64 s[18:19], s[0:1]
	s_cbranch_execz .LBB230_134
; %bb.129:                              ;   in Loop: Header=BB230_41 Depth=1
	v_cmp_ne_u16_sdwa s[0:1], v6, s35 src0_sel:BYTE_0 src1_sel:DWORD
	v_mov_b32_e32 v19, 0x8000
	s_and_saveexec_b64 s[26:27], s[0:1]
	s_cbranch_execz .LBB230_133
; %bb.130:                              ;   in Loop: Header=BB230_41 Depth=1
	v_bfe_u32 v22, v17, 16, 7
	v_cmp_ne_u32_e64 s[0:1], s36, v22
	v_mov_b32_e32 v19, 0x7c01
	s_and_saveexec_b64 s[28:29], s[0:1]
	s_cbranch_execz .LBB230_132
; %bb.131:                              ;   in Loop: Header=BB230_41 Depth=1
	v_and_b32_e32 v19, 7, v6
	v_ffbh_u32_e32 v36, v19
	v_min_u32_e32 v39, 32, v36
	v_subrev_u32_e32 v36, 28, v39
	v_lshlrev_b64 v[36:37], v36, v[6:7]
	v_lshrrev_b32_e32 v38, 3, v22
	v_sub_u32_e32 v37, 29, v39
	v_cmp_gt_u32_e64 s[0:1], 8, v22
	v_lshlrev_b32_e32 v6, 8, v6
	v_and_b32_e32 v36, 7, v36
	v_cndmask_b32_e64 v22, v38, v37, s[0:1]
	v_lshl_add_u32 v22, v22, 10, v31
	v_and_b32_e32 v22, 0xfc00, v22
	v_cndmask_b32_e64 v19, v19, v36, s[0:1]
	v_and_or_b32 v6, v6, s37, v22
	v_lshl_or_b32 v19, v19, 7, v6
.LBB230_132:                            ;   in Loop: Header=BB230_41 Depth=1
	s_or_b64 exec, exec, s[28:29]
.LBB230_133:                            ;   in Loop: Header=BB230_41 Depth=1
	s_or_b64 exec, exec, s[26:27]
.LBB230_134:                            ;   in Loop: Header=BB230_41 Depth=1
	s_or_b64 exec, exec, s[18:19]
	v_cmp_lt_u64_e64 s[0:1], s[10:11], v[16:17]
	v_mov_b32_e32 v16, 0
	s_and_saveexec_b64 s[18:19], s[0:1]
	s_cbranch_execz .LBB230_140
; %bb.135:                              ;   in Loop: Header=BB230_41 Depth=1
	v_lshrrev_b32_e32 v6, 24, v17
	v_cmp_ne_u32_e64 s[0:1], s35, v6
	v_bfrev_b32_e32 v16, 1
	s_and_saveexec_b64 s[26:27], s[0:1]
	s_cbranch_execz .LBB230_139
; %bb.136:                              ;   in Loop: Header=BB230_41 Depth=1
	v_and_b32_e32 v17, 0x7f, v6
	v_cmp_ne_u32_e64 s[0:1], s36, v17
	v_mov_b32_e32 v16, 0x7c010000
	s_and_saveexec_b64 s[28:29], s[0:1]
	s_cbranch_execz .LBB230_138
; %bb.137:                              ;   in Loop: Header=BB230_41 Depth=1
	v_and_b32_e32 v16, 7, v6
	v_ffbh_u32_e32 v36, v16
	v_min_u32_e32 v38, 32, v36
	v_subrev_u32_e32 v36, 28, v38
	v_lshlrev_b64 v[36:37], v36, v[6:7]
	v_lshrrev_b32_e32 v22, 3, v17
	v_sub_u32_e32 v37, 29, v38
	v_cmp_gt_u32_e64 s[0:1], 8, v17
	v_lshlrev_b32_e32 v6, 8, v6
	s_nop 0
	v_cndmask_b32_e64 v17, v22, v37, s[0:1]
	v_lshl_add_u32 v17, v17, 10, v31
	v_and_b32_e32 v22, 7, v36
	v_and_or_b32 v6, v6, s37, v17
	v_cndmask_b32_e64 v16, v16, v22, s[0:1]
	v_lshlrev_b32_e32 v6, 16, v6
	v_lshl_or_b32 v16, v16, 23, v6
.LBB230_138:                            ;   in Loop: Header=BB230_41 Depth=1
	s_or_b64 exec, exec, s[28:29]
.LBB230_139:                            ;   in Loop: Header=BB230_41 Depth=1
	s_or_b64 exec, exec, s[26:27]
.LBB230_140:                            ;   in Loop: Header=BB230_41 Depth=1
	s_or_b64 exec, exec, s[18:19]
	v_cvt_f32_f16_sdwa v37, v1 dst_sel:DWORD dst_unused:UNUSED_PAD src0_sel:WORD_1
	v_cvt_f32_f16_sdwa v36, v18 dst_sel:DWORD dst_unused:UNUSED_PAD src0_sel:WORD_1
	v_or_b32_e32 v1, v1, v3
	v_or_b32_e32 v3, v18, v15
	v_cvt_f32_f16_e32 v38, v3
	v_cvt_f32_f16_e32 v39, v1
	s_waitcnt vmcnt(0)
	v_pk_mul_f32 v[36:37], v[14:15], v[36:37] op_sel_hi:[0,1]
	v_cvt_pk_f16_f32 v1, v36, v37
	v_or_b32_e32 v17, v21, v20
	v_pk_mul_f32 v[36:37], v[14:15], v[38:39] op_sel_hi:[0,1]
	v_or_b32_e32 v19, v16, v19
	v_and_b32_e32 v3, 0xffff0000, v1
	v_lshlrev_b32_e32 v6, 16, v1
	v_cvt_pk_f16_f32 v1, v36, v37
	v_cvt_f32_f16_e32 v36, v19
	v_cvt_f32_f16_e32 v37, v17
	v_cvt_f32_f16_sdwa v21, v21 dst_sel:DWORD dst_unused:UNUSED_PAD src0_sel:WORD_1
	v_cvt_f32_f16_sdwa v20, v16 dst_sel:DWORD dst_unused:UNUSED_PAD src0_sel:WORD_1
	v_lshrrev_b32_e32 v15, 16, v1
	v_pk_mul_f32 v[36:37], v[14:15], v[36:37] op_sel_hi:[0,1]
	v_cvt_pk_f16_f32 v22, v36, v37
	v_pk_mul_f32 v[20:21], v[14:15], v[20:21] op_sel_hi:[0,1]
	v_cvt_pk_f16_f32 v14, v20, v21
	v_and_b32_e32 v18, 0xffff, v1
	v_and_b32_e32 v17, 0xffff0000, v14
	v_lshlrev_b32_e32 v14, 16, v14
	v_lshrrev_b32_e32 v19, 16, v22
	v_and_b32_e32 v20, 0xffff, v22
	v_or_b32_e32 v1, v3, v15
	v_or_b32_e32 v16, v6, v18
	;; [unrolled: 1-line block ×4, first 2 shown]
	s_and_saveexec_b64 s[18:19], s[2:3]
	s_cbranch_execz .LBB230_39
; %bb.141:                              ;   in Loop: Header=BB230_41 Depth=1
	v_add_u32_e32 v21, 2, v29
	v_cmp_gt_i32_e64 s[0:1], s31, v29
	v_or_b32_e32 v1, 1, v29
	v_or_b32_e32 v16, 3, v29
	v_cndmask_b32_e64 v15, 0, v15, s[0:1]
	v_cmp_gt_i32_e64 s[0:1], s21, v21
	s_nop 1
	v_cndmask_b32_e64 v18, 0, v18, s[0:1]
	v_cmp_gt_i32_e64 s[0:1], s31, v1
	s_nop 1
	v_cndmask_b32_e64 v1, 0, v3, s[0:1]
	v_cmp_gt_i32_e64 s[0:1], s21, v16
	v_or_b32_e32 v1, v1, v15
	v_or_b32_e32 v15, 5, v29
	v_cndmask_b32_e64 v3, 0, v6, s[0:1]
	v_or_b32_e32 v16, v3, v18
	v_or_b32_e32 v3, 4, v29
	;; [unrolled: 1-line block ×3, first 2 shown]
	v_cmp_gt_i32_e64 s[0:1], s31, v3
	v_or_b32_e32 v18, 7, v29
	s_nop 0
	v_cndmask_b32_e64 v3, 0, v19, s[0:1]
	v_cmp_gt_i32_e64 s[0:1], s21, v6
	s_nop 1
	v_cndmask_b32_e64 v6, 0, v20, s[0:1]
	v_cmp_gt_i32_e64 s[0:1], s31, v15
	s_nop 1
	v_cndmask_b32_e64 v15, 0, v17, s[0:1]
	v_cmp_gt_i32_e64 s[0:1], s21, v18
	v_or_b32_e32 v21, v15, v3
	s_nop 0
	v_cndmask_b32_e64 v14, 0, v14, s[0:1]
	v_or_b32_e32 v22, v14, v6
	s_branch .LBB230_39
.LBB230_142:
	s_or_b64 exec, exec, s[12:13]
.LBB230_143:
	s_or_b64 exec, exec, s[8:9]
	v_and_b32_e32 v1, 0x3c0, v0
	v_cmp_eq_u32_e32 vcc, 64, v1
	s_barrier
	s_and_saveexec_b64 s[0:1], vcc
	s_cbranch_execz .LBB230_146
; %bb.144:
	v_mov_b32_e32 v1, 0x100
	v_lshl_add_u32 v3, v26, 2, v1
	ds_write_b32 v3, v28
	s_and_b64 exec, exec, s[6:7]
; %bb.145:
	v_lshl_add_u32 v1, v0, 2, v1
	ds_write_b32 v1, v27
.LBB230_146:
	s_or_b64 exec, exec, s[0:1]
	v_cmp_gt_u32_e32 vcc, 64, v0
	v_or_b32_e32 v1, 64, v0
	s_waitcnt lgkmcnt(0)
	s_barrier
	s_and_saveexec_b64 s[2:3], vcc
	s_cbranch_execz .LBB230_150
; %bb.147:
	v_mov_b32_e32 v3, 0x100
	v_lshl_add_u32 v3, v0, 2, v3
	ds_read_b32 v0, v3
	s_movk_i32 s0, 0x78
	v_cmp_gt_u32_e64 s[0:1], s0, v1
	s_and_saveexec_b64 s[6:7], s[0:1]
	s_cbranch_execz .LBB230_149
; %bb.148:
	ds_read_b32 v3, v3 offset:256
	s_waitcnt lgkmcnt(0)
	v_add_f32_e32 v27, v27, v3
.LBB230_149:
	s_or_b64 exec, exec, s[6:7]
	s_waitcnt lgkmcnt(0)
	v_add_f32_e32 v28, v28, v0
.LBB230_150:
	s_or_b64 exec, exec, s[2:3]
	s_barrier
	s_and_saveexec_b64 s[0:1], vcc
	s_cbranch_execz .LBB230_153
; %bb.151:
	s_mul_i32 s0, s20, s23
	s_mul_i32 s0, s0, s5
	s_mulk_i32 s0, 0x78
	s_ashr_i32 s1, s0, 31
	s_lshl_b64 s[0:1], s[0:1], 1
	s_add_u32 s3, s24, s0
	s_mul_i32 s0, s23, s22
	s_addc_u32 s5, s25, s1
	s_ashr_i32 s1, s0, 31
	s_lshl_b64 s[0:1], s[0:1], 1
	s_add_u32 s3, s3, s0
	s_mul_i32 s0, s4, 0x78
	s_addc_u32 s5, s5, s1
	s_ashr_i32 s1, s0, 31
	s_lshl_b64 s[0:1], s[0:1], 1
	s_movk_i32 s2, 0x78
	s_add_u32 s0, s3, s0
	s_addc_u32 s1, s5, s1
	v_cmp_gt_u32_e32 vcc, s2, v1
	;;#ASMSTART
	v_cvt_f16_f32 v0, v28;

	;;#ASMEND
	global_store_short v2, v0, s[0:1]
	s_and_b64 exec, exec, vcc
	s_cbranch_execz .LBB230_153
; %bb.152:
	v_mov_b32_e32 v3, 0
	v_lshl_add_u64 v[0:1], s[0:1], 0, v[2:3]
	;;#ASMSTART
	v_cvt_f16_f32 v2, v27;

	;;#ASMEND
	global_store_short v[0:1], v2, off offset:128
.LBB230_153:
	s_endpgm
	.section	.rodata,"a",@progbits
	.p2align	6, 0x0
	.amdhsa_kernel _ZN4vllm25paged_attention_v1_kernelIthLi120ELi8ELi128ELNS_18Fp8KVCacheDataTypeE1ELb0EEEvPT_PKS2_PKT0_S8_ifPKiSA_iPKfiiiSC_SC_iiiii
		.amdhsa_group_segment_fixed_size 256
		.amdhsa_private_segment_fixed_size 0
		.amdhsa_kernarg_size 384
		.amdhsa_user_sgpr_count 2
		.amdhsa_user_sgpr_dispatch_ptr 0
		.amdhsa_user_sgpr_queue_ptr 0
		.amdhsa_user_sgpr_kernarg_segment_ptr 1
		.amdhsa_user_sgpr_dispatch_id 0
		.amdhsa_user_sgpr_kernarg_preload_length 0
		.amdhsa_user_sgpr_kernarg_preload_offset 0
		.amdhsa_user_sgpr_private_segment_size 0
		.amdhsa_uses_dynamic_stack 0
		.amdhsa_enable_private_segment 0
		.amdhsa_system_sgpr_workgroup_id_x 1
		.amdhsa_system_sgpr_workgroup_id_y 1
		.amdhsa_system_sgpr_workgroup_id_z 1
		.amdhsa_system_sgpr_workgroup_info 0
		.amdhsa_system_vgpr_workitem_id 0
		.amdhsa_next_free_vgpr 49
		.amdhsa_next_free_sgpr 40
		.amdhsa_accum_offset 52
		.amdhsa_reserve_vcc 1
		.amdhsa_float_round_mode_32 0
		.amdhsa_float_round_mode_16_64 0
		.amdhsa_float_denorm_mode_32 3
		.amdhsa_float_denorm_mode_16_64 3
		.amdhsa_dx10_clamp 1
		.amdhsa_ieee_mode 1
		.amdhsa_fp16_overflow 0
		.amdhsa_tg_split 0
		.amdhsa_exception_fp_ieee_invalid_op 0
		.amdhsa_exception_fp_denorm_src 0
		.amdhsa_exception_fp_ieee_div_zero 0
		.amdhsa_exception_fp_ieee_overflow 0
		.amdhsa_exception_fp_ieee_underflow 0
		.amdhsa_exception_fp_ieee_inexact 0
		.amdhsa_exception_int_div_zero 0
	.end_amdhsa_kernel
	.section	.text._ZN4vllm25paged_attention_v1_kernelIthLi120ELi8ELi128ELNS_18Fp8KVCacheDataTypeE1ELb0EEEvPT_PKS2_PKT0_S8_ifPKiSA_iPKfiiiSC_SC_iiiii,"axG",@progbits,_ZN4vllm25paged_attention_v1_kernelIthLi120ELi8ELi128ELNS_18Fp8KVCacheDataTypeE1ELb0EEEvPT_PKS2_PKT0_S8_ifPKiSA_iPKfiiiSC_SC_iiiii,comdat
.Lfunc_end230:
	.size	_ZN4vllm25paged_attention_v1_kernelIthLi120ELi8ELi128ELNS_18Fp8KVCacheDataTypeE1ELb0EEEvPT_PKS2_PKT0_S8_ifPKiSA_iPKfiiiSC_SC_iiiii, .Lfunc_end230-_ZN4vllm25paged_attention_v1_kernelIthLi120ELi8ELi128ELNS_18Fp8KVCacheDataTypeE1ELb0EEEvPT_PKS2_PKT0_S8_ifPKiSA_iPKfiiiSC_SC_iiiii
                                        ; -- End function
	.set _ZN4vllm25paged_attention_v1_kernelIthLi120ELi8ELi128ELNS_18Fp8KVCacheDataTypeE1ELb0EEEvPT_PKS2_PKT0_S8_ifPKiSA_iPKfiiiSC_SC_iiiii.num_vgpr, 49
	.set _ZN4vllm25paged_attention_v1_kernelIthLi120ELi8ELi128ELNS_18Fp8KVCacheDataTypeE1ELb0EEEvPT_PKS2_PKT0_S8_ifPKiSA_iPKfiiiSC_SC_iiiii.num_agpr, 0
	.set _ZN4vllm25paged_attention_v1_kernelIthLi120ELi8ELi128ELNS_18Fp8KVCacheDataTypeE1ELb0EEEvPT_PKS2_PKT0_S8_ifPKiSA_iPKfiiiSC_SC_iiiii.numbered_sgpr, 40
	.set _ZN4vllm25paged_attention_v1_kernelIthLi120ELi8ELi128ELNS_18Fp8KVCacheDataTypeE1ELb0EEEvPT_PKS2_PKT0_S8_ifPKiSA_iPKfiiiSC_SC_iiiii.num_named_barrier, 0
	.set _ZN4vllm25paged_attention_v1_kernelIthLi120ELi8ELi128ELNS_18Fp8KVCacheDataTypeE1ELb0EEEvPT_PKS2_PKT0_S8_ifPKiSA_iPKfiiiSC_SC_iiiii.private_seg_size, 0
	.set _ZN4vllm25paged_attention_v1_kernelIthLi120ELi8ELi128ELNS_18Fp8KVCacheDataTypeE1ELb0EEEvPT_PKS2_PKT0_S8_ifPKiSA_iPKfiiiSC_SC_iiiii.uses_vcc, 1
	.set _ZN4vllm25paged_attention_v1_kernelIthLi120ELi8ELi128ELNS_18Fp8KVCacheDataTypeE1ELb0EEEvPT_PKS2_PKT0_S8_ifPKiSA_iPKfiiiSC_SC_iiiii.uses_flat_scratch, 0
	.set _ZN4vllm25paged_attention_v1_kernelIthLi120ELi8ELi128ELNS_18Fp8KVCacheDataTypeE1ELb0EEEvPT_PKS2_PKT0_S8_ifPKiSA_iPKfiiiSC_SC_iiiii.has_dyn_sized_stack, 0
	.set _ZN4vllm25paged_attention_v1_kernelIthLi120ELi8ELi128ELNS_18Fp8KVCacheDataTypeE1ELb0EEEvPT_PKS2_PKT0_S8_ifPKiSA_iPKfiiiSC_SC_iiiii.has_recursion, 0
	.set _ZN4vllm25paged_attention_v1_kernelIthLi120ELi8ELi128ELNS_18Fp8KVCacheDataTypeE1ELb0EEEvPT_PKS2_PKT0_S8_ifPKiSA_iPKfiiiSC_SC_iiiii.has_indirect_call, 0
	.section	.AMDGPU.csdata,"",@progbits
; Kernel info:
; codeLenInByte = 8564
; TotalNumSgprs: 46
; NumVgprs: 49
; NumAgprs: 0
; TotalNumVgprs: 49
; ScratchSize: 0
; MemoryBound: 0
; FloatMode: 240
; IeeeMode: 1
; LDSByteSize: 256 bytes/workgroup (compile time only)
; SGPRBlocks: 5
; VGPRBlocks: 6
; NumSGPRsForWavesPerEU: 46
; NumVGPRsForWavesPerEU: 49
; AccumOffset: 52
; Occupancy: 8
; WaveLimiterHint : 1
; COMPUTE_PGM_RSRC2:SCRATCH_EN: 0
; COMPUTE_PGM_RSRC2:USER_SGPR: 2
; COMPUTE_PGM_RSRC2:TRAP_HANDLER: 0
; COMPUTE_PGM_RSRC2:TGID_X_EN: 1
; COMPUTE_PGM_RSRC2:TGID_Y_EN: 1
; COMPUTE_PGM_RSRC2:TGID_Z_EN: 1
; COMPUTE_PGM_RSRC2:TIDIG_COMP_CNT: 0
; COMPUTE_PGM_RSRC3_GFX90A:ACCUM_OFFSET: 12
; COMPUTE_PGM_RSRC3_GFX90A:TG_SPLIT: 0
	.section	.text._ZN4vllm25paged_attention_v1_kernelIthLi128ELi8ELi128ELNS_18Fp8KVCacheDataTypeE1ELb0EEEvPT_PKS2_PKT0_S8_ifPKiSA_iPKfiiiSC_SC_iiiii,"axG",@progbits,_ZN4vllm25paged_attention_v1_kernelIthLi128ELi8ELi128ELNS_18Fp8KVCacheDataTypeE1ELb0EEEvPT_PKS2_PKT0_S8_ifPKiSA_iPKfiiiSC_SC_iiiii,comdat
	.protected	_ZN4vllm25paged_attention_v1_kernelIthLi128ELi8ELi128ELNS_18Fp8KVCacheDataTypeE1ELb0EEEvPT_PKS2_PKT0_S8_ifPKiSA_iPKfiiiSC_SC_iiiii ; -- Begin function _ZN4vllm25paged_attention_v1_kernelIthLi128ELi8ELi128ELNS_18Fp8KVCacheDataTypeE1ELb0EEEvPT_PKS2_PKT0_S8_ifPKiSA_iPKfiiiSC_SC_iiiii
	.globl	_ZN4vllm25paged_attention_v1_kernelIthLi128ELi8ELi128ELNS_18Fp8KVCacheDataTypeE1ELb0EEEvPT_PKS2_PKT0_S8_ifPKiSA_iPKfiiiSC_SC_iiiii
	.p2align	8
	.type	_ZN4vllm25paged_attention_v1_kernelIthLi128ELi8ELi128ELNS_18Fp8KVCacheDataTypeE1ELb0EEEvPT_PKS2_PKT0_S8_ifPKiSA_iPKfiiiSC_SC_iiiii,@function
_ZN4vllm25paged_attention_v1_kernelIthLi128ELi8ELi128ELNS_18Fp8KVCacheDataTypeE1ELb0EEEvPT_PKS2_PKT0_S8_ifPKiSA_iPKfiiiSC_SC_iiiii: ; @_ZN4vllm25paged_attention_v1_kernelIthLi128ELi8ELi128ELNS_18Fp8KVCacheDataTypeE1ELb0EEEvPT_PKS2_PKT0_S8_ifPKiSA_iPKfiiiSC_SC_iiiii
; %bb.0:
	s_load_dword s5, s[0:1], 0x80
	s_load_dwordx2 s[6:7], s[0:1], 0x30
	s_load_dwordx2 s[28:29], s[0:1], 0x20
	s_mov_b32 s16, s3
	s_ashr_i32 s17, s3, 31
	s_lshl_b64 s[8:9], s[16:17], 2
	s_waitcnt lgkmcnt(0)
	s_add_u32 s6, s6, s8
	s_addc_u32 s7, s7, s9
	s_abs_i32 s3, s28
	v_cvt_f32_u32_e32 v1, s3
	s_sub_i32 s10, 0, s3
	s_abs_i32 s9, s5
	s_xor_b32 s8, s5, s28
	v_rcp_iflag_f32_e32 v1, v1
	s_ashr_i32 s8, s8, 31
	s_mov_b32 s28, 0
	v_mul_f32_e32 v1, 0x4f7ffffe, v1
	v_cvt_u32_f32_e32 v1, v1
	s_nop 0
	v_readfirstlane_b32 s11, v1
	s_mul_i32 s10, s10, s11
	s_mul_hi_u32 s10, s11, s10
	s_add_i32 s11, s11, s10
	s_mul_hi_u32 s10, s9, s11
	s_mul_i32 s11, s10, s3
	s_sub_i32 s9, s9, s11
	s_add_i32 s11, s10, 1
	s_sub_i32 s12, s9, s3
	s_cmp_ge_u32 s9, s3
	s_cselect_b32 s10, s11, s10
	s_cselect_b32 s9, s12, s9
	s_add_i32 s11, s10, 1
	s_cmp_ge_u32 s9, s3
	s_cselect_b32 s3, s11, s10
	s_xor_b32 s3, s3, s8
	s_sub_i32 s12, s3, s8
	s_abs_i32 s10, s12
	v_cvt_f32_u32_e32 v1, s10
	s_load_dwordx2 s[8:9], s[0:1], 0x40
	s_sub_i32 s3, 0, s10
	s_abs_i32 s11, s2
	v_rcp_iflag_f32_e32 v1, v1
	s_nop 0
	v_mul_f32_e32 v1, 0x4f7ffffe, v1
	v_cvt_u32_f32_e32 v1, v1
	s_nop 0
	v_readfirstlane_b32 s13, v1
	s_mul_i32 s3, s3, s13
	s_mul_hi_u32 s3, s13, s3
	s_add_i32 s13, s13, s3
	s_waitcnt lgkmcnt(0)
	s_cmp_eq_u64 s[8:9], 0
	s_mul_hi_u32 s20, s11, s13
	s_cbranch_scc1 .LBB231_2
; %bb.1:
	s_ashr_i32 s3, s2, 31
	s_lshl_b64 s[14:15], s[2:3], 2
	s_add_u32 s8, s8, s14
	s_addc_u32 s9, s9, s15
	s_load_dword s28, s[8:9], 0x0
.LBB231_2:
	s_load_dword s17, s[6:7], 0x0
	s_ashr_i32 s7, s12, 31
	s_load_dwordx4 s[12:15], s[0:1], 0x48
	s_ashr_i32 s6, s2, 31
	s_lshl_b32 s18, s2, 7
	s_movk_i32 s2, 0x80
	v_and_b32_e32 v4, 7, v0
	v_cmp_gt_u32_e32 vcc, s2, v0
	v_lshlrev_b32_e32 v22, 1, v0
	s_and_saveexec_b64 s[2:3], vcc
	s_cbranch_execz .LBB231_4
; %bb.3:
	s_load_dwordx2 s[8:9], s[0:1], 0x8
	s_waitcnt lgkmcnt(0)
	s_mul_i32 s22, s12, s16
	s_ashr_i32 s23, s22, 31
	s_lshl_b64 s[22:23], s[22:23], 1
	v_lshrrev_b32_e32 v2, 2, v0
	s_add_u32 s12, s8, s22
	s_addc_u32 s15, s9, s23
	s_ashr_i32 s19, s18, 31
	s_lshl_b64 s[8:9], s[18:19], 1
	s_add_u32 s8, s12, s8
	s_addc_u32 s9, s15, s9
	global_load_ushort v1, v22, s[8:9]
	v_and_b32_e32 v2, 0xfe, v2
	v_lshl_add_u32 v2, v4, 5, v2
	s_waitcnt vmcnt(0)
	ds_write_b16 v2, v1
.LBB231_4:
	s_or_b64 exec, exec, s[2:3]
	s_waitcnt lgkmcnt(0)
	s_add_i32 s3, s17, 7
	s_ashr_i32 s8, s3, 31
	s_lshr_b32 s8, s8, 29
	s_add_i32 s3, s3, s8
	s_ashr_i32 s33, s3, 3
	s_xor_b32 s3, s6, s7
	s_mul_i32 s6, s20, s10
	s_sub_i32 s6, s11, s6
	s_add_i32 s7, s20, 1
	s_sub_i32 s8, s6, s10
	s_load_dwordx2 s[22:23], s[0:1], 0x28
	s_load_dword s2, s[0:1], 0x38
	s_cmp_ge_u32 s6, s10
	s_cselect_b32 s7, s7, s20
	s_cselect_b32 s6, s8, s6
	s_add_i32 s8, s7, 1
	s_cmp_ge_u32 s6, s10
	s_cselect_b32 s6, s8, s7
	v_lshrrev_b32_e32 v23, 6, v0
	s_xor_b32 s6, s6, s3
	s_waitcnt lgkmcnt(0)
	s_mul_i32 s24, s2, s16
	s_sub_i32 s12, s6, s3
	s_ashr_i32 s25, s24, 31
	v_cmp_gt_i32_e64 s[6:7], s33, v23
	v_cmp_le_i32_e32 vcc, s33, v23
	v_mbcnt_lo_u32_b32 v14, -1, 0
	s_barrier
                                        ; implicit-def: $vgpr2
                                        ; implicit-def: $vgpr9
                                        ; implicit-def: $vgpr8
	s_and_saveexec_b64 s[2:3], vcc
	s_xor_b64 s[2:3], exec, s[2:3]
; %bb.5:
	v_mbcnt_hi_u32_b32 v2, -1, v14
	v_and_b32_e32 v9, 64, v2
	v_add_u32_e32 v8, 64, v9
                                        ; implicit-def: $vgpr4
                                        ; implicit-def: $vgpr14
; %bb.6:
	s_or_saveexec_b64 s[30:31], s[2:3]
	s_load_dwordx2 s[20:21], s[0:1], 0x0
	s_load_dwordx2 s[26:27], s[0:1], 0x18
	s_load_dword s19, s[0:1], 0x88
	s_load_dwordx4 s[8:11], s[0:1], 0x58
	v_mov_b32_e32 v10, 0xff7fffff
	s_mul_i32 s12, s12, s14
	v_lshrrev_b32_e32 v1, 4, v0
	s_xor_b64 exec, exec, s[30:31]
	s_cbranch_execz .LBB231_12
; %bb.7:
	s_load_dwordx2 s[0:1], s[0:1], 0x10
	s_ashr_i32 s2, s12, 31
	v_bfe_u32 v8, v0, 3, 3
	v_lshlrev_b32_e32 v2, 4, v8
	v_mov_b32_e32 v3, 0
	s_waitcnt lgkmcnt(0)
	s_add_u32 s0, s0, s12
	s_addc_u32 s1, s1, s2
	v_lshl_add_u64 v[6:7], s[0:1], 0, v[2:3]
	s_sub_i32 s37, 1, s17
	v_lshlrev_b32_e32 v2, 2, v8
	s_lshl_b64 s[0:1], s[24:25], 2
	v_lshl_or_b32 v2, v23, 5, v2
	s_add_u32 s0, s22, s0
	v_mov_b32_e32 v5, v3
	v_add_u32_e32 v13, 0x110, v2
	v_and_b32_e32 v2, 60, v1
	s_addc_u32 s1, s23, s1
	v_lshlrev_b32_e32 v11, 5, v4
	v_cmp_eq_u32_e32 vcc, 0, v4
	v_lshl_add_u64 v[4:5], v[6:7], 0, v[4:5]
	v_lshl_add_u64 v[6:7], s[0:1], 0, v[2:3]
	v_mbcnt_hi_u32_b32 v2, -1, v14
	v_and_b32_e32 v9, 64, v2
	s_mov_b32 s36, s13
	v_cmp_neq_f32_e64 s[2:3], s28, 0
	v_lshl_or_b32 v12, v23, 3, v8
	v_mov_b32_e32 v10, 0xff7fffff
	s_mov_b64 s[14:15], 0
	v_add_u32_e32 v8, 64, v9
	v_xor_b32_e32 v14, 4, v2
	v_xor_b32_e32 v15, 2, v2
	;; [unrolled: 1-line block ×3, first 2 shown]
	v_mov_b32_e32 v17, v23
	s_branch .LBB231_9
.LBB231_8:                              ;   in Loop: Header=BB231_9 Depth=1
	s_or_b64 exec, exec, s[34:35]
	v_add_u32_e32 v17, 2, v17
	v_cmp_le_i32_e64 s[0:1], s33, v17
	v_add_u32_e32 v12, 16, v12
	v_add_u32_e32 v13, 64, v13
	s_or_b64 s[14:15], s[0:1], s[14:15]
	v_lshl_add_u64 v[6:7], v[6:7], 0, 8
	s_andn2_b64 exec, exec, s[14:15]
	s_cbranch_execz .LBB231_11
.LBB231_9:                              ; =>This Inner Loop Header: Depth=1
	global_load_dword v18, v[6:7], off
	s_waitcnt vmcnt(0) lgkmcnt(0)
	v_mad_i64_i32 v[18:19], s[0:1], v18, s36, v[4:5]
	global_load_ubyte v20, v[18:19], off
	global_load_ubyte v21, v[18:19], off offset:8
	global_load_dword v24, v3, s[8:9]
	global_load_ubyte v25, v[18:19], off offset:128
	global_load_ubyte v26, v[18:19], off offset:136
	;; [unrolled: 1-line block ×14, first 2 shown]
	ds_read_u16 v39, v11
	v_cmp_lt_i32_e64 s[0:1], v14, v8
	s_waitcnt vmcnt(16)
	v_cvt_f32_fp8_e32 v18, v20
	s_waitcnt vmcnt(15)
	v_cvt_f32_fp8_e32 v21, v21
	s_waitcnt lgkmcnt(0)
	;;#ASMSTART
	v_cvt_f32_f16 v20, v39;
	;;#ASMEND
	s_waitcnt vmcnt(13)
	v_cvt_f32_fp8_e32 v25, v25
	v_fma_mixlo_f16 v18, v24, v18, 0
	s_waitcnt vmcnt(12)
	v_cvt_f32_fp8_e32 v26, v26
	v_and_b32_e32 v18, 0xffff, v18
	v_fma_mixlo_f16 v21, v24, v21, 0
	s_waitcnt vmcnt(11)
	v_cvt_f32_fp8_e32 v27, v27
	;;#ASMSTART
	v_cvt_f32_f16 v18, v18;
	;;#ASMEND
	ds_read_u16 v39, v11 offset:2
	v_and_b32_e32 v40, 0xffff, v21
	s_waitcnt lgkmcnt(0)
	;;#ASMSTART
	v_cvt_f32_f16 v21, v39;
	;;#ASMEND
	s_waitcnt vmcnt(10)
	v_cvt_f32_fp8_e32 v28, v28
	;;#ASMSTART
	v_cvt_f32_f16 v39, v40;
	;;#ASMEND
	v_fma_mixlo_f16 v25, v24, v25, 0
	s_waitcnt vmcnt(9)
	v_cvt_f32_fp8_e32 v29, v29
	v_mul_f32_e32 v21, v21, v39
	ds_read_u16 v40, v11 offset:4
	v_and_b32_e32 v41, 0xffff, v25
	v_fma_mixlo_f16 v26, v24, v26, 0
	s_waitcnt vmcnt(8)
	v_cvt_f32_fp8_e32 v30, v30
	v_fmac_f32_e32 v21, v20, v18
	s_waitcnt lgkmcnt(0)
	;;#ASMSTART
	v_cvt_f32_f16 v25, v40;
	;;#ASMEND
	;;#ASMSTART
	v_cvt_f32_f16 v40, v41;
	;;#ASMEND
	ds_read_u16 v41, v11 offset:6
	v_and_b32_e32 v42, 0xffff, v26
	s_waitcnt vmcnt(7)
	v_cvt_f32_fp8_e32 v31, v31
	v_fma_mixlo_f16 v27, v24, v27, 0
	v_fmac_f32_e32 v21, v25, v40
	s_waitcnt lgkmcnt(0)
	;;#ASMSTART
	v_cvt_f32_f16 v26, v41;
	;;#ASMEND
	;;#ASMSTART
	v_cvt_f32_f16 v41, v42;
	;;#ASMEND
	ds_read_u16 v42, v11 offset:8
	v_and_b32_e32 v43, 0xffff, v27
	v_fma_mixlo_f16 v28, v24, v28, 0
	v_fmac_f32_e32 v21, v26, v41
	s_waitcnt lgkmcnt(0)
	;;#ASMSTART
	v_cvt_f32_f16 v27, v42;
	;;#ASMEND
	;;#ASMSTART
	v_cvt_f32_f16 v42, v43;
	;;#ASMEND
	ds_read_u16 v43, v11 offset:10
	s_waitcnt vmcnt(6)
	v_cvt_f32_fp8_e32 v32, v32
	s_waitcnt vmcnt(5)
	v_cvt_f32_fp8_e32 v33, v33
	v_and_b32_e32 v44, 0xffff, v28
	v_fma_mixlo_f16 v29, v24, v29, 0
	v_fmac_f32_e32 v21, v27, v42
	s_waitcnt lgkmcnt(0)
	;;#ASMSTART
	v_cvt_f32_f16 v28, v43;
	;;#ASMEND
	;;#ASMSTART
	v_cvt_f32_f16 v43, v44;
	;;#ASMEND
	ds_read_u16 v44, v11 offset:12
	s_waitcnt vmcnt(4)
	v_cvt_f32_fp8_e32 v34, v34
	s_waitcnt vmcnt(3)
	v_cvt_f32_fp8_e32 v35, v35
	v_and_b32_e32 v45, 0xffff, v29
	s_waitcnt vmcnt(2)
	v_cvt_f32_fp8_e32 v36, v36
	s_waitcnt vmcnt(1)
	v_cvt_f32_fp8_e32 v37, v37
	v_fma_mixlo_f16 v30, v24, v30, 0
	s_waitcnt vmcnt(0)
	v_cvt_f32_fp8_e32 v38, v38
	v_fmac_f32_e32 v21, v28, v43
	s_waitcnt lgkmcnt(0)
	;;#ASMSTART
	v_cvt_f32_f16 v29, v44;
	;;#ASMEND
	;;#ASMSTART
	v_cvt_f32_f16 v44, v45;
	;;#ASMEND
	ds_read_u16 v45, v11 offset:14
	v_and_b32_e32 v46, 0xffff, v30
	v_fma_mixlo_f16 v31, v24, v31, 0
	v_fmac_f32_e32 v21, v29, v44
	s_waitcnt lgkmcnt(0)
	;;#ASMSTART
	v_cvt_f32_f16 v30, v45;
	;;#ASMEND
	;;#ASMSTART
	v_cvt_f32_f16 v45, v46;
	;;#ASMEND
	ds_read_u16 v46, v11 offset:16
	v_and_b32_e32 v47, 0xffff, v31
	v_fmac_f32_e32 v21, v30, v45
	v_fma_mixlo_f16 v32, v24, v32, 0
	s_waitcnt lgkmcnt(0)
	;;#ASMSTART
	v_cvt_f32_f16 v31, v46;
	;;#ASMEND
	;;#ASMSTART
	v_cvt_f32_f16 v46, v47;
	;;#ASMEND
	ds_read_u16 v47, v11 offset:18
	v_fma_mixlo_f16 v33, v24, v33, 0
	v_fmac_f32_e32 v21, v31, v46
	v_fma_mixlo_f16 v34, v24, v34, 0
	v_fma_mixlo_f16 v35, v24, v35, 0
	v_and_b32_e32 v48, 0xffff, v32
	s_waitcnt lgkmcnt(0)
	;;#ASMSTART
	v_cvt_f32_f16 v32, v47;
	;;#ASMEND
	;;#ASMSTART
	v_cvt_f32_f16 v47, v48;
	;;#ASMEND
	v_fma_mixlo_f16 v36, v24, v36, 0
	v_fma_mixlo_f16 v37, v24, v37, 0
	;; [unrolled: 1-line block ×3, first 2 shown]
	v_and_b32_e32 v38, 0xffff, v33
	v_fmac_f32_e32 v21, v32, v47
	ds_read_u16 v48, v11 offset:20
	s_waitcnt lgkmcnt(0)
	;;#ASMSTART
	v_cvt_f32_f16 v33, v48;
	;;#ASMEND
	;;#ASMSTART
	v_cvt_f32_f16 v38, v38;
	;;#ASMEND
	ds_read_u16 v48, v11 offset:22
	v_fmac_f32_e32 v21, v33, v38
	v_and_b32_e32 v49, 0xffff, v34
	v_and_b32_e32 v50, 0xffff, v35
	s_waitcnt lgkmcnt(0)
	;;#ASMSTART
	v_cvt_f32_f16 v34, v48;
	;;#ASMEND
	;;#ASMSTART
	v_cvt_f32_f16 v35, v49;
	;;#ASMEND
	ds_read_u16 v48, v11 offset:24
	v_fmac_f32_e32 v21, v34, v35
	v_and_b32_e32 v49, 0xffff, v24
	s_waitcnt lgkmcnt(0)
	;;#ASMSTART
	v_cvt_f32_f16 v18, v48;
	;;#ASMEND
	;;#ASMSTART
	v_cvt_f32_f16 v20, v50;
	;;#ASMEND
	ds_read_u16 v24, v11 offset:26
	v_fmac_f32_e32 v21, v18, v20
	;; [unrolled: 10-line block ×3, first 2 shown]
	v_cndmask_b32_e64 v19, v2, v14, s[0:1]
	v_and_b32_e32 v37, 0xffff, v37
	s_waitcnt lgkmcnt(0)
	;;#ASMSTART
	v_cvt_f32_f16 v26, v26;
	;;#ASMEND
	;;#ASMSTART
	v_cvt_f32_f16 v27, v37;
	;;#ASMEND
	v_lshlrev_b32_e32 v19, 2, v19
	v_fmac_f32_e32 v21, v26, v27
	ds_read_u16 v28, v11 offset:30
	s_waitcnt lgkmcnt(0)
	;;#ASMSTART
	v_cvt_f32_f16 v18, v28;
	;;#ASMEND
	;;#ASMSTART
	v_cvt_f32_f16 v20, v49;
	;;#ASMEND
	v_cmp_lt_i32_e64 s[0:1], v15, v8
	v_fmac_f32_e32 v21, v18, v20
	ds_bpermute_b32 v18, v19, v21
	v_cndmask_b32_e64 v19, v2, v15, s[0:1]
	v_lshlrev_b32_e32 v19, 2, v19
	v_cmp_lt_i32_e64 s[0:1], v16, v8
	s_waitcnt lgkmcnt(0)
	v_add_f32_e32 v18, v21, v18
	ds_bpermute_b32 v19, v19, v18
	v_cndmask_b32_e64 v20, v2, v16, s[0:1]
	s_waitcnt lgkmcnt(0)
	v_add_f32_e32 v18, v18, v19
	v_lshlrev_b32_e32 v19, 2, v20
	ds_bpermute_b32 v19, v19, v18
	s_and_saveexec_b64 s[34:35], vcc
	s_cbranch_execz .LBB231_8
; %bb.10:                               ;   in Loop: Header=BB231_9 Depth=1
	v_add_u32_e32 v20, s37, v12
	v_cvt_f32_i32_e32 v20, v20
	s_waitcnt lgkmcnt(0)
	v_add_f32_e32 v18, v18, v19
	v_cmp_gt_i32_e64 s[0:1], s17, v12
	v_max_f32_e32 v19, v10, v10
	v_mul_f32_e32 v20, s28, v20
	v_cndmask_b32_e64 v20, 0, v20, s[2:3]
	v_fmac_f32_e32 v20, s29, v18
	v_cndmask_b32_e64 v18, 0, v20, s[0:1]
	ds_write_b32 v13, v18
	v_max_f32_e32 v18, v19, v20
	v_cndmask_b32_e64 v10, v10, v18, s[0:1]
	s_branch .LBB231_8
.LBB231_11:
	s_or_b64 exec, exec, s[14:15]
.LBB231_12:
	s_or_b64 exec, exec, s[30:31]
	v_xor_b32_e32 v3, 32, v2
	v_cmp_lt_i32_e32 vcc, v3, v8
	v_xor_b32_e32 v6, 16, v2
	v_max_f32_e32 v5, v10, v10
	v_cndmask_b32_e32 v3, v2, v3, vcc
	v_lshlrev_b32_e32 v4, 2, v3
	ds_bpermute_b32 v3, v4, v10
	v_cmp_lt_i32_e32 vcc, v6, v8
	v_xor_b32_e32 v7, 8, v2
	v_and_b32_e32 v24, 63, v0
	s_waitcnt lgkmcnt(0)
	v_max_f32_e32 v3, v3, v3
	v_max_f32_e32 v3, v5, v3
	v_cndmask_b32_e32 v5, v2, v6, vcc
	v_lshlrev_b32_e32 v6, 2, v5
	ds_bpermute_b32 v5, v6, v3
	v_cmp_lt_i32_e32 vcc, v7, v8
	s_waitcnt lgkmcnt(0)
	v_max_f32_e32 v5, v5, v5
	v_max_f32_e32 v5, v3, v5
	v_cndmask_b32_e32 v3, v2, v7, vcc
	v_lshlrev_b32_e32 v10, 2, v3
	ds_bpermute_b32 v7, v10, v5
	v_cmp_eq_u32_e32 vcc, 0, v24
	v_lshlrev_b32_e32 v3, 2, v23
	s_and_saveexec_b64 s[0:1], vcc
	s_cbranch_execz .LBB231_14
; %bb.13:
	s_waitcnt lgkmcnt(0)
	v_max_f32_e32 v7, v7, v7
	v_max_f32_e32 v5, v5, v5
	;; [unrolled: 1-line block ×3, first 2 shown]
	ds_write_b32 v3, v5 offset:256
.LBB231_14:
	s_or_b64 exec, exec, s[0:1]
	v_cmp_gt_u32_e64 s[0:1], 2, v24
	v_mov_b32_e32 v11, 0xff7fffff
	v_lshlrev_b32_e32 v5, 2, v24
	s_waitcnt lgkmcnt(0)
	s_barrier
	s_and_saveexec_b64 s[2:3], s[0:1]
; %bb.15:
	ds_read_b32 v11, v5 offset:256
; %bb.16:
	s_or_b64 exec, exec, s[2:3]
	v_xor_b32_e32 v7, 1, v2
	v_cmp_lt_i32_e64 s[2:3], v7, v8
	v_lshlrev_b32_e32 v9, 2, v9
	s_nop 0
	v_cndmask_b32_e64 v7, v2, v7, s[2:3]
	v_lshlrev_b32_e32 v7, 2, v7
	s_waitcnt lgkmcnt(0)
	ds_bpermute_b32 v12, v7, v11
	v_max_f32_e32 v11, v11, v11
	s_lshl_b32 s2, s33, 3
	s_min_i32 s30, s2, s17
	v_cmp_gt_i32_e64 s[2:3], s30, v0
	s_waitcnt lgkmcnt(0)
	v_max_f32_e32 v12, v12, v12
	v_max_f32_e32 v11, v11, v12
	ds_bpermute_b32 v11, v9, v11
	v_mov_b32_e32 v9, 0
	s_and_saveexec_b64 s[14:15], s[2:3]
	s_cbranch_execz .LBB231_20
; %bb.17:
	v_mov_b32_e32 v9, 0x110
	v_lshl_add_u32 v12, v0, 2, v9
	v_mov_b32_e32 v9, 0
	s_mov_b64 s[28:29], 0
	v_mov_b32_e32 v13, v0
.LBB231_18:                             ; =>This Inner Loop Header: Depth=1
	ds_read_b32 v14, v12
	v_add_u32_e32 v13, 0x80, v13
	v_cmp_le_i32_e64 s[8:9], s30, v13
	s_or_b64 s[28:29], s[8:9], s[28:29]
	s_waitcnt lgkmcnt(0)
	v_sub_f32_e32 v14, v14, v11
	v_mul_f32_e32 v14, 0x3fb8aa3b, v14
	v_exp_f32_e32 v14, v14
	ds_write_b32 v12, v14
	v_add_f32_e32 v9, v9, v14
	v_add_u32_e32 v12, 0x200, v12
	s_andn2_b64 exec, exec, s[28:29]
	s_cbranch_execnz .LBB231_18
; %bb.19:
	s_or_b64 exec, exec, s[28:29]
.LBB231_20:
	s_or_b64 exec, exec, s[14:15]
	ds_bpermute_b32 v4, v4, v9
	s_waitcnt lgkmcnt(0)
	v_add_f32_e32 v4, v9, v4
	ds_bpermute_b32 v6, v6, v4
	v_xor_b32_e32 v9, 4, v2
	v_cmp_lt_i32_e64 s[8:9], v9, v8
	s_waitcnt lgkmcnt(0)
	v_add_f32_e32 v4, v4, v6
	ds_bpermute_b32 v6, v10, v4
	v_cndmask_b32_e64 v9, v2, v9, s[8:9]
	v_lshlrev_b32_e32 v9, 2, v9
	s_waitcnt lgkmcnt(0)
	v_add_f32_e32 v4, v4, v6
	ds_bpermute_b32 v6, v9, v4
	v_xor_b32_e32 v9, 2, v2
	v_cmp_lt_i32_e64 s[8:9], v9, v8
	s_waitcnt lgkmcnt(0)
	v_add_f32_e32 v4, v4, v6
	v_cndmask_b32_e64 v8, v2, v9, s[8:9]
	v_lshlrev_b32_e32 v6, 2, v8
	ds_bpermute_b32 v6, v6, v4
	s_waitcnt lgkmcnt(0)
	v_add_f32_e32 v4, v4, v6
	ds_bpermute_b32 v6, v7, v4
	s_waitcnt lgkmcnt(0)
	v_add_f32_e32 v4, v4, v6
	s_and_saveexec_b64 s[8:9], vcc
; %bb.21:
	ds_write_b32 v3, v4 offset:264
; %bb.22:
	s_or_b64 exec, exec, s[8:9]
	s_waitcnt lgkmcnt(0)
	s_barrier
	s_and_saveexec_b64 s[8:9], s[0:1]
; %bb.23:
	ds_read_b32 v4, v5 offset:264
; %bb.24:
	s_or_b64 exec, exec, s[8:9]
	s_waitcnt lgkmcnt(0)
	ds_bpermute_b32 v3, v7, v4
	v_lshlrev_b32_e32 v2, 2, v2
	v_and_b32_e32 v2, 0xffffff00, v2
	s_waitcnt lgkmcnt(0)
	v_add_f32_e32 v3, v4, v3
	ds_bpermute_b32 v2, v2, v3
	s_and_saveexec_b64 s[0:1], s[2:3]
	s_cbranch_execz .LBB231_37
; %bb.25:
	s_waitcnt lgkmcnt(0)
	v_add_f32_e32 v2, 0x358637bd, v2
	v_div_scale_f32 v3, s[2:3], v2, v2, 1.0
	v_rcp_f32_e32 v4, v3
	v_div_scale_f32 v5, vcc, 1.0, v2, 1.0
	s_movk_i32 s2, 0x7f
	v_fma_f32 v6, -v3, v4, 1.0
	v_fmac_f32_e32 v4, v6, v4
	v_mul_f32_e32 v6, v5, v4
	v_fma_f32 v7, -v3, v6, v5
	v_fmac_f32_e32 v6, v7, v4
	v_fma_f32 v3, -v3, v6, v5
	v_div_fmas_f32 v3, v3, v4, v6
	v_xad_u32 v4, v0, -1, s30
	v_div_fixup_f32 v2, v3, v2, 1.0
	v_cmp_lt_u32_e32 vcc, s2, v4
	s_mov_b64 s[8:9], -1
	v_mov_b32_e32 v3, v0
	s_and_saveexec_b64 s[2:3], vcc
	s_cbranch_execz .LBB231_34
; %bb.26:
	v_lshrrev_b32_e32 v4, 7, v4
	v_add_u32_e32 v6, -1, v4
	v_lshrrev_b32_e32 v5, 1, v6
	v_mov_b32_e32 v3, v2
	v_add_u32_e32 v5, 1, v5
	v_cmp_lt_u32_e32 vcc, 13, v6
	v_mov_b32_e32 v8, 0
	s_and_saveexec_b64 s[8:9], vcc
	s_cbranch_execz .LBB231_30
; %bb.27:
	v_mov_b32_e32 v7, 0x110
	v_and_b32_e32 v6, -8, v5
	v_lshl_add_u32 v7, v0, 2, v7
	s_mov_b32 s28, 0
	s_mov_b64 s[14:15], 0
.LBB231_28:                             ; =>This Inner Loop Header: Depth=1
	ds_read2st64_b32 v[8:9], v7 offset1:2
	ds_read2st64_b32 v[10:11], v7 offset0:4 offset1:6
	ds_read2st64_b32 v[12:13], v7 offset0:8 offset1:10
	;; [unrolled: 1-line block ×3, first 2 shown]
	v_add_u32_e32 v6, -8, v6
	s_waitcnt lgkmcnt(3)
	v_pk_mul_f32 v[8:9], v[2:3], v[8:9]
	s_waitcnt lgkmcnt(2)
	v_pk_mul_f32 v[10:11], v[2:3], v[10:11]
	ds_write2st64_b32 v7, v8, v9 offset1:2
	ds_write2st64_b32 v7, v10, v11 offset0:4 offset1:6
	ds_read2st64_b32 v[10:11], v7 offset0:16 offset1:18
	s_waitcnt lgkmcnt(4)
	v_pk_mul_f32 v[8:9], v[2:3], v[12:13]
	ds_write2st64_b32 v7, v8, v9 offset0:8 offset1:10
	s_waitcnt lgkmcnt(4)
	v_pk_mul_f32 v[8:9], v[2:3], v[14:15]
	ds_write2st64_b32 v7, v8, v9 offset0:12 offset1:14
	ds_read2st64_b32 v[8:9], v7 offset0:20 offset1:22
	s_waitcnt lgkmcnt(3)
	v_pk_mul_f32 v[10:11], v[2:3], v[10:11]
	ds_read2st64_b32 v[12:13], v7 offset0:24 offset1:26
	ds_write2st64_b32 v7, v10, v11 offset0:16 offset1:18
	ds_read2st64_b32 v[10:11], v7 offset0:28 offset1:30
	s_waitcnt lgkmcnt(3)
	v_pk_mul_f32 v[8:9], v[2:3], v[8:9]
	ds_write2st64_b32 v7, v8, v9 offset0:20 offset1:22
	s_waitcnt lgkmcnt(3)
	v_pk_mul_f32 v[8:9], v[2:3], v[12:13]
	ds_write2st64_b32 v7, v8, v9 offset0:24 offset1:26
	s_waitcnt lgkmcnt(2)
	v_pk_mul_f32 v[8:9], v[2:3], v[10:11]
	s_add_i32 s28, s28, 16
	v_cmp_eq_u32_e32 vcc, 0, v6
	ds_write2st64_b32 v7, v8, v9 offset0:28 offset1:30
	v_add_u32_e32 v7, 0x2000, v7
	s_or_b64 s[14:15], vcc, s[14:15]
	v_mov_b32_e32 v8, s28
	s_andn2_b64 exec, exec, s[14:15]
	s_cbranch_execnz .LBB231_28
; %bb.29:
	s_or_b64 exec, exec, s[14:15]
.LBB231_30:
	s_or_b64 exec, exec, s[8:9]
	v_and_b32_e32 v5, 7, v5
	v_cmp_ne_u32_e32 vcc, 0, v5
	s_and_saveexec_b64 s[8:9], vcc
	s_cbranch_execz .LBB231_33
; %bb.31:
	v_lshlrev_b32_e32 v6, 9, v8
	v_lshlrev_b32_e32 v7, 2, v0
	s_movk_i32 s14, 0x110
	v_add3_u32 v6, v6, v7, s14
	s_mov_b64 s[14:15], 0
.LBB231_32:                             ; =>This Inner Loop Header: Depth=1
	ds_read2st64_b32 v[8:9], v6 offset1:2
	v_add_u32_e32 v5, -1, v5
	v_cmp_eq_u32_e32 vcc, 0, v5
	s_or_b64 s[14:15], vcc, s[14:15]
	s_waitcnt lgkmcnt(0)
	v_pk_mul_f32 v[8:9], v[2:3], v[8:9]
	ds_write2st64_b32 v6, v8, v9 offset1:2
	v_add_u32_e32 v6, 0x400, v6
	s_andn2_b64 exec, exec, s[14:15]
	s_cbranch_execnz .LBB231_32
.LBB231_33:
	s_or_b64 exec, exec, s[8:9]
	v_add_u32_e32 v4, 1, v4
	v_and_b32_e32 v5, 0x3fffffe, v4
	v_cmp_ne_u32_e32 vcc, v4, v5
	v_lshl_add_u32 v3, v5, 7, v0
	s_orn2_b64 s[8:9], vcc, exec
.LBB231_34:
	s_or_b64 exec, exec, s[2:3]
	s_and_b64 exec, exec, s[8:9]
	s_cbranch_execz .LBB231_37
; %bb.35:
	v_mov_b32_e32 v4, 0x110
	v_lshl_add_u32 v4, v3, 2, v4
	s_mov_b64 s[2:3], 0
.LBB231_36:                             ; =>This Inner Loop Header: Depth=1
	ds_read_b32 v5, v4
	v_add_u32_e32 v3, 0x80, v3
	v_cmp_le_i32_e32 vcc, s30, v3
	s_or_b64 s[2:3], vcc, s[2:3]
	s_waitcnt lgkmcnt(0)
	v_mul_f32_e32 v5, v2, v5
	ds_write_b32 v4, v5
	v_add_u32_e32 v4, 0x200, v4
	s_andn2_b64 exec, exec, s[2:3]
	s_cbranch_execnz .LBB231_36
.LBB231_37:
	s_or_b64 exec, exec, s[0:1]
	v_mov_b32_e32 v3, 0
	s_waitcnt lgkmcnt(0)
	v_mov_b32_e32 v2, v3
	s_barrier
	s_and_saveexec_b64 s[2:3], s[6:7]
	s_cbranch_execz .LBB231_141
; %bb.38:
	s_ashr_i32 s1, s12, 31
	s_add_u32 s0, s26, s12
	s_addc_u32 s1, s27, s1
	v_lshlrev_b32_e32 v2, 3, v24
	s_add_i32 s26, s33, -1
	v_lshl_add_u64 v[4:5], s[0:1], 0, v[2:3]
	s_lshl_b64 s[0:1], s[24:25], 2
	v_mov_b32_e32 v2, 0x110
	s_add_u32 s0, s22, s0
	s_mov_b32 s6, -1
	v_lshl_add_u32 v26, v23, 5, v2
	v_and_b32_e32 v2, 60, v1
	s_addc_u32 s1, s23, s1
	s_mov_b32 s28, s13
	s_mov_b32 s7, 0xffffff
	;; [unrolled: 1-line block ×3, first 2 shown]
	v_lshlrev_b32_e32 v25, 3, v23
	v_lshl_add_u64 v[6:7], s[0:1], 0, v[2:3]
	s_mov_b64 s[8:9], 0
	s_movk_i32 s24, 0x80
	s_movk_i32 s25, 0x7f
	s_mov_b32 s29, 0x8000
	v_mov_b32_e32 v27, 0x2000
	v_mov_b32_e32 v9, 0
	;; [unrolled: 1-line block ×3, first 2 shown]
	s_branch .LBB231_40
.LBB231_39:                             ;   in Loop: Header=BB231_40 Depth=1
	s_or_b64 exec, exec, s[0:1]
	v_add_f32_e32 v2, v37, v38
	;;#ASMSTART
	v_pk_mul_f16 v1, v36, v1;

	;;#ASMEND
	v_add_f32_e32 v8, v8, v2
	;;#ASMSTART
	v_pk_mul_f16 v2, v35, v12;

	;;#ASMEND
	;;#ASMSTART
	v_pk_mul_f16 v10, v21, v19;

	;;#ASMEND
	;; [unrolled: 4-line block ×3, first 2 shown]
	v_add_u32_e32 v23, 2, v23
	;;#ASMSTART
	v_pk_add_f16 v1, v1, v2;

	;;#ASMEND
	v_cmp_le_i32_e32 vcc, s33, v23
	;;#ASMSTART
	v_pk_add_f16 v1, v1, v10;

	;;#ASMEND
	v_add_u32_e32 v25, 16, v25
	;;#ASMSTART
	v_pk_add_f16 v1, v1, v11;

	;;#ASMEND
	v_add_u32_e32 v26, 64, v26
	v_lshrrev_b32_e32 v2, 16, v1
	v_and_b32_e32 v1, 0xffff, v1
	;;#ASMSTART
	v_cvt_f32_f16 v1, v1;
	;;#ASMEND
	;;#ASMSTART
	v_cvt_f32_f16 v2, v2;
	;;#ASMEND
	s_or_b64 s[8:9], vcc, s[8:9]
	v_add_f32_e32 v1, v1, v2
	v_add_f32_e32 v9, v9, v1
	v_lshl_add_u64 v[6:7], v[6:7], 0, 8
	s_andn2_b64 exec, exec, s[8:9]
	s_cbranch_execz .LBB231_140
.LBB231_40:                             ; =>This Inner Loop Header: Depth=1
	global_load_dword v1, v[6:7], off
	ds_read2_b64 v[10:13], v26 offset1:1
	ds_read2_b64 v[14:17], v26 offset0:2 offset1:3
	s_waitcnt lgkmcnt(1)
	;;#ASMSTART
	v_cvt_f16_f32 v35, v10;

	;;#ASMEND
	;;#ASMSTART
	v_cvt_f16_f32 v36, v11;

	;;#ASMEND
	;; [unrolled: 4-line block ×4, first 2 shown]
	s_waitcnt lgkmcnt(0)
	;;#ASMSTART
	v_cvt_f16_f32 v39, v14;

	;;#ASMEND
	;;#ASMSTART
	v_cvt_f16_f32 v40, v15;

	;;#ASMEND
	;;#ASMSTART
	v_cvt_f16_f32 v41, v16;

	;;#ASMEND
	;;#ASMSTART
	v_cvt_f16_f32 v42, v17;

	;;#ASMEND
	s_waitcnt vmcnt(0)
	v_mad_i64_i32 v[10:11], s[0:1], v1, s28, v[4:5]
	global_load_dwordx2 v[14:15], v[10:11], off
	global_load_dword v12, v3, s[10:11]
	v_mov_b32_e32 v1, 0
	s_waitcnt vmcnt(1)
	v_cmp_ne_u16_sdwa s[12:13], v14, v3 src0_sel:BYTE_0 src1_sel:DWORD
	s_and_saveexec_b64 s[0:1], s[12:13]
	s_cbranch_execz .LBB231_46
; %bb.41:                               ;   in Loop: Header=BB231_40 Depth=1
	v_cmp_ne_u16_sdwa s[14:15], v14, s24 src0_sel:BYTE_0 src1_sel:DWORD
	v_mov_b32_e32 v1, 0x8000
	s_and_saveexec_b64 s[12:13], s[14:15]
	s_cbranch_execz .LBB231_45
; %bb.42:                               ;   in Loop: Header=BB231_40 Depth=1
	v_and_b32_e32 v2, 0x7f, v14
	v_cmp_ne_u32_e32 vcc, s25, v2
	v_mov_b32_e32 v1, 0x7c01
	s_and_saveexec_b64 s[14:15], vcc
	s_cbranch_execz .LBB231_44
; %bb.43:                               ;   in Loop: Header=BB231_40 Depth=1
	v_and_b32_e32 v1, 7, v14
	v_ffbh_u32_e32 v16, v1
	v_min_u32_e32 v18, 32, v16
	v_subrev_u32_e32 v16, 28, v18
	v_lshlrev_b64 v[16:17], v16, v[14:15]
	v_lshrrev_b32_e32 v13, 3, v2
	v_sub_u32_e32 v17, 29, v18
	v_cmp_gt_u32_e32 vcc, 8, v2
	v_and_b32_e32 v16, 7, v16
	s_nop 0
	v_cndmask_b32_e32 v2, v13, v17, vcc
	v_lshl_add_u32 v2, v2, 10, v27
	v_lshlrev_b32_e32 v13, 8, v14
	v_and_b32_e32 v2, 0xfc00, v2
	v_cndmask_b32_e32 v1, v1, v16, vcc
	v_and_or_b32 v2, v13, s29, v2
	v_lshl_or_b32 v1, v1, 7, v2
.LBB231_44:                             ;   in Loop: Header=BB231_40 Depth=1
	s_or_b64 exec, exec, s[14:15]
.LBB231_45:                             ;   in Loop: Header=BB231_40 Depth=1
	s_or_b64 exec, exec, s[12:13]
.LBB231_46:                             ;   in Loop: Header=BB231_40 Depth=1
	s_or_b64 exec, exec, s[0:1]
	v_lshrrev_b16_e32 v2, 8, v14
	v_cmp_ne_u16_e32 vcc, 0, v2
	v_mov_b32_e32 v13, 0
	v_mov_b32_e32 v16, 0
	s_and_saveexec_b64 s[0:1], vcc
	s_cbranch_execz .LBB231_52
; %bb.47:                               ;   in Loop: Header=BB231_40 Depth=1
	v_cmp_ne_u16_e32 vcc, s24, v2
	v_bfrev_b32_e32 v16, 1
	s_and_saveexec_b64 s[12:13], vcc
	s_cbranch_execz .LBB231_51
; %bb.48:                               ;   in Loop: Header=BB231_40 Depth=1
	v_and_b32_e32 v17, 0x7f, v2
	v_cmp_ne_u32_e32 vcc, s25, v17
	v_mov_b32_e32 v16, 0x7c010000
	s_and_saveexec_b64 s[14:15], vcc
	s_cbranch_execz .LBB231_50
; %bb.49:                               ;   in Loop: Header=BB231_40 Depth=1
	v_and_b32_e32 v16, 7, v2
	v_ffbh_u32_e32 v18, v16
	v_min_u32_e32 v21, 32, v18
	v_subrev_u32_e32 v18, 28, v21
	v_lshlrev_b64 v[18:19], v18, v[2:3]
	v_lshrrev_b32_e32 v20, 3, v17
	v_sub_u32_e32 v19, 29, v21
	v_cmp_gt_u32_e32 vcc, 8, v17
	v_lshlrev_b32_e32 v2, 8, v2
	v_and_b32_e32 v18, 7, v18
	v_cndmask_b32_e32 v17, v20, v19, vcc
	v_lshl_add_u32 v17, v17, 10, v27
	v_and_or_b32 v2, v2, s29, v17
	v_cndmask_b32_e32 v16, v16, v18, vcc
	v_lshlrev_b32_e32 v2, 16, v2
	v_lshl_or_b32 v16, v16, 23, v2
.LBB231_50:                             ;   in Loop: Header=BB231_40 Depth=1
	s_or_b64 exec, exec, s[14:15]
.LBB231_51:                             ;   in Loop: Header=BB231_40 Depth=1
	s_or_b64 exec, exec, s[12:13]
.LBB231_52:                             ;   in Loop: Header=BB231_40 Depth=1
	s_or_b64 exec, exec, s[0:1]
	v_lshrrev_b32_e32 v2, 16, v14
	v_cmp_ne_u16_sdwa s[12:13], v2, v3 src0_sel:BYTE_0 src1_sel:DWORD
	s_and_saveexec_b64 s[0:1], s[12:13]
	s_cbranch_execz .LBB231_58
; %bb.53:                               ;   in Loop: Header=BB231_40 Depth=1
	v_cmp_ne_u16_sdwa s[14:15], v2, s24 src0_sel:BYTE_0 src1_sel:DWORD
	v_mov_b32_e32 v13, 0x8000
	s_and_saveexec_b64 s[12:13], s[14:15]
	s_cbranch_execz .LBB231_57
; %bb.54:                               ;   in Loop: Header=BB231_40 Depth=1
	v_bfe_u32 v17, v14, 16, 7
	v_cmp_ne_u32_e32 vcc, s25, v17
	v_mov_b32_e32 v13, 0x7c01
	s_and_saveexec_b64 s[14:15], vcc
	s_cbranch_execz .LBB231_56
; %bb.55:                               ;   in Loop: Header=BB231_40 Depth=1
	v_and_b32_e32 v13, 7, v2
	v_ffbh_u32_e32 v18, v13
	v_min_u32_e32 v21, 32, v18
	v_subrev_u32_e32 v18, 28, v21
	v_lshlrev_b64 v[18:19], v18, v[2:3]
	v_lshrrev_b32_e32 v20, 3, v17
	v_sub_u32_e32 v19, 29, v21
	v_cmp_gt_u32_e32 vcc, 8, v17
	v_lshlrev_b32_e32 v2, 8, v2
	v_and_b32_e32 v18, 7, v18
	v_cndmask_b32_e32 v17, v20, v19, vcc
	v_lshl_add_u32 v17, v17, 10, v27
	v_and_b32_e32 v17, 0xfc00, v17
	v_cndmask_b32_e32 v13, v13, v18, vcc
	v_and_or_b32 v2, v2, s29, v17
	v_lshl_or_b32 v13, v13, 7, v2
.LBB231_56:                             ;   in Loop: Header=BB231_40 Depth=1
	s_or_b64 exec, exec, s[14:15]
.LBB231_57:                             ;   in Loop: Header=BB231_40 Depth=1
	s_or_b64 exec, exec, s[12:13]
.LBB231_58:                             ;   in Loop: Header=BB231_40 Depth=1
	s_or_b64 exec, exec, s[0:1]
	v_cmp_lt_u32_e32 vcc, s7, v14
	v_mov_b32_e32 v17, 0
	v_mov_b32_e32 v18, 0
	s_and_saveexec_b64 s[0:1], vcc
	s_cbranch_execz .LBB231_64
; %bb.59:                               ;   in Loop: Header=BB231_40 Depth=1
	v_lshrrev_b32_e32 v2, 24, v14
	v_cmp_ne_u32_e32 vcc, s24, v2
	v_bfrev_b32_e32 v18, 1
	s_and_saveexec_b64 s[12:13], vcc
	s_cbranch_execz .LBB231_63
; %bb.60:                               ;   in Loop: Header=BB231_40 Depth=1
	v_and_b32_e32 v19, 0x7f, v2
	v_cmp_ne_u32_e32 vcc, s25, v19
	v_mov_b32_e32 v18, 0x7c010000
	s_and_saveexec_b64 s[14:15], vcc
	s_cbranch_execz .LBB231_62
; %bb.61:                               ;   in Loop: Header=BB231_40 Depth=1
	v_and_b32_e32 v18, 7, v2
	v_ffbh_u32_e32 v20, v18
	v_min_u32_e32 v29, 32, v20
	v_subrev_u32_e32 v20, 28, v29
	v_lshlrev_b64 v[20:21], v20, v[2:3]
	v_lshrrev_b32_e32 v28, 3, v19
	v_sub_u32_e32 v21, 29, v29
	v_cmp_gt_u32_e32 vcc, 8, v19
	v_lshlrev_b32_e32 v2, 8, v2
	v_and_b32_e32 v20, 7, v20
	v_cndmask_b32_e32 v19, v28, v21, vcc
	v_lshl_add_u32 v19, v19, 10, v27
	v_and_or_b32 v2, v2, s29, v19
	v_cndmask_b32_e32 v18, v18, v20, vcc
	v_lshlrev_b32_e32 v2, 16, v2
	v_lshl_or_b32 v18, v18, 23, v2
.LBB231_62:                             ;   in Loop: Header=BB231_40 Depth=1
	s_or_b64 exec, exec, s[14:15]
.LBB231_63:                             ;   in Loop: Header=BB231_40 Depth=1
	s_or_b64 exec, exec, s[12:13]
.LBB231_64:                             ;   in Loop: Header=BB231_40 Depth=1
	s_or_b64 exec, exec, s[0:1]
	v_mov_b32_e32 v2, v15
	v_cmp_ne_u16_sdwa s[12:13], v15, v3 src0_sel:BYTE_0 src1_sel:DWORD
	s_and_saveexec_b64 s[0:1], s[12:13]
	s_cbranch_execz .LBB231_70
; %bb.65:                               ;   in Loop: Header=BB231_40 Depth=1
	v_cmp_ne_u16_sdwa s[14:15], v15, s24 src0_sel:BYTE_0 src1_sel:DWORD
	v_mov_b32_e32 v17, 0x8000
	s_and_saveexec_b64 s[12:13], s[14:15]
	s_cbranch_execz .LBB231_69
; %bb.66:                               ;   in Loop: Header=BB231_40 Depth=1
	v_and_b32_e32 v19, 0x7f, v15
	v_cmp_ne_u32_e32 vcc, s25, v19
	v_mov_b32_e32 v17, 0x7c01
	s_and_saveexec_b64 s[14:15], vcc
	s_cbranch_execz .LBB231_68
; %bb.67:                               ;   in Loop: Header=BB231_40 Depth=1
	v_and_b32_e32 v17, 7, v15
	v_ffbh_u32_e32 v20, v17
	v_min_u32_e32 v29, 32, v20
	v_subrev_u32_e32 v20, 28, v29
	v_lshlrev_b64 v[20:21], v20, v[2:3]
	v_lshrrev_b32_e32 v28, 3, v19
	v_sub_u32_e32 v21, 29, v29
	v_cmp_gt_u32_e32 vcc, 8, v19
	v_and_b32_e32 v20, 7, v20
	s_nop 0
	v_cndmask_b32_e32 v19, v28, v21, vcc
	v_lshl_add_u32 v19, v19, 10, v27
	v_lshlrev_b32_e32 v21, 8, v15
	v_and_b32_e32 v19, 0xfc00, v19
	v_cndmask_b32_e32 v17, v17, v20, vcc
	v_and_or_b32 v19, v21, s29, v19
	v_lshl_or_b32 v17, v17, 7, v19
.LBB231_68:                             ;   in Loop: Header=BB231_40 Depth=1
	s_or_b64 exec, exec, s[14:15]
.LBB231_69:                             ;   in Loop: Header=BB231_40 Depth=1
	s_or_b64 exec, exec, s[12:13]
.LBB231_70:                             ;   in Loop: Header=BB231_40 Depth=1
	s_or_b64 exec, exec, s[0:1]
	v_lshrrev_b16_e32 v2, 8, v2
	v_cmp_ne_u16_e32 vcc, 0, v2
	v_mov_b32_e32 v20, 0
	v_mov_b32_e32 v19, 0
	s_and_saveexec_b64 s[0:1], vcc
	s_cbranch_execz .LBB231_76
; %bb.71:                               ;   in Loop: Header=BB231_40 Depth=1
	v_cmp_ne_u16_e32 vcc, s24, v2
	v_bfrev_b32_e32 v19, 1
	s_and_saveexec_b64 s[12:13], vcc
	s_cbranch_execz .LBB231_75
; %bb.72:                               ;   in Loop: Header=BB231_40 Depth=1
	v_and_b32_e32 v21, 0x7f, v2
	v_cmp_ne_u32_e32 vcc, s25, v21
	v_mov_b32_e32 v19, 0x7c010000
	s_and_saveexec_b64 s[14:15], vcc
	s_cbranch_execz .LBB231_74
; %bb.73:                               ;   in Loop: Header=BB231_40 Depth=1
	v_and_b32_e32 v19, 7, v2
	v_ffbh_u32_e32 v28, v19
	v_min_u32_e32 v31, 32, v28
	v_subrev_u32_e32 v28, 28, v31
	v_lshlrev_b64 v[28:29], v28, v[2:3]
	v_lshrrev_b32_e32 v30, 3, v21
	v_sub_u32_e32 v29, 29, v31
	v_cmp_gt_u32_e32 vcc, 8, v21
	v_lshlrev_b32_e32 v2, 8, v2
	v_and_b32_e32 v28, 7, v28
	v_cndmask_b32_e32 v21, v30, v29, vcc
	v_lshl_add_u32 v21, v21, 10, v27
	v_and_or_b32 v2, v2, s29, v21
	v_cndmask_b32_e32 v19, v19, v28, vcc
	v_lshlrev_b32_e32 v2, 16, v2
	v_lshl_or_b32 v19, v19, 23, v2
.LBB231_74:                             ;   in Loop: Header=BB231_40 Depth=1
	s_or_b64 exec, exec, s[14:15]
.LBB231_75:                             ;   in Loop: Header=BB231_40 Depth=1
	s_or_b64 exec, exec, s[12:13]
.LBB231_76:                             ;   in Loop: Header=BB231_40 Depth=1
	s_or_b64 exec, exec, s[0:1]
	v_lshrrev_b32_e32 v2, 16, v15
	v_cmp_ne_u16_sdwa s[12:13], v2, v3 src0_sel:BYTE_0 src1_sel:DWORD
	s_and_saveexec_b64 s[0:1], s[12:13]
	s_cbranch_execz .LBB231_82
; %bb.77:                               ;   in Loop: Header=BB231_40 Depth=1
	v_cmp_ne_u16_sdwa s[14:15], v2, s24 src0_sel:BYTE_0 src1_sel:DWORD
	v_mov_b32_e32 v20, 0x8000
	s_and_saveexec_b64 s[12:13], s[14:15]
	s_cbranch_execz .LBB231_81
; %bb.78:                               ;   in Loop: Header=BB231_40 Depth=1
	v_bfe_u32 v21, v15, 16, 7
	v_cmp_ne_u32_e32 vcc, s25, v21
	v_mov_b32_e32 v20, 0x7c01
	s_and_saveexec_b64 s[14:15], vcc
	s_cbranch_execz .LBB231_80
; %bb.79:                               ;   in Loop: Header=BB231_40 Depth=1
	v_and_b32_e32 v20, 7, v2
	v_ffbh_u32_e32 v28, v20
	v_min_u32_e32 v31, 32, v28
	v_subrev_u32_e32 v28, 28, v31
	v_lshlrev_b64 v[28:29], v28, v[2:3]
	v_lshrrev_b32_e32 v30, 3, v21
	v_sub_u32_e32 v29, 29, v31
	v_cmp_gt_u32_e32 vcc, 8, v21
	v_lshlrev_b32_e32 v2, 8, v2
	v_and_b32_e32 v28, 7, v28
	v_cndmask_b32_e32 v21, v30, v29, vcc
	v_lshl_add_u32 v21, v21, 10, v27
	v_and_b32_e32 v21, 0xfc00, v21
	v_cndmask_b32_e32 v20, v20, v28, vcc
	v_and_or_b32 v2, v2, s29, v21
	v_lshl_or_b32 v20, v20, 7, v2
.LBB231_80:                             ;   in Loop: Header=BB231_40 Depth=1
	s_or_b64 exec, exec, s[14:15]
.LBB231_81:                             ;   in Loop: Header=BB231_40 Depth=1
	s_or_b64 exec, exec, s[12:13]
.LBB231_82:                             ;   in Loop: Header=BB231_40 Depth=1
	s_or_b64 exec, exec, s[0:1]
	v_cmp_lt_u64_e32 vcc, s[6:7], v[14:15]
	v_mov_b32_e32 v21, 0
	s_and_saveexec_b64 s[0:1], vcc
	s_cbranch_execz .LBB231_88
; %bb.83:                               ;   in Loop: Header=BB231_40 Depth=1
	v_lshrrev_b32_e32 v2, 24, v15
	v_cmp_ne_u32_e32 vcc, s24, v2
	v_bfrev_b32_e32 v21, 1
	s_and_saveexec_b64 s[12:13], vcc
	s_cbranch_execz .LBB231_87
; %bb.84:                               ;   in Loop: Header=BB231_40 Depth=1
	v_and_b32_e32 v14, 0x7f, v2
	v_cmp_ne_u32_e32 vcc, s25, v14
	v_mov_b32_e32 v21, 0x7c010000
	s_and_saveexec_b64 s[14:15], vcc
	s_cbranch_execz .LBB231_86
; %bb.85:                               ;   in Loop: Header=BB231_40 Depth=1
	v_and_b32_e32 v15, 7, v2
	v_ffbh_u32_e32 v28, v15
	v_min_u32_e32 v30, 32, v28
	v_subrev_u32_e32 v28, 28, v30
	v_lshlrev_b64 v[28:29], v28, v[2:3]
	v_lshrrev_b32_e32 v21, 3, v14
	v_sub_u32_e32 v29, 29, v30
	v_cmp_gt_u32_e32 vcc, 8, v14
	v_lshlrev_b32_e32 v2, 8, v2
	s_nop 0
	v_cndmask_b32_e32 v14, v21, v29, vcc
	v_lshl_add_u32 v14, v14, 10, v27
	v_and_b32_e32 v21, 7, v28
	v_and_or_b32 v2, v2, s29, v14
	v_cndmask_b32_e32 v15, v15, v21, vcc
	v_lshlrev_b32_e32 v2, 16, v2
	v_lshl_or_b32 v21, v15, 23, v2
.LBB231_86:                             ;   in Loop: Header=BB231_40 Depth=1
	s_or_b64 exec, exec, s[14:15]
.LBB231_87:                             ;   in Loop: Header=BB231_40 Depth=1
	s_or_b64 exec, exec, s[12:13]
.LBB231_88:                             ;   in Loop: Header=BB231_40 Depth=1
	s_or_b64 exec, exec, s[0:1]
	v_cvt_f32_f16_sdwa v15, v16 dst_sel:DWORD dst_unused:UNUSED_PAD src0_sel:WORD_1
	v_cvt_f32_f16_sdwa v14, v18 dst_sel:DWORD dst_unused:UNUSED_PAD src0_sel:WORD_1
	v_or_b32_e32 v1, v16, v1
	v_or_b32_e32 v2, v18, v13
	v_cvt_f32_f16_e32 v28, v2
	v_cvt_f32_f16_e32 v29, v1
	s_waitcnt vmcnt(0)
	v_pk_mul_f32 v[14:15], v[12:13], v[14:15] op_sel_hi:[0,1]
	v_cvt_pk_f16_f32 v1, v14, v15
	v_and_b32_e32 v13, 0xffff0000, v1
	v_pk_mul_f32 v[28:29], v[12:13], v[28:29] op_sel_hi:[0,1]
	v_or_b32_e32 v2, v19, v17
	v_or_b32_e32 v17, v21, v20
	v_lshlrev_b32_e32 v14, 16, v1
	v_cvt_pk_f16_f32 v1, v28, v29
	v_cvt_f32_f16_e32 v28, v17
	v_cvt_f32_f16_e32 v29, v2
	v_cvt_f32_f16_sdwa v19, v19 dst_sel:DWORD dst_unused:UNUSED_PAD src0_sel:WORD_1
	v_cvt_f32_f16_sdwa v18, v21 dst_sel:DWORD dst_unused:UNUSED_PAD src0_sel:WORD_1
	v_lshrrev_b32_e32 v15, 16, v1
	v_pk_mul_f32 v[20:21], v[12:13], v[28:29] op_sel_hi:[0,1]
	v_cvt_pk_f16_f32 v20, v20, v21
	v_pk_mul_f32 v[18:19], v[12:13], v[18:19] op_sel_hi:[0,1]
	v_cvt_pk_f16_f32 v12, v18, v19
	v_and_b32_e32 v16, 0xffff, v1
	v_and_b32_e32 v17, 0xffff0000, v12
	v_lshlrev_b32_e32 v12, 16, v12
	v_lshrrev_b32_e32 v21, 16, v20
	v_and_b32_e32 v20, 0xffff, v20
	v_cmp_eq_u32_e32 vcc, s26, v23
	v_or_b32_e32 v1, v13, v15
	v_or_b32_e32 v2, v14, v16
	v_or_b32_e32 v19, v17, v21
	v_or_b32_e32 v18, v12, v20
	v_add_u32_e32 v34, 2, v25
	v_or_b32_e32 v33, 1, v25
	v_or_b32_e32 v32, 3, v25
	;; [unrolled: 1-line block ×6, first 2 shown]
	s_and_saveexec_b64 s[12:13], vcc
	s_cbranch_execz .LBB231_90
; %bb.89:                               ;   in Loop: Header=BB231_40 Depth=1
	v_cmp_gt_i32_e64 s[0:1], s27, v25
	s_nop 1
	v_cndmask_b32_e64 v1, 0, v15, s[0:1]
	v_cmp_gt_i32_e64 s[0:1], s17, v34
	s_nop 1
	v_cndmask_b32_e64 v2, 0, v16, s[0:1]
	;; [unrolled: 3-line block ×3, first 2 shown]
	v_cmp_gt_i32_e64 s[0:1], s17, v32
	v_or_b32_e32 v1, v13, v1
	s_nop 0
	v_cndmask_b32_e64 v14, 0, v14, s[0:1]
	v_cmp_gt_i32_e64 s[0:1], s27, v31
	v_or_b32_e32 v2, v14, v2
	s_nop 0
	v_cndmask_b32_e64 v13, 0, v21, s[0:1]
	v_cmp_gt_i32_e64 s[0:1], s17, v30
	s_nop 1
	v_cndmask_b32_e64 v14, 0, v20, s[0:1]
	v_cmp_gt_i32_e64 s[0:1], s27, v29
	;; [unrolled: 3-line block ×3, first 2 shown]
	v_or_b32_e32 v19, v15, v13
	s_nop 0
	v_cndmask_b32_e64 v12, 0, v12, s[0:1]
	v_or_b32_e32 v18, v12, v14
.LBB231_90:                             ;   in Loop: Header=BB231_40 Depth=1
	s_or_b64 exec, exec, s[12:13]
	v_and_b32_e32 v12, 0xffff, v35
	v_lshl_or_b32 v36, v36, 16, v12
	v_and_b32_e32 v12, 0xffff, v37
	v_lshl_or_b32 v35, v38, 16, v12
	;; [unrolled: 2-line block ×3, first 2 shown]
	v_and_b32_e32 v12, 0xffff, v41
	;;#ASMSTART
	v_pk_mul_f16 v1, v36, v1;

	;;#ASMEND
	v_lshl_or_b32 v20, v42, 16, v12
	;;#ASMSTART
	v_pk_mul_f16 v2, v35, v2;

	;;#ASMEND
	;;#ASMSTART
	v_pk_mul_f16 v12, v21, v19;

	;;#ASMEND
	;; [unrolled: 4-line block ×3, first 2 shown]
	s_nop 0
	;;#ASMSTART
	v_pk_add_f16 v1, v1, v2;

	;;#ASMEND
	s_nop 0
	;;#ASMSTART
	v_pk_add_f16 v1, v1, v12;

	;;#ASMEND
	;; [unrolled: 5-line block ×3, first 2 shown]
	s_nop 0
	v_lshrrev_b32_e32 v2, 16, v1
	v_and_b32_e32 v1, 0xffff, v1
	;;#ASMSTART
	v_cvt_f32_f16 v37, v1;
	;;#ASMEND
	;;#ASMSTART
	v_cvt_f32_f16 v38, v2;
	;;#ASMEND
	global_load_dwordx2 v[12:13], v[10:11], off offset:512
	v_mov_b32_e32 v1, 0
	global_load_dword v10, v1, s[10:11]
	v_mov_b32_e32 v11, 0
	s_waitcnt vmcnt(1)
	v_cmp_ne_u16_sdwa s[0:1], v12, v3 src0_sel:BYTE_0 src1_sel:DWORD
	s_and_saveexec_b64 s[12:13], s[0:1]
	s_cbranch_execz .LBB231_96
; %bb.91:                               ;   in Loop: Header=BB231_40 Depth=1
	v_cmp_ne_u16_sdwa s[0:1], v12, s24 src0_sel:BYTE_0 src1_sel:DWORD
	v_mov_b32_e32 v11, 0x8000
	s_and_saveexec_b64 s[14:15], s[0:1]
	s_cbranch_execz .LBB231_95
; %bb.92:                               ;   in Loop: Header=BB231_40 Depth=1
	v_and_b32_e32 v2, 0x7f, v12
	v_cmp_ne_u32_e64 s[0:1], s25, v2
	v_mov_b32_e32 v11, 0x7c01
	s_and_saveexec_b64 s[22:23], s[0:1]
	s_cbranch_execz .LBB231_94
; %bb.93:                               ;   in Loop: Header=BB231_40 Depth=1
	v_and_b32_e32 v11, 7, v12
	v_ffbh_u32_e32 v14, v11
	v_min_u32_e32 v17, 32, v14
	v_subrev_u32_e32 v14, 28, v17
	v_lshlrev_b64 v[14:15], v14, v[12:13]
	v_lshrrev_b32_e32 v16, 3, v2
	v_sub_u32_e32 v15, 29, v17
	v_cmp_gt_u32_e64 s[0:1], 8, v2
	v_and_b32_e32 v14, 7, v14
	s_nop 0
	v_cndmask_b32_e64 v2, v16, v15, s[0:1]
	v_lshl_add_u32 v2, v2, 10, v27
	v_lshlrev_b32_e32 v15, 8, v12
	v_and_b32_e32 v2, 0xfc00, v2
	v_cndmask_b32_e64 v11, v11, v14, s[0:1]
	v_and_or_b32 v2, v15, s29, v2
	v_lshl_or_b32 v11, v11, 7, v2
.LBB231_94:                             ;   in Loop: Header=BB231_40 Depth=1
	s_or_b64 exec, exec, s[22:23]
.LBB231_95:                             ;   in Loop: Header=BB231_40 Depth=1
	s_or_b64 exec, exec, s[14:15]
.LBB231_96:                             ;   in Loop: Header=BB231_40 Depth=1
	s_or_b64 exec, exec, s[12:13]
	v_lshrrev_b16_e32 v2, 8, v12
	v_cmp_ne_u16_e64 s[0:1], 0, v2
	s_and_saveexec_b64 s[12:13], s[0:1]
	s_cbranch_execz .LBB231_102
; %bb.97:                               ;   in Loop: Header=BB231_40 Depth=1
	v_cmp_ne_u16_e64 s[0:1], s24, v2
	v_bfrev_b32_e32 v1, 1
	s_and_saveexec_b64 s[14:15], s[0:1]
	s_cbranch_execz .LBB231_101
; %bb.98:                               ;   in Loop: Header=BB231_40 Depth=1
	v_and_b32_e32 v14, 0x7f, v2
	v_cmp_ne_u32_e64 s[0:1], s25, v14
	v_mov_b32_e32 v1, 0x7c010000
	s_and_saveexec_b64 s[22:23], s[0:1]
	s_cbranch_execz .LBB231_100
; %bb.99:                               ;   in Loop: Header=BB231_40 Depth=1
	v_and_b32_e32 v1, 7, v2
	v_ffbh_u32_e32 v16, v1
	v_min_u32_e32 v18, 32, v16
	v_subrev_u32_e32 v16, 28, v18
	v_lshlrev_b64 v[16:17], v16, v[2:3]
	v_lshrrev_b32_e32 v15, 3, v14
	v_sub_u32_e32 v17, 29, v18
	v_cmp_gt_u32_e64 s[0:1], 8, v14
	v_lshlrev_b32_e32 v2, 8, v2
	s_nop 0
	v_cndmask_b32_e64 v14, v15, v17, s[0:1]
	v_lshl_add_u32 v14, v14, 10, v27
	v_and_b32_e32 v15, 7, v16
	v_and_or_b32 v2, v2, s29, v14
	v_cndmask_b32_e64 v1, v1, v15, s[0:1]
	v_lshlrev_b32_e32 v2, 16, v2
	v_lshl_or_b32 v1, v1, 23, v2
.LBB231_100:                            ;   in Loop: Header=BB231_40 Depth=1
	s_or_b64 exec, exec, s[22:23]
.LBB231_101:                            ;   in Loop: Header=BB231_40 Depth=1
	s_or_b64 exec, exec, s[14:15]
.LBB231_102:                            ;   in Loop: Header=BB231_40 Depth=1
	s_or_b64 exec, exec, s[12:13]
	v_lshrrev_b32_e32 v2, 16, v12
	v_cmp_ne_u16_sdwa s[0:1], v2, v3 src0_sel:BYTE_0 src1_sel:DWORD
	v_mov_b32_e32 v15, 0
	v_mov_b32_e32 v14, 0
	s_and_saveexec_b64 s[12:13], s[0:1]
	s_cbranch_execz .LBB231_108
; %bb.103:                              ;   in Loop: Header=BB231_40 Depth=1
	v_cmp_ne_u16_sdwa s[0:1], v2, s24 src0_sel:BYTE_0 src1_sel:DWORD
	v_mov_b32_e32 v14, 0x8000
	s_and_saveexec_b64 s[14:15], s[0:1]
	s_cbranch_execz .LBB231_107
; %bb.104:                              ;   in Loop: Header=BB231_40 Depth=1
	v_bfe_u32 v16, v12, 16, 7
	v_cmp_ne_u32_e64 s[0:1], s25, v16
	v_mov_b32_e32 v14, 0x7c01
	s_and_saveexec_b64 s[22:23], s[0:1]
	s_cbranch_execz .LBB231_106
; %bb.105:                              ;   in Loop: Header=BB231_40 Depth=1
	v_and_b32_e32 v14, 7, v2
	v_ffbh_u32_e32 v18, v14
	v_min_u32_e32 v39, 32, v18
	v_subrev_u32_e32 v18, 28, v39
	v_lshlrev_b64 v[18:19], v18, v[2:3]
	v_lshrrev_b32_e32 v17, 3, v16
	v_sub_u32_e32 v19, 29, v39
	v_cmp_gt_u32_e64 s[0:1], 8, v16
	v_lshlrev_b32_e32 v2, 8, v2
	s_nop 0
	v_cndmask_b32_e64 v16, v17, v19, s[0:1]
	v_lshl_add_u32 v16, v16, 10, v27
	v_and_b32_e32 v17, 7, v18
	v_and_b32_e32 v16, 0xfc00, v16
	v_cndmask_b32_e64 v14, v14, v17, s[0:1]
	v_and_or_b32 v2, v2, s29, v16
	v_lshl_or_b32 v14, v14, 7, v2
.LBB231_106:                            ;   in Loop: Header=BB231_40 Depth=1
	s_or_b64 exec, exec, s[22:23]
.LBB231_107:                            ;   in Loop: Header=BB231_40 Depth=1
	s_or_b64 exec, exec, s[14:15]
.LBB231_108:                            ;   in Loop: Header=BB231_40 Depth=1
	s_or_b64 exec, exec, s[12:13]
	v_cmp_lt_u32_e64 s[0:1], s7, v12
	s_and_saveexec_b64 s[12:13], s[0:1]
	s_cbranch_execz .LBB231_114
; %bb.109:                              ;   in Loop: Header=BB231_40 Depth=1
	v_lshrrev_b32_e32 v2, 24, v12
	v_cmp_ne_u32_e64 s[0:1], s24, v2
	v_bfrev_b32_e32 v15, 1
	s_and_saveexec_b64 s[14:15], s[0:1]
	s_cbranch_execz .LBB231_113
; %bb.110:                              ;   in Loop: Header=BB231_40 Depth=1
	v_and_b32_e32 v16, 0x7f, v2
	v_cmp_ne_u32_e64 s[0:1], s25, v16
	v_mov_b32_e32 v15, 0x7c010000
	s_and_saveexec_b64 s[22:23], s[0:1]
	s_cbranch_execz .LBB231_112
; %bb.111:                              ;   in Loop: Header=BB231_40 Depth=1
	v_and_b32_e32 v15, 7, v2
	v_ffbh_u32_e32 v18, v15
	v_min_u32_e32 v39, 32, v18
	v_subrev_u32_e32 v18, 28, v39
	v_lshlrev_b64 v[18:19], v18, v[2:3]
	v_lshrrev_b32_e32 v17, 3, v16
	v_sub_u32_e32 v19, 29, v39
	v_cmp_gt_u32_e64 s[0:1], 8, v16
	v_lshlrev_b32_e32 v2, 8, v2
	s_nop 0
	v_cndmask_b32_e64 v16, v17, v19, s[0:1]
	v_lshl_add_u32 v16, v16, 10, v27
	v_and_b32_e32 v17, 7, v18
	v_and_or_b32 v2, v2, s29, v16
	v_cndmask_b32_e64 v15, v15, v17, s[0:1]
	v_lshlrev_b32_e32 v2, 16, v2
	v_lshl_or_b32 v15, v15, 23, v2
.LBB231_112:                            ;   in Loop: Header=BB231_40 Depth=1
	s_or_b64 exec, exec, s[22:23]
.LBB231_113:                            ;   in Loop: Header=BB231_40 Depth=1
	s_or_b64 exec, exec, s[14:15]
.LBB231_114:                            ;   in Loop: Header=BB231_40 Depth=1
	s_or_b64 exec, exec, s[12:13]
	v_mov_b32_e32 v2, v13
	v_cmp_ne_u16_sdwa s[0:1], v13, v3 src0_sel:BYTE_0 src1_sel:DWORD
	v_mov_b32_e32 v16, 0
	v_mov_b32_e32 v17, 0
	s_and_saveexec_b64 s[12:13], s[0:1]
	s_cbranch_execz .LBB231_120
; %bb.115:                              ;   in Loop: Header=BB231_40 Depth=1
	v_cmp_ne_u16_sdwa s[0:1], v13, s24 src0_sel:BYTE_0 src1_sel:DWORD
	v_mov_b32_e32 v17, 0x8000
	s_and_saveexec_b64 s[14:15], s[0:1]
	s_cbranch_execz .LBB231_119
; %bb.116:                              ;   in Loop: Header=BB231_40 Depth=1
	v_and_b32_e32 v18, 0x7f, v13
	v_cmp_ne_u32_e64 s[0:1], s25, v18
	v_mov_b32_e32 v17, 0x7c01
	s_and_saveexec_b64 s[22:23], s[0:1]
	s_cbranch_execz .LBB231_118
; %bb.117:                              ;   in Loop: Header=BB231_40 Depth=1
	v_and_b32_e32 v17, 7, v13
	v_ffbh_u32_e32 v39, v17
	v_min_u32_e32 v39, 32, v39
	v_lshrrev_b32_e32 v19, 3, v18
	v_subrev_u32_e32 v40, 28, v39
	v_sub_u32_e32 v39, 29, v39
	v_cmp_gt_u32_e64 s[0:1], 8, v18
	v_lshlrev_b64 v[40:41], v40, v[2:3]
	s_nop 0
	v_cndmask_b32_e64 v18, v19, v39, s[0:1]
	v_lshl_add_u32 v18, v18, 10, v27
	v_lshlrev_b32_e32 v19, 8, v13
	v_and_b32_e32 v39, 7, v40
	v_and_b32_e32 v18, 0xfc00, v18
	v_cndmask_b32_e64 v17, v17, v39, s[0:1]
	v_and_or_b32 v18, v19, s29, v18
	v_lshl_or_b32 v17, v17, 7, v18
.LBB231_118:                            ;   in Loop: Header=BB231_40 Depth=1
	s_or_b64 exec, exec, s[22:23]
.LBB231_119:                            ;   in Loop: Header=BB231_40 Depth=1
	s_or_b64 exec, exec, s[14:15]
.LBB231_120:                            ;   in Loop: Header=BB231_40 Depth=1
	s_or_b64 exec, exec, s[12:13]
	v_lshrrev_b16_e32 v2, 8, v2
	v_cmp_ne_u16_e64 s[0:1], 0, v2
	v_mov_b32_e32 v18, 0
	s_and_saveexec_b64 s[12:13], s[0:1]
	s_cbranch_execz .LBB231_126
; %bb.121:                              ;   in Loop: Header=BB231_40 Depth=1
	v_cmp_ne_u16_e64 s[0:1], s24, v2
	v_bfrev_b32_e32 v18, 1
	s_and_saveexec_b64 s[14:15], s[0:1]
	s_cbranch_execz .LBB231_125
; %bb.122:                              ;   in Loop: Header=BB231_40 Depth=1
	v_and_b32_e32 v19, 0x7f, v2
	v_cmp_ne_u32_e64 s[0:1], s25, v19
	v_mov_b32_e32 v18, 0x7c010000
	s_and_saveexec_b64 s[22:23], s[0:1]
	s_cbranch_execz .LBB231_124
; %bb.123:                              ;   in Loop: Header=BB231_40 Depth=1
	v_and_b32_e32 v18, 7, v2
	v_ffbh_u32_e32 v40, v18
	v_min_u32_e32 v42, 32, v40
	v_subrev_u32_e32 v40, 28, v42
	v_lshlrev_b64 v[40:41], v40, v[2:3]
	v_lshrrev_b32_e32 v39, 3, v19
	v_sub_u32_e32 v41, 29, v42
	v_cmp_gt_u32_e64 s[0:1], 8, v19
	v_lshlrev_b32_e32 v2, 8, v2
	s_nop 0
	v_cndmask_b32_e64 v19, v39, v41, s[0:1]
	v_lshl_add_u32 v19, v19, 10, v27
	v_and_b32_e32 v39, 7, v40
	v_and_or_b32 v2, v2, s29, v19
	v_cndmask_b32_e64 v18, v18, v39, s[0:1]
	v_lshlrev_b32_e32 v2, 16, v2
	v_lshl_or_b32 v18, v18, 23, v2
.LBB231_124:                            ;   in Loop: Header=BB231_40 Depth=1
	s_or_b64 exec, exec, s[22:23]
.LBB231_125:                            ;   in Loop: Header=BB231_40 Depth=1
	s_or_b64 exec, exec, s[14:15]
.LBB231_126:                            ;   in Loop: Header=BB231_40 Depth=1
	s_or_b64 exec, exec, s[12:13]
	v_lshrrev_b32_e32 v2, 16, v13
	v_cmp_ne_u16_sdwa s[0:1], v2, v3 src0_sel:BYTE_0 src1_sel:DWORD
	s_and_saveexec_b64 s[12:13], s[0:1]
	s_cbranch_execz .LBB231_132
; %bb.127:                              ;   in Loop: Header=BB231_40 Depth=1
	v_cmp_ne_u16_sdwa s[0:1], v2, s24 src0_sel:BYTE_0 src1_sel:DWORD
	v_mov_b32_e32 v16, 0x8000
	s_and_saveexec_b64 s[14:15], s[0:1]
	s_cbranch_execz .LBB231_131
; %bb.128:                              ;   in Loop: Header=BB231_40 Depth=1
	v_bfe_u32 v19, v13, 16, 7
	v_cmp_ne_u32_e64 s[0:1], s25, v19
	v_mov_b32_e32 v16, 0x7c01
	s_and_saveexec_b64 s[22:23], s[0:1]
	s_cbranch_execz .LBB231_130
; %bb.129:                              ;   in Loop: Header=BB231_40 Depth=1
	v_and_b32_e32 v16, 7, v2
	v_ffbh_u32_e32 v40, v16
	v_min_u32_e32 v42, 32, v40
	v_subrev_u32_e32 v40, 28, v42
	v_lshlrev_b64 v[40:41], v40, v[2:3]
	v_lshrrev_b32_e32 v39, 3, v19
	v_sub_u32_e32 v41, 29, v42
	v_cmp_gt_u32_e64 s[0:1], 8, v19
	v_lshlrev_b32_e32 v2, 8, v2
	s_nop 0
	v_cndmask_b32_e64 v19, v39, v41, s[0:1]
	v_lshl_add_u32 v19, v19, 10, v27
	v_and_b32_e32 v39, 7, v40
	v_and_b32_e32 v19, 0xfc00, v19
	v_cndmask_b32_e64 v16, v16, v39, s[0:1]
	v_and_or_b32 v2, v2, s29, v19
	v_lshl_or_b32 v16, v16, 7, v2
.LBB231_130:                            ;   in Loop: Header=BB231_40 Depth=1
	s_or_b64 exec, exec, s[22:23]
.LBB231_131:                            ;   in Loop: Header=BB231_40 Depth=1
	s_or_b64 exec, exec, s[14:15]
.LBB231_132:                            ;   in Loop: Header=BB231_40 Depth=1
	s_or_b64 exec, exec, s[12:13]
	v_cmp_lt_u64_e64 s[0:1], s[6:7], v[12:13]
	v_mov_b32_e32 v12, 0
	s_and_saveexec_b64 s[12:13], s[0:1]
	s_cbranch_execz .LBB231_138
; %bb.133:                              ;   in Loop: Header=BB231_40 Depth=1
	v_lshrrev_b32_e32 v2, 24, v13
	v_cmp_ne_u32_e64 s[0:1], s24, v2
	v_bfrev_b32_e32 v12, 1
	s_and_saveexec_b64 s[14:15], s[0:1]
	s_cbranch_execz .LBB231_137
; %bb.134:                              ;   in Loop: Header=BB231_40 Depth=1
	v_and_b32_e32 v13, 0x7f, v2
	v_cmp_ne_u32_e64 s[0:1], s25, v13
	v_mov_b32_e32 v12, 0x7c010000
	s_and_saveexec_b64 s[22:23], s[0:1]
	s_cbranch_execz .LBB231_136
; %bb.135:                              ;   in Loop: Header=BB231_40 Depth=1
	v_and_b32_e32 v12, 7, v2
	v_ffbh_u32_e32 v39, v12
	v_min_u32_e32 v39, 32, v39
	v_lshrrev_b32_e32 v19, 3, v13
	v_subrev_u32_e32 v40, 28, v39
	v_sub_u32_e32 v39, 29, v39
	v_cmp_gt_u32_e64 s[0:1], 8, v13
	v_lshlrev_b64 v[40:41], v40, v[2:3]
	v_lshlrev_b32_e32 v2, 8, v2
	v_cndmask_b32_e64 v13, v19, v39, s[0:1]
	v_lshl_add_u32 v13, v13, 10, v27
	v_and_b32_e32 v19, 7, v40
	v_and_or_b32 v2, v2, s29, v13
	v_cndmask_b32_e64 v12, v12, v19, s[0:1]
	v_lshlrev_b32_e32 v2, 16, v2
	v_lshl_or_b32 v12, v12, 23, v2
.LBB231_136:                            ;   in Loop: Header=BB231_40 Depth=1
	s_or_b64 exec, exec, s[22:23]
.LBB231_137:                            ;   in Loop: Header=BB231_40 Depth=1
	s_or_b64 exec, exec, s[14:15]
.LBB231_138:                            ;   in Loop: Header=BB231_40 Depth=1
	s_or_b64 exec, exec, s[12:13]
	v_cvt_f32_f16_sdwa v41, v1 dst_sel:DWORD dst_unused:UNUSED_PAD src0_sel:WORD_1
	v_cvt_f32_f16_sdwa v40, v15 dst_sel:DWORD dst_unused:UNUSED_PAD src0_sel:WORD_1
	v_or_b32_e32 v1, v1, v11
	v_or_b32_e32 v2, v15, v14
	;; [unrolled: 1-line block ×3, first 2 shown]
	s_waitcnt vmcnt(0)
	v_pk_mul_f32 v[14:15], v[10:11], v[40:41] op_sel_hi:[0,1]
	v_cvt_f32_f16_e32 v40, v2
	v_cvt_f32_f16_e32 v41, v1
	v_cvt_pk_f16_f32 v1, v14, v15
	v_and_b32_e32 v11, 0xffff0000, v1
	v_lshlrev_b32_e32 v2, 16, v1
	v_pk_mul_f32 v[14:15], v[10:11], v[40:41] op_sel_hi:[0,1]
	v_cvt_pk_f16_f32 v1, v14, v15
	v_or_b32_e32 v15, v18, v17
	v_cvt_f32_f16_e32 v16, v16
	v_cvt_f32_f16_e32 v17, v15
	v_cvt_f32_f16_sdwa v19, v18 dst_sel:DWORD dst_unused:UNUSED_PAD src0_sel:WORD_1
	v_cvt_f32_f16_sdwa v18, v12 dst_sel:DWORD dst_unused:UNUSED_PAD src0_sel:WORD_1
	v_lshrrev_b32_e32 v13, 16, v1
	v_pk_mul_f32 v[16:17], v[10:11], v[16:17] op_sel_hi:[0,1]
	v_cvt_pk_f16_f32 v39, v16, v17
	v_pk_mul_f32 v[16:17], v[10:11], v[18:19] op_sel_hi:[0,1]
	v_cvt_pk_f16_f32 v10, v16, v17
	v_and_b32_e32 v14, 0xffff, v1
	v_and_b32_e32 v15, 0xffff0000, v10
	v_lshlrev_b32_e32 v10, 16, v10
	v_lshrrev_b32_e32 v17, 16, v39
	v_and_b32_e32 v16, 0xffff, v39
	v_or_b32_e32 v1, v11, v13
	v_or_b32_e32 v12, v2, v14
	v_or_b32_e32 v19, v15, v17
	v_or_b32_e32 v18, v10, v16
	s_and_saveexec_b64 s[0:1], vcc
	s_cbranch_execz .LBB231_39
; %bb.139:                              ;   in Loop: Header=BB231_40 Depth=1
	v_cmp_gt_i32_e32 vcc, s27, v25
	s_nop 1
	v_cndmask_b32_e32 v1, 0, v13, vcc
	v_cmp_gt_i32_e32 vcc, s17, v34
	s_nop 1
	v_cndmask_b32_e32 v12, 0, v14, vcc
	;; [unrolled: 3-line block ×3, first 2 shown]
	v_cmp_gt_i32_e32 vcc, s17, v32
	v_or_b32_e32 v1, v11, v1
	s_nop 0
	v_cndmask_b32_e32 v2, 0, v2, vcc
	v_cmp_gt_i32_e32 vcc, s27, v31
	v_or_b32_e32 v12, v2, v12
	s_nop 0
	v_cndmask_b32_e32 v2, 0, v17, vcc
	v_cmp_gt_i32_e32 vcc, s17, v30
	s_nop 1
	v_cndmask_b32_e32 v11, 0, v16, vcc
	v_cmp_gt_i32_e32 vcc, s27, v29
	;; [unrolled: 3-line block ×3, first 2 shown]
	v_or_b32_e32 v19, v13, v2
	s_nop 0
	v_cndmask_b32_e32 v10, 0, v10, vcc
	v_or_b32_e32 v18, v10, v11
	s_branch .LBB231_39
.LBB231_140:
	s_or_b64 exec, exec, s[8:9]
	v_mov_b64_e32 v[2:3], v[8:9]
.LBB231_141:
	s_or_b64 exec, exec, s[2:3]
	v_and_b32_e32 v1, 0x3c0, v0
	v_cmp_eq_u32_e32 vcc, 64, v1
	s_barrier
	s_and_saveexec_b64 s[0:1], vcc
; %bb.142:
	v_mov_b32_e32 v1, 0x110
	v_lshl_add_u32 v1, v24, 2, v1
	ds_write2st64_b32 v1, v2, v3 offset1:1
; %bb.143:
	s_or_b64 exec, exec, s[0:1]
	v_cmp_gt_u32_e32 vcc, 64, v0
	s_waitcnt lgkmcnt(0)
	s_barrier
	s_and_saveexec_b64 s[0:1], vcc
	s_cbranch_execz .LBB231_145
; %bb.144:
	v_mov_b32_e32 v1, 0x110
	v_lshl_add_u32 v0, v0, 2, v1
	ds_read2st64_b32 v[0:1], v0 offset1:1
	s_waitcnt lgkmcnt(0)
	v_pk_add_f32 v[2:3], v[2:3], v[0:1]
.LBB231_145:
	s_or_b64 exec, exec, s[0:1]
	s_barrier
	s_and_saveexec_b64 s[0:1], vcc
	s_cbranch_execz .LBB231_147
; %bb.146:
	s_mul_i32 s0, s16, s19
	s_mul_i32 s0, s0, s5
	s_lshl_b32 s0, s0, 7
	s_ashr_i32 s1, s0, 31
	s_lshl_b64 s[0:1], s[0:1], 1
	s_add_u32 s2, s20, s0
	s_mul_i32 s0, s19, s18
	s_addc_u32 s3, s21, s1
	s_ashr_i32 s1, s0, 31
	s_lshl_b64 s[0:1], s[0:1], 1
	s_add_u32 s2, s2, s0
	s_addc_u32 s3, s3, s1
	s_lshl_b32 s0, s4, 7
	s_ashr_i32 s1, s0, 31
	s_lshl_b64 s[0:1], s[0:1], 1
	s_add_u32 s0, s2, s0
	s_addc_u32 s1, s3, s1
	;;#ASMSTART
	v_cvt_f16_f32 v0, v2;

	;;#ASMEND
	global_store_short v22, v0, s[0:1]
	;;#ASMSTART
	v_cvt_f16_f32 v0, v3;

	;;#ASMEND
	global_store_short v22, v0, s[0:1] offset:128
.LBB231_147:
	s_endpgm
	.section	.rodata,"a",@progbits
	.p2align	6, 0x0
	.amdhsa_kernel _ZN4vllm25paged_attention_v1_kernelIthLi128ELi8ELi128ELNS_18Fp8KVCacheDataTypeE1ELb0EEEvPT_PKS2_PKT0_S8_ifPKiSA_iPKfiiiSC_SC_iiiii
		.amdhsa_group_segment_fixed_size 272
		.amdhsa_private_segment_fixed_size 0
		.amdhsa_kernarg_size 384
		.amdhsa_user_sgpr_count 2
		.amdhsa_user_sgpr_dispatch_ptr 0
		.amdhsa_user_sgpr_queue_ptr 0
		.amdhsa_user_sgpr_kernarg_segment_ptr 1
		.amdhsa_user_sgpr_dispatch_id 0
		.amdhsa_user_sgpr_kernarg_preload_length 0
		.amdhsa_user_sgpr_kernarg_preload_offset 0
		.amdhsa_user_sgpr_private_segment_size 0
		.amdhsa_uses_dynamic_stack 0
		.amdhsa_enable_private_segment 0
		.amdhsa_system_sgpr_workgroup_id_x 1
		.amdhsa_system_sgpr_workgroup_id_y 1
		.amdhsa_system_sgpr_workgroup_id_z 1
		.amdhsa_system_sgpr_workgroup_info 0
		.amdhsa_system_vgpr_workitem_id 0
		.amdhsa_next_free_vgpr 51
		.amdhsa_next_free_sgpr 38
		.amdhsa_accum_offset 52
		.amdhsa_reserve_vcc 1
		.amdhsa_float_round_mode_32 0
		.amdhsa_float_round_mode_16_64 0
		.amdhsa_float_denorm_mode_32 3
		.amdhsa_float_denorm_mode_16_64 3
		.amdhsa_dx10_clamp 1
		.amdhsa_ieee_mode 1
		.amdhsa_fp16_overflow 0
		.amdhsa_tg_split 0
		.amdhsa_exception_fp_ieee_invalid_op 0
		.amdhsa_exception_fp_denorm_src 0
		.amdhsa_exception_fp_ieee_div_zero 0
		.amdhsa_exception_fp_ieee_overflow 0
		.amdhsa_exception_fp_ieee_underflow 0
		.amdhsa_exception_fp_ieee_inexact 0
		.amdhsa_exception_int_div_zero 0
	.end_amdhsa_kernel
	.section	.text._ZN4vllm25paged_attention_v1_kernelIthLi128ELi8ELi128ELNS_18Fp8KVCacheDataTypeE1ELb0EEEvPT_PKS2_PKT0_S8_ifPKiSA_iPKfiiiSC_SC_iiiii,"axG",@progbits,_ZN4vllm25paged_attention_v1_kernelIthLi128ELi8ELi128ELNS_18Fp8KVCacheDataTypeE1ELb0EEEvPT_PKS2_PKT0_S8_ifPKiSA_iPKfiiiSC_SC_iiiii,comdat
.Lfunc_end231:
	.size	_ZN4vllm25paged_attention_v1_kernelIthLi128ELi8ELi128ELNS_18Fp8KVCacheDataTypeE1ELb0EEEvPT_PKS2_PKT0_S8_ifPKiSA_iPKfiiiSC_SC_iiiii, .Lfunc_end231-_ZN4vllm25paged_attention_v1_kernelIthLi128ELi8ELi128ELNS_18Fp8KVCacheDataTypeE1ELb0EEEvPT_PKS2_PKT0_S8_ifPKiSA_iPKfiiiSC_SC_iiiii
                                        ; -- End function
	.set _ZN4vllm25paged_attention_v1_kernelIthLi128ELi8ELi128ELNS_18Fp8KVCacheDataTypeE1ELb0EEEvPT_PKS2_PKT0_S8_ifPKiSA_iPKfiiiSC_SC_iiiii.num_vgpr, 51
	.set _ZN4vllm25paged_attention_v1_kernelIthLi128ELi8ELi128ELNS_18Fp8KVCacheDataTypeE1ELb0EEEvPT_PKS2_PKT0_S8_ifPKiSA_iPKfiiiSC_SC_iiiii.num_agpr, 0
	.set _ZN4vllm25paged_attention_v1_kernelIthLi128ELi8ELi128ELNS_18Fp8KVCacheDataTypeE1ELb0EEEvPT_PKS2_PKT0_S8_ifPKiSA_iPKfiiiSC_SC_iiiii.numbered_sgpr, 38
	.set _ZN4vllm25paged_attention_v1_kernelIthLi128ELi8ELi128ELNS_18Fp8KVCacheDataTypeE1ELb0EEEvPT_PKS2_PKT0_S8_ifPKiSA_iPKfiiiSC_SC_iiiii.num_named_barrier, 0
	.set _ZN4vllm25paged_attention_v1_kernelIthLi128ELi8ELi128ELNS_18Fp8KVCacheDataTypeE1ELb0EEEvPT_PKS2_PKT0_S8_ifPKiSA_iPKfiiiSC_SC_iiiii.private_seg_size, 0
	.set _ZN4vllm25paged_attention_v1_kernelIthLi128ELi8ELi128ELNS_18Fp8KVCacheDataTypeE1ELb0EEEvPT_PKS2_PKT0_S8_ifPKiSA_iPKfiiiSC_SC_iiiii.uses_vcc, 1
	.set _ZN4vllm25paged_attention_v1_kernelIthLi128ELi8ELi128ELNS_18Fp8KVCacheDataTypeE1ELb0EEEvPT_PKS2_PKT0_S8_ifPKiSA_iPKfiiiSC_SC_iiiii.uses_flat_scratch, 0
	.set _ZN4vllm25paged_attention_v1_kernelIthLi128ELi8ELi128ELNS_18Fp8KVCacheDataTypeE1ELb0EEEvPT_PKS2_PKT0_S8_ifPKiSA_iPKfiiiSC_SC_iiiii.has_dyn_sized_stack, 0
	.set _ZN4vllm25paged_attention_v1_kernelIthLi128ELi8ELi128ELNS_18Fp8KVCacheDataTypeE1ELb0EEEvPT_PKS2_PKT0_S8_ifPKiSA_iPKfiiiSC_SC_iiiii.has_recursion, 0
	.set _ZN4vllm25paged_attention_v1_kernelIthLi128ELi8ELi128ELNS_18Fp8KVCacheDataTypeE1ELb0EEEvPT_PKS2_PKT0_S8_ifPKiSA_iPKfiiiSC_SC_iiiii.has_indirect_call, 0
	.section	.AMDGPU.csdata,"",@progbits
; Kernel info:
; codeLenInByte = 8276
; TotalNumSgprs: 44
; NumVgprs: 51
; NumAgprs: 0
; TotalNumVgprs: 51
; ScratchSize: 0
; MemoryBound: 0
; FloatMode: 240
; IeeeMode: 1
; LDSByteSize: 272 bytes/workgroup (compile time only)
; SGPRBlocks: 5
; VGPRBlocks: 6
; NumSGPRsForWavesPerEU: 44
; NumVGPRsForWavesPerEU: 51
; AccumOffset: 52
; Occupancy: 8
; WaveLimiterHint : 1
; COMPUTE_PGM_RSRC2:SCRATCH_EN: 0
; COMPUTE_PGM_RSRC2:USER_SGPR: 2
; COMPUTE_PGM_RSRC2:TRAP_HANDLER: 0
; COMPUTE_PGM_RSRC2:TGID_X_EN: 1
; COMPUTE_PGM_RSRC2:TGID_Y_EN: 1
; COMPUTE_PGM_RSRC2:TGID_Z_EN: 1
; COMPUTE_PGM_RSRC2:TIDIG_COMP_CNT: 0
; COMPUTE_PGM_RSRC3_GFX90A:ACCUM_OFFSET: 12
; COMPUTE_PGM_RSRC3_GFX90A:TG_SPLIT: 0
	.section	.text._ZN4vllm25paged_attention_v1_kernelIthLi192ELi8ELi128ELNS_18Fp8KVCacheDataTypeE1ELb0EEEvPT_PKS2_PKT0_S8_ifPKiSA_iPKfiiiSC_SC_iiiii,"axG",@progbits,_ZN4vllm25paged_attention_v1_kernelIthLi192ELi8ELi128ELNS_18Fp8KVCacheDataTypeE1ELb0EEEvPT_PKS2_PKT0_S8_ifPKiSA_iPKfiiiSC_SC_iiiii,comdat
	.protected	_ZN4vllm25paged_attention_v1_kernelIthLi192ELi8ELi128ELNS_18Fp8KVCacheDataTypeE1ELb0EEEvPT_PKS2_PKT0_S8_ifPKiSA_iPKfiiiSC_SC_iiiii ; -- Begin function _ZN4vllm25paged_attention_v1_kernelIthLi192ELi8ELi128ELNS_18Fp8KVCacheDataTypeE1ELb0EEEvPT_PKS2_PKT0_S8_ifPKiSA_iPKfiiiSC_SC_iiiii
	.globl	_ZN4vllm25paged_attention_v1_kernelIthLi192ELi8ELi128ELNS_18Fp8KVCacheDataTypeE1ELb0EEEvPT_PKS2_PKT0_S8_ifPKiSA_iPKfiiiSC_SC_iiiii
	.p2align	8
	.type	_ZN4vllm25paged_attention_v1_kernelIthLi192ELi8ELi128ELNS_18Fp8KVCacheDataTypeE1ELb0EEEvPT_PKS2_PKT0_S8_ifPKiSA_iPKfiiiSC_SC_iiiii,@function
_ZN4vllm25paged_attention_v1_kernelIthLi192ELi8ELi128ELNS_18Fp8KVCacheDataTypeE1ELb0EEEvPT_PKS2_PKT0_S8_ifPKiSA_iPKfiiiSC_SC_iiiii: ; @_ZN4vllm25paged_attention_v1_kernelIthLi192ELi8ELi128ELNS_18Fp8KVCacheDataTypeE1ELb0EEEvPT_PKS2_PKT0_S8_ifPKiSA_iPKfiiiSC_SC_iiiii
; %bb.0:
	s_load_dword s5, s[0:1], 0x80
	s_load_dwordx2 s[6:7], s[0:1], 0x30
	s_load_dwordx2 s[28:29], s[0:1], 0x20
	s_mov_b32 s16, s3
	s_ashr_i32 s17, s3, 31
	s_lshl_b64 s[8:9], s[16:17], 2
	s_waitcnt lgkmcnt(0)
	s_add_u32 s6, s6, s8
	s_addc_u32 s7, s7, s9
	s_abs_i32 s3, s28
	v_cvt_f32_u32_e32 v1, s3
	s_sub_i32 s10, 0, s3
	s_abs_i32 s9, s5
	s_xor_b32 s8, s5, s28
	v_rcp_iflag_f32_e32 v1, v1
	s_ashr_i32 s8, s8, 31
	s_mov_b32 s28, 0
	v_mul_f32_e32 v1, 0x4f7ffffe, v1
	v_cvt_u32_f32_e32 v1, v1
	s_nop 0
	v_readfirstlane_b32 s11, v1
	s_mul_i32 s10, s10, s11
	s_mul_hi_u32 s10, s11, s10
	s_add_i32 s11, s11, s10
	s_mul_hi_u32 s10, s9, s11
	s_mul_i32 s11, s10, s3
	s_sub_i32 s9, s9, s11
	s_add_i32 s11, s10, 1
	s_sub_i32 s12, s9, s3
	s_cmp_ge_u32 s9, s3
	s_cselect_b32 s10, s11, s10
	s_cselect_b32 s9, s12, s9
	s_add_i32 s11, s10, 1
	s_cmp_ge_u32 s9, s3
	s_cselect_b32 s3, s11, s10
	s_xor_b32 s3, s3, s8
	s_sub_i32 s12, s3, s8
	s_abs_i32 s10, s12
	v_cvt_f32_u32_e32 v1, s10
	s_load_dwordx2 s[8:9], s[0:1], 0x40
	s_sub_i32 s3, 0, s10
	s_abs_i32 s11, s2
	v_rcp_iflag_f32_e32 v1, v1
	s_nop 0
	v_mul_f32_e32 v1, 0x4f7ffffe, v1
	v_cvt_u32_f32_e32 v1, v1
	s_nop 0
	v_readfirstlane_b32 s13, v1
	s_mul_i32 s3, s3, s13
	s_mul_hi_u32 s3, s13, s3
	s_add_i32 s13, s13, s3
	s_waitcnt lgkmcnt(0)
	s_cmp_eq_u64 s[8:9], 0
	s_mul_hi_u32 s20, s11, s13
	s_cbranch_scc1 .LBB232_2
; %bb.1:
	s_ashr_i32 s3, s2, 31
	s_lshl_b64 s[14:15], s[2:3], 2
	s_add_u32 s8, s8, s14
	s_addc_u32 s9, s9, s15
	s_load_dword s28, s[8:9], 0x0
.LBB232_2:
	s_load_dword s33, s[6:7], 0x0
	s_ashr_i32 s9, s12, 31
	s_load_dword s17, s[0:1], 0x88
	s_load_dwordx4 s[12:15], s[0:1], 0x48
	s_movk_i32 s3, 0xc0
	s_ashr_i32 s8, s2, 31
	v_and_b32_e32 v4, 7, v0
	s_mul_i32 s18, s2, 0xc0
	v_cmp_gt_u32_e32 vcc, s3, v0
	v_lshlrev_b32_e32 v22, 1, v0
	s_and_saveexec_b64 s[2:3], vcc
	s_cbranch_execz .LBB232_5
; %bb.3:
	s_load_dwordx2 s[6:7], s[0:1], 0x8
	s_waitcnt lgkmcnt(0)
	s_mul_i32 s22, s12, s16
	s_ashr_i32 s23, s22, 31
	s_lshl_b64 s[22:23], s[22:23], 1
	v_lshrrev_b32_e32 v2, 3, v0
	s_add_u32 s12, s6, s22
	s_addc_u32 s15, s7, s23
	s_ashr_i32 s19, s18, 31
	s_lshl_b64 s[6:7], s[18:19], 1
	s_add_u32 s6, s12, s6
	s_addc_u32 s7, s15, s7
	global_load_ushort v3, v22, s[6:7]
	v_lshlrev_b32_e32 v1, 1, v2
	v_mad_u32_u24 v1, v4, 48, v1
	v_cmp_gt_u32_e32 vcc, 64, v0
	s_waitcnt vmcnt(0)
	ds_write_b16 v1, v3
	s_and_b64 exec, exec, vcc
	s_cbranch_execz .LBB232_5
; %bb.4:
	v_lshlrev_b32_e32 v2, 4, v2
	v_lshlrev_b32_e32 v3, 1, v4
	s_movk_i32 s12, 0x100
	v_or3_b32 v2, v2, v3, s12
	global_load_ushort v2, v2, s[6:7]
	s_waitcnt vmcnt(0)
	ds_write_b16 v1, v2 offset:32
.LBB232_5:
	s_or_b64 exec, exec, s[2:3]
	s_waitcnt lgkmcnt(0)
	s_add_i32 s3, s33, 7
	s_ashr_i32 s6, s3, 31
	s_lshr_b32 s6, s6, 29
	s_add_i32 s3, s3, s6
	s_mul_i32 s6, s20, s10
	s_sub_i32 s6, s11, s6
	s_ashr_i32 s19, s3, 3
	s_xor_b32 s3, s8, s9
	s_add_i32 s7, s20, 1
	s_sub_i32 s8, s6, s10
	s_load_dwordx2 s[22:23], s[0:1], 0x28
	s_load_dword s2, s[0:1], 0x38
	s_cmp_ge_u32 s6, s10
	s_cselect_b32 s7, s7, s20
	s_cselect_b32 s6, s8, s6
	s_add_i32 s8, s7, 1
	s_cmp_ge_u32 s6, s10
	s_cselect_b32 s6, s8, s7
	v_lshrrev_b32_e32 v23, 6, v0
	s_xor_b32 s6, s6, s3
	s_waitcnt lgkmcnt(0)
	s_mul_i32 s24, s2, s16
	s_sub_i32 s12, s6, s3
	s_ashr_i32 s25, s24, 31
	v_cmp_gt_i32_e64 s[6:7], s19, v23
	v_cmp_le_i32_e32 vcc, s19, v23
	v_mbcnt_lo_u32_b32 v8, -1, 0
	s_barrier
                                        ; implicit-def: $vgpr2
                                        ; implicit-def: $vgpr11
                                        ; implicit-def: $vgpr10
	s_and_saveexec_b64 s[2:3], vcc
	s_xor_b64 s[2:3], exec, s[2:3]
; %bb.6:
	v_mbcnt_hi_u32_b32 v2, -1, v8
	v_and_b32_e32 v11, 64, v2
	v_add_u32_e32 v10, 64, v11
                                        ; implicit-def: $vgpr4
                                        ; implicit-def: $vgpr8
; %bb.7:
	s_or_saveexec_b64 s[30:31], s[2:3]
	s_load_dwordx2 s[20:21], s[0:1], 0x0
	s_load_dwordx2 s[26:27], s[0:1], 0x18
	s_load_dwordx4 s[8:11], s[0:1], 0x58
	v_mov_b32_e32 v12, 0xff7fffff
	s_mul_i32 s12, s12, s14
	v_lshrrev_b32_e32 v1, 4, v0
	s_xor_b64 exec, exec, s[30:31]
	s_cbranch_execz .LBB232_13
; %bb.8:
	s_load_dwordx2 s[0:1], s[0:1], 0x10
	s_ashr_i32 s2, s12, 31
	v_bfe_u32 v9, v0, 3, 3
	v_lshlrev_b32_e32 v2, 4, v9
	v_mov_b32_e32 v3, 0
	s_waitcnt lgkmcnt(0)
	s_add_u32 s0, s0, s12
	s_addc_u32 s1, s1, s2
	v_lshl_add_u64 v[6:7], s[0:1], 0, v[2:3]
	s_sub_i32 s37, 1, s33
	v_lshlrev_b32_e32 v2, 2, v9
	s_lshl_b64 s[0:1], s[24:25], 2
	v_lshl_or_b32 v2, v23, 5, v2
	s_add_u32 s0, s22, s0
	v_mov_b32_e32 v5, v3
	v_add_u32_e32 v15, 0x190, v2
	v_and_b32_e32 v2, 60, v1
	s_addc_u32 s1, s23, s1
	v_mul_u32_u24_e32 v13, 48, v4
	v_cmp_eq_u32_e32 vcc, 0, v4
	v_lshl_add_u64 v[4:5], v[6:7], 0, v[4:5]
	v_lshl_add_u64 v[6:7], s[0:1], 0, v[2:3]
	v_mbcnt_hi_u32_b32 v2, -1, v8
	v_and_b32_e32 v11, 64, v2
	s_mov_b32 s36, s13
	v_cmp_neq_f32_e64 s[2:3], s28, 0
	v_lshl_or_b32 v14, v23, 3, v9
	v_mov_b32_e32 v12, 0xff7fffff
	s_mov_b64 s[14:15], 0
	v_add_u32_e32 v10, 64, v11
	v_xor_b32_e32 v16, 4, v2
	v_xor_b32_e32 v17, 2, v2
	;; [unrolled: 1-line block ×3, first 2 shown]
	v_mov_b32_e32 v19, v23
	s_branch .LBB232_10
.LBB232_9:                              ;   in Loop: Header=BB232_10 Depth=1
	s_or_b64 exec, exec, s[34:35]
	v_add_u32_e32 v19, 2, v19
	v_cmp_le_i32_e64 s[0:1], s19, v19
	v_add_u32_e32 v14, 16, v14
	v_add_u32_e32 v15, 64, v15
	s_or_b64 s[14:15], s[0:1], s[14:15]
	v_lshl_add_u64 v[6:7], v[6:7], 0, 8
	s_andn2_b64 exec, exec, s[14:15]
	s_cbranch_execz .LBB232_12
.LBB232_10:                             ; =>This Inner Loop Header: Depth=1
	global_load_dword v8, v[6:7], off
	s_waitcnt vmcnt(0) lgkmcnt(0)
	v_mad_i64_i32 v[8:9], s[0:1], v8, s36, v[4:5]
	global_load_ubyte v42, v[8:9], off
	global_load_ubyte v43, v[8:9], off offset:8
	global_load_dword v20, v3, s[8:9]
	global_load_ubyte v41, v[8:9], off offset:128
	global_load_ubyte v37, v[8:9], off offset:136
	;; [unrolled: 1-line block ×19, first 2 shown]
	ds_read_u16 v47, v13
	global_load_ubyte v45, v[8:9], off offset:1288
	global_load_ubyte v46, v[8:9], off offset:1408
	v_cmp_lt_i32_e64 s[0:1], v16, v10
	global_load_ubyte v8, v[8:9], off offset:1416
	s_waitcnt lgkmcnt(0)
	;;#ASMSTART
	v_cvt_f32_f16 v9, v47;
	;;#ASMEND
	s_waitcnt vmcnt(24)
	v_cvt_f32_fp8_e32 v42, v42
	s_waitcnt vmcnt(23)
	v_cvt_f32_fp8_e32 v43, v43
	v_cndmask_b32_e64 v44, v2, v16, s[0:1]
	s_waitcnt vmcnt(21)
	v_cvt_f32_fp8_e32 v41, v41
	s_waitcnt vmcnt(20)
	v_cvt_f32_fp8_e32 v37, v37
	v_fma_mixlo_f16 v42, v20, v42, 0
	s_waitcnt vmcnt(19)
	v_cvt_f32_fp8_e32 v40, v40
	v_and_b32_e32 v42, 0xffff, v42
	v_fma_mixlo_f16 v43, v20, v43, 0
	s_waitcnt vmcnt(18)
	v_cvt_f32_fp8_e32 v35, v35
	;;#ASMSTART
	v_cvt_f32_f16 v42, v42;
	;;#ASMEND
	ds_read_u16 v47, v13 offset:2
	v_and_b32_e32 v48, 0xffff, v43
	v_fma_mixlo_f16 v41, v20, v41, 0
	s_waitcnt vmcnt(17)
	v_cvt_f32_fp8_e32 v39, v39
	s_waitcnt lgkmcnt(0)
	;;#ASMSTART
	v_cvt_f32_f16 v43, v47;
	;;#ASMEND
	;;#ASMSTART
	v_cvt_f32_f16 v47, v48;
	;;#ASMEND
	ds_read_u16 v48, v13 offset:4
	v_and_b32_e32 v49, 0xffff, v41
	v_fma_mixlo_f16 v37, v20, v37, 0
	s_waitcnt vmcnt(16)
	v_cvt_f32_fp8_e32 v33, v33
	s_waitcnt lgkmcnt(0)
	;;#ASMSTART
	v_cvt_f32_f16 v41, v48;
	;;#ASMEND
	;;#ASMSTART
	v_cvt_f32_f16 v48, v49;
	;;#ASMEND
	ds_read_u16 v49, v13 offset:6
	v_and_b32_e32 v50, 0xffff, v37
	s_waitcnt vmcnt(15)
	v_cvt_f32_fp8_e32 v38, v38
	v_fma_mixlo_f16 v40, v20, v40, 0
	s_waitcnt lgkmcnt(0)
	;;#ASMSTART
	v_cvt_f32_f16 v37, v49;
	;;#ASMEND
	;;#ASMSTART
	v_cvt_f32_f16 v49, v50;
	;;#ASMEND
	ds_read_u16 v50, v13 offset:8
	v_and_b32_e32 v51, 0xffff, v40
	s_waitcnt vmcnt(14)
	v_cvt_f32_fp8_e32 v31, v31
	v_fma_mixlo_f16 v35, v20, v35, 0
	s_waitcnt lgkmcnt(0)
	;;#ASMSTART
	v_cvt_f32_f16 v40, v50;
	;;#ASMEND
	;;#ASMSTART
	v_cvt_f32_f16 v50, v51;
	;;#ASMEND
	ds_read_u16 v51, v13 offset:10
	s_waitcnt vmcnt(13)
	v_cvt_f32_fp8_e32 v36, v36
	v_and_b32_e32 v52, 0xffff, v35
	v_fma_mixlo_f16 v39, v20, v39, 0
	s_waitcnt lgkmcnt(0)
	;;#ASMSTART
	v_cvt_f32_f16 v35, v51;
	;;#ASMEND
	;;#ASMSTART
	v_cvt_f32_f16 v51, v52;
	;;#ASMEND
	ds_read_u16 v52, v13 offset:12
	s_waitcnt vmcnt(12)
	v_cvt_f32_fp8_e32 v29, v29
	v_and_b32_e32 v53, 0xffff, v39
	v_fma_mixlo_f16 v33, v20, v33, 0
	s_waitcnt vmcnt(11)
	v_cvt_f32_fp8_e32 v34, v34
	s_waitcnt lgkmcnt(0)
	;;#ASMSTART
	v_cvt_f32_f16 v39, v52;
	;;#ASMEND
	;;#ASMSTART
	v_cvt_f32_f16 v52, v53;
	;;#ASMEND
	ds_read_u16 v53, v13 offset:14
	v_and_b32_e32 v54, 0xffff, v33
	v_fma_mixlo_f16 v38, v20, v38, 0
	s_waitcnt vmcnt(10)
	v_cvt_f32_fp8_e32 v27, v27
	s_waitcnt lgkmcnt(0)
	;;#ASMSTART
	v_cvt_f32_f16 v33, v53;
	;;#ASMEND
	;;#ASMSTART
	v_cvt_f32_f16 v53, v54;
	;;#ASMEND
	ds_read_u16 v54, v13 offset:16
	;; [unrolled: 12-line block ×4, first 2 shown]
	v_and_b32_e32 v57, 0xffff, v36
	v_fma_mixlo_f16 v29, v20, v29, 0
	s_waitcnt vmcnt(7)
	v_cvt_f32_fp8_e32 v30, v30
	s_waitcnt vmcnt(6)
	v_cvt_f32_fp8_e32 v24, v24
	s_waitcnt lgkmcnt(0)
	;;#ASMSTART
	v_cvt_f32_f16 v36, v56;
	;;#ASMEND
	;;#ASMSTART
	v_cvt_f32_f16 v56, v57;
	;;#ASMEND
	ds_read_u16 v57, v13 offset:22
	v_and_b32_e32 v58, 0xffff, v29
	v_fma_mixlo_f16 v34, v20, v34, 0
	s_waitcnt vmcnt(4)
	v_cvt_f32_fp8_e32 v21, v21
	s_waitcnt vmcnt(3)
	v_cvt_f32_fp8_e32 v26, v26
	s_waitcnt lgkmcnt(0)
	;;#ASMSTART
	v_cvt_f32_f16 v29, v57;
	;;#ASMEND
	;;#ASMSTART
	v_cvt_f32_f16 v57, v58;
	;;#ASMEND
	ds_read_u16 v58, v13 offset:24
	s_waitcnt vmcnt(0)
	v_cvt_f32_fp8_e32 v8, v8
	v_fma_mixlo_f16 v27, v20, v27, 0
	v_and_b32_e32 v59, 0xffff, v34
	v_cvt_f32_fp8_e32 v28, v28
	v_cvt_f32_fp8_e32 v45, v45
	;; [unrolled: 1-line block ×3, first 2 shown]
	s_waitcnt lgkmcnt(0)
	;;#ASMSTART
	v_cvt_f32_f16 v34, v58;
	;;#ASMEND
	;;#ASMSTART
	v_cvt_f32_f16 v58, v59;
	;;#ASMEND
	ds_read_u16 v59, v13 offset:26
	v_fma_mixlo_f16 v32, v20, v32, 0
	v_and_b32_e32 v60, 0xffff, v27
	v_fma_mixlo_f16 v25, v20, v25, 0
	s_waitcnt lgkmcnt(0)
	;;#ASMSTART
	v_cvt_f32_f16 v27, v59;
	;;#ASMEND
	;;#ASMSTART
	v_cvt_f32_f16 v59, v60;
	;;#ASMEND
	ds_read_u16 v60, v13 offset:28
	v_and_b32_e32 v61, 0xffff, v32
	v_fma_mixlo_f16 v30, v20, v30, 0
	v_fma_mixlo_f16 v24, v20, v24, 0
	s_waitcnt lgkmcnt(0)
	;;#ASMSTART
	v_cvt_f32_f16 v32, v60;
	;;#ASMEND
	;;#ASMSTART
	v_cvt_f32_f16 v60, v61;
	;;#ASMEND
	ds_read_u16 v61, v13 offset:30
	v_and_b32_e32 v62, 0xffff, v25
	v_fma_mixlo_f16 v21, v20, v21, 0
	v_fma_mixlo_f16 v26, v20, v26, 0
	s_waitcnt lgkmcnt(0)
	;;#ASMSTART
	v_cvt_f32_f16 v25, v61;
	;;#ASMEND
	;;#ASMSTART
	v_cvt_f32_f16 v61, v62;
	;;#ASMEND
	ds_read_u16 v62, v13 offset:32
	v_fma_mixlo_f16 v8, v20, v8, 0
	v_and_b32_e32 v30, 0xffff, v30
	v_and_b32_e32 v63, 0xffff, v24
	v_fma_mixlo_f16 v28, v20, v28, 0
	v_fma_mixlo_f16 v45, v20, v45, 0
	;; [unrolled: 1-line block ×3, first 2 shown]
	s_waitcnt lgkmcnt(0)
	;;#ASMSTART
	v_cvt_f32_f16 v20, v62;
	;;#ASMEND
	;;#ASMSTART
	v_cvt_f32_f16 v24, v30;
	;;#ASMEND
	ds_read_u16 v30, v13 offset:34
	v_and_b32_e32 v62, 0xffff, v21
	v_and_b32_e32 v64, 0xffff, v26
	s_waitcnt lgkmcnt(0)
	;;#ASMSTART
	v_cvt_f32_f16 v21, v30;
	;;#ASMEND
	;;#ASMSTART
	v_cvt_f32_f16 v26, v63;
	;;#ASMEND
	v_and_b32_e32 v63, 0xffff, v8
	v_mul_f32_e32 v8, v43, v47
	v_fmac_f32_e32 v8, v9, v42
	v_fmac_f32_e32 v8, v41, v48
	;; [unrolled: 1-line block ×16, first 2 shown]
	v_and_b32_e32 v28, 0xffff, v28
	ds_read_u16 v30, v13 offset:36
	v_fmac_f32_e32 v8, v21, v26
	s_waitcnt lgkmcnt(0)
	;;#ASMSTART
	v_cvt_f32_f16 v9, v30;
	;;#ASMEND
	;;#ASMSTART
	v_cvt_f32_f16 v28, v28;
	;;#ASMEND
	ds_read_u16 v30, v13 offset:38
	v_fmac_f32_e32 v8, v9, v28
	s_waitcnt lgkmcnt(0)
	;;#ASMSTART
	v_cvt_f32_f16 v30, v30;
	;;#ASMEND
	;;#ASMSTART
	v_cvt_f32_f16 v35, v62;
	;;#ASMEND
	;; [unrolled: 9-line block ×3, first 2 shown]
	v_and_b32_e32 v45, 0xffff, v45
	v_fmac_f32_e32 v8, v31, v33
	ds_read_u16 v36, v13 offset:42
	s_waitcnt lgkmcnt(0)
	;;#ASMSTART
	v_cvt_f32_f16 v27, v36;
	;;#ASMEND
	;;#ASMSTART
	v_cvt_f32_f16 v29, v45;
	;;#ASMEND
	v_and_b32_e32 v46, 0xffff, v46
	v_fmac_f32_e32 v8, v27, v29
	ds_read_u16 v32, v13 offset:44
	s_waitcnt lgkmcnt(0)
	;;#ASMSTART
	v_cvt_f32_f16 v9, v32;
	;;#ASMEND
	;;#ASMSTART
	v_cvt_f32_f16 v20, v46;
	;;#ASMEND
	v_lshlrev_b32_e32 v44, 2, v44
	v_fmac_f32_e32 v8, v9, v20
	ds_read_u16 v21, v13 offset:46
	s_waitcnt lgkmcnt(0)
	;;#ASMSTART
	v_cvt_f32_f16 v9, v21;
	;;#ASMEND
	;;#ASMSTART
	v_cvt_f32_f16 v20, v63;
	;;#ASMEND
	v_cmp_lt_i32_e64 s[0:1], v17, v10
	v_fmac_f32_e32 v8, v9, v20
	ds_bpermute_b32 v9, v44, v8
	v_cndmask_b32_e64 v20, v2, v17, s[0:1]
	v_lshlrev_b32_e32 v20, 2, v20
	v_cmp_lt_i32_e64 s[0:1], v18, v10
	s_waitcnt lgkmcnt(0)
	v_add_f32_e32 v8, v8, v9
	ds_bpermute_b32 v9, v20, v8
	v_cndmask_b32_e64 v20, v2, v18, s[0:1]
	s_waitcnt lgkmcnt(0)
	v_add_f32_e32 v8, v8, v9
	v_lshlrev_b32_e32 v9, 2, v20
	ds_bpermute_b32 v9, v9, v8
	s_and_saveexec_b64 s[34:35], vcc
	s_cbranch_execz .LBB232_9
; %bb.11:                               ;   in Loop: Header=BB232_10 Depth=1
	v_add_u32_e32 v20, s37, v14
	v_cvt_f32_i32_e32 v20, v20
	s_waitcnt lgkmcnt(0)
	v_add_f32_e32 v8, v8, v9
	v_cmp_gt_i32_e64 s[0:1], s33, v14
	v_max_f32_e32 v9, v12, v12
	v_mul_f32_e32 v20, s28, v20
	v_cndmask_b32_e64 v20, 0, v20, s[2:3]
	v_fmac_f32_e32 v20, s29, v8
	v_cndmask_b32_e64 v8, 0, v20, s[0:1]
	ds_write_b32 v15, v8
	v_max_f32_e32 v8, v9, v20
	v_cndmask_b32_e64 v12, v12, v8, s[0:1]
	s_branch .LBB232_9
.LBB232_12:
	s_or_b64 exec, exec, s[14:15]
.LBB232_13:
	s_or_b64 exec, exec, s[30:31]
	v_xor_b32_e32 v3, 32, v2
	v_cmp_lt_i32_e32 vcc, v3, v10
	v_xor_b32_e32 v6, 16, v2
	v_max_f32_e32 v5, v12, v12
	v_cndmask_b32_e32 v3, v2, v3, vcc
	v_lshlrev_b32_e32 v4, 2, v3
	ds_bpermute_b32 v3, v4, v12
	v_cmp_lt_i32_e32 vcc, v6, v10
	v_xor_b32_e32 v7, 8, v2
	v_and_b32_e32 v24, 63, v0
	s_waitcnt lgkmcnt(0)
	v_max_f32_e32 v3, v3, v3
	v_max_f32_e32 v3, v5, v3
	v_cndmask_b32_e32 v5, v2, v6, vcc
	v_lshlrev_b32_e32 v6, 2, v5
	ds_bpermute_b32 v5, v6, v3
	v_cmp_lt_i32_e32 vcc, v7, v10
	s_waitcnt lgkmcnt(0)
	v_max_f32_e32 v5, v5, v5
	v_max_f32_e32 v5, v3, v5
	v_cndmask_b32_e32 v3, v2, v7, vcc
	v_lshlrev_b32_e32 v8, 2, v3
	ds_bpermute_b32 v7, v8, v5
	v_cmp_eq_u32_e32 vcc, 0, v24
	v_lshlrev_b32_e32 v3, 2, v23
	s_and_saveexec_b64 s[0:1], vcc
	s_cbranch_execz .LBB232_15
; %bb.14:
	s_waitcnt lgkmcnt(0)
	v_max_f32_e32 v7, v7, v7
	v_max_f32_e32 v5, v5, v5
	;; [unrolled: 1-line block ×3, first 2 shown]
	ds_write_b32 v3, v5 offset:384
.LBB232_15:
	s_or_b64 exec, exec, s[0:1]
	v_cmp_gt_u32_e64 s[0:1], 2, v24
	v_mov_b32_e32 v9, 0xff7fffff
	v_lshlrev_b32_e32 v5, 2, v24
	s_waitcnt lgkmcnt(0)
	s_barrier
	s_and_saveexec_b64 s[2:3], s[0:1]
; %bb.16:
	ds_read_b32 v9, v5 offset:384
; %bb.17:
	s_or_b64 exec, exec, s[2:3]
	v_xor_b32_e32 v7, 1, v2
	v_cmp_lt_i32_e64 s[2:3], v7, v10
	v_lshlrev_b32_e32 v11, 2, v11
	s_nop 0
	v_cndmask_b32_e64 v7, v2, v7, s[2:3]
	v_lshlrev_b32_e32 v7, 2, v7
	s_waitcnt lgkmcnt(0)
	ds_bpermute_b32 v12, v7, v9
	v_max_f32_e32 v9, v9, v9
	s_lshl_b32 s2, s19, 3
	s_min_i32 s30, s2, s33
	v_cmp_gt_i32_e64 s[2:3], s30, v0
	s_waitcnt lgkmcnt(0)
	v_max_f32_e32 v12, v12, v12
	v_max_f32_e32 v9, v9, v12
	ds_bpermute_b32 v11, v11, v9
	v_mov_b32_e32 v9, 0
	s_and_saveexec_b64 s[14:15], s[2:3]
	s_cbranch_execz .LBB232_21
; %bb.18:
	v_mov_b32_e32 v9, 0x190
	v_lshl_add_u32 v12, v0, 2, v9
	v_mov_b32_e32 v9, 0
	s_mov_b64 s[28:29], 0
	v_mov_b32_e32 v13, v0
.LBB232_19:                             ; =>This Inner Loop Header: Depth=1
	ds_read_b32 v14, v12
	v_add_u32_e32 v13, 0x80, v13
	v_cmp_le_i32_e64 s[8:9], s30, v13
	s_or_b64 s[28:29], s[8:9], s[28:29]
	s_waitcnt lgkmcnt(0)
	v_sub_f32_e32 v14, v14, v11
	v_mul_f32_e32 v14, 0x3fb8aa3b, v14
	v_exp_f32_e32 v14, v14
	ds_write_b32 v12, v14
	v_add_f32_e32 v9, v9, v14
	v_add_u32_e32 v12, 0x200, v12
	s_andn2_b64 exec, exec, s[28:29]
	s_cbranch_execnz .LBB232_19
; %bb.20:
	s_or_b64 exec, exec, s[28:29]
.LBB232_21:
	s_or_b64 exec, exec, s[14:15]
	ds_bpermute_b32 v4, v4, v9
	s_waitcnt lgkmcnt(0)
	v_add_f32_e32 v4, v9, v4
	ds_bpermute_b32 v6, v6, v4
	s_waitcnt lgkmcnt(0)
	v_add_f32_e32 v4, v4, v6
	ds_bpermute_b32 v6, v8, v4
	v_xor_b32_e32 v8, 4, v2
	v_cmp_lt_i32_e64 s[8:9], v8, v10
	s_waitcnt lgkmcnt(0)
	v_add_f32_e32 v4, v4, v6
	v_cndmask_b32_e64 v8, v2, v8, s[8:9]
	v_lshlrev_b32_e32 v8, 2, v8
	ds_bpermute_b32 v6, v8, v4
	v_xor_b32_e32 v8, 2, v2
	v_cmp_lt_i32_e64 s[8:9], v8, v10
	s_waitcnt lgkmcnt(0)
	v_add_f32_e32 v4, v4, v6
	v_cndmask_b32_e64 v8, v2, v8, s[8:9]
	v_lshlrev_b32_e32 v6, 2, v8
	ds_bpermute_b32 v6, v6, v4
	s_waitcnt lgkmcnt(0)
	v_add_f32_e32 v4, v4, v6
	ds_bpermute_b32 v6, v7, v4
	s_waitcnt lgkmcnt(0)
	v_add_f32_e32 v4, v4, v6
	s_and_saveexec_b64 s[8:9], vcc
; %bb.22:
	ds_write_b32 v3, v4 offset:392
; %bb.23:
	s_or_b64 exec, exec, s[8:9]
	s_waitcnt lgkmcnt(0)
	s_barrier
	s_and_saveexec_b64 s[8:9], s[0:1]
; %bb.24:
	ds_read_b32 v4, v5 offset:392
; %bb.25:
	s_or_b64 exec, exec, s[8:9]
	s_waitcnt lgkmcnt(0)
	ds_bpermute_b32 v3, v7, v4
	v_lshlrev_b32_e32 v2, 2, v2
	v_and_b32_e32 v2, 0xffffff00, v2
	s_waitcnt lgkmcnt(0)
	v_add_f32_e32 v3, v4, v3
	ds_bpermute_b32 v2, v2, v3
	s_and_saveexec_b64 s[0:1], s[2:3]
	s_cbranch_execz .LBB232_38
; %bb.26:
	s_waitcnt lgkmcnt(0)
	v_add_f32_e32 v2, 0x358637bd, v2
	v_div_scale_f32 v3, s[2:3], v2, v2, 1.0
	v_rcp_f32_e32 v4, v3
	v_div_scale_f32 v5, vcc, 1.0, v2, 1.0
	s_movk_i32 s2, 0x7f
	v_fma_f32 v6, -v3, v4, 1.0
	v_fmac_f32_e32 v4, v6, v4
	v_mul_f32_e32 v6, v5, v4
	v_fma_f32 v7, -v3, v6, v5
	v_fmac_f32_e32 v6, v7, v4
	v_fma_f32 v3, -v3, v6, v5
	v_div_fmas_f32 v3, v3, v4, v6
	v_xad_u32 v4, v0, -1, s30
	v_div_fixup_f32 v2, v3, v2, 1.0
	v_cmp_lt_u32_e32 vcc, s2, v4
	s_mov_b64 s[8:9], -1
	v_mov_b32_e32 v3, v0
	s_and_saveexec_b64 s[2:3], vcc
	s_cbranch_execz .LBB232_35
; %bb.27:
	v_lshrrev_b32_e32 v4, 7, v4
	v_add_u32_e32 v6, -1, v4
	v_lshrrev_b32_e32 v5, 1, v6
	v_mov_b32_e32 v3, v2
	v_add_u32_e32 v5, 1, v5
	v_cmp_lt_u32_e32 vcc, 13, v6
	v_mov_b32_e32 v8, 0
	s_and_saveexec_b64 s[8:9], vcc
	s_cbranch_execz .LBB232_31
; %bb.28:
	v_mov_b32_e32 v7, 0x190
	v_and_b32_e32 v6, -8, v5
	v_lshl_add_u32 v7, v0, 2, v7
	s_mov_b32 s28, 0
	s_mov_b64 s[14:15], 0
.LBB232_29:                             ; =>This Inner Loop Header: Depth=1
	ds_read2st64_b32 v[8:9], v7 offset1:2
	ds_read2st64_b32 v[10:11], v7 offset0:4 offset1:6
	ds_read2st64_b32 v[12:13], v7 offset0:8 offset1:10
	;; [unrolled: 1-line block ×3, first 2 shown]
	v_add_u32_e32 v6, -8, v6
	s_waitcnt lgkmcnt(3)
	v_pk_mul_f32 v[8:9], v[2:3], v[8:9]
	s_waitcnt lgkmcnt(2)
	v_pk_mul_f32 v[10:11], v[2:3], v[10:11]
	ds_write2st64_b32 v7, v8, v9 offset1:2
	ds_write2st64_b32 v7, v10, v11 offset0:4 offset1:6
	ds_read2st64_b32 v[10:11], v7 offset0:16 offset1:18
	s_waitcnt lgkmcnt(4)
	v_pk_mul_f32 v[8:9], v[2:3], v[12:13]
	ds_write2st64_b32 v7, v8, v9 offset0:8 offset1:10
	s_waitcnt lgkmcnt(4)
	v_pk_mul_f32 v[8:9], v[2:3], v[14:15]
	ds_write2st64_b32 v7, v8, v9 offset0:12 offset1:14
	ds_read2st64_b32 v[8:9], v7 offset0:20 offset1:22
	s_waitcnt lgkmcnt(3)
	v_pk_mul_f32 v[10:11], v[2:3], v[10:11]
	ds_read2st64_b32 v[12:13], v7 offset0:24 offset1:26
	ds_write2st64_b32 v7, v10, v11 offset0:16 offset1:18
	ds_read2st64_b32 v[10:11], v7 offset0:28 offset1:30
	s_waitcnt lgkmcnt(3)
	v_pk_mul_f32 v[8:9], v[2:3], v[8:9]
	ds_write2st64_b32 v7, v8, v9 offset0:20 offset1:22
	s_waitcnt lgkmcnt(3)
	v_pk_mul_f32 v[8:9], v[2:3], v[12:13]
	ds_write2st64_b32 v7, v8, v9 offset0:24 offset1:26
	s_waitcnt lgkmcnt(2)
	v_pk_mul_f32 v[8:9], v[2:3], v[10:11]
	s_add_i32 s28, s28, 16
	v_cmp_eq_u32_e32 vcc, 0, v6
	ds_write2st64_b32 v7, v8, v9 offset0:28 offset1:30
	v_add_u32_e32 v7, 0x2000, v7
	s_or_b64 s[14:15], vcc, s[14:15]
	v_mov_b32_e32 v8, s28
	s_andn2_b64 exec, exec, s[14:15]
	s_cbranch_execnz .LBB232_29
; %bb.30:
	s_or_b64 exec, exec, s[14:15]
.LBB232_31:
	s_or_b64 exec, exec, s[8:9]
	v_and_b32_e32 v5, 7, v5
	v_cmp_ne_u32_e32 vcc, 0, v5
	s_and_saveexec_b64 s[8:9], vcc
	s_cbranch_execz .LBB232_34
; %bb.32:
	v_lshlrev_b32_e32 v6, 9, v8
	v_lshlrev_b32_e32 v7, 2, v0
	s_movk_i32 s14, 0x190
	v_add3_u32 v6, v6, v7, s14
	s_mov_b64 s[14:15], 0
.LBB232_33:                             ; =>This Inner Loop Header: Depth=1
	ds_read2st64_b32 v[8:9], v6 offset1:2
	v_add_u32_e32 v5, -1, v5
	v_cmp_eq_u32_e32 vcc, 0, v5
	s_or_b64 s[14:15], vcc, s[14:15]
	s_waitcnt lgkmcnt(0)
	v_pk_mul_f32 v[8:9], v[2:3], v[8:9]
	ds_write2st64_b32 v6, v8, v9 offset1:2
	v_add_u32_e32 v6, 0x400, v6
	s_andn2_b64 exec, exec, s[14:15]
	s_cbranch_execnz .LBB232_33
.LBB232_34:
	s_or_b64 exec, exec, s[8:9]
	v_add_u32_e32 v4, 1, v4
	v_and_b32_e32 v5, 0x3fffffe, v4
	v_cmp_ne_u32_e32 vcc, v4, v5
	v_lshl_add_u32 v3, v5, 7, v0
	s_orn2_b64 s[8:9], vcc, exec
.LBB232_35:
	s_or_b64 exec, exec, s[2:3]
	s_and_b64 exec, exec, s[8:9]
	s_cbranch_execz .LBB232_38
; %bb.36:
	v_mov_b32_e32 v4, 0x190
	v_lshl_add_u32 v4, v3, 2, v4
	s_mov_b64 s[2:3], 0
.LBB232_37:                             ; =>This Inner Loop Header: Depth=1
	ds_read_b32 v5, v4
	v_add_u32_e32 v3, 0x80, v3
	v_cmp_le_i32_e32 vcc, s30, v3
	s_or_b64 s[2:3], vcc, s[2:3]
	s_waitcnt lgkmcnt(0)
	v_mul_f32_e32 v5, v2, v5
	ds_write_b32 v4, v5
	v_add_u32_e32 v4, 0x200, v4
	s_andn2_b64 exec, exec, s[2:3]
	s_cbranch_execnz .LBB232_37
.LBB232_38:
	s_or_b64 exec, exec, s[0:1]
	s_waitcnt lgkmcnt(0)
	v_mov_b32_e32 v2, 0
	v_mov_b32_e32 v3, v2
	;; [unrolled: 1-line block ×3, first 2 shown]
	s_barrier
	s_and_saveexec_b64 s[2:3], s[6:7]
	s_cbranch_execz .LBB232_192
; %bb.39:
	s_ashr_i32 s1, s12, 31
	s_add_u32 s0, s26, s12
	s_addc_u32 s1, s27, s1
	v_lshlrev_b32_e32 v4, 3, v24
	v_mov_b32_e32 v5, 0
	s_add_i32 s26, s19, -1
	v_lshl_add_u64 v[6:7], s[0:1], 0, v[4:5]
	s_lshl_b64 s[0:1], s[24:25], 2
	s_add_u32 s0, s22, s0
	s_mov_b32 s6, -1
	v_mov_b32_e32 v2, 0x190
	v_and_b32_e32 v4, 60, v1
	s_addc_u32 s1, s23, s1
	s_mov_b32 s28, s13
	s_mov_b32 s7, 0xffffff
	;; [unrolled: 1-line block ×3, first 2 shown]
	v_lshlrev_b32_e32 v26, 3, v23
	v_lshl_add_u32 v27, v23, 5, v2
	v_lshl_add_u64 v[8:9], s[0:1], 0, v[4:5]
	s_mov_b64 s[8:9], 0
	s_movk_i32 s24, 0x80
	s_movk_i32 s25, 0x7f
	s_mov_b32 s29, 0x8000
	v_mov_b32_e32 v28, 0x2000
	v_mov_b32_e32 v25, 0
	;; [unrolled: 1-line block ×4, first 2 shown]
	s_branch .LBB232_41
.LBB232_40:                             ;   in Loop: Header=BB232_41 Depth=1
	s_or_b64 exec, exec, s[0:1]
	v_add_f32_e32 v10, v20, v21
	v_add_f32_e32 v3, v3, v10
	;; [unrolled: 1-line block ×3, first 2 shown]
	;;#ASMSTART
	v_pk_mul_f16 v1, v39, v1;

	;;#ASMEND
	v_add_f32_e32 v2, v2, v10
	;;#ASMSTART
	v_pk_mul_f16 v4, v38, v4;

	;;#ASMEND
	;;#ASMSTART
	v_pk_mul_f16 v10, v37, v17;

	;;#ASMEND
	;; [unrolled: 4-line block ×3, first 2 shown]
	v_add_u32_e32 v23, 2, v23
	;;#ASMSTART
	v_pk_add_f16 v1, v1, v4;

	;;#ASMEND
	v_cmp_le_i32_e32 vcc, s19, v23
	;;#ASMSTART
	v_pk_add_f16 v1, v1, v10;

	;;#ASMEND
	v_add_u32_e32 v26, 16, v26
	;;#ASMSTART
	v_pk_add_f16 v1, v1, v11;

	;;#ASMEND
	v_add_u32_e32 v27, 64, v27
	v_lshrrev_b32_e32 v4, 16, v1
	v_and_b32_e32 v1, 0xffff, v1
	;;#ASMSTART
	v_cvt_f32_f16 v1, v1;
	;;#ASMEND
	;;#ASMSTART
	v_cvt_f32_f16 v4, v4;
	;;#ASMEND
	s_or_b64 s[8:9], vcc, s[8:9]
	v_add_f32_e32 v1, v1, v4
	v_add_f32_e32 v25, v25, v1
	v_lshl_add_u64 v[8:9], v[8:9], 0, 8
	s_andn2_b64 exec, exec, s[8:9]
	s_cbranch_execz .LBB232_191
.LBB232_41:                             ; =>This Inner Loop Header: Depth=1
	global_load_dword v1, v[8:9], off
	ds_read2_b64 v[10:13], v27 offset1:1
	ds_read2_b64 v[14:17], v27 offset0:2 offset1:3
	s_waitcnt lgkmcnt(1)
	;;#ASMSTART
	v_cvt_f16_f32 v36, v10;

	;;#ASMEND
	;;#ASMSTART
	v_cvt_f16_f32 v37, v11;

	;;#ASMEND
	;;#ASMSTART
	v_cvt_f16_f32 v38, v12;

	;;#ASMEND
	;;#ASMSTART
	v_cvt_f16_f32 v40, v13;

	;;#ASMEND
	s_waitcnt lgkmcnt(0)
	;;#ASMSTART
	v_cvt_f16_f32 v41, v14;

	;;#ASMEND
	;;#ASMSTART
	v_cvt_f16_f32 v42, v15;

	;;#ASMEND
	;; [unrolled: 4-line block ×4, first 2 shown]
	s_waitcnt vmcnt(0)
	v_mad_i64_i32 v[10:11], s[0:1], v1, s28, v[6:7]
	global_load_dwordx2 v[14:15], v[10:11], off
	global_load_dword v12, v5, s[10:11]
	v_mov_b32_e32 v1, 0
	s_waitcnt vmcnt(1)
	v_cmp_ne_u16_sdwa s[12:13], v14, v5 src0_sel:BYTE_0 src1_sel:DWORD
	s_and_saveexec_b64 s[0:1], s[12:13]
	s_cbranch_execz .LBB232_47
; %bb.42:                               ;   in Loop: Header=BB232_41 Depth=1
	v_cmp_ne_u16_sdwa s[14:15], v14, s24 src0_sel:BYTE_0 src1_sel:DWORD
	v_mov_b32_e32 v1, 0x8000
	s_and_saveexec_b64 s[12:13], s[14:15]
	s_cbranch_execz .LBB232_46
; %bb.43:                               ;   in Loop: Header=BB232_41 Depth=1
	v_and_b32_e32 v4, 0x7f, v14
	v_cmp_ne_u32_e32 vcc, s25, v4
	v_mov_b32_e32 v1, 0x7c01
	s_and_saveexec_b64 s[14:15], vcc
	s_cbranch_execz .LBB232_45
; %bb.44:                               ;   in Loop: Header=BB232_41 Depth=1
	v_and_b32_e32 v1, 7, v14
	v_ffbh_u32_e32 v16, v1
	v_min_u32_e32 v18, 32, v16
	v_subrev_u32_e32 v16, 28, v18
	v_lshlrev_b64 v[16:17], v16, v[14:15]
	v_lshrrev_b32_e32 v13, 3, v4
	v_sub_u32_e32 v17, 29, v18
	v_cmp_gt_u32_e32 vcc, 8, v4
	v_and_b32_e32 v16, 7, v16
	s_nop 0
	v_cndmask_b32_e32 v4, v13, v17, vcc
	v_lshl_add_u32 v4, v4, 10, v28
	v_lshlrev_b32_e32 v13, 8, v14
	v_and_b32_e32 v4, 0xfc00, v4
	v_cndmask_b32_e32 v1, v1, v16, vcc
	v_and_or_b32 v4, v13, s29, v4
	v_lshl_or_b32 v1, v1, 7, v4
.LBB232_45:                             ;   in Loop: Header=BB232_41 Depth=1
	s_or_b64 exec, exec, s[14:15]
.LBB232_46:                             ;   in Loop: Header=BB232_41 Depth=1
	s_or_b64 exec, exec, s[12:13]
.LBB232_47:                             ;   in Loop: Header=BB232_41 Depth=1
	s_or_b64 exec, exec, s[0:1]
	v_lshrrev_b16_e32 v4, 8, v14
	v_cmp_ne_u16_e32 vcc, 0, v4
	v_mov_b32_e32 v13, 0
	v_mov_b32_e32 v16, 0
	s_and_saveexec_b64 s[0:1], vcc
	s_cbranch_execz .LBB232_53
; %bb.48:                               ;   in Loop: Header=BB232_41 Depth=1
	v_cmp_ne_u16_e32 vcc, s24, v4
	v_bfrev_b32_e32 v16, 1
	s_and_saveexec_b64 s[12:13], vcc
	s_cbranch_execz .LBB232_52
; %bb.49:                               ;   in Loop: Header=BB232_41 Depth=1
	v_and_b32_e32 v17, 0x7f, v4
	v_cmp_ne_u32_e32 vcc, s25, v17
	v_mov_b32_e32 v16, 0x7c010000
	s_and_saveexec_b64 s[14:15], vcc
	s_cbranch_execz .LBB232_51
; %bb.50:                               ;   in Loop: Header=BB232_41 Depth=1
	v_and_b32_e32 v16, 7, v4
	v_ffbh_u32_e32 v18, v16
	v_min_u32_e32 v21, 32, v18
	v_subrev_u32_e32 v18, 28, v21
	v_lshlrev_b64 v[18:19], v18, v[4:5]
	v_lshrrev_b32_e32 v20, 3, v17
	v_sub_u32_e32 v19, 29, v21
	v_cmp_gt_u32_e32 vcc, 8, v17
	v_lshlrev_b32_e32 v4, 8, v4
	v_and_b32_e32 v18, 7, v18
	v_cndmask_b32_e32 v17, v20, v19, vcc
	v_lshl_add_u32 v17, v17, 10, v28
	v_and_or_b32 v4, v4, s29, v17
	v_cndmask_b32_e32 v16, v16, v18, vcc
	v_lshlrev_b32_e32 v4, 16, v4
	v_lshl_or_b32 v16, v16, 23, v4
.LBB232_51:                             ;   in Loop: Header=BB232_41 Depth=1
	s_or_b64 exec, exec, s[14:15]
.LBB232_52:                             ;   in Loop: Header=BB232_41 Depth=1
	s_or_b64 exec, exec, s[12:13]
.LBB232_53:                             ;   in Loop: Header=BB232_41 Depth=1
	s_or_b64 exec, exec, s[0:1]
	v_lshrrev_b32_e32 v4, 16, v14
	v_cmp_ne_u16_sdwa s[12:13], v4, v5 src0_sel:BYTE_0 src1_sel:DWORD
	s_and_saveexec_b64 s[0:1], s[12:13]
	s_cbranch_execz .LBB232_59
; %bb.54:                               ;   in Loop: Header=BB232_41 Depth=1
	v_cmp_ne_u16_sdwa s[14:15], v4, s24 src0_sel:BYTE_0 src1_sel:DWORD
	v_mov_b32_e32 v13, 0x8000
	s_and_saveexec_b64 s[12:13], s[14:15]
	s_cbranch_execz .LBB232_58
; %bb.55:                               ;   in Loop: Header=BB232_41 Depth=1
	v_bfe_u32 v17, v14, 16, 7
	v_cmp_ne_u32_e32 vcc, s25, v17
	v_mov_b32_e32 v13, 0x7c01
	s_and_saveexec_b64 s[14:15], vcc
	s_cbranch_execz .LBB232_57
; %bb.56:                               ;   in Loop: Header=BB232_41 Depth=1
	v_and_b32_e32 v13, 7, v4
	v_ffbh_u32_e32 v18, v13
	v_min_u32_e32 v21, 32, v18
	v_subrev_u32_e32 v18, 28, v21
	v_lshlrev_b64 v[18:19], v18, v[4:5]
	v_lshrrev_b32_e32 v20, 3, v17
	v_sub_u32_e32 v19, 29, v21
	v_cmp_gt_u32_e32 vcc, 8, v17
	v_lshlrev_b32_e32 v4, 8, v4
	v_and_b32_e32 v18, 7, v18
	v_cndmask_b32_e32 v17, v20, v19, vcc
	v_lshl_add_u32 v17, v17, 10, v28
	v_and_b32_e32 v17, 0xfc00, v17
	v_cndmask_b32_e32 v13, v13, v18, vcc
	v_and_or_b32 v4, v4, s29, v17
	v_lshl_or_b32 v13, v13, 7, v4
.LBB232_57:                             ;   in Loop: Header=BB232_41 Depth=1
	s_or_b64 exec, exec, s[14:15]
.LBB232_58:                             ;   in Loop: Header=BB232_41 Depth=1
	s_or_b64 exec, exec, s[12:13]
.LBB232_59:                             ;   in Loop: Header=BB232_41 Depth=1
	s_or_b64 exec, exec, s[0:1]
	v_cmp_lt_u32_e32 vcc, s7, v14
	v_mov_b32_e32 v17, 0
	v_mov_b32_e32 v18, 0
	s_and_saveexec_b64 s[0:1], vcc
	s_cbranch_execz .LBB232_65
; %bb.60:                               ;   in Loop: Header=BB232_41 Depth=1
	v_lshrrev_b32_e32 v4, 24, v14
	v_cmp_ne_u32_e32 vcc, s24, v4
	v_bfrev_b32_e32 v18, 1
	s_and_saveexec_b64 s[12:13], vcc
	s_cbranch_execz .LBB232_64
; %bb.61:                               ;   in Loop: Header=BB232_41 Depth=1
	v_and_b32_e32 v19, 0x7f, v4
	v_cmp_ne_u32_e32 vcc, s25, v19
	v_mov_b32_e32 v18, 0x7c010000
	s_and_saveexec_b64 s[14:15], vcc
	s_cbranch_execz .LBB232_63
; %bb.62:                               ;   in Loop: Header=BB232_41 Depth=1
	v_and_b32_e32 v18, 7, v4
	v_ffbh_u32_e32 v20, v18
	v_min_u32_e32 v30, 32, v20
	v_subrev_u32_e32 v20, 28, v30
	v_lshlrev_b64 v[20:21], v20, v[4:5]
	v_lshrrev_b32_e32 v29, 3, v19
	v_sub_u32_e32 v21, 29, v30
	v_cmp_gt_u32_e32 vcc, 8, v19
	v_lshlrev_b32_e32 v4, 8, v4
	v_and_b32_e32 v20, 7, v20
	v_cndmask_b32_e32 v19, v29, v21, vcc
	v_lshl_add_u32 v19, v19, 10, v28
	v_and_or_b32 v4, v4, s29, v19
	v_cndmask_b32_e32 v18, v18, v20, vcc
	v_lshlrev_b32_e32 v4, 16, v4
	v_lshl_or_b32 v18, v18, 23, v4
.LBB232_63:                             ;   in Loop: Header=BB232_41 Depth=1
	s_or_b64 exec, exec, s[14:15]
.LBB232_64:                             ;   in Loop: Header=BB232_41 Depth=1
	s_or_b64 exec, exec, s[12:13]
.LBB232_65:                             ;   in Loop: Header=BB232_41 Depth=1
	s_or_b64 exec, exec, s[0:1]
	v_mov_b32_e32 v4, v15
	v_cmp_ne_u16_sdwa s[12:13], v15, v5 src0_sel:BYTE_0 src1_sel:DWORD
	s_and_saveexec_b64 s[0:1], s[12:13]
	s_cbranch_execz .LBB232_71
; %bb.66:                               ;   in Loop: Header=BB232_41 Depth=1
	v_cmp_ne_u16_sdwa s[14:15], v15, s24 src0_sel:BYTE_0 src1_sel:DWORD
	v_mov_b32_e32 v17, 0x8000
	s_and_saveexec_b64 s[12:13], s[14:15]
	s_cbranch_execz .LBB232_70
; %bb.67:                               ;   in Loop: Header=BB232_41 Depth=1
	v_and_b32_e32 v19, 0x7f, v15
	v_cmp_ne_u32_e32 vcc, s25, v19
	v_mov_b32_e32 v17, 0x7c01
	s_and_saveexec_b64 s[14:15], vcc
	s_cbranch_execz .LBB232_69
; %bb.68:                               ;   in Loop: Header=BB232_41 Depth=1
	v_and_b32_e32 v17, 7, v15
	v_ffbh_u32_e32 v20, v17
	v_min_u32_e32 v30, 32, v20
	v_subrev_u32_e32 v20, 28, v30
	v_lshlrev_b64 v[20:21], v20, v[4:5]
	v_lshrrev_b32_e32 v29, 3, v19
	v_sub_u32_e32 v21, 29, v30
	v_cmp_gt_u32_e32 vcc, 8, v19
	v_and_b32_e32 v20, 7, v20
	s_nop 0
	v_cndmask_b32_e32 v19, v29, v21, vcc
	v_lshl_add_u32 v19, v19, 10, v28
	v_lshlrev_b32_e32 v21, 8, v15
	v_and_b32_e32 v19, 0xfc00, v19
	v_cndmask_b32_e32 v17, v17, v20, vcc
	v_and_or_b32 v19, v21, s29, v19
	v_lshl_or_b32 v17, v17, 7, v19
.LBB232_69:                             ;   in Loop: Header=BB232_41 Depth=1
	s_or_b64 exec, exec, s[14:15]
.LBB232_70:                             ;   in Loop: Header=BB232_41 Depth=1
	s_or_b64 exec, exec, s[12:13]
.LBB232_71:                             ;   in Loop: Header=BB232_41 Depth=1
	s_or_b64 exec, exec, s[0:1]
	v_lshrrev_b16_e32 v4, 8, v4
	v_cmp_ne_u16_e32 vcc, 0, v4
	v_mov_b32_e32 v20, 0
	v_mov_b32_e32 v19, 0
	s_and_saveexec_b64 s[0:1], vcc
	s_cbranch_execz .LBB232_77
; %bb.72:                               ;   in Loop: Header=BB232_41 Depth=1
	v_cmp_ne_u16_e32 vcc, s24, v4
	v_bfrev_b32_e32 v19, 1
	s_and_saveexec_b64 s[12:13], vcc
	s_cbranch_execz .LBB232_76
; %bb.73:                               ;   in Loop: Header=BB232_41 Depth=1
	v_and_b32_e32 v21, 0x7f, v4
	v_cmp_ne_u32_e32 vcc, s25, v21
	v_mov_b32_e32 v19, 0x7c010000
	s_and_saveexec_b64 s[14:15], vcc
	s_cbranch_execz .LBB232_75
; %bb.74:                               ;   in Loop: Header=BB232_41 Depth=1
	v_and_b32_e32 v19, 7, v4
	v_ffbh_u32_e32 v30, v19
	v_min_u32_e32 v32, 32, v30
	v_subrev_u32_e32 v30, 28, v32
	v_lshlrev_b64 v[30:31], v30, v[4:5]
	v_lshrrev_b32_e32 v29, 3, v21
	v_sub_u32_e32 v31, 29, v32
	v_cmp_gt_u32_e32 vcc, 8, v21
	v_lshlrev_b32_e32 v4, 8, v4
	s_nop 0
	v_cndmask_b32_e32 v21, v29, v31, vcc
	v_lshl_add_u32 v21, v21, 10, v28
	v_and_b32_e32 v29, 7, v30
	v_and_or_b32 v4, v4, s29, v21
	v_cndmask_b32_e32 v19, v19, v29, vcc
	v_lshlrev_b32_e32 v4, 16, v4
	v_lshl_or_b32 v19, v19, 23, v4
.LBB232_75:                             ;   in Loop: Header=BB232_41 Depth=1
	s_or_b64 exec, exec, s[14:15]
.LBB232_76:                             ;   in Loop: Header=BB232_41 Depth=1
	s_or_b64 exec, exec, s[12:13]
.LBB232_77:                             ;   in Loop: Header=BB232_41 Depth=1
	s_or_b64 exec, exec, s[0:1]
	v_lshrrev_b32_e32 v4, 16, v15
	v_cmp_ne_u16_sdwa s[12:13], v4, v5 src0_sel:BYTE_0 src1_sel:DWORD
	s_and_saveexec_b64 s[0:1], s[12:13]
	s_cbranch_execz .LBB232_83
; %bb.78:                               ;   in Loop: Header=BB232_41 Depth=1
	v_cmp_ne_u16_sdwa s[14:15], v4, s24 src0_sel:BYTE_0 src1_sel:DWORD
	v_mov_b32_e32 v20, 0x8000
	s_and_saveexec_b64 s[12:13], s[14:15]
	s_cbranch_execz .LBB232_82
; %bb.79:                               ;   in Loop: Header=BB232_41 Depth=1
	v_bfe_u32 v21, v15, 16, 7
	v_cmp_ne_u32_e32 vcc, s25, v21
	v_mov_b32_e32 v20, 0x7c01
	s_and_saveexec_b64 s[14:15], vcc
	s_cbranch_execz .LBB232_81
; %bb.80:                               ;   in Loop: Header=BB232_41 Depth=1
	v_and_b32_e32 v20, 7, v4
	v_ffbh_u32_e32 v30, v20
	v_min_u32_e32 v32, 32, v30
	v_subrev_u32_e32 v30, 28, v32
	v_lshlrev_b64 v[30:31], v30, v[4:5]
	v_lshrrev_b32_e32 v29, 3, v21
	v_sub_u32_e32 v31, 29, v32
	v_cmp_gt_u32_e32 vcc, 8, v21
	v_lshlrev_b32_e32 v4, 8, v4
	s_nop 0
	v_cndmask_b32_e32 v21, v29, v31, vcc
	v_lshl_add_u32 v21, v21, 10, v28
	v_and_b32_e32 v29, 7, v30
	v_and_b32_e32 v21, 0xfc00, v21
	v_cndmask_b32_e32 v20, v20, v29, vcc
	v_and_or_b32 v4, v4, s29, v21
	v_lshl_or_b32 v20, v20, 7, v4
.LBB232_81:                             ;   in Loop: Header=BB232_41 Depth=1
	s_or_b64 exec, exec, s[14:15]
.LBB232_82:                             ;   in Loop: Header=BB232_41 Depth=1
	s_or_b64 exec, exec, s[12:13]
.LBB232_83:                             ;   in Loop: Header=BB232_41 Depth=1
	s_or_b64 exec, exec, s[0:1]
	v_cmp_lt_u64_e32 vcc, s[6:7], v[14:15]
	v_mov_b32_e32 v21, 0
	s_and_saveexec_b64 s[0:1], vcc
	s_cbranch_execz .LBB232_89
; %bb.84:                               ;   in Loop: Header=BB232_41 Depth=1
	v_lshrrev_b32_e32 v4, 24, v15
	v_cmp_ne_u32_e32 vcc, s24, v4
	v_bfrev_b32_e32 v21, 1
	s_and_saveexec_b64 s[12:13], vcc
	s_cbranch_execz .LBB232_88
; %bb.85:                               ;   in Loop: Header=BB232_41 Depth=1
	v_and_b32_e32 v14, 0x7f, v4
	v_cmp_ne_u32_e32 vcc, s25, v14
	v_mov_b32_e32 v21, 0x7c010000
	s_and_saveexec_b64 s[14:15], vcc
	s_cbranch_execz .LBB232_87
; %bb.86:                               ;   in Loop: Header=BB232_41 Depth=1
	v_and_b32_e32 v15, 7, v4
	v_ffbh_u32_e32 v29, v15
	v_min_u32_e32 v29, 32, v29
	v_lshrrev_b32_e32 v21, 3, v14
	v_subrev_u32_e32 v30, 28, v29
	v_sub_u32_e32 v29, 29, v29
	v_cmp_gt_u32_e32 vcc, 8, v14
	v_lshlrev_b64 v[30:31], v30, v[4:5]
	v_lshlrev_b32_e32 v4, 8, v4
	v_cndmask_b32_e32 v14, v21, v29, vcc
	v_lshl_add_u32 v14, v14, 10, v28
	v_and_b32_e32 v21, 7, v30
	v_and_or_b32 v4, v4, s29, v14
	v_cndmask_b32_e32 v15, v15, v21, vcc
	v_lshlrev_b32_e32 v4, 16, v4
	v_lshl_or_b32 v21, v15, 23, v4
.LBB232_87:                             ;   in Loop: Header=BB232_41 Depth=1
	s_or_b64 exec, exec, s[14:15]
.LBB232_88:                             ;   in Loop: Header=BB232_41 Depth=1
	s_or_b64 exec, exec, s[12:13]
.LBB232_89:                             ;   in Loop: Header=BB232_41 Depth=1
	s_or_b64 exec, exec, s[0:1]
	v_cvt_f32_f16_sdwa v15, v16 dst_sel:DWORD dst_unused:UNUSED_PAD src0_sel:WORD_1
	v_cvt_f32_f16_sdwa v14, v18 dst_sel:DWORD dst_unused:UNUSED_PAD src0_sel:WORD_1
	v_or_b32_e32 v1, v16, v1
	v_or_b32_e32 v4, v18, v13
	v_cvt_f32_f16_e32 v30, v4
	v_cvt_f32_f16_e32 v31, v1
	s_waitcnt vmcnt(0)
	v_pk_mul_f32 v[14:15], v[12:13], v[14:15] op_sel_hi:[0,1]
	v_cvt_pk_f16_f32 v1, v14, v15
	v_and_b32_e32 v13, 0xffff0000, v1
	v_pk_mul_f32 v[30:31], v[12:13], v[30:31] op_sel_hi:[0,1]
	v_or_b32_e32 v4, v19, v17
	v_or_b32_e32 v17, v21, v20
	v_lshlrev_b32_e32 v14, 16, v1
	v_cvt_pk_f16_f32 v1, v30, v31
	v_cvt_f32_f16_e32 v30, v17
	v_cvt_f32_f16_e32 v31, v4
	v_cvt_f32_f16_sdwa v19, v19 dst_sel:DWORD dst_unused:UNUSED_PAD src0_sel:WORD_1
	v_cvt_f32_f16_sdwa v18, v21 dst_sel:DWORD dst_unused:UNUSED_PAD src0_sel:WORD_1
	v_lshrrev_b32_e32 v15, 16, v1
	v_pk_mul_f32 v[20:21], v[12:13], v[30:31] op_sel_hi:[0,1]
	v_cvt_pk_f16_f32 v20, v20, v21
	v_pk_mul_f32 v[18:19], v[12:13], v[18:19] op_sel_hi:[0,1]
	v_cvt_pk_f16_f32 v12, v18, v19
	v_and_b32_e32 v16, 0xffff, v1
	v_and_b32_e32 v17, 0xffff0000, v12
	v_lshlrev_b32_e32 v12, 16, v12
	v_lshrrev_b32_e32 v21, 16, v20
	v_and_b32_e32 v20, 0xffff, v20
	v_cmp_eq_u32_e32 vcc, s26, v23
	v_or_b32_e32 v1, v13, v15
	v_or_b32_e32 v4, v14, v16
	;; [unrolled: 1-line block ×4, first 2 shown]
	v_add_u32_e32 v35, 2, v26
	v_or_b32_e32 v34, 1, v26
	v_or_b32_e32 v33, 3, v26
	;; [unrolled: 1-line block ×6, first 2 shown]
	s_and_saveexec_b64 s[12:13], vcc
	s_cbranch_execz .LBB232_91
; %bb.90:                               ;   in Loop: Header=BB232_41 Depth=1
	v_cmp_gt_i32_e64 s[0:1], s27, v26
	s_nop 1
	v_cndmask_b32_e64 v1, 0, v15, s[0:1]
	v_cmp_gt_i32_e64 s[0:1], s33, v35
	s_nop 1
	v_cndmask_b32_e64 v4, 0, v16, s[0:1]
	;; [unrolled: 3-line block ×3, first 2 shown]
	v_cmp_gt_i32_e64 s[0:1], s33, v33
	v_or_b32_e32 v1, v13, v1
	s_nop 0
	v_cndmask_b32_e64 v14, 0, v14, s[0:1]
	v_cmp_gt_i32_e64 s[0:1], s27, v32
	v_or_b32_e32 v4, v14, v4
	s_nop 0
	v_cndmask_b32_e64 v13, 0, v21, s[0:1]
	v_cmp_gt_i32_e64 s[0:1], s33, v31
	s_nop 1
	v_cndmask_b32_e64 v14, 0, v20, s[0:1]
	v_cmp_gt_i32_e64 s[0:1], s27, v30
	;; [unrolled: 3-line block ×3, first 2 shown]
	v_or_b32_e32 v19, v15, v13
	s_nop 0
	v_cndmask_b32_e64 v12, 0, v12, s[0:1]
	v_or_b32_e32 v18, v12, v14
.LBB232_91:                             ;   in Loop: Header=BB232_41 Depth=1
	s_or_b64 exec, exec, s[12:13]
	v_and_b32_e32 v12, 0xffff, v36
	v_lshl_or_b32 v39, v37, 16, v12
	v_and_b32_e32 v12, 0xffff, v38
	v_lshl_or_b32 v38, v40, 16, v12
	v_and_b32_e32 v12, 0xffff, v41
	v_lshl_or_b32 v37, v42, 16, v12
	v_and_b32_e32 v12, 0xffff, v43
	;;#ASMSTART
	v_pk_mul_f16 v1, v39, v1;

	;;#ASMEND
	v_lshl_or_b32 v36, v44, 16, v12
	;;#ASMSTART
	v_pk_mul_f16 v4, v38, v4;

	;;#ASMEND
	;;#ASMSTART
	v_pk_mul_f16 v12, v37, v19;

	;;#ASMEND
	;; [unrolled: 4-line block ×3, first 2 shown]
	s_nop 0
	;;#ASMSTART
	v_pk_add_f16 v1, v1, v4;

	;;#ASMEND
	s_nop 0
	;;#ASMSTART
	v_pk_add_f16 v1, v1, v12;

	;;#ASMEND
	;; [unrolled: 5-line block ×3, first 2 shown]
	v_mov_b32_e32 v13, 0
	v_lshrrev_b32_e32 v4, 16, v1
	v_and_b32_e32 v1, 0xffff, v1
	;;#ASMSTART
	v_cvt_f32_f16 v40, v1;
	;;#ASMEND
	;;#ASMSTART
	v_cvt_f32_f16 v41, v4;
	;;#ASMEND
	global_load_dwordx2 v[14:15], v[10:11], off offset:512
	v_mov_b32_e32 v1, 0
	global_load_dword v12, v1, s[10:11]
	s_waitcnt vmcnt(1)
	v_cmp_ne_u16_sdwa s[0:1], v14, v5 src0_sel:BYTE_0 src1_sel:DWORD
	s_and_saveexec_b64 s[12:13], s[0:1]
	s_cbranch_execz .LBB232_97
; %bb.92:                               ;   in Loop: Header=BB232_41 Depth=1
	v_cmp_ne_u16_sdwa s[0:1], v14, s24 src0_sel:BYTE_0 src1_sel:DWORD
	v_mov_b32_e32 v13, 0x8000
	s_and_saveexec_b64 s[14:15], s[0:1]
	s_cbranch_execz .LBB232_96
; %bb.93:                               ;   in Loop: Header=BB232_41 Depth=1
	v_and_b32_e32 v4, 0x7f, v14
	v_cmp_ne_u32_e64 s[0:1], s25, v4
	v_mov_b32_e32 v13, 0x7c01
	s_and_saveexec_b64 s[22:23], s[0:1]
	s_cbranch_execz .LBB232_95
; %bb.94:                               ;   in Loop: Header=BB232_41 Depth=1
	v_and_b32_e32 v13, 7, v14
	v_ffbh_u32_e32 v16, v13
	v_min_u32_e32 v19, 32, v16
	v_subrev_u32_e32 v16, 28, v19
	v_lshlrev_b64 v[16:17], v16, v[14:15]
	v_lshrrev_b32_e32 v18, 3, v4
	v_sub_u32_e32 v17, 29, v19
	v_cmp_gt_u32_e64 s[0:1], 8, v4
	v_and_b32_e32 v16, 7, v16
	s_nop 0
	v_cndmask_b32_e64 v4, v18, v17, s[0:1]
	v_lshl_add_u32 v4, v4, 10, v28
	v_lshlrev_b32_e32 v17, 8, v14
	v_and_b32_e32 v4, 0xfc00, v4
	v_cndmask_b32_e64 v13, v13, v16, s[0:1]
	v_and_or_b32 v4, v17, s29, v4
	v_lshl_or_b32 v13, v13, 7, v4
.LBB232_95:                             ;   in Loop: Header=BB232_41 Depth=1
	s_or_b64 exec, exec, s[22:23]
.LBB232_96:                             ;   in Loop: Header=BB232_41 Depth=1
	s_or_b64 exec, exec, s[14:15]
.LBB232_97:                             ;   in Loop: Header=BB232_41 Depth=1
	s_or_b64 exec, exec, s[12:13]
	v_lshrrev_b16_e32 v4, 8, v14
	v_cmp_ne_u16_e64 s[0:1], 0, v4
	s_and_saveexec_b64 s[12:13], s[0:1]
	s_cbranch_execz .LBB232_103
; %bb.98:                               ;   in Loop: Header=BB232_41 Depth=1
	v_cmp_ne_u16_e64 s[0:1], s24, v4
	v_bfrev_b32_e32 v1, 1
	s_and_saveexec_b64 s[14:15], s[0:1]
	s_cbranch_execz .LBB232_102
; %bb.99:                               ;   in Loop: Header=BB232_41 Depth=1
	v_and_b32_e32 v16, 0x7f, v4
	v_cmp_ne_u32_e64 s[0:1], s25, v16
	v_mov_b32_e32 v1, 0x7c010000
	s_and_saveexec_b64 s[22:23], s[0:1]
	s_cbranch_execz .LBB232_101
; %bb.100:                              ;   in Loop: Header=BB232_41 Depth=1
	v_and_b32_e32 v1, 7, v4
	v_ffbh_u32_e32 v18, v1
	v_min_u32_e32 v20, 32, v18
	v_subrev_u32_e32 v18, 28, v20
	v_lshlrev_b64 v[18:19], v18, v[4:5]
	v_lshrrev_b32_e32 v17, 3, v16
	v_sub_u32_e32 v19, 29, v20
	v_cmp_gt_u32_e64 s[0:1], 8, v16
	v_lshlrev_b32_e32 v4, 8, v4
	s_nop 0
	v_cndmask_b32_e64 v16, v17, v19, s[0:1]
	v_lshl_add_u32 v16, v16, 10, v28
	v_and_b32_e32 v17, 7, v18
	v_and_or_b32 v4, v4, s29, v16
	v_cndmask_b32_e64 v1, v1, v17, s[0:1]
	v_lshlrev_b32_e32 v4, 16, v4
	v_lshl_or_b32 v1, v1, 23, v4
.LBB232_101:                            ;   in Loop: Header=BB232_41 Depth=1
	s_or_b64 exec, exec, s[22:23]
.LBB232_102:                            ;   in Loop: Header=BB232_41 Depth=1
	s_or_b64 exec, exec, s[14:15]
.LBB232_103:                            ;   in Loop: Header=BB232_41 Depth=1
	s_or_b64 exec, exec, s[12:13]
	v_lshrrev_b32_e32 v4, 16, v14
	v_cmp_ne_u16_sdwa s[0:1], v4, v5 src0_sel:BYTE_0 src1_sel:DWORD
	v_mov_b32_e32 v17, 0
	v_mov_b32_e32 v16, 0
	s_and_saveexec_b64 s[12:13], s[0:1]
	s_cbranch_execz .LBB232_109
; %bb.104:                              ;   in Loop: Header=BB232_41 Depth=1
	v_cmp_ne_u16_sdwa s[0:1], v4, s24 src0_sel:BYTE_0 src1_sel:DWORD
	v_mov_b32_e32 v16, 0x8000
	s_and_saveexec_b64 s[14:15], s[0:1]
	s_cbranch_execz .LBB232_108
; %bb.105:                              ;   in Loop: Header=BB232_41 Depth=1
	v_bfe_u32 v18, v14, 16, 7
	v_cmp_ne_u32_e64 s[0:1], s25, v18
	v_mov_b32_e32 v16, 0x7c01
	s_and_saveexec_b64 s[22:23], s[0:1]
	s_cbranch_execz .LBB232_107
; %bb.106:                              ;   in Loop: Header=BB232_41 Depth=1
	v_and_b32_e32 v16, 7, v4
	v_ffbh_u32_e32 v20, v16
	v_min_u32_e32 v42, 32, v20
	v_subrev_u32_e32 v20, 28, v42
	v_lshlrev_b64 v[20:21], v20, v[4:5]
	v_lshrrev_b32_e32 v19, 3, v18
	v_sub_u32_e32 v21, 29, v42
	v_cmp_gt_u32_e64 s[0:1], 8, v18
	v_lshlrev_b32_e32 v4, 8, v4
	s_nop 0
	v_cndmask_b32_e64 v18, v19, v21, s[0:1]
	v_lshl_add_u32 v18, v18, 10, v28
	v_and_b32_e32 v19, 7, v20
	v_and_b32_e32 v18, 0xfc00, v18
	v_cndmask_b32_e64 v16, v16, v19, s[0:1]
	v_and_or_b32 v4, v4, s29, v18
	v_lshl_or_b32 v16, v16, 7, v4
.LBB232_107:                            ;   in Loop: Header=BB232_41 Depth=1
	s_or_b64 exec, exec, s[22:23]
.LBB232_108:                            ;   in Loop: Header=BB232_41 Depth=1
	s_or_b64 exec, exec, s[14:15]
.LBB232_109:                            ;   in Loop: Header=BB232_41 Depth=1
	s_or_b64 exec, exec, s[12:13]
	v_cmp_lt_u32_e64 s[0:1], s7, v14
	s_and_saveexec_b64 s[12:13], s[0:1]
	s_cbranch_execz .LBB232_115
; %bb.110:                              ;   in Loop: Header=BB232_41 Depth=1
	v_lshrrev_b32_e32 v4, 24, v14
	v_cmp_ne_u32_e64 s[0:1], s24, v4
	v_bfrev_b32_e32 v17, 1
	s_and_saveexec_b64 s[14:15], s[0:1]
	s_cbranch_execz .LBB232_114
; %bb.111:                              ;   in Loop: Header=BB232_41 Depth=1
	v_and_b32_e32 v18, 0x7f, v4
	v_cmp_ne_u32_e64 s[0:1], s25, v18
	v_mov_b32_e32 v17, 0x7c010000
	s_and_saveexec_b64 s[22:23], s[0:1]
	s_cbranch_execz .LBB232_113
; %bb.112:                              ;   in Loop: Header=BB232_41 Depth=1
	v_and_b32_e32 v17, 7, v4
	v_ffbh_u32_e32 v20, v17
	v_min_u32_e32 v42, 32, v20
	v_subrev_u32_e32 v20, 28, v42
	v_lshlrev_b64 v[20:21], v20, v[4:5]
	v_lshrrev_b32_e32 v19, 3, v18
	v_sub_u32_e32 v21, 29, v42
	v_cmp_gt_u32_e64 s[0:1], 8, v18
	v_lshlrev_b32_e32 v4, 8, v4
	s_nop 0
	v_cndmask_b32_e64 v18, v19, v21, s[0:1]
	v_lshl_add_u32 v18, v18, 10, v28
	v_and_b32_e32 v19, 7, v20
	v_and_or_b32 v4, v4, s29, v18
	v_cndmask_b32_e64 v17, v17, v19, s[0:1]
	v_lshlrev_b32_e32 v4, 16, v4
	v_lshl_or_b32 v17, v17, 23, v4
.LBB232_113:                            ;   in Loop: Header=BB232_41 Depth=1
	s_or_b64 exec, exec, s[22:23]
.LBB232_114:                            ;   in Loop: Header=BB232_41 Depth=1
	s_or_b64 exec, exec, s[14:15]
.LBB232_115:                            ;   in Loop: Header=BB232_41 Depth=1
	s_or_b64 exec, exec, s[12:13]
	v_mov_b32_e32 v4, v15
	v_cmp_ne_u16_sdwa s[0:1], v15, v5 src0_sel:BYTE_0 src1_sel:DWORD
	v_mov_b32_e32 v18, 0
	v_mov_b32_e32 v19, 0
	s_and_saveexec_b64 s[12:13], s[0:1]
	s_cbranch_execz .LBB232_121
; %bb.116:                              ;   in Loop: Header=BB232_41 Depth=1
	v_cmp_ne_u16_sdwa s[0:1], v15, s24 src0_sel:BYTE_0 src1_sel:DWORD
	v_mov_b32_e32 v19, 0x8000
	s_and_saveexec_b64 s[14:15], s[0:1]
	s_cbranch_execz .LBB232_120
; %bb.117:                              ;   in Loop: Header=BB232_41 Depth=1
	v_and_b32_e32 v20, 0x7f, v15
	v_cmp_ne_u32_e64 s[0:1], s25, v20
	v_mov_b32_e32 v19, 0x7c01
	s_and_saveexec_b64 s[22:23], s[0:1]
	s_cbranch_execz .LBB232_119
; %bb.118:                              ;   in Loop: Header=BB232_41 Depth=1
	v_and_b32_e32 v19, 7, v15
	v_ffbh_u32_e32 v42, v19
	v_min_u32_e32 v44, 32, v42
	v_subrev_u32_e32 v42, 28, v44
	v_lshlrev_b64 v[42:43], v42, v[4:5]
	v_lshrrev_b32_e32 v21, 3, v20
	v_sub_u32_e32 v43, 29, v44
	v_cmp_gt_u32_e64 s[0:1], 8, v20
	v_and_b32_e32 v42, 7, v42
	s_nop 0
	v_cndmask_b32_e64 v20, v21, v43, s[0:1]
	v_lshl_add_u32 v20, v20, 10, v28
	v_lshlrev_b32_e32 v21, 8, v15
	v_and_b32_e32 v20, 0xfc00, v20
	v_cndmask_b32_e64 v19, v19, v42, s[0:1]
	v_and_or_b32 v20, v21, s29, v20
	v_lshl_or_b32 v19, v19, 7, v20
.LBB232_119:                            ;   in Loop: Header=BB232_41 Depth=1
	s_or_b64 exec, exec, s[22:23]
.LBB232_120:                            ;   in Loop: Header=BB232_41 Depth=1
	s_or_b64 exec, exec, s[14:15]
.LBB232_121:                            ;   in Loop: Header=BB232_41 Depth=1
	s_or_b64 exec, exec, s[12:13]
	v_lshrrev_b16_e32 v4, 8, v4
	v_cmp_ne_u16_e64 s[0:1], 0, v4
	v_mov_b32_e32 v20, 0
	s_and_saveexec_b64 s[12:13], s[0:1]
	s_cbranch_execz .LBB232_127
; %bb.122:                              ;   in Loop: Header=BB232_41 Depth=1
	v_cmp_ne_u16_e64 s[0:1], s24, v4
	v_bfrev_b32_e32 v20, 1
	s_and_saveexec_b64 s[14:15], s[0:1]
	s_cbranch_execz .LBB232_126
; %bb.123:                              ;   in Loop: Header=BB232_41 Depth=1
	v_and_b32_e32 v21, 0x7f, v4
	v_cmp_ne_u32_e64 s[0:1], s25, v21
	v_mov_b32_e32 v20, 0x7c010000
	s_and_saveexec_b64 s[22:23], s[0:1]
	s_cbranch_execz .LBB232_125
; %bb.124:                              ;   in Loop: Header=BB232_41 Depth=1
	v_and_b32_e32 v20, 7, v4
	v_ffbh_u32_e32 v42, v20
	v_min_u32_e32 v45, 32, v42
	v_subrev_u32_e32 v42, 28, v45
	v_lshlrev_b64 v[42:43], v42, v[4:5]
	v_lshrrev_b32_e32 v44, 3, v21
	v_sub_u32_e32 v43, 29, v45
	v_cmp_gt_u32_e64 s[0:1], 8, v21
	v_lshlrev_b32_e32 v4, 8, v4
	v_and_b32_e32 v42, 7, v42
	v_cndmask_b32_e64 v21, v44, v43, s[0:1]
	v_lshl_add_u32 v21, v21, 10, v28
	v_and_or_b32 v4, v4, s29, v21
	v_cndmask_b32_e64 v20, v20, v42, s[0:1]
	v_lshlrev_b32_e32 v4, 16, v4
	v_lshl_or_b32 v20, v20, 23, v4
.LBB232_125:                            ;   in Loop: Header=BB232_41 Depth=1
	s_or_b64 exec, exec, s[22:23]
.LBB232_126:                            ;   in Loop: Header=BB232_41 Depth=1
	s_or_b64 exec, exec, s[14:15]
.LBB232_127:                            ;   in Loop: Header=BB232_41 Depth=1
	s_or_b64 exec, exec, s[12:13]
	v_lshrrev_b32_e32 v4, 16, v15
	v_cmp_ne_u16_sdwa s[0:1], v4, v5 src0_sel:BYTE_0 src1_sel:DWORD
	s_and_saveexec_b64 s[12:13], s[0:1]
	s_cbranch_execz .LBB232_133
; %bb.128:                              ;   in Loop: Header=BB232_41 Depth=1
	v_cmp_ne_u16_sdwa s[0:1], v4, s24 src0_sel:BYTE_0 src1_sel:DWORD
	v_mov_b32_e32 v18, 0x8000
	s_and_saveexec_b64 s[14:15], s[0:1]
	s_cbranch_execz .LBB232_132
; %bb.129:                              ;   in Loop: Header=BB232_41 Depth=1
	v_bfe_u32 v21, v15, 16, 7
	v_cmp_ne_u32_e64 s[0:1], s25, v21
	v_mov_b32_e32 v18, 0x7c01
	s_and_saveexec_b64 s[22:23], s[0:1]
	s_cbranch_execz .LBB232_131
; %bb.130:                              ;   in Loop: Header=BB232_41 Depth=1
	v_and_b32_e32 v18, 7, v4
	v_ffbh_u32_e32 v42, v18
	v_min_u32_e32 v45, 32, v42
	v_subrev_u32_e32 v42, 28, v45
	v_lshlrev_b64 v[42:43], v42, v[4:5]
	v_lshrrev_b32_e32 v44, 3, v21
	v_sub_u32_e32 v43, 29, v45
	v_cmp_gt_u32_e64 s[0:1], 8, v21
	v_lshlrev_b32_e32 v4, 8, v4
	v_and_b32_e32 v42, 7, v42
	v_cndmask_b32_e64 v21, v44, v43, s[0:1]
	v_lshl_add_u32 v21, v21, 10, v28
	v_and_b32_e32 v21, 0xfc00, v21
	v_cndmask_b32_e64 v18, v18, v42, s[0:1]
	v_and_or_b32 v4, v4, s29, v21
	v_lshl_or_b32 v18, v18, 7, v4
.LBB232_131:                            ;   in Loop: Header=BB232_41 Depth=1
	s_or_b64 exec, exec, s[22:23]
.LBB232_132:                            ;   in Loop: Header=BB232_41 Depth=1
	s_or_b64 exec, exec, s[14:15]
.LBB232_133:                            ;   in Loop: Header=BB232_41 Depth=1
	s_or_b64 exec, exec, s[12:13]
	v_cmp_lt_u64_e64 s[0:1], s[6:7], v[14:15]
	v_mov_b32_e32 v14, 0
	s_and_saveexec_b64 s[12:13], s[0:1]
	s_cbranch_execz .LBB232_139
; %bb.134:                              ;   in Loop: Header=BB232_41 Depth=1
	v_lshrrev_b32_e32 v4, 24, v15
	v_cmp_ne_u32_e64 s[0:1], s24, v4
	v_bfrev_b32_e32 v14, 1
	s_and_saveexec_b64 s[14:15], s[0:1]
	s_cbranch_execz .LBB232_138
; %bb.135:                              ;   in Loop: Header=BB232_41 Depth=1
	v_and_b32_e32 v15, 0x7f, v4
	v_cmp_ne_u32_e64 s[0:1], s25, v15
	v_mov_b32_e32 v14, 0x7c010000
	s_and_saveexec_b64 s[22:23], s[0:1]
	s_cbranch_execz .LBB232_137
; %bb.136:                              ;   in Loop: Header=BB232_41 Depth=1
	v_and_b32_e32 v14, 7, v4
	v_ffbh_u32_e32 v42, v14
	v_min_u32_e32 v44, 32, v42
	v_subrev_u32_e32 v42, 28, v44
	v_lshlrev_b64 v[42:43], v42, v[4:5]
	v_lshrrev_b32_e32 v21, 3, v15
	v_sub_u32_e32 v43, 29, v44
	v_cmp_gt_u32_e64 s[0:1], 8, v15
	v_lshlrev_b32_e32 v4, 8, v4
	s_nop 0
	v_cndmask_b32_e64 v15, v21, v43, s[0:1]
	v_lshl_add_u32 v15, v15, 10, v28
	v_and_b32_e32 v21, 7, v42
	v_and_or_b32 v4, v4, s29, v15
	v_cndmask_b32_e64 v14, v14, v21, s[0:1]
	v_lshlrev_b32_e32 v4, 16, v4
	v_lshl_or_b32 v14, v14, 23, v4
.LBB232_137:                            ;   in Loop: Header=BB232_41 Depth=1
	s_or_b64 exec, exec, s[22:23]
.LBB232_138:                            ;   in Loop: Header=BB232_41 Depth=1
	s_or_b64 exec, exec, s[14:15]
.LBB232_139:                            ;   in Loop: Header=BB232_41 Depth=1
	s_or_b64 exec, exec, s[12:13]
	v_cvt_f32_f16_sdwa v43, v1 dst_sel:DWORD dst_unused:UNUSED_PAD src0_sel:WORD_1
	v_cvt_f32_f16_sdwa v42, v17 dst_sel:DWORD dst_unused:UNUSED_PAD src0_sel:WORD_1
	v_or_b32_e32 v1, v1, v13
	v_or_b32_e32 v4, v17, v16
	;; [unrolled: 1-line block ×3, first 2 shown]
	s_waitcnt vmcnt(0)
	v_pk_mul_f32 v[16:17], v[12:13], v[42:43] op_sel_hi:[0,1]
	v_cvt_f32_f16_e32 v42, v4
	v_cvt_f32_f16_e32 v43, v1
	v_cvt_pk_f16_f32 v1, v16, v17
	v_and_b32_e32 v13, 0xffff0000, v1
	v_lshlrev_b32_e32 v4, 16, v1
	v_pk_mul_f32 v[16:17], v[12:13], v[42:43] op_sel_hi:[0,1]
	v_cvt_pk_f16_f32 v1, v16, v17
	v_or_b32_e32 v17, v20, v19
	v_cvt_f32_f16_e32 v18, v18
	v_cvt_f32_f16_e32 v19, v17
	v_cvt_f32_f16_sdwa v21, v20 dst_sel:DWORD dst_unused:UNUSED_PAD src0_sel:WORD_1
	v_cvt_f32_f16_sdwa v20, v14 dst_sel:DWORD dst_unused:UNUSED_PAD src0_sel:WORD_1
	v_lshrrev_b32_e32 v15, 16, v1
	v_pk_mul_f32 v[18:19], v[12:13], v[18:19] op_sel_hi:[0,1]
	v_cvt_pk_f16_f32 v42, v18, v19
	v_pk_mul_f32 v[18:19], v[12:13], v[20:21] op_sel_hi:[0,1]
	v_cvt_pk_f16_f32 v12, v18, v19
	v_and_b32_e32 v16, 0xffff, v1
	v_and_b32_e32 v17, 0xffff0000, v12
	v_lshlrev_b32_e32 v12, 16, v12
	v_lshrrev_b32_e32 v19, 16, v42
	v_and_b32_e32 v18, 0xffff, v42
	v_or_b32_e32 v1, v13, v15
	v_or_b32_e32 v14, v4, v16
	;; [unrolled: 1-line block ×4, first 2 shown]
	s_and_saveexec_b64 s[12:13], vcc
	s_cbranch_execz .LBB232_141
; %bb.140:                              ;   in Loop: Header=BB232_41 Depth=1
	v_cmp_gt_i32_e64 s[0:1], s27, v26
	s_nop 1
	v_cndmask_b32_e64 v1, 0, v15, s[0:1]
	v_cmp_gt_i32_e64 s[0:1], s33, v35
	s_nop 1
	v_cndmask_b32_e64 v14, 0, v16, s[0:1]
	v_cmp_gt_i32_e64 s[0:1], s27, v34
	s_nop 1
	v_cndmask_b32_e64 v13, 0, v13, s[0:1]
	v_cmp_gt_i32_e64 s[0:1], s33, v33
	v_or_b32_e32 v1, v13, v1
	s_nop 0
	v_cndmask_b32_e64 v4, 0, v4, s[0:1]
	v_cmp_gt_i32_e64 s[0:1], s27, v32
	v_or_b32_e32 v14, v4, v14
	s_nop 0
	v_cndmask_b32_e64 v4, 0, v19, s[0:1]
	v_cmp_gt_i32_e64 s[0:1], s33, v31
	s_nop 1
	v_cndmask_b32_e64 v13, 0, v18, s[0:1]
	v_cmp_gt_i32_e64 s[0:1], s27, v30
	;; [unrolled: 3-line block ×3, first 2 shown]
	v_or_b32_e32 v21, v15, v4
	s_nop 0
	v_cndmask_b32_e64 v12, 0, v12, s[0:1]
	v_or_b32_e32 v20, v12, v13
.LBB232_141:                            ;   in Loop: Header=BB232_41 Depth=1
	s_or_b64 exec, exec, s[12:13]
	;;#ASMSTART
	v_pk_mul_f16 v1, v39, v1;

	;;#ASMEND
	;;#ASMSTART
	v_pk_mul_f16 v4, v38, v14;

	;;#ASMEND
	;; [unrolled: 4-line block ×4, first 2 shown]
	s_nop 0
	;;#ASMSTART
	v_pk_add_f16 v1, v1, v4;

	;;#ASMEND
	s_nop 0
	;;#ASMSTART
	v_pk_add_f16 v1, v1, v12;

	;;#ASMEND
	;; [unrolled: 5-line block ×3, first 2 shown]
	s_nop 0
	v_lshrrev_b32_e32 v4, 16, v1
	v_and_b32_e32 v1, 0xffff, v1
	;;#ASMSTART
	v_cvt_f32_f16 v20, v1;
	;;#ASMEND
	;;#ASMSTART
	v_cvt_f32_f16 v21, v4;
	;;#ASMEND
	global_load_dwordx2 v[12:13], v[10:11], off offset:1024
	v_mov_b32_e32 v1, 0
	global_load_dword v10, v1, s[10:11]
	v_mov_b32_e32 v11, 0
	s_waitcnt vmcnt(1)
	v_cmp_ne_u16_sdwa s[0:1], v12, v5 src0_sel:BYTE_0 src1_sel:DWORD
	s_and_saveexec_b64 s[12:13], s[0:1]
	s_cbranch_execz .LBB232_147
; %bb.142:                              ;   in Loop: Header=BB232_41 Depth=1
	v_cmp_ne_u16_sdwa s[0:1], v12, s24 src0_sel:BYTE_0 src1_sel:DWORD
	v_mov_b32_e32 v11, 0x8000
	s_and_saveexec_b64 s[14:15], s[0:1]
	s_cbranch_execz .LBB232_146
; %bb.143:                              ;   in Loop: Header=BB232_41 Depth=1
	v_and_b32_e32 v4, 0x7f, v12
	v_cmp_ne_u32_e64 s[0:1], s25, v4
	v_mov_b32_e32 v11, 0x7c01
	s_and_saveexec_b64 s[22:23], s[0:1]
	s_cbranch_execz .LBB232_145
; %bb.144:                              ;   in Loop: Header=BB232_41 Depth=1
	v_and_b32_e32 v11, 7, v12
	v_ffbh_u32_e32 v14, v11
	v_min_u32_e32 v17, 32, v14
	v_subrev_u32_e32 v14, 28, v17
	v_lshlrev_b64 v[14:15], v14, v[12:13]
	v_lshrrev_b32_e32 v16, 3, v4
	v_sub_u32_e32 v15, 29, v17
	v_cmp_gt_u32_e64 s[0:1], 8, v4
	v_and_b32_e32 v14, 7, v14
	s_nop 0
	v_cndmask_b32_e64 v4, v16, v15, s[0:1]
	v_lshl_add_u32 v4, v4, 10, v28
	v_lshlrev_b32_e32 v15, 8, v12
	v_and_b32_e32 v4, 0xfc00, v4
	v_cndmask_b32_e64 v11, v11, v14, s[0:1]
	v_and_or_b32 v4, v15, s29, v4
	v_lshl_or_b32 v11, v11, 7, v4
.LBB232_145:                            ;   in Loop: Header=BB232_41 Depth=1
	s_or_b64 exec, exec, s[22:23]
.LBB232_146:                            ;   in Loop: Header=BB232_41 Depth=1
	s_or_b64 exec, exec, s[14:15]
.LBB232_147:                            ;   in Loop: Header=BB232_41 Depth=1
	s_or_b64 exec, exec, s[12:13]
	v_lshrrev_b16_e32 v4, 8, v12
	v_cmp_ne_u16_e64 s[0:1], 0, v4
	s_and_saveexec_b64 s[12:13], s[0:1]
	s_cbranch_execz .LBB232_153
; %bb.148:                              ;   in Loop: Header=BB232_41 Depth=1
	v_cmp_ne_u16_e64 s[0:1], s24, v4
	v_bfrev_b32_e32 v1, 1
	s_and_saveexec_b64 s[14:15], s[0:1]
	s_cbranch_execz .LBB232_152
; %bb.149:                              ;   in Loop: Header=BB232_41 Depth=1
	v_and_b32_e32 v14, 0x7f, v4
	v_cmp_ne_u32_e64 s[0:1], s25, v14
	v_mov_b32_e32 v1, 0x7c010000
	s_and_saveexec_b64 s[22:23], s[0:1]
	s_cbranch_execz .LBB232_151
; %bb.150:                              ;   in Loop: Header=BB232_41 Depth=1
	v_and_b32_e32 v1, 7, v4
	v_ffbh_u32_e32 v16, v1
	v_min_u32_e32 v18, 32, v16
	v_subrev_u32_e32 v16, 28, v18
	v_lshlrev_b64 v[16:17], v16, v[4:5]
	v_lshrrev_b32_e32 v15, 3, v14
	v_sub_u32_e32 v17, 29, v18
	v_cmp_gt_u32_e64 s[0:1], 8, v14
	v_lshlrev_b32_e32 v4, 8, v4
	s_nop 0
	v_cndmask_b32_e64 v14, v15, v17, s[0:1]
	v_lshl_add_u32 v14, v14, 10, v28
	v_and_b32_e32 v15, 7, v16
	v_and_or_b32 v4, v4, s29, v14
	v_cndmask_b32_e64 v1, v1, v15, s[0:1]
	v_lshlrev_b32_e32 v4, 16, v4
	v_lshl_or_b32 v1, v1, 23, v4
.LBB232_151:                            ;   in Loop: Header=BB232_41 Depth=1
	s_or_b64 exec, exec, s[22:23]
.LBB232_152:                            ;   in Loop: Header=BB232_41 Depth=1
	s_or_b64 exec, exec, s[14:15]
.LBB232_153:                            ;   in Loop: Header=BB232_41 Depth=1
	s_or_b64 exec, exec, s[12:13]
	v_lshrrev_b32_e32 v4, 16, v12
	v_cmp_ne_u16_sdwa s[0:1], v4, v5 src0_sel:BYTE_0 src1_sel:DWORD
	v_mov_b32_e32 v15, 0
	v_mov_b32_e32 v14, 0
	s_and_saveexec_b64 s[12:13], s[0:1]
	s_cbranch_execz .LBB232_159
; %bb.154:                              ;   in Loop: Header=BB232_41 Depth=1
	v_cmp_ne_u16_sdwa s[0:1], v4, s24 src0_sel:BYTE_0 src1_sel:DWORD
	v_mov_b32_e32 v14, 0x8000
	s_and_saveexec_b64 s[14:15], s[0:1]
	s_cbranch_execz .LBB232_158
; %bb.155:                              ;   in Loop: Header=BB232_41 Depth=1
	v_bfe_u32 v16, v12, 16, 7
	v_cmp_ne_u32_e64 s[0:1], s25, v16
	v_mov_b32_e32 v14, 0x7c01
	s_and_saveexec_b64 s[22:23], s[0:1]
	s_cbranch_execz .LBB232_157
; %bb.156:                              ;   in Loop: Header=BB232_41 Depth=1
	v_and_b32_e32 v14, 7, v4
	v_ffbh_u32_e32 v18, v14
	v_min_u32_e32 v42, 32, v18
	v_subrev_u32_e32 v18, 28, v42
	v_lshlrev_b64 v[18:19], v18, v[4:5]
	v_lshrrev_b32_e32 v17, 3, v16
	v_sub_u32_e32 v19, 29, v42
	v_cmp_gt_u32_e64 s[0:1], 8, v16
	v_lshlrev_b32_e32 v4, 8, v4
	s_nop 0
	v_cndmask_b32_e64 v16, v17, v19, s[0:1]
	v_lshl_add_u32 v16, v16, 10, v28
	v_and_b32_e32 v17, 7, v18
	v_and_b32_e32 v16, 0xfc00, v16
	v_cndmask_b32_e64 v14, v14, v17, s[0:1]
	v_and_or_b32 v4, v4, s29, v16
	v_lshl_or_b32 v14, v14, 7, v4
.LBB232_157:                            ;   in Loop: Header=BB232_41 Depth=1
	s_or_b64 exec, exec, s[22:23]
.LBB232_158:                            ;   in Loop: Header=BB232_41 Depth=1
	s_or_b64 exec, exec, s[14:15]
.LBB232_159:                            ;   in Loop: Header=BB232_41 Depth=1
	s_or_b64 exec, exec, s[12:13]
	v_cmp_lt_u32_e64 s[0:1], s7, v12
	s_and_saveexec_b64 s[12:13], s[0:1]
	s_cbranch_execz .LBB232_165
; %bb.160:                              ;   in Loop: Header=BB232_41 Depth=1
	v_lshrrev_b32_e32 v4, 24, v12
	v_cmp_ne_u32_e64 s[0:1], s24, v4
	v_bfrev_b32_e32 v15, 1
	s_and_saveexec_b64 s[14:15], s[0:1]
	s_cbranch_execz .LBB232_164
; %bb.161:                              ;   in Loop: Header=BB232_41 Depth=1
	v_and_b32_e32 v16, 0x7f, v4
	v_cmp_ne_u32_e64 s[0:1], s25, v16
	v_mov_b32_e32 v15, 0x7c010000
	s_and_saveexec_b64 s[22:23], s[0:1]
	s_cbranch_execz .LBB232_163
; %bb.162:                              ;   in Loop: Header=BB232_41 Depth=1
	v_and_b32_e32 v15, 7, v4
	v_ffbh_u32_e32 v18, v15
	v_min_u32_e32 v42, 32, v18
	v_subrev_u32_e32 v18, 28, v42
	v_lshlrev_b64 v[18:19], v18, v[4:5]
	v_lshrrev_b32_e32 v17, 3, v16
	v_sub_u32_e32 v19, 29, v42
	v_cmp_gt_u32_e64 s[0:1], 8, v16
	v_lshlrev_b32_e32 v4, 8, v4
	s_nop 0
	v_cndmask_b32_e64 v16, v17, v19, s[0:1]
	v_lshl_add_u32 v16, v16, 10, v28
	v_and_b32_e32 v17, 7, v18
	v_and_or_b32 v4, v4, s29, v16
	v_cndmask_b32_e64 v15, v15, v17, s[0:1]
	v_lshlrev_b32_e32 v4, 16, v4
	v_lshl_or_b32 v15, v15, 23, v4
.LBB232_163:                            ;   in Loop: Header=BB232_41 Depth=1
	s_or_b64 exec, exec, s[22:23]
.LBB232_164:                            ;   in Loop: Header=BB232_41 Depth=1
	s_or_b64 exec, exec, s[14:15]
.LBB232_165:                            ;   in Loop: Header=BB232_41 Depth=1
	s_or_b64 exec, exec, s[12:13]
	v_mov_b32_e32 v4, v13
	v_cmp_ne_u16_sdwa s[0:1], v13, v5 src0_sel:BYTE_0 src1_sel:DWORD
	v_mov_b32_e32 v16, 0
	v_mov_b32_e32 v17, 0
	s_and_saveexec_b64 s[12:13], s[0:1]
	s_cbranch_execz .LBB232_171
; %bb.166:                              ;   in Loop: Header=BB232_41 Depth=1
	v_cmp_ne_u16_sdwa s[0:1], v13, s24 src0_sel:BYTE_0 src1_sel:DWORD
	v_mov_b32_e32 v17, 0x8000
	s_and_saveexec_b64 s[14:15], s[0:1]
	s_cbranch_execz .LBB232_170
; %bb.167:                              ;   in Loop: Header=BB232_41 Depth=1
	v_and_b32_e32 v18, 0x7f, v13
	v_cmp_ne_u32_e64 s[0:1], s25, v18
	v_mov_b32_e32 v17, 0x7c01
	s_and_saveexec_b64 s[22:23], s[0:1]
	s_cbranch_execz .LBB232_169
; %bb.168:                              ;   in Loop: Header=BB232_41 Depth=1
	v_and_b32_e32 v17, 7, v13
	v_ffbh_u32_e32 v42, v17
	v_min_u32_e32 v44, 32, v42
	v_subrev_u32_e32 v42, 28, v44
	v_lshlrev_b64 v[42:43], v42, v[4:5]
	v_lshrrev_b32_e32 v19, 3, v18
	v_sub_u32_e32 v43, 29, v44
	v_cmp_gt_u32_e64 s[0:1], 8, v18
	v_and_b32_e32 v42, 7, v42
	s_nop 0
	v_cndmask_b32_e64 v18, v19, v43, s[0:1]
	v_lshl_add_u32 v18, v18, 10, v28
	v_lshlrev_b32_e32 v19, 8, v13
	v_and_b32_e32 v18, 0xfc00, v18
	v_cndmask_b32_e64 v17, v17, v42, s[0:1]
	v_and_or_b32 v18, v19, s29, v18
	v_lshl_or_b32 v17, v17, 7, v18
.LBB232_169:                            ;   in Loop: Header=BB232_41 Depth=1
	s_or_b64 exec, exec, s[22:23]
.LBB232_170:                            ;   in Loop: Header=BB232_41 Depth=1
	s_or_b64 exec, exec, s[14:15]
.LBB232_171:                            ;   in Loop: Header=BB232_41 Depth=1
	s_or_b64 exec, exec, s[12:13]
	v_lshrrev_b16_e32 v4, 8, v4
	v_cmp_ne_u16_e64 s[0:1], 0, v4
	v_mov_b32_e32 v18, 0
	s_and_saveexec_b64 s[12:13], s[0:1]
	s_cbranch_execz .LBB232_177
; %bb.172:                              ;   in Loop: Header=BB232_41 Depth=1
	v_cmp_ne_u16_e64 s[0:1], s24, v4
	v_bfrev_b32_e32 v18, 1
	s_and_saveexec_b64 s[14:15], s[0:1]
	s_cbranch_execz .LBB232_176
; %bb.173:                              ;   in Loop: Header=BB232_41 Depth=1
	v_and_b32_e32 v19, 0x7f, v4
	v_cmp_ne_u32_e64 s[0:1], s25, v19
	v_mov_b32_e32 v18, 0x7c010000
	s_and_saveexec_b64 s[22:23], s[0:1]
	s_cbranch_execz .LBB232_175
; %bb.174:                              ;   in Loop: Header=BB232_41 Depth=1
	v_and_b32_e32 v18, 7, v4
	v_ffbh_u32_e32 v42, v18
	v_min_u32_e32 v45, 32, v42
	v_subrev_u32_e32 v42, 28, v45
	v_lshlrev_b64 v[42:43], v42, v[4:5]
	v_lshrrev_b32_e32 v44, 3, v19
	v_sub_u32_e32 v43, 29, v45
	v_cmp_gt_u32_e64 s[0:1], 8, v19
	v_lshlrev_b32_e32 v4, 8, v4
	v_and_b32_e32 v42, 7, v42
	v_cndmask_b32_e64 v19, v44, v43, s[0:1]
	v_lshl_add_u32 v19, v19, 10, v28
	v_and_or_b32 v4, v4, s29, v19
	v_cndmask_b32_e64 v18, v18, v42, s[0:1]
	v_lshlrev_b32_e32 v4, 16, v4
	v_lshl_or_b32 v18, v18, 23, v4
.LBB232_175:                            ;   in Loop: Header=BB232_41 Depth=1
	s_or_b64 exec, exec, s[22:23]
.LBB232_176:                            ;   in Loop: Header=BB232_41 Depth=1
	s_or_b64 exec, exec, s[14:15]
.LBB232_177:                            ;   in Loop: Header=BB232_41 Depth=1
	s_or_b64 exec, exec, s[12:13]
	v_lshrrev_b32_e32 v4, 16, v13
	v_cmp_ne_u16_sdwa s[0:1], v4, v5 src0_sel:BYTE_0 src1_sel:DWORD
	s_and_saveexec_b64 s[12:13], s[0:1]
	s_cbranch_execz .LBB232_183
; %bb.178:                              ;   in Loop: Header=BB232_41 Depth=1
	v_cmp_ne_u16_sdwa s[0:1], v4, s24 src0_sel:BYTE_0 src1_sel:DWORD
	v_mov_b32_e32 v16, 0x8000
	s_and_saveexec_b64 s[14:15], s[0:1]
	s_cbranch_execz .LBB232_182
; %bb.179:                              ;   in Loop: Header=BB232_41 Depth=1
	v_bfe_u32 v19, v13, 16, 7
	v_cmp_ne_u32_e64 s[0:1], s25, v19
	v_mov_b32_e32 v16, 0x7c01
	s_and_saveexec_b64 s[22:23], s[0:1]
	s_cbranch_execz .LBB232_181
; %bb.180:                              ;   in Loop: Header=BB232_41 Depth=1
	v_and_b32_e32 v16, 7, v4
	v_ffbh_u32_e32 v42, v16
	v_min_u32_e32 v45, 32, v42
	v_subrev_u32_e32 v42, 28, v45
	v_lshlrev_b64 v[42:43], v42, v[4:5]
	v_lshrrev_b32_e32 v44, 3, v19
	v_sub_u32_e32 v43, 29, v45
	v_cmp_gt_u32_e64 s[0:1], 8, v19
	v_lshlrev_b32_e32 v4, 8, v4
	v_and_b32_e32 v42, 7, v42
	v_cndmask_b32_e64 v19, v44, v43, s[0:1]
	v_lshl_add_u32 v19, v19, 10, v28
	v_and_b32_e32 v19, 0xfc00, v19
	v_cndmask_b32_e64 v16, v16, v42, s[0:1]
	v_and_or_b32 v4, v4, s29, v19
	v_lshl_or_b32 v16, v16, 7, v4
.LBB232_181:                            ;   in Loop: Header=BB232_41 Depth=1
	s_or_b64 exec, exec, s[22:23]
.LBB232_182:                            ;   in Loop: Header=BB232_41 Depth=1
	s_or_b64 exec, exec, s[14:15]
.LBB232_183:                            ;   in Loop: Header=BB232_41 Depth=1
	s_or_b64 exec, exec, s[12:13]
	v_cmp_lt_u64_e64 s[0:1], s[6:7], v[12:13]
	v_mov_b32_e32 v19, 0
	s_and_saveexec_b64 s[12:13], s[0:1]
	s_cbranch_execz .LBB232_189
; %bb.184:                              ;   in Loop: Header=BB232_41 Depth=1
	v_lshrrev_b32_e32 v4, 24, v13
	v_cmp_ne_u32_e64 s[0:1], s24, v4
	v_bfrev_b32_e32 v19, 1
	s_and_saveexec_b64 s[14:15], s[0:1]
	s_cbranch_execz .LBB232_188
; %bb.185:                              ;   in Loop: Header=BB232_41 Depth=1
	v_and_b32_e32 v12, 0x7f, v4
	v_cmp_ne_u32_e64 s[0:1], s25, v12
	v_mov_b32_e32 v19, 0x7c010000
	s_and_saveexec_b64 s[22:23], s[0:1]
	s_cbranch_execz .LBB232_187
; %bb.186:                              ;   in Loop: Header=BB232_41 Depth=1
	v_and_b32_e32 v13, 7, v4
	v_ffbh_u32_e32 v42, v13
	v_min_u32_e32 v44, 32, v42
	v_subrev_u32_e32 v42, 28, v44
	v_lshlrev_b64 v[42:43], v42, v[4:5]
	v_lshrrev_b32_e32 v19, 3, v12
	v_sub_u32_e32 v43, 29, v44
	v_cmp_gt_u32_e64 s[0:1], 8, v12
	v_lshlrev_b32_e32 v4, 8, v4
	s_nop 0
	v_cndmask_b32_e64 v12, v19, v43, s[0:1]
	v_lshl_add_u32 v12, v12, 10, v28
	v_and_b32_e32 v19, 7, v42
	v_and_or_b32 v4, v4, s29, v12
	v_cndmask_b32_e64 v13, v13, v19, s[0:1]
	v_lshlrev_b32_e32 v4, 16, v4
	v_lshl_or_b32 v19, v13, 23, v4
.LBB232_187:                            ;   in Loop: Header=BB232_41 Depth=1
	s_or_b64 exec, exec, s[22:23]
.LBB232_188:                            ;   in Loop: Header=BB232_41 Depth=1
	s_or_b64 exec, exec, s[14:15]
.LBB232_189:                            ;   in Loop: Header=BB232_41 Depth=1
	s_or_b64 exec, exec, s[12:13]
	v_cvt_f32_f16_sdwa v13, v1 dst_sel:DWORD dst_unused:UNUSED_PAD src0_sel:WORD_1
	v_cvt_f32_f16_sdwa v12, v15 dst_sel:DWORD dst_unused:UNUSED_PAD src0_sel:WORD_1
	v_or_b32_e32 v1, v1, v11
	v_or_b32_e32 v4, v15, v14
	v_cvt_f32_f16_e32 v14, v4
	v_cvt_f32_f16_e32 v15, v1
	s_waitcnt vmcnt(0)
	v_pk_mul_f32 v[12:13], v[10:11], v[12:13] op_sel_hi:[0,1]
	v_cvt_pk_f16_f32 v1, v12, v13
	v_and_b32_e32 v11, 0xffff0000, v1
	v_pk_mul_f32 v[14:15], v[10:11], v[14:15] op_sel_hi:[0,1]
	v_lshlrev_b32_e32 v12, 16, v1
	v_cvt_pk_f16_f32 v1, v14, v15
	v_or_b32_e32 v4, v18, v17
	v_or_b32_e32 v15, v19, v16
	v_cvt_f32_f16_e32 v16, v15
	v_cvt_f32_f16_e32 v17, v4
	v_cvt_f32_f16_sdwa v43, v18 dst_sel:DWORD dst_unused:UNUSED_PAD src0_sel:WORD_1
	v_cvt_f32_f16_sdwa v42, v19 dst_sel:DWORD dst_unused:UNUSED_PAD src0_sel:WORD_1
	v_lshrrev_b32_e32 v13, 16, v1
	v_pk_mul_f32 v[16:17], v[10:11], v[16:17] op_sel_hi:[0,1]
	v_cvt_pk_f16_f32 v18, v16, v17
	v_pk_mul_f32 v[16:17], v[10:11], v[42:43] op_sel_hi:[0,1]
	v_cvt_pk_f16_f32 v10, v16, v17
	v_and_b32_e32 v14, 0xffff, v1
	v_and_b32_e32 v15, 0xffff0000, v10
	v_lshlrev_b32_e32 v10, 16, v10
	v_lshrrev_b32_e32 v19, 16, v18
	v_and_b32_e32 v18, 0xffff, v18
	v_or_b32_e32 v1, v11, v13
	v_or_b32_e32 v4, v12, v14
	;; [unrolled: 1-line block ×4, first 2 shown]
	s_and_saveexec_b64 s[0:1], vcc
	s_cbranch_execz .LBB232_40
; %bb.190:                              ;   in Loop: Header=BB232_41 Depth=1
	v_cmp_gt_i32_e32 vcc, s27, v26
	s_nop 1
	v_cndmask_b32_e32 v1, 0, v13, vcc
	v_cmp_gt_i32_e32 vcc, s33, v35
	s_nop 1
	v_cndmask_b32_e32 v4, 0, v14, vcc
	;; [unrolled: 3-line block ×3, first 2 shown]
	v_cmp_gt_i32_e32 vcc, s33, v33
	v_or_b32_e32 v1, v11, v1
	s_nop 0
	v_cndmask_b32_e32 v12, 0, v12, vcc
	v_cmp_gt_i32_e32 vcc, s27, v32
	v_or_b32_e32 v4, v12, v4
	s_nop 0
	v_cndmask_b32_e32 v11, 0, v19, vcc
	v_cmp_gt_i32_e32 vcc, s33, v31
	s_nop 1
	v_cndmask_b32_e32 v12, 0, v18, vcc
	v_cmp_gt_i32_e32 vcc, s27, v30
	;; [unrolled: 3-line block ×3, first 2 shown]
	v_or_b32_e32 v17, v13, v11
	s_nop 0
	v_cndmask_b32_e32 v10, 0, v10, vcc
	v_or_b32_e32 v16, v10, v12
	s_branch .LBB232_40
.LBB232_191:
	s_or_b64 exec, exec, s[8:9]
.LBB232_192:
	s_or_b64 exec, exec, s[2:3]
	v_and_b32_e32 v1, 0x3c0, v0
	v_cmp_eq_u32_e32 vcc, 64, v1
	s_barrier
	s_and_saveexec_b64 s[0:1], vcc
	s_cbranch_execz .LBB232_194
; %bb.193:
	v_mov_b32_e32 v1, 0x190
	v_lshl_add_u32 v1, v24, 2, v1
	ds_write2st64_b32 v1, v2, v3 offset1:1
	ds_write_b32 v1, v25 offset:512
.LBB232_194:
	s_or_b64 exec, exec, s[0:1]
	v_cmp_gt_u32_e32 vcc, 64, v0
	s_waitcnt lgkmcnt(0)
	s_barrier
	s_and_saveexec_b64 s[0:1], vcc
	s_cbranch_execz .LBB232_196
; %bb.195:
	v_mov_b32_e32 v1, 0x190
	v_lshl_add_u32 v4, v0, 2, v1
	ds_read2st64_b32 v[0:1], v4 offset1:1
	ds_read_b32 v4, v4 offset:512
	s_waitcnt lgkmcnt(1)
	v_pk_add_f32 v[2:3], v[2:3], v[0:1]
	s_waitcnt lgkmcnt(0)
	v_add_f32_e32 v25, v25, v4
.LBB232_196:
	s_or_b64 exec, exec, s[0:1]
	s_barrier
	s_and_saveexec_b64 s[0:1], vcc
	s_cbranch_execz .LBB232_198
; %bb.197:
	s_mul_i32 s0, s16, s17
	s_mul_i32 s0, s0, s5
	s_mulk_i32 s0, 0xc0
	s_ashr_i32 s1, s0, 31
	s_lshl_b64 s[0:1], s[0:1], 1
	s_add_u32 s2, s20, s0
	s_mul_i32 s0, s17, s18
	s_addc_u32 s3, s21, s1
	s_ashr_i32 s1, s0, 31
	s_lshl_b64 s[0:1], s[0:1], 1
	s_add_u32 s2, s2, s0
	s_mul_i32 s0, s4, 0xc0
	s_addc_u32 s3, s3, s1
	s_ashr_i32 s1, s0, 31
	s_lshl_b64 s[0:1], s[0:1], 1
	s_add_u32 s0, s2, s0
	s_addc_u32 s1, s3, s1
	;;#ASMSTART
	v_cvt_f16_f32 v0, v2;

	;;#ASMEND
	global_store_short v22, v0, s[0:1]
	;;#ASMSTART
	v_cvt_f16_f32 v0, v3;

	;;#ASMEND
	global_store_short v22, v0, s[0:1] offset:128
	;;#ASMSTART
	v_cvt_f16_f32 v0, v25;

	;;#ASMEND
	global_store_short v22, v0, s[0:1] offset:256
.LBB232_198:
	s_endpgm
	.section	.rodata,"a",@progbits
	.p2align	6, 0x0
	.amdhsa_kernel _ZN4vllm25paged_attention_v1_kernelIthLi192ELi8ELi128ELNS_18Fp8KVCacheDataTypeE1ELb0EEEvPT_PKS2_PKT0_S8_ifPKiSA_iPKfiiiSC_SC_iiiii
		.amdhsa_group_segment_fixed_size 400
		.amdhsa_private_segment_fixed_size 0
		.amdhsa_kernarg_size 384
		.amdhsa_user_sgpr_count 2
		.amdhsa_user_sgpr_dispatch_ptr 0
		.amdhsa_user_sgpr_queue_ptr 0
		.amdhsa_user_sgpr_kernarg_segment_ptr 1
		.amdhsa_user_sgpr_dispatch_id 0
		.amdhsa_user_sgpr_kernarg_preload_length 0
		.amdhsa_user_sgpr_kernarg_preload_offset 0
		.amdhsa_user_sgpr_private_segment_size 0
		.amdhsa_uses_dynamic_stack 0
		.amdhsa_enable_private_segment 0
		.amdhsa_system_sgpr_workgroup_id_x 1
		.amdhsa_system_sgpr_workgroup_id_y 1
		.amdhsa_system_sgpr_workgroup_id_z 1
		.amdhsa_system_sgpr_workgroup_info 0
		.amdhsa_system_vgpr_workitem_id 0
		.amdhsa_next_free_vgpr 65
		.amdhsa_next_free_sgpr 38
		.amdhsa_accum_offset 68
		.amdhsa_reserve_vcc 1
		.amdhsa_float_round_mode_32 0
		.amdhsa_float_round_mode_16_64 0
		.amdhsa_float_denorm_mode_32 3
		.amdhsa_float_denorm_mode_16_64 3
		.amdhsa_dx10_clamp 1
		.amdhsa_ieee_mode 1
		.amdhsa_fp16_overflow 0
		.amdhsa_tg_split 0
		.amdhsa_exception_fp_ieee_invalid_op 0
		.amdhsa_exception_fp_denorm_src 0
		.amdhsa_exception_fp_ieee_div_zero 0
		.amdhsa_exception_fp_ieee_overflow 0
		.amdhsa_exception_fp_ieee_underflow 0
		.amdhsa_exception_fp_ieee_inexact 0
		.amdhsa_exception_int_div_zero 0
	.end_amdhsa_kernel
	.section	.text._ZN4vllm25paged_attention_v1_kernelIthLi192ELi8ELi128ELNS_18Fp8KVCacheDataTypeE1ELb0EEEvPT_PKS2_PKT0_S8_ifPKiSA_iPKfiiiSC_SC_iiiii,"axG",@progbits,_ZN4vllm25paged_attention_v1_kernelIthLi192ELi8ELi128ELNS_18Fp8KVCacheDataTypeE1ELb0EEEvPT_PKS2_PKT0_S8_ifPKiSA_iPKfiiiSC_SC_iiiii,comdat
.Lfunc_end232:
	.size	_ZN4vllm25paged_attention_v1_kernelIthLi192ELi8ELi128ELNS_18Fp8KVCacheDataTypeE1ELb0EEEvPT_PKS2_PKT0_S8_ifPKiSA_iPKfiiiSC_SC_iiiii, .Lfunc_end232-_ZN4vllm25paged_attention_v1_kernelIthLi192ELi8ELi128ELNS_18Fp8KVCacheDataTypeE1ELb0EEEvPT_PKS2_PKT0_S8_ifPKiSA_iPKfiiiSC_SC_iiiii
                                        ; -- End function
	.set _ZN4vllm25paged_attention_v1_kernelIthLi192ELi8ELi128ELNS_18Fp8KVCacheDataTypeE1ELb0EEEvPT_PKS2_PKT0_S8_ifPKiSA_iPKfiiiSC_SC_iiiii.num_vgpr, 65
	.set _ZN4vllm25paged_attention_v1_kernelIthLi192ELi8ELi128ELNS_18Fp8KVCacheDataTypeE1ELb0EEEvPT_PKS2_PKT0_S8_ifPKiSA_iPKfiiiSC_SC_iiiii.num_agpr, 0
	.set _ZN4vllm25paged_attention_v1_kernelIthLi192ELi8ELi128ELNS_18Fp8KVCacheDataTypeE1ELb0EEEvPT_PKS2_PKT0_S8_ifPKiSA_iPKfiiiSC_SC_iiiii.numbered_sgpr, 38
	.set _ZN4vllm25paged_attention_v1_kernelIthLi192ELi8ELi128ELNS_18Fp8KVCacheDataTypeE1ELb0EEEvPT_PKS2_PKT0_S8_ifPKiSA_iPKfiiiSC_SC_iiiii.num_named_barrier, 0
	.set _ZN4vllm25paged_attention_v1_kernelIthLi192ELi8ELi128ELNS_18Fp8KVCacheDataTypeE1ELb0EEEvPT_PKS2_PKT0_S8_ifPKiSA_iPKfiiiSC_SC_iiiii.private_seg_size, 0
	.set _ZN4vllm25paged_attention_v1_kernelIthLi192ELi8ELi128ELNS_18Fp8KVCacheDataTypeE1ELb0EEEvPT_PKS2_PKT0_S8_ifPKiSA_iPKfiiiSC_SC_iiiii.uses_vcc, 1
	.set _ZN4vllm25paged_attention_v1_kernelIthLi192ELi8ELi128ELNS_18Fp8KVCacheDataTypeE1ELb0EEEvPT_PKS2_PKT0_S8_ifPKiSA_iPKfiiiSC_SC_iiiii.uses_flat_scratch, 0
	.set _ZN4vllm25paged_attention_v1_kernelIthLi192ELi8ELi128ELNS_18Fp8KVCacheDataTypeE1ELb0EEEvPT_PKS2_PKT0_S8_ifPKiSA_iPKfiiiSC_SC_iiiii.has_dyn_sized_stack, 0
	.set _ZN4vllm25paged_attention_v1_kernelIthLi192ELi8ELi128ELNS_18Fp8KVCacheDataTypeE1ELb0EEEvPT_PKS2_PKT0_S8_ifPKiSA_iPKfiiiSC_SC_iiiii.has_recursion, 0
	.set _ZN4vllm25paged_attention_v1_kernelIthLi192ELi8ELi128ELNS_18Fp8KVCacheDataTypeE1ELb0EEEvPT_PKS2_PKT0_S8_ifPKiSA_iPKfiiiSC_SC_iiiii.has_indirect_call, 0
	.section	.AMDGPU.csdata,"",@progbits
; Kernel info:
; codeLenInByte = 11092
; TotalNumSgprs: 44
; NumVgprs: 65
; NumAgprs: 0
; TotalNumVgprs: 65
; ScratchSize: 0
; MemoryBound: 0
; FloatMode: 240
; IeeeMode: 1
; LDSByteSize: 400 bytes/workgroup (compile time only)
; SGPRBlocks: 5
; VGPRBlocks: 8
; NumSGPRsForWavesPerEU: 44
; NumVGPRsForWavesPerEU: 65
; AccumOffset: 68
; Occupancy: 7
; WaveLimiterHint : 1
; COMPUTE_PGM_RSRC2:SCRATCH_EN: 0
; COMPUTE_PGM_RSRC2:USER_SGPR: 2
; COMPUTE_PGM_RSRC2:TRAP_HANDLER: 0
; COMPUTE_PGM_RSRC2:TGID_X_EN: 1
; COMPUTE_PGM_RSRC2:TGID_Y_EN: 1
; COMPUTE_PGM_RSRC2:TGID_Z_EN: 1
; COMPUTE_PGM_RSRC2:TIDIG_COMP_CNT: 0
; COMPUTE_PGM_RSRC3_GFX90A:ACCUM_OFFSET: 16
; COMPUTE_PGM_RSRC3_GFX90A:TG_SPLIT: 0
	.section	.text._ZN4vllm25paged_attention_v1_kernelIthLi256ELi8ELi128ELNS_18Fp8KVCacheDataTypeE1ELb0EEEvPT_PKS2_PKT0_S8_ifPKiSA_iPKfiiiSC_SC_iiiii,"axG",@progbits,_ZN4vllm25paged_attention_v1_kernelIthLi256ELi8ELi128ELNS_18Fp8KVCacheDataTypeE1ELb0EEEvPT_PKS2_PKT0_S8_ifPKiSA_iPKfiiiSC_SC_iiiii,comdat
	.protected	_ZN4vllm25paged_attention_v1_kernelIthLi256ELi8ELi128ELNS_18Fp8KVCacheDataTypeE1ELb0EEEvPT_PKS2_PKT0_S8_ifPKiSA_iPKfiiiSC_SC_iiiii ; -- Begin function _ZN4vllm25paged_attention_v1_kernelIthLi256ELi8ELi128ELNS_18Fp8KVCacheDataTypeE1ELb0EEEvPT_PKS2_PKT0_S8_ifPKiSA_iPKfiiiSC_SC_iiiii
	.globl	_ZN4vllm25paged_attention_v1_kernelIthLi256ELi8ELi128ELNS_18Fp8KVCacheDataTypeE1ELb0EEEvPT_PKS2_PKT0_S8_ifPKiSA_iPKfiiiSC_SC_iiiii
	.p2align	8
	.type	_ZN4vllm25paged_attention_v1_kernelIthLi256ELi8ELi128ELNS_18Fp8KVCacheDataTypeE1ELb0EEEvPT_PKS2_PKT0_S8_ifPKiSA_iPKfiiiSC_SC_iiiii,@function
_ZN4vllm25paged_attention_v1_kernelIthLi256ELi8ELi128ELNS_18Fp8KVCacheDataTypeE1ELb0EEEvPT_PKS2_PKT0_S8_ifPKiSA_iPKfiiiSC_SC_iiiii: ; @_ZN4vllm25paged_attention_v1_kernelIthLi256ELi8ELi128ELNS_18Fp8KVCacheDataTypeE1ELb0EEEvPT_PKS2_PKT0_S8_ifPKiSA_iPKfiiiSC_SC_iiiii
; %bb.0:
	s_load_dword s5, s[0:1], 0x80
	s_load_dwordx2 s[6:7], s[0:1], 0x30
	s_load_dwordx2 s[28:29], s[0:1], 0x20
	s_mov_b32 s16, s3
	s_ashr_i32 s17, s3, 31
	s_lshl_b64 s[8:9], s[16:17], 2
	s_waitcnt lgkmcnt(0)
	s_add_u32 s6, s6, s8
	s_addc_u32 s7, s7, s9
	s_abs_i32 s3, s28
	v_cvt_f32_u32_e32 v1, s3
	s_sub_i32 s10, 0, s3
	s_abs_i32 s9, s5
	s_xor_b32 s8, s5, s28
	v_rcp_iflag_f32_e32 v1, v1
	s_ashr_i32 s8, s8, 31
	s_mov_b32 s28, 0
	v_mul_f32_e32 v1, 0x4f7ffffe, v1
	v_cvt_u32_f32_e32 v1, v1
	s_nop 0
	v_readfirstlane_b32 s11, v1
	s_mul_i32 s10, s10, s11
	s_mul_hi_u32 s10, s11, s10
	s_add_i32 s11, s11, s10
	s_mul_hi_u32 s10, s9, s11
	s_mul_i32 s11, s10, s3
	s_sub_i32 s9, s9, s11
	s_add_i32 s11, s10, 1
	s_sub_i32 s12, s9, s3
	s_cmp_ge_u32 s9, s3
	s_cselect_b32 s10, s11, s10
	s_cselect_b32 s9, s12, s9
	s_add_i32 s11, s10, 1
	s_cmp_ge_u32 s9, s3
	s_cselect_b32 s3, s11, s10
	s_xor_b32 s3, s3, s8
	s_sub_i32 s12, s3, s8
	s_abs_i32 s10, s12
	v_cvt_f32_u32_e32 v1, s10
	s_load_dwordx2 s[8:9], s[0:1], 0x40
	s_sub_i32 s3, 0, s10
	s_abs_i32 s11, s2
	v_rcp_iflag_f32_e32 v1, v1
	s_nop 0
	v_mul_f32_e32 v1, 0x4f7ffffe, v1
	v_cvt_u32_f32_e32 v1, v1
	s_nop 0
	v_readfirstlane_b32 s13, v1
	s_mul_i32 s3, s3, s13
	s_mul_hi_u32 s3, s13, s3
	s_add_i32 s13, s13, s3
	s_waitcnt lgkmcnt(0)
	s_cmp_eq_u64 s[8:9], 0
	s_mul_hi_u32 s20, s11, s13
	s_cbranch_scc1 .LBB233_2
; %bb.1:
	s_ashr_i32 s3, s2, 31
	s_lshl_b64 s[14:15], s[2:3], 2
	s_add_u32 s8, s8, s14
	s_addc_u32 s9, s9, s15
	s_load_dword s28, s[8:9], 0x0
.LBB233_2:
	s_load_dword s33, s[6:7], 0x0
	s_ashr_i32 s9, s12, 31
	s_load_dword s17, s[0:1], 0x88
	s_load_dwordx4 s[12:15], s[0:1], 0x48
	s_ashr_i32 s8, s2, 31
	s_lshl_b32 s18, s2, 8
	s_movk_i32 s2, 0x100
	v_and_b32_e32 v4, 7, v0
	v_cmp_gt_u32_e32 vcc, s2, v0
	v_lshlrev_b32_e32 v24, 1, v0
	s_and_saveexec_b64 s[2:3], vcc
	s_cbranch_execz .LBB233_5
; %bb.3:
	s_load_dwordx2 s[6:7], s[0:1], 0x8
	s_waitcnt lgkmcnt(0)
	s_mul_i32 s22, s12, s16
	s_ashr_i32 s23, s22, 31
	s_lshl_b64 s[22:23], s[22:23], 1
	v_lshrrev_b32_e32 v1, 3, v0
	s_add_u32 s12, s6, s22
	s_addc_u32 s15, s7, s23
	s_ashr_i32 s19, s18, 31
	s_lshl_b64 s[6:7], s[18:19], 1
	s_add_u32 s6, s12, s6
	s_addc_u32 s7, s15, s7
	global_load_ushort v3, v24, s[6:7]
	s_movk_i32 s12, 0x80
	v_lshlrev_b32_e32 v2, 1, v1
	v_lshl_add_u32 v2, v4, 6, v2
	v_cmp_gt_u32_e32 vcc, s12, v0
	s_waitcnt vmcnt(0)
	ds_write_b16 v2, v3
	s_and_b64 exec, exec, vcc
	s_cbranch_execz .LBB233_5
; %bb.4:
	v_lshlrev_b32_e32 v1, 4, v1
	v_lshlrev_b32_e32 v3, 1, v4
	s_movk_i32 s12, 0x100
	v_or3_b32 v1, v1, v3, s12
	global_load_ushort v1, v1, s[6:7]
	s_waitcnt vmcnt(0)
	ds_write_b16 v2, v1 offset:32
.LBB233_5:
	s_or_b64 exec, exec, s[2:3]
	s_waitcnt lgkmcnt(0)
	s_add_i32 s3, s33, 7
	s_ashr_i32 s6, s3, 31
	s_lshr_b32 s6, s6, 29
	s_add_i32 s3, s3, s6
	s_mul_i32 s6, s20, s10
	s_sub_i32 s6, s11, s6
	s_ashr_i32 s19, s3, 3
	s_xor_b32 s3, s8, s9
	s_add_i32 s7, s20, 1
	s_sub_i32 s8, s6, s10
	s_load_dwordx2 s[22:23], s[0:1], 0x28
	s_load_dword s2, s[0:1], 0x38
	s_cmp_ge_u32 s6, s10
	s_cselect_b32 s7, s7, s20
	s_cselect_b32 s6, s8, s6
	s_add_i32 s8, s7, 1
	s_cmp_ge_u32 s6, s10
	s_cselect_b32 s6, s8, s7
	v_lshrrev_b32_e32 v25, 6, v0
	s_xor_b32 s6, s6, s3
	s_waitcnt lgkmcnt(0)
	s_mul_i32 s24, s2, s16
	s_sub_i32 s12, s6, s3
	s_ashr_i32 s25, s24, 31
	v_cmp_gt_i32_e64 s[6:7], s19, v25
	v_cmp_le_i32_e32 vcc, s19, v25
	v_mbcnt_lo_u32_b32 v8, -1, 0
	s_barrier
                                        ; implicit-def: $vgpr2
                                        ; implicit-def: $vgpr11
                                        ; implicit-def: $vgpr10
	s_and_saveexec_b64 s[2:3], vcc
	s_xor_b64 s[2:3], exec, s[2:3]
; %bb.6:
	v_mbcnt_hi_u32_b32 v2, -1, v8
	v_and_b32_e32 v11, 64, v2
	v_add_u32_e32 v10, 64, v11
                                        ; implicit-def: $vgpr4
                                        ; implicit-def: $vgpr8
; %bb.7:
	s_or_saveexec_b64 s[30:31], s[2:3]
	s_load_dwordx2 s[20:21], s[0:1], 0x0
	s_load_dwordx2 s[26:27], s[0:1], 0x18
	s_load_dwordx4 s[8:11], s[0:1], 0x58
	v_mov_b32_e32 v12, 0xff7fffff
	s_mul_i32 s12, s12, s14
	v_lshrrev_b32_e32 v1, 4, v0
	s_xor_b64 exec, exec, s[30:31]
	s_cbranch_execz .LBB233_13
; %bb.8:
	s_load_dwordx2 s[0:1], s[0:1], 0x10
	s_ashr_i32 s2, s12, 31
	v_bfe_u32 v9, v0, 3, 3
	v_lshlrev_b32_e32 v2, 4, v9
	v_mov_b32_e32 v3, 0
	s_waitcnt lgkmcnt(0)
	s_add_u32 s0, s0, s12
	s_addc_u32 s1, s1, s2
	v_lshl_add_u64 v[6:7], s[0:1], 0, v[2:3]
	s_sub_i32 s37, 1, s33
	v_lshlrev_b32_e32 v2, 2, v9
	s_lshl_b64 s[0:1], s[24:25], 2
	v_lshl_or_b32 v2, v25, 5, v2
	s_add_u32 s0, s22, s0
	v_mov_b32_e32 v5, v3
	v_add_u32_e32 v15, 0x210, v2
	v_and_b32_e32 v2, 60, v1
	s_addc_u32 s1, s23, s1
	v_lshlrev_b32_e32 v13, 6, v4
	v_cmp_eq_u32_e32 vcc, 0, v4
	v_lshl_add_u64 v[4:5], v[6:7], 0, v[4:5]
	v_lshl_add_u64 v[6:7], s[0:1], 0, v[2:3]
	v_mbcnt_hi_u32_b32 v2, -1, v8
	v_and_b32_e32 v11, 64, v2
	s_mov_b32 s36, s13
	v_cmp_neq_f32_e64 s[2:3], s28, 0
	v_lshl_or_b32 v14, v25, 3, v9
	v_mov_b32_e32 v12, 0xff7fffff
	s_mov_b64 s[14:15], 0
	v_add_u32_e32 v10, 64, v11
	v_xor_b32_e32 v16, 4, v2
	v_xor_b32_e32 v17, 2, v2
	;; [unrolled: 1-line block ×3, first 2 shown]
	v_mov_b32_e32 v19, v25
	s_branch .LBB233_10
.LBB233_9:                              ;   in Loop: Header=BB233_10 Depth=1
	s_or_b64 exec, exec, s[34:35]
	v_add_u32_e32 v19, 2, v19
	v_cmp_le_i32_e64 s[0:1], s19, v19
	v_add_u32_e32 v14, 16, v14
	v_add_u32_e32 v15, 64, v15
	s_or_b64 s[14:15], s[0:1], s[14:15]
	v_lshl_add_u64 v[6:7], v[6:7], 0, 8
	s_andn2_b64 exec, exec, s[14:15]
	s_cbranch_execz .LBB233_12
.LBB233_10:                             ; =>This Inner Loop Header: Depth=1
	global_load_dword v8, v[6:7], off
	s_waitcnt vmcnt(0) lgkmcnt(0)
	v_mad_i64_i32 v[8:9], s[0:1], v8, s36, v[4:5]
	global_load_ubyte v38, v[8:9], off
	global_load_ubyte v41, v[8:9], off offset:8
	global_load_ubyte v40, v[8:9], off offset:128
	global_load_ubyte v42, v[8:9], off offset:136
	global_load_ubyte v39, v[8:9], off offset:256
	global_load_dword v20, v3, s[8:9]
	global_load_ubyte v37, v[8:9], off offset:264
	global_load_ubyte v36, v[8:9], off offset:384
	;; [unrolled: 1-line block ×16, first 2 shown]
	ds_read_u16 v55, v13
	global_load_ubyte v45, v[8:9], off offset:1288
	global_load_ubyte v46, v[8:9], off offset:1408
	;; [unrolled: 1-line block ×11, first 2 shown]
	s_waitcnt lgkmcnt(0)
	;;#ASMSTART
	v_cvt_f32_f16 v9, v55;
	;;#ASMEND
	v_cmp_lt_i32_e64 s[0:1], v16, v10
	s_waitcnt vmcnt(32)
	v_cvt_f32_fp8_e32 v8, v38
	s_waitcnt vmcnt(31)
	v_cvt_f32_fp8_e32 v38, v41
	;; [unrolled: 2-line block ×5, first 2 shown]
	s_waitcnt vmcnt(27)
	v_fma_mixlo_f16 v8, v20, v8, 0
	v_and_b32_e32 v8, 0xffff, v8
	;;#ASMSTART
	v_cvt_f32_f16 v42, v8;
	;;#ASMEND
	s_waitcnt vmcnt(26)
	v_cvt_f32_fp8_e32 v8, v37
	v_fma_mixlo_f16 v37, v20, v38, 0
	ds_read_u16 v55, v13 offset:2
	v_and_b32_e32 v38, 0xffff, v37
	v_fma_mixlo_f16 v40, v20, v40, 0
	s_waitcnt vmcnt(25)
	v_cvt_f32_fp8_e32 v36, v36
	s_waitcnt lgkmcnt(0)
	;;#ASMSTART
	v_cvt_f32_f16 v37, v55;
	;;#ASMEND
	;;#ASMSTART
	v_cvt_f32_f16 v38, v38;
	;;#ASMEND
	ds_read_u16 v55, v13 offset:4
	v_and_b32_e32 v56, 0xffff, v40
	v_fma_mixlo_f16 v41, v20, v41, 0
	s_waitcnt lgkmcnt(0)
	;;#ASMSTART
	v_cvt_f32_f16 v40, v55;
	;;#ASMEND
	;;#ASMSTART
	v_cvt_f32_f16 v55, v56;
	;;#ASMEND
	ds_read_u16 v56, v13 offset:6
	v_and_b32_e32 v57, 0xffff, v41
	v_fma_mixlo_f16 v39, v20, v39, 0
	s_waitcnt vmcnt(24)
	v_cvt_f32_fp8_e32 v35, v35
	s_waitcnt lgkmcnt(0)
	;;#ASMSTART
	v_cvt_f32_f16 v41, v56;
	;;#ASMEND
	;;#ASMSTART
	v_cvt_f32_f16 v56, v57;
	;;#ASMEND
	ds_read_u16 v57, v13 offset:8
	v_and_b32_e32 v58, 0xffff, v39
	v_fma_mixlo_f16 v8, v20, v8, 0
	s_waitcnt lgkmcnt(0)
	;;#ASMSTART
	v_cvt_f32_f16 v39, v57;
	;;#ASMEND
	;;#ASMSTART
	v_cvt_f32_f16 v57, v58;
	;;#ASMEND
	ds_read_u16 v58, v13 offset:10
	v_and_b32_e32 v8, 0xffff, v8
	s_waitcnt lgkmcnt(0)
	;;#ASMSTART
	v_cvt_f32_f16 v58, v58;
	;;#ASMEND
	;;#ASMSTART
	v_cvt_f32_f16 v59, v8;
	;;#ASMEND
	v_fma_mixlo_f16 v8, v20, v36, 0
	ds_read_u16 v60, v13 offset:12
	v_and_b32_e32 v8, 0xffff, v8
	s_waitcnt lgkmcnt(0)
	;;#ASMSTART
	v_cvt_f32_f16 v36, v60;
	;;#ASMEND
	;;#ASMSTART
	v_cvt_f32_f16 v60, v8;
	;;#ASMEND
	v_fma_mixlo_f16 v8, v20, v35, 0
	v_and_b32_e32 v62, 0xffff, v8
	v_mul_f32_e32 v8, v37, v38
	v_fmac_f32_e32 v8, v9, v42
	s_waitcnt vmcnt(23)
	v_cvt_f32_fp8_e32 v34, v34
	v_fmac_f32_e32 v8, v40, v55
	s_waitcnt vmcnt(22)
	v_cvt_f32_fp8_e32 v33, v33
	;; [unrolled: 3-line block ×4, first 2 shown]
	v_fmac_f32_e32 v8, v58, v59
	v_fma_mixlo_f16 v34, v20, v34, 0
	v_fmac_f32_e32 v8, v36, v60
	s_waitcnt vmcnt(19)
	v_cvt_f32_fp8_e32 v30, v30
	s_waitcnt vmcnt(18)
	v_cvt_f32_fp8_e32 v29, v29
	ds_read_u16 v61, v13 offset:14
	s_waitcnt lgkmcnt(0)
	;;#ASMSTART
	v_cvt_f32_f16 v35, v61;
	;;#ASMEND
	;;#ASMSTART
	v_cvt_f32_f16 v37, v62;
	;;#ASMEND
	ds_read_u16 v38, v13 offset:16
	v_and_b32_e32 v34, 0xffff, v34
	v_fma_mixlo_f16 v33, v20, v33, 0
	v_fmac_f32_e32 v8, v35, v37
	s_waitcnt lgkmcnt(0)
	;;#ASMSTART
	v_cvt_f32_f16 v9, v38;
	;;#ASMEND
	;;#ASMSTART
	v_cvt_f32_f16 v34, v34;
	;;#ASMEND
	ds_read_u16 v42, v13 offset:18
	s_waitcnt vmcnt(11)
	v_cvt_f32_fp8_e32 v38, v44
	v_and_b32_e32 v44, 0xffff, v33
	v_fma_mixlo_f16 v32, v20, v32, 0
	v_fmac_f32_e32 v8, v9, v34
	v_cvt_f32_fp8_e32 v28, v28
	v_cvt_f32_fp8_e32 v27, v27
	s_waitcnt lgkmcnt(0)
	;;#ASMSTART
	v_cvt_f32_f16 v33, v42;
	;;#ASMEND
	;;#ASMSTART
	v_cvt_f32_f16 v42, v44;
	;;#ASMEND
	s_waitcnt vmcnt(10)
	v_cvt_f32_fp8_e32 v44, v45
	v_and_b32_e32 v45, 0xffff, v32
	v_fma_mixlo_f16 v31, v20, v31, 0
	v_fmac_f32_e32 v8, v33, v42
	ds_read_u16 v61, v13 offset:20
	s_waitcnt lgkmcnt(0)
	;;#ASMSTART
	v_cvt_f32_f16 v32, v61;
	;;#ASMEND
	;;#ASMSTART
	v_cvt_f32_f16 v40, v45;
	;;#ASMEND
	ds_read_u16 v55, v13 offset:22
	s_waitcnt vmcnt(9)
	v_cvt_f32_fp8_e32 v45, v46
	s_waitcnt vmcnt(8)
	v_cvt_f32_fp8_e32 v46, v47
	v_and_b32_e32 v47, 0xffff, v31
	v_fmac_f32_e32 v8, v32, v40
	v_cvt_f32_fp8_e32 v26, v26
	v_cvt_f32_fp8_e32 v23, v23
	s_waitcnt lgkmcnt(0)
	;;#ASMSTART
	v_cvt_f32_f16 v31, v55;
	;;#ASMEND
	;;#ASMSTART
	v_cvt_f32_f16 v47, v47;
	;;#ASMEND
	ds_read_u16 v55, v13 offset:24
	v_fma_mixlo_f16 v30, v20, v30, 0
	v_fma_mixlo_f16 v29, v20, v29, 0
	v_fmac_f32_e32 v8, v31, v47
	v_and_b32_e32 v61, 0xffff, v30
	s_waitcnt lgkmcnt(0)
	;;#ASMSTART
	v_cvt_f32_f16 v30, v55;
	;;#ASMEND
	;;#ASMSTART
	v_cvt_f32_f16 v41, v61;
	;;#ASMEND
	ds_read_u16 v55, v13 offset:26
	v_and_b32_e32 v56, 0xffff, v29
	v_fmac_f32_e32 v8, v30, v41
	v_cvt_f32_fp8_e32 v22, v22
	s_waitcnt lgkmcnt(0)
	;;#ASMSTART
	v_cvt_f32_f16 v29, v55;
	;;#ASMEND
	;;#ASMSTART
	v_cvt_f32_f16 v55, v56;
	;;#ASMEND
	ds_read_u16 v56, v13 offset:28
	v_fma_mixlo_f16 v28, v20, v28, 0
	v_fma_mixlo_f16 v27, v20, v27, 0
	v_fmac_f32_e32 v8, v29, v55
	v_cvt_f32_fp8_e32 v21, v21
	v_and_b32_e32 v61, 0xffff, v28
	s_waitcnt lgkmcnt(0)
	;;#ASMSTART
	v_cvt_f32_f16 v28, v56;
	;;#ASMEND
	;;#ASMSTART
	v_cvt_f32_f16 v39, v61;
	;;#ASMEND
	ds_read_u16 v56, v13 offset:30
	v_and_b32_e32 v57, 0xffff, v27
	v_fmac_f32_e32 v8, v28, v39
	s_waitcnt lgkmcnt(0)
	;;#ASMSTART
	v_cvt_f32_f16 v27, v56;
	;;#ASMEND
	;;#ASMSTART
	v_cvt_f32_f16 v56, v57;
	;;#ASMEND
	ds_read_u16 v57, v13 offset:32
	v_fma_mixlo_f16 v26, v20, v26, 0
	v_fma_mixlo_f16 v23, v20, v23, 0
	v_fmac_f32_e32 v8, v27, v56
	s_waitcnt vmcnt(5)
	v_cvt_f32_fp8_e32 v50, v50
	s_waitcnt vmcnt(4)
	v_cvt_f32_fp8_e32 v51, v51
	;; [unrolled: 2-line block ×3, first 2 shown]
	v_and_b32_e32 v61, 0xffff, v26
	s_waitcnt lgkmcnt(0)
	;;#ASMSTART
	v_cvt_f32_f16 v26, v57;
	;;#ASMEND
	;;#ASMSTART
	v_cvt_f32_f16 v57, v61;
	;;#ASMEND
	ds_read_u16 v58, v13 offset:34
	v_and_b32_e32 v59, 0xffff, v23
	v_fmac_f32_e32 v8, v26, v57
	v_fma_mixlo_f16 v22, v20, v22, 0
	s_waitcnt lgkmcnt(0)
	;;#ASMSTART
	v_cvt_f32_f16 v23, v58;
	;;#ASMEND
	;;#ASMSTART
	v_cvt_f32_f16 v58, v59;
	;;#ASMEND
	ds_read_u16 v59, v13 offset:36
	v_fmac_f32_e32 v8, v23, v58
	v_cvt_f32_fp8_e32 v48, v48
	v_cvt_f32_fp8_e32 v49, v49
	s_waitcnt vmcnt(2)
	v_cvt_f32_fp8_e32 v53, v53
	s_waitcnt vmcnt(1)
	;; [unrolled: 2-line block ×3, first 2 shown]
	v_cvt_f32_fp8_e32 v43, v43
	v_fma_mixlo_f16 v21, v20, v21, 0
	v_fma_mixlo_f16 v38, v20, v38, 0
	v_and_b32_e32 v61, 0xffff, v22
	s_waitcnt lgkmcnt(0)
	;;#ASMSTART
	v_cvt_f32_f16 v22, v59;
	;;#ASMEND
	;;#ASMSTART
	v_cvt_f32_f16 v36, v61;
	;;#ASMEND
	ds_read_u16 v59, v13 offset:38
	v_fmac_f32_e32 v8, v22, v36
	v_fma_mixlo_f16 v44, v20, v44, 0
	v_and_b32_e32 v60, 0xffff, v21
	s_waitcnt lgkmcnt(0)
	;;#ASMSTART
	v_cvt_f32_f16 v21, v59;
	;;#ASMEND
	;;#ASMSTART
	v_cvt_f32_f16 v59, v60;
	;;#ASMEND
	v_and_b32_e32 v38, 0xffff, v38
	v_fmac_f32_e32 v8, v21, v59
	v_fma_mixlo_f16 v45, v20, v45, 0
	ds_read_u16 v60, v13 offset:40
	s_waitcnt lgkmcnt(0)
	;;#ASMSTART
	v_cvt_f32_f16 v35, v60;
	;;#ASMEND
	;;#ASMSTART
	v_cvt_f32_f16 v37, v38;
	;;#ASMEND
	v_fma_mixlo_f16 v38, v20, v50, 0
	v_fma_mixlo_f16 v50, v20, v51, 0
	;; [unrolled: 1-line block ×3, first 2 shown]
	v_and_b32_e32 v52, 0xffff, v44
	v_fmac_f32_e32 v8, v35, v37
	ds_read_u16 v60, v13 offset:42
	s_waitcnt lgkmcnt(0)
	;;#ASMSTART
	v_cvt_f32_f16 v44, v60;
	;;#ASMEND
	;;#ASMSTART
	v_cvt_f32_f16 v52, v52;
	;;#ASMEND
	v_and_b32_e32 v45, 0xffff, v45
	v_fmac_f32_e32 v8, v44, v52
	v_fma_mixlo_f16 v46, v20, v46, 0
	v_fma_mixlo_f16 v48, v20, v48, 0
	;; [unrolled: 1-line block ×3, first 2 shown]
	ds_read_u16 v60, v13 offset:44
	v_fma_mixlo_f16 v53, v20, v53, 0
	v_fma_mixlo_f16 v54, v20, v54, 0
	v_fma_mixlo_f16 v20, v20, v43, 0
	s_waitcnt lgkmcnt(0)
	;;#ASMSTART
	v_cvt_f32_f16 v43, v60;
	;;#ASMEND
	;;#ASMSTART
	v_cvt_f32_f16 v45, v45;
	;;#ASMEND
	ds_read_u16 v60, v13 offset:46
	v_fmac_f32_e32 v8, v43, v45
	v_and_b32_e32 v46, 0xffff, v46
	s_waitcnt lgkmcnt(0)
	;;#ASMSTART
	v_cvt_f32_f16 v9, v60;
	;;#ASMEND
	;;#ASMSTART
	v_cvt_f32_f16 v34, v46;
	;;#ASMEND
	v_and_b32_e32 v48, 0xffff, v48
	v_fmac_f32_e32 v8, v9, v34
	ds_read_u16 v60, v13 offset:48
	s_waitcnt lgkmcnt(0)
	;;#ASMSTART
	v_cvt_f32_f16 v33, v60;
	;;#ASMEND
	;;#ASMSTART
	v_cvt_f32_f16 v42, v48;
	;;#ASMEND
	ds_read_u16 v48, v13 offset:50
	v_fmac_f32_e32 v8, v33, v42
	v_and_b32_e32 v49, 0xffff, v49
	v_and_b32_e32 v60, 0xffff, v38
	s_waitcnt lgkmcnt(0)
	;;#ASMSTART
	v_cvt_f32_f16 v38, v48;
	;;#ASMEND
	;;#ASMSTART
	v_cvt_f32_f16 v48, v49;
	;;#ASMEND
	ds_read_u16 v49, v13 offset:52
	v_fmac_f32_e32 v8, v38, v48
	v_and_b32_e32 v61, 0xffff, v20
	s_waitcnt lgkmcnt(0)
	;;#ASMSTART
	v_cvt_f32_f16 v20, v49;
	;;#ASMEND
	;;#ASMSTART
	v_cvt_f32_f16 v32, v60;
	;;#ASMEND
	v_and_b32_e32 v50, 0xffff, v50
	v_fmac_f32_e32 v8, v20, v32
	ds_read_u16 v40, v13 offset:54
	s_waitcnt lgkmcnt(0)
	;;#ASMSTART
	v_cvt_f32_f16 v28, v40;
	;;#ASMEND
	;;#ASMSTART
	v_cvt_f32_f16 v29, v50;
	;;#ASMEND
	v_and_b32_e32 v51, 0xffff, v51
	v_fmac_f32_e32 v8, v28, v29
	ds_read_u16 v30, v13 offset:56
	s_waitcnt lgkmcnt(0)
	;;#ASMSTART
	v_cvt_f32_f16 v22, v30;
	;;#ASMEND
	;;#ASMSTART
	v_cvt_f32_f16 v23, v51;
	;;#ASMEND
	ds_read_u16 v26, v13 offset:58
	v_fmac_f32_e32 v8, v22, v23
	v_and_b32_e32 v53, 0xffff, v53
	s_waitcnt lgkmcnt(0)
	;;#ASMSTART
	v_cvt_f32_f16 v21, v26;
	;;#ASMEND
	;;#ASMSTART
	v_cvt_f32_f16 v26, v53;
	;;#ASMEND
	v_cndmask_b32_e64 v46, v2, v16, s[0:1]
	v_fmac_f32_e32 v8, v21, v26
	v_and_b32_e32 v54, 0xffff, v54
	ds_read_u16 v27, v13 offset:60
	s_waitcnt lgkmcnt(0)
	;;#ASMSTART
	v_cvt_f32_f16 v9, v27;
	;;#ASMEND
	;;#ASMSTART
	v_cvt_f32_f16 v20, v54;
	;;#ASMEND
	v_lshlrev_b32_e32 v46, 2, v46
	v_fmac_f32_e32 v8, v9, v20
	ds_read_u16 v27, v13 offset:62
	s_waitcnt lgkmcnt(0)
	;;#ASMSTART
	v_cvt_f32_f16 v9, v27;
	;;#ASMEND
	;;#ASMSTART
	v_cvt_f32_f16 v20, v61;
	;;#ASMEND
	v_cmp_lt_i32_e64 s[0:1], v17, v10
	v_fmac_f32_e32 v8, v9, v20
	ds_bpermute_b32 v9, v46, v8
	v_cndmask_b32_e64 v20, v2, v17, s[0:1]
	v_lshlrev_b32_e32 v20, 2, v20
	v_cmp_lt_i32_e64 s[0:1], v18, v10
	s_waitcnt lgkmcnt(0)
	v_add_f32_e32 v8, v8, v9
	ds_bpermute_b32 v9, v20, v8
	v_cndmask_b32_e64 v20, v2, v18, s[0:1]
	s_waitcnt lgkmcnt(0)
	v_add_f32_e32 v8, v8, v9
	v_lshlrev_b32_e32 v9, 2, v20
	ds_bpermute_b32 v9, v9, v8
	s_and_saveexec_b64 s[34:35], vcc
	s_cbranch_execz .LBB233_9
; %bb.11:                               ;   in Loop: Header=BB233_10 Depth=1
	v_add_u32_e32 v20, s37, v14
	v_cvt_f32_i32_e32 v20, v20
	s_waitcnt lgkmcnt(0)
	v_add_f32_e32 v8, v8, v9
	v_cmp_gt_i32_e64 s[0:1], s33, v14
	v_max_f32_e32 v9, v12, v12
	v_mul_f32_e32 v20, s28, v20
	v_cndmask_b32_e64 v20, 0, v20, s[2:3]
	v_fmac_f32_e32 v20, s29, v8
	v_cndmask_b32_e64 v8, 0, v20, s[0:1]
	ds_write_b32 v15, v8
	v_max_f32_e32 v8, v9, v20
	v_cndmask_b32_e64 v12, v12, v8, s[0:1]
	s_branch .LBB233_9
.LBB233_12:
	s_or_b64 exec, exec, s[14:15]
.LBB233_13:
	s_or_b64 exec, exec, s[30:31]
	v_xor_b32_e32 v3, 32, v2
	v_cmp_lt_i32_e32 vcc, v3, v10
	v_xor_b32_e32 v6, 16, v2
	v_max_f32_e32 v5, v12, v12
	v_cndmask_b32_e32 v3, v2, v3, vcc
	v_lshlrev_b32_e32 v4, 2, v3
	ds_bpermute_b32 v3, v4, v12
	v_cmp_lt_i32_e32 vcc, v6, v10
	v_xor_b32_e32 v7, 8, v2
	v_and_b32_e32 v26, 63, v0
	s_waitcnt lgkmcnt(0)
	v_max_f32_e32 v3, v3, v3
	v_max_f32_e32 v3, v5, v3
	v_cndmask_b32_e32 v5, v2, v6, vcc
	v_lshlrev_b32_e32 v6, 2, v5
	ds_bpermute_b32 v5, v6, v3
	v_cmp_lt_i32_e32 vcc, v7, v10
	s_waitcnt lgkmcnt(0)
	v_max_f32_e32 v5, v5, v5
	v_max_f32_e32 v5, v3, v5
	v_cndmask_b32_e32 v3, v2, v7, vcc
	v_lshlrev_b32_e32 v8, 2, v3
	ds_bpermute_b32 v7, v8, v5
	v_cmp_eq_u32_e32 vcc, 0, v26
	v_lshlrev_b32_e32 v3, 2, v25
	s_and_saveexec_b64 s[0:1], vcc
	s_cbranch_execz .LBB233_15
; %bb.14:
	s_waitcnt lgkmcnt(0)
	v_max_f32_e32 v7, v7, v7
	v_max_f32_e32 v5, v5, v5
	;; [unrolled: 1-line block ×3, first 2 shown]
	ds_write_b32 v3, v5 offset:512
.LBB233_15:
	s_or_b64 exec, exec, s[0:1]
	v_cmp_gt_u32_e64 s[0:1], 2, v26
	v_mov_b32_e32 v9, 0xff7fffff
	v_lshlrev_b32_e32 v5, 2, v26
	s_waitcnt lgkmcnt(0)
	s_barrier
	s_and_saveexec_b64 s[2:3], s[0:1]
; %bb.16:
	ds_read_b32 v9, v5 offset:512
; %bb.17:
	s_or_b64 exec, exec, s[2:3]
	v_xor_b32_e32 v7, 1, v2
	v_cmp_lt_i32_e64 s[2:3], v7, v10
	v_lshlrev_b32_e32 v11, 2, v11
	s_nop 0
	v_cndmask_b32_e64 v7, v2, v7, s[2:3]
	v_lshlrev_b32_e32 v7, 2, v7
	s_waitcnt lgkmcnt(0)
	ds_bpermute_b32 v12, v7, v9
	v_max_f32_e32 v9, v9, v9
	s_lshl_b32 s2, s19, 3
	s_min_i32 s30, s2, s33
	v_cmp_gt_i32_e64 s[2:3], s30, v0
	s_waitcnt lgkmcnt(0)
	v_max_f32_e32 v12, v12, v12
	v_max_f32_e32 v9, v9, v12
	ds_bpermute_b32 v11, v11, v9
	v_mov_b32_e32 v9, 0
	s_and_saveexec_b64 s[14:15], s[2:3]
	s_cbranch_execz .LBB233_21
; %bb.18:
	v_mov_b32_e32 v9, 0x210
	v_lshl_add_u32 v12, v0, 2, v9
	v_mov_b32_e32 v9, 0
	s_mov_b64 s[28:29], 0
	v_mov_b32_e32 v13, v0
.LBB233_19:                             ; =>This Inner Loop Header: Depth=1
	ds_read_b32 v14, v12
	v_add_u32_e32 v13, 0x80, v13
	v_cmp_le_i32_e64 s[8:9], s30, v13
	s_or_b64 s[28:29], s[8:9], s[28:29]
	s_waitcnt lgkmcnt(0)
	v_sub_f32_e32 v14, v14, v11
	v_mul_f32_e32 v14, 0x3fb8aa3b, v14
	v_exp_f32_e32 v14, v14
	ds_write_b32 v12, v14
	v_add_f32_e32 v9, v9, v14
	v_add_u32_e32 v12, 0x200, v12
	s_andn2_b64 exec, exec, s[28:29]
	s_cbranch_execnz .LBB233_19
; %bb.20:
	s_or_b64 exec, exec, s[28:29]
.LBB233_21:
	s_or_b64 exec, exec, s[14:15]
	ds_bpermute_b32 v4, v4, v9
	s_waitcnt lgkmcnt(0)
	v_add_f32_e32 v4, v9, v4
	ds_bpermute_b32 v6, v6, v4
	s_waitcnt lgkmcnt(0)
	v_add_f32_e32 v4, v4, v6
	ds_bpermute_b32 v6, v8, v4
	v_xor_b32_e32 v8, 4, v2
	v_cmp_lt_i32_e64 s[8:9], v8, v10
	s_waitcnt lgkmcnt(0)
	v_add_f32_e32 v4, v4, v6
	v_cndmask_b32_e64 v8, v2, v8, s[8:9]
	v_lshlrev_b32_e32 v8, 2, v8
	ds_bpermute_b32 v6, v8, v4
	v_xor_b32_e32 v8, 2, v2
	v_cmp_lt_i32_e64 s[8:9], v8, v10
	s_waitcnt lgkmcnt(0)
	v_add_f32_e32 v4, v4, v6
	v_cndmask_b32_e64 v8, v2, v8, s[8:9]
	v_lshlrev_b32_e32 v6, 2, v8
	ds_bpermute_b32 v6, v6, v4
	s_waitcnt lgkmcnt(0)
	v_add_f32_e32 v4, v4, v6
	ds_bpermute_b32 v6, v7, v4
	s_waitcnt lgkmcnt(0)
	v_add_f32_e32 v4, v4, v6
	s_and_saveexec_b64 s[8:9], vcc
; %bb.22:
	ds_write_b32 v3, v4 offset:520
; %bb.23:
	s_or_b64 exec, exec, s[8:9]
	s_waitcnt lgkmcnt(0)
	s_barrier
	s_and_saveexec_b64 s[8:9], s[0:1]
; %bb.24:
	ds_read_b32 v4, v5 offset:520
; %bb.25:
	s_or_b64 exec, exec, s[8:9]
	s_waitcnt lgkmcnt(0)
	ds_bpermute_b32 v3, v7, v4
	v_lshlrev_b32_e32 v2, 2, v2
	v_and_b32_e32 v2, 0xffffff00, v2
	s_waitcnt lgkmcnt(0)
	v_add_f32_e32 v3, v4, v3
	ds_bpermute_b32 v2, v2, v3
	s_and_saveexec_b64 s[0:1], s[2:3]
	s_cbranch_execz .LBB233_38
; %bb.26:
	s_waitcnt lgkmcnt(0)
	v_add_f32_e32 v2, 0x358637bd, v2
	v_div_scale_f32 v3, s[2:3], v2, v2, 1.0
	v_rcp_f32_e32 v4, v3
	v_div_scale_f32 v5, vcc, 1.0, v2, 1.0
	s_movk_i32 s2, 0x7f
	v_fma_f32 v6, -v3, v4, 1.0
	v_fmac_f32_e32 v4, v6, v4
	v_mul_f32_e32 v6, v5, v4
	v_fma_f32 v7, -v3, v6, v5
	v_fmac_f32_e32 v6, v7, v4
	v_fma_f32 v3, -v3, v6, v5
	v_div_fmas_f32 v3, v3, v4, v6
	v_xad_u32 v4, v0, -1, s30
	v_div_fixup_f32 v2, v3, v2, 1.0
	v_cmp_lt_u32_e32 vcc, s2, v4
	s_mov_b64 s[8:9], -1
	v_mov_b32_e32 v3, v0
	s_and_saveexec_b64 s[2:3], vcc
	s_cbranch_execz .LBB233_35
; %bb.27:
	v_lshrrev_b32_e32 v4, 7, v4
	v_add_u32_e32 v6, -1, v4
	v_lshrrev_b32_e32 v5, 1, v6
	v_mov_b32_e32 v3, v2
	v_add_u32_e32 v5, 1, v5
	v_cmp_lt_u32_e32 vcc, 13, v6
	v_mov_b32_e32 v8, 0
	s_and_saveexec_b64 s[8:9], vcc
	s_cbranch_execz .LBB233_31
; %bb.28:
	v_mov_b32_e32 v7, 0x210
	v_and_b32_e32 v6, -8, v5
	v_lshl_add_u32 v7, v0, 2, v7
	s_mov_b32 s28, 0
	s_mov_b64 s[14:15], 0
.LBB233_29:                             ; =>This Inner Loop Header: Depth=1
	ds_read2st64_b32 v[8:9], v7 offset1:2
	ds_read2st64_b32 v[10:11], v7 offset0:4 offset1:6
	ds_read2st64_b32 v[12:13], v7 offset0:8 offset1:10
	;; [unrolled: 1-line block ×3, first 2 shown]
	v_add_u32_e32 v6, -8, v6
	s_waitcnt lgkmcnt(3)
	v_pk_mul_f32 v[8:9], v[2:3], v[8:9]
	s_waitcnt lgkmcnt(2)
	v_pk_mul_f32 v[10:11], v[2:3], v[10:11]
	ds_write2st64_b32 v7, v8, v9 offset1:2
	ds_write2st64_b32 v7, v10, v11 offset0:4 offset1:6
	ds_read2st64_b32 v[10:11], v7 offset0:16 offset1:18
	s_waitcnt lgkmcnt(4)
	v_pk_mul_f32 v[8:9], v[2:3], v[12:13]
	ds_write2st64_b32 v7, v8, v9 offset0:8 offset1:10
	s_waitcnt lgkmcnt(4)
	v_pk_mul_f32 v[8:9], v[2:3], v[14:15]
	ds_write2st64_b32 v7, v8, v9 offset0:12 offset1:14
	ds_read2st64_b32 v[8:9], v7 offset0:20 offset1:22
	s_waitcnt lgkmcnt(3)
	v_pk_mul_f32 v[10:11], v[2:3], v[10:11]
	ds_read2st64_b32 v[12:13], v7 offset0:24 offset1:26
	ds_write2st64_b32 v7, v10, v11 offset0:16 offset1:18
	ds_read2st64_b32 v[10:11], v7 offset0:28 offset1:30
	s_waitcnt lgkmcnt(3)
	v_pk_mul_f32 v[8:9], v[2:3], v[8:9]
	ds_write2st64_b32 v7, v8, v9 offset0:20 offset1:22
	s_waitcnt lgkmcnt(3)
	v_pk_mul_f32 v[8:9], v[2:3], v[12:13]
	ds_write2st64_b32 v7, v8, v9 offset0:24 offset1:26
	s_waitcnt lgkmcnt(2)
	v_pk_mul_f32 v[8:9], v[2:3], v[10:11]
	s_add_i32 s28, s28, 16
	v_cmp_eq_u32_e32 vcc, 0, v6
	ds_write2st64_b32 v7, v8, v9 offset0:28 offset1:30
	v_add_u32_e32 v7, 0x2000, v7
	s_or_b64 s[14:15], vcc, s[14:15]
	v_mov_b32_e32 v8, s28
	s_andn2_b64 exec, exec, s[14:15]
	s_cbranch_execnz .LBB233_29
; %bb.30:
	s_or_b64 exec, exec, s[14:15]
.LBB233_31:
	s_or_b64 exec, exec, s[8:9]
	v_and_b32_e32 v5, 7, v5
	v_cmp_ne_u32_e32 vcc, 0, v5
	s_and_saveexec_b64 s[8:9], vcc
	s_cbranch_execz .LBB233_34
; %bb.32:
	v_lshlrev_b32_e32 v6, 9, v8
	v_lshlrev_b32_e32 v7, 2, v0
	s_movk_i32 s14, 0x210
	v_add3_u32 v6, v6, v7, s14
	s_mov_b64 s[14:15], 0
.LBB233_33:                             ; =>This Inner Loop Header: Depth=1
	ds_read2st64_b32 v[8:9], v6 offset1:2
	v_add_u32_e32 v5, -1, v5
	v_cmp_eq_u32_e32 vcc, 0, v5
	s_or_b64 s[14:15], vcc, s[14:15]
	s_waitcnt lgkmcnt(0)
	v_pk_mul_f32 v[8:9], v[2:3], v[8:9]
	ds_write2st64_b32 v6, v8, v9 offset1:2
	v_add_u32_e32 v6, 0x400, v6
	s_andn2_b64 exec, exec, s[14:15]
	s_cbranch_execnz .LBB233_33
.LBB233_34:
	s_or_b64 exec, exec, s[8:9]
	v_add_u32_e32 v4, 1, v4
	v_and_b32_e32 v5, 0x3fffffe, v4
	v_cmp_ne_u32_e32 vcc, v4, v5
	v_lshl_add_u32 v3, v5, 7, v0
	s_orn2_b64 s[8:9], vcc, exec
.LBB233_35:
	s_or_b64 exec, exec, s[2:3]
	s_and_b64 exec, exec, s[8:9]
	s_cbranch_execz .LBB233_38
; %bb.36:
	v_mov_b32_e32 v4, 0x210
	v_lshl_add_u32 v4, v3, 2, v4
	s_mov_b64 s[2:3], 0
.LBB233_37:                             ; =>This Inner Loop Header: Depth=1
	ds_read_b32 v5, v4
	v_add_u32_e32 v3, 0x80, v3
	v_cmp_le_i32_e32 vcc, s30, v3
	s_or_b64 s[2:3], vcc, s[2:3]
	s_waitcnt lgkmcnt(0)
	v_mul_f32_e32 v5, v2, v5
	ds_write_b32 v4, v5
	v_add_u32_e32 v4, 0x200, v4
	s_andn2_b64 exec, exec, s[2:3]
	s_cbranch_execnz .LBB233_37
.LBB233_38:
	s_or_b64 exec, exec, s[0:1]
	v_mov_b32_e32 v3, 0
	s_waitcnt lgkmcnt(0)
	v_mov_b32_e32 v2, v3
	v_mov_b64_e32 v[4:5], v[2:3]
	s_barrier
	s_and_saveexec_b64 s[2:3], s[6:7]
	s_cbranch_execz .LBB233_242
; %bb.39:
	s_ashr_i32 s1, s12, 31
	s_add_u32 s0, s26, s12
	s_addc_u32 s1, s27, s1
	v_lshlrev_b32_e32 v2, 3, v26
	s_add_i32 s26, s19, -1
	v_lshl_add_u64 v[6:7], s[0:1], 0, v[2:3]
	s_lshl_b64 s[0:1], s[24:25], 2
	v_mov_b32_e32 v2, 0x210
	s_add_u32 s0, s22, s0
	s_mov_b32 s6, -1
	v_lshl_add_u32 v28, v25, 5, v2
	v_and_b32_e32 v2, 60, v1
	s_addc_u32 s1, s23, s1
	s_mov_b32 s28, s13
	s_mov_b32 s7, 0xffffff
	s_mov_b32 s27, s33
	v_lshlrev_b32_e32 v27, 3, v25
	v_lshl_add_u64 v[8:9], s[0:1], 0, v[2:3]
	s_mov_b64 s[8:9], 0
	s_movk_i32 s24, 0x80
	s_movk_i32 s25, 0x7f
	s_mov_b32 s29, 0x8000
	v_mov_b32_e32 v29, 0x2000
	v_mov_b32_e32 v11, 0
	;; [unrolled: 1-line block ×5, first 2 shown]
	s_branch .LBB233_41
.LBB233_40:                             ;   in Loop: Header=BB233_41 Depth=1
	s_or_b64 exec, exec, s[0:1]
	v_add_f32_e32 v12, v22, v23
	v_add_f32_e32 v10, v10, v12
	;; [unrolled: 1-line block ×5, first 2 shown]
	;;#ASMSTART
	v_pk_mul_f16 v1, v40, v1;

	;;#ASMEND
	v_add_f32_e32 v4, v4, v12
	;;#ASMSTART
	v_pk_mul_f16 v2, v39, v2;

	;;#ASMEND
	;;#ASMSTART
	v_pk_mul_f16 v12, v38, v19;

	;;#ASMEND
	;; [unrolled: 4-line block ×3, first 2 shown]
	v_add_u32_e32 v25, 2, v25
	;;#ASMSTART
	v_pk_add_f16 v1, v1, v2;

	;;#ASMEND
	v_cmp_le_i32_e32 vcc, s19, v25
	;;#ASMSTART
	v_pk_add_f16 v1, v1, v12;

	;;#ASMEND
	v_add_u32_e32 v27, 16, v27
	;;#ASMSTART
	v_pk_add_f16 v1, v1, v13;

	;;#ASMEND
	v_add_u32_e32 v28, 64, v28
	v_lshrrev_b32_e32 v2, 16, v1
	v_and_b32_e32 v1, 0xffff, v1
	;;#ASMSTART
	v_cvt_f32_f16 v1, v1;
	;;#ASMEND
	;;#ASMSTART
	v_cvt_f32_f16 v2, v2;
	;;#ASMEND
	s_or_b64 s[8:9], vcc, s[8:9]
	v_add_f32_e32 v1, v1, v2
	v_add_f32_e32 v11, v11, v1
	v_lshl_add_u64 v[8:9], v[8:9], 0, 8
	s_andn2_b64 exec, exec, s[8:9]
	s_cbranch_execz .LBB233_241
.LBB233_41:                             ; =>This Inner Loop Header: Depth=1
	global_load_dword v1, v[8:9], off
	ds_read2_b64 v[12:15], v28 offset1:1
	ds_read2_b64 v[16:19], v28 offset0:2 offset1:3
	s_waitcnt lgkmcnt(1)
	;;#ASMSTART
	v_cvt_f16_f32 v37, v12;

	;;#ASMEND
	;;#ASMSTART
	v_cvt_f16_f32 v38, v13;

	;;#ASMEND
	;; [unrolled: 4-line block ×4, first 2 shown]
	s_waitcnt lgkmcnt(0)
	;;#ASMSTART
	v_cvt_f16_f32 v42, v16;

	;;#ASMEND
	;;#ASMSTART
	v_cvt_f16_f32 v43, v17;

	;;#ASMEND
	;; [unrolled: 4-line block ×4, first 2 shown]
	s_waitcnt vmcnt(0)
	v_mad_i64_i32 v[12:13], s[0:1], v1, s28, v[6:7]
	global_load_dwordx2 v[16:17], v[12:13], off
	global_load_dword v14, v3, s[10:11]
	v_mov_b32_e32 v1, 0
	s_waitcnt vmcnt(1)
	v_cmp_ne_u16_sdwa s[12:13], v16, v3 src0_sel:BYTE_0 src1_sel:DWORD
	s_and_saveexec_b64 s[0:1], s[12:13]
	s_cbranch_execz .LBB233_47
; %bb.42:                               ;   in Loop: Header=BB233_41 Depth=1
	v_cmp_ne_u16_sdwa s[14:15], v16, s24 src0_sel:BYTE_0 src1_sel:DWORD
	v_mov_b32_e32 v1, 0x8000
	s_and_saveexec_b64 s[12:13], s[14:15]
	s_cbranch_execz .LBB233_46
; %bb.43:                               ;   in Loop: Header=BB233_41 Depth=1
	v_and_b32_e32 v2, 0x7f, v16
	v_cmp_ne_u32_e32 vcc, s25, v2
	v_mov_b32_e32 v1, 0x7c01
	s_and_saveexec_b64 s[14:15], vcc
	s_cbranch_execz .LBB233_45
; %bb.44:                               ;   in Loop: Header=BB233_41 Depth=1
	v_and_b32_e32 v1, 7, v16
	v_ffbh_u32_e32 v18, v1
	v_min_u32_e32 v20, 32, v18
	v_subrev_u32_e32 v18, 28, v20
	v_lshlrev_b64 v[18:19], v18, v[16:17]
	v_lshrrev_b32_e32 v15, 3, v2
	v_sub_u32_e32 v19, 29, v20
	v_cmp_gt_u32_e32 vcc, 8, v2
	v_and_b32_e32 v18, 7, v18
	s_nop 0
	v_cndmask_b32_e32 v2, v15, v19, vcc
	v_lshl_add_u32 v2, v2, 10, v29
	v_lshlrev_b32_e32 v15, 8, v16
	v_and_b32_e32 v2, 0xfc00, v2
	v_cndmask_b32_e32 v1, v1, v18, vcc
	v_and_or_b32 v2, v15, s29, v2
	v_lshl_or_b32 v1, v1, 7, v2
.LBB233_45:                             ;   in Loop: Header=BB233_41 Depth=1
	s_or_b64 exec, exec, s[14:15]
.LBB233_46:                             ;   in Loop: Header=BB233_41 Depth=1
	s_or_b64 exec, exec, s[12:13]
.LBB233_47:                             ;   in Loop: Header=BB233_41 Depth=1
	s_or_b64 exec, exec, s[0:1]
	v_lshrrev_b16_e32 v2, 8, v16
	v_cmp_ne_u16_e32 vcc, 0, v2
	v_mov_b32_e32 v15, 0
	v_mov_b32_e32 v18, 0
	s_and_saveexec_b64 s[0:1], vcc
	s_cbranch_execz .LBB233_53
; %bb.48:                               ;   in Loop: Header=BB233_41 Depth=1
	v_cmp_ne_u16_e32 vcc, s24, v2
	v_bfrev_b32_e32 v18, 1
	s_and_saveexec_b64 s[12:13], vcc
	s_cbranch_execz .LBB233_52
; %bb.49:                               ;   in Loop: Header=BB233_41 Depth=1
	v_and_b32_e32 v19, 0x7f, v2
	v_cmp_ne_u32_e32 vcc, s25, v19
	v_mov_b32_e32 v18, 0x7c010000
	s_and_saveexec_b64 s[14:15], vcc
	s_cbranch_execz .LBB233_51
; %bb.50:                               ;   in Loop: Header=BB233_41 Depth=1
	v_and_b32_e32 v18, 7, v2
	v_ffbh_u32_e32 v20, v18
	v_min_u32_e32 v23, 32, v20
	v_subrev_u32_e32 v20, 28, v23
	v_lshlrev_b64 v[20:21], v20, v[2:3]
	v_lshrrev_b32_e32 v22, 3, v19
	v_sub_u32_e32 v21, 29, v23
	v_cmp_gt_u32_e32 vcc, 8, v19
	v_lshlrev_b32_e32 v2, 8, v2
	v_and_b32_e32 v20, 7, v20
	v_cndmask_b32_e32 v19, v22, v21, vcc
	v_lshl_add_u32 v19, v19, 10, v29
	v_and_or_b32 v2, v2, s29, v19
	v_cndmask_b32_e32 v18, v18, v20, vcc
	v_lshlrev_b32_e32 v2, 16, v2
	v_lshl_or_b32 v18, v18, 23, v2
.LBB233_51:                             ;   in Loop: Header=BB233_41 Depth=1
	s_or_b64 exec, exec, s[14:15]
.LBB233_52:                             ;   in Loop: Header=BB233_41 Depth=1
	s_or_b64 exec, exec, s[12:13]
.LBB233_53:                             ;   in Loop: Header=BB233_41 Depth=1
	s_or_b64 exec, exec, s[0:1]
	v_lshrrev_b32_e32 v2, 16, v16
	v_cmp_ne_u16_sdwa s[12:13], v2, v3 src0_sel:BYTE_0 src1_sel:DWORD
	s_and_saveexec_b64 s[0:1], s[12:13]
	s_cbranch_execz .LBB233_59
; %bb.54:                               ;   in Loop: Header=BB233_41 Depth=1
	v_cmp_ne_u16_sdwa s[14:15], v2, s24 src0_sel:BYTE_0 src1_sel:DWORD
	v_mov_b32_e32 v15, 0x8000
	s_and_saveexec_b64 s[12:13], s[14:15]
	s_cbranch_execz .LBB233_58
; %bb.55:                               ;   in Loop: Header=BB233_41 Depth=1
	v_bfe_u32 v19, v16, 16, 7
	v_cmp_ne_u32_e32 vcc, s25, v19
	v_mov_b32_e32 v15, 0x7c01
	s_and_saveexec_b64 s[14:15], vcc
	s_cbranch_execz .LBB233_57
; %bb.56:                               ;   in Loop: Header=BB233_41 Depth=1
	v_and_b32_e32 v15, 7, v2
	v_ffbh_u32_e32 v20, v15
	v_min_u32_e32 v23, 32, v20
	v_subrev_u32_e32 v20, 28, v23
	v_lshlrev_b64 v[20:21], v20, v[2:3]
	v_lshrrev_b32_e32 v22, 3, v19
	v_sub_u32_e32 v21, 29, v23
	v_cmp_gt_u32_e32 vcc, 8, v19
	v_lshlrev_b32_e32 v2, 8, v2
	v_and_b32_e32 v20, 7, v20
	v_cndmask_b32_e32 v19, v22, v21, vcc
	v_lshl_add_u32 v19, v19, 10, v29
	v_and_b32_e32 v19, 0xfc00, v19
	v_cndmask_b32_e32 v15, v15, v20, vcc
	v_and_or_b32 v2, v2, s29, v19
	v_lshl_or_b32 v15, v15, 7, v2
.LBB233_57:                             ;   in Loop: Header=BB233_41 Depth=1
	s_or_b64 exec, exec, s[14:15]
.LBB233_58:                             ;   in Loop: Header=BB233_41 Depth=1
	s_or_b64 exec, exec, s[12:13]
.LBB233_59:                             ;   in Loop: Header=BB233_41 Depth=1
	s_or_b64 exec, exec, s[0:1]
	v_cmp_lt_u32_e32 vcc, s7, v16
	v_mov_b32_e32 v19, 0
	v_mov_b32_e32 v20, 0
	s_and_saveexec_b64 s[0:1], vcc
	s_cbranch_execz .LBB233_65
; %bb.60:                               ;   in Loop: Header=BB233_41 Depth=1
	v_lshrrev_b32_e32 v2, 24, v16
	v_cmp_ne_u32_e32 vcc, s24, v2
	v_bfrev_b32_e32 v20, 1
	s_and_saveexec_b64 s[12:13], vcc
	s_cbranch_execz .LBB233_64
; %bb.61:                               ;   in Loop: Header=BB233_41 Depth=1
	v_and_b32_e32 v21, 0x7f, v2
	v_cmp_ne_u32_e32 vcc, s25, v21
	v_mov_b32_e32 v20, 0x7c010000
	s_and_saveexec_b64 s[14:15], vcc
	s_cbranch_execz .LBB233_63
; %bb.62:                               ;   in Loop: Header=BB233_41 Depth=1
	v_and_b32_e32 v20, 7, v2
	v_ffbh_u32_e32 v22, v20
	v_min_u32_e32 v31, 32, v22
	v_subrev_u32_e32 v22, 28, v31
	v_lshlrev_b64 v[22:23], v22, v[2:3]
	v_lshrrev_b32_e32 v30, 3, v21
	v_sub_u32_e32 v23, 29, v31
	v_cmp_gt_u32_e32 vcc, 8, v21
	v_lshlrev_b32_e32 v2, 8, v2
	v_and_b32_e32 v22, 7, v22
	v_cndmask_b32_e32 v21, v30, v23, vcc
	v_lshl_add_u32 v21, v21, 10, v29
	v_and_or_b32 v2, v2, s29, v21
	v_cndmask_b32_e32 v20, v20, v22, vcc
	v_lshlrev_b32_e32 v2, 16, v2
	v_lshl_or_b32 v20, v20, 23, v2
.LBB233_63:                             ;   in Loop: Header=BB233_41 Depth=1
	s_or_b64 exec, exec, s[14:15]
.LBB233_64:                             ;   in Loop: Header=BB233_41 Depth=1
	s_or_b64 exec, exec, s[12:13]
.LBB233_65:                             ;   in Loop: Header=BB233_41 Depth=1
	s_or_b64 exec, exec, s[0:1]
	v_mov_b32_e32 v2, v17
	v_cmp_ne_u16_sdwa s[12:13], v17, v3 src0_sel:BYTE_0 src1_sel:DWORD
	s_and_saveexec_b64 s[0:1], s[12:13]
	s_cbranch_execz .LBB233_71
; %bb.66:                               ;   in Loop: Header=BB233_41 Depth=1
	v_cmp_ne_u16_sdwa s[14:15], v17, s24 src0_sel:BYTE_0 src1_sel:DWORD
	v_mov_b32_e32 v19, 0x8000
	s_and_saveexec_b64 s[12:13], s[14:15]
	s_cbranch_execz .LBB233_70
; %bb.67:                               ;   in Loop: Header=BB233_41 Depth=1
	v_and_b32_e32 v21, 0x7f, v17
	v_cmp_ne_u32_e32 vcc, s25, v21
	v_mov_b32_e32 v19, 0x7c01
	s_and_saveexec_b64 s[14:15], vcc
	s_cbranch_execz .LBB233_69
; %bb.68:                               ;   in Loop: Header=BB233_41 Depth=1
	v_and_b32_e32 v19, 7, v17
	v_ffbh_u32_e32 v22, v19
	v_min_u32_e32 v31, 32, v22
	v_subrev_u32_e32 v22, 28, v31
	v_lshlrev_b64 v[22:23], v22, v[2:3]
	v_lshrrev_b32_e32 v30, 3, v21
	v_sub_u32_e32 v23, 29, v31
	v_cmp_gt_u32_e32 vcc, 8, v21
	v_and_b32_e32 v22, 7, v22
	s_nop 0
	v_cndmask_b32_e32 v21, v30, v23, vcc
	v_lshl_add_u32 v21, v21, 10, v29
	v_lshlrev_b32_e32 v23, 8, v17
	v_and_b32_e32 v21, 0xfc00, v21
	v_cndmask_b32_e32 v19, v19, v22, vcc
	v_and_or_b32 v21, v23, s29, v21
	v_lshl_or_b32 v19, v19, 7, v21
.LBB233_69:                             ;   in Loop: Header=BB233_41 Depth=1
	s_or_b64 exec, exec, s[14:15]
.LBB233_70:                             ;   in Loop: Header=BB233_41 Depth=1
	s_or_b64 exec, exec, s[12:13]
.LBB233_71:                             ;   in Loop: Header=BB233_41 Depth=1
	s_or_b64 exec, exec, s[0:1]
	v_lshrrev_b16_e32 v2, 8, v2
	v_cmp_ne_u16_e32 vcc, 0, v2
	v_mov_b32_e32 v22, 0
	v_mov_b32_e32 v21, 0
	s_and_saveexec_b64 s[0:1], vcc
	s_cbranch_execz .LBB233_77
; %bb.72:                               ;   in Loop: Header=BB233_41 Depth=1
	v_cmp_ne_u16_e32 vcc, s24, v2
	v_bfrev_b32_e32 v21, 1
	s_and_saveexec_b64 s[12:13], vcc
	s_cbranch_execz .LBB233_76
; %bb.73:                               ;   in Loop: Header=BB233_41 Depth=1
	v_and_b32_e32 v23, 0x7f, v2
	v_cmp_ne_u32_e32 vcc, s25, v23
	v_mov_b32_e32 v21, 0x7c010000
	s_and_saveexec_b64 s[14:15], vcc
	s_cbranch_execz .LBB233_75
; %bb.74:                               ;   in Loop: Header=BB233_41 Depth=1
	v_and_b32_e32 v21, 7, v2
	v_ffbh_u32_e32 v30, v21
	v_min_u32_e32 v33, 32, v30
	v_subrev_u32_e32 v30, 28, v33
	v_lshlrev_b64 v[30:31], v30, v[2:3]
	v_lshrrev_b32_e32 v32, 3, v23
	v_sub_u32_e32 v31, 29, v33
	v_cmp_gt_u32_e32 vcc, 8, v23
	v_lshlrev_b32_e32 v2, 8, v2
	v_and_b32_e32 v30, 7, v30
	v_cndmask_b32_e32 v23, v32, v31, vcc
	v_lshl_add_u32 v23, v23, 10, v29
	v_and_or_b32 v2, v2, s29, v23
	v_cndmask_b32_e32 v21, v21, v30, vcc
	v_lshlrev_b32_e32 v2, 16, v2
	v_lshl_or_b32 v21, v21, 23, v2
.LBB233_75:                             ;   in Loop: Header=BB233_41 Depth=1
	s_or_b64 exec, exec, s[14:15]
.LBB233_76:                             ;   in Loop: Header=BB233_41 Depth=1
	s_or_b64 exec, exec, s[12:13]
.LBB233_77:                             ;   in Loop: Header=BB233_41 Depth=1
	s_or_b64 exec, exec, s[0:1]
	v_lshrrev_b32_e32 v2, 16, v17
	v_cmp_ne_u16_sdwa s[12:13], v2, v3 src0_sel:BYTE_0 src1_sel:DWORD
	s_and_saveexec_b64 s[0:1], s[12:13]
	s_cbranch_execz .LBB233_83
; %bb.78:                               ;   in Loop: Header=BB233_41 Depth=1
	v_cmp_ne_u16_sdwa s[14:15], v2, s24 src0_sel:BYTE_0 src1_sel:DWORD
	v_mov_b32_e32 v22, 0x8000
	s_and_saveexec_b64 s[12:13], s[14:15]
	s_cbranch_execz .LBB233_82
; %bb.79:                               ;   in Loop: Header=BB233_41 Depth=1
	v_bfe_u32 v23, v17, 16, 7
	v_cmp_ne_u32_e32 vcc, s25, v23
	v_mov_b32_e32 v22, 0x7c01
	s_and_saveexec_b64 s[14:15], vcc
	s_cbranch_execz .LBB233_81
; %bb.80:                               ;   in Loop: Header=BB233_41 Depth=1
	v_and_b32_e32 v22, 7, v2
	v_ffbh_u32_e32 v30, v22
	v_min_u32_e32 v33, 32, v30
	v_subrev_u32_e32 v30, 28, v33
	v_lshlrev_b64 v[30:31], v30, v[2:3]
	v_lshrrev_b32_e32 v32, 3, v23
	v_sub_u32_e32 v31, 29, v33
	v_cmp_gt_u32_e32 vcc, 8, v23
	v_lshlrev_b32_e32 v2, 8, v2
	v_and_b32_e32 v30, 7, v30
	v_cndmask_b32_e32 v23, v32, v31, vcc
	v_lshl_add_u32 v23, v23, 10, v29
	v_and_b32_e32 v23, 0xfc00, v23
	v_cndmask_b32_e32 v22, v22, v30, vcc
	v_and_or_b32 v2, v2, s29, v23
	v_lshl_or_b32 v22, v22, 7, v2
.LBB233_81:                             ;   in Loop: Header=BB233_41 Depth=1
	s_or_b64 exec, exec, s[14:15]
.LBB233_82:                             ;   in Loop: Header=BB233_41 Depth=1
	s_or_b64 exec, exec, s[12:13]
.LBB233_83:                             ;   in Loop: Header=BB233_41 Depth=1
	s_or_b64 exec, exec, s[0:1]
	v_cmp_lt_u64_e32 vcc, s[6:7], v[16:17]
	v_mov_b32_e32 v23, 0
	s_and_saveexec_b64 s[0:1], vcc
	s_cbranch_execz .LBB233_89
; %bb.84:                               ;   in Loop: Header=BB233_41 Depth=1
	v_lshrrev_b32_e32 v2, 24, v17
	v_cmp_ne_u32_e32 vcc, s24, v2
	v_bfrev_b32_e32 v23, 1
	s_and_saveexec_b64 s[12:13], vcc
	s_cbranch_execz .LBB233_88
; %bb.85:                               ;   in Loop: Header=BB233_41 Depth=1
	v_and_b32_e32 v16, 0x7f, v2
	v_cmp_ne_u32_e32 vcc, s25, v16
	v_mov_b32_e32 v23, 0x7c010000
	s_and_saveexec_b64 s[14:15], vcc
	s_cbranch_execz .LBB233_87
; %bb.86:                               ;   in Loop: Header=BB233_41 Depth=1
	v_and_b32_e32 v17, 7, v2
	v_ffbh_u32_e32 v30, v17
	v_min_u32_e32 v32, 32, v30
	v_subrev_u32_e32 v30, 28, v32
	v_lshlrev_b64 v[30:31], v30, v[2:3]
	v_lshrrev_b32_e32 v23, 3, v16
	v_sub_u32_e32 v31, 29, v32
	v_cmp_gt_u32_e32 vcc, 8, v16
	v_lshlrev_b32_e32 v2, 8, v2
	s_nop 0
	v_cndmask_b32_e32 v16, v23, v31, vcc
	v_lshl_add_u32 v16, v16, 10, v29
	v_and_b32_e32 v23, 7, v30
	v_and_or_b32 v2, v2, s29, v16
	v_cndmask_b32_e32 v17, v17, v23, vcc
	v_lshlrev_b32_e32 v2, 16, v2
	v_lshl_or_b32 v23, v17, 23, v2
.LBB233_87:                             ;   in Loop: Header=BB233_41 Depth=1
	s_or_b64 exec, exec, s[14:15]
.LBB233_88:                             ;   in Loop: Header=BB233_41 Depth=1
	s_or_b64 exec, exec, s[12:13]
.LBB233_89:                             ;   in Loop: Header=BB233_41 Depth=1
	s_or_b64 exec, exec, s[0:1]
	v_cvt_f32_f16_sdwa v17, v18 dst_sel:DWORD dst_unused:UNUSED_PAD src0_sel:WORD_1
	v_cvt_f32_f16_sdwa v16, v20 dst_sel:DWORD dst_unused:UNUSED_PAD src0_sel:WORD_1
	v_or_b32_e32 v1, v18, v1
	v_or_b32_e32 v2, v20, v15
	v_cvt_f32_f16_e32 v30, v2
	v_cvt_f32_f16_e32 v31, v1
	s_waitcnt vmcnt(0)
	v_pk_mul_f32 v[16:17], v[14:15], v[16:17] op_sel_hi:[0,1]
	v_cvt_pk_f16_f32 v1, v16, v17
	v_and_b32_e32 v15, 0xffff0000, v1
	v_pk_mul_f32 v[30:31], v[14:15], v[30:31] op_sel_hi:[0,1]
	v_or_b32_e32 v2, v21, v19
	v_or_b32_e32 v19, v23, v22
	v_lshlrev_b32_e32 v16, 16, v1
	v_cvt_pk_f16_f32 v1, v30, v31
	v_cvt_f32_f16_e32 v30, v19
	v_cvt_f32_f16_e32 v31, v2
	v_cvt_f32_f16_sdwa v21, v21 dst_sel:DWORD dst_unused:UNUSED_PAD src0_sel:WORD_1
	v_cvt_f32_f16_sdwa v20, v23 dst_sel:DWORD dst_unused:UNUSED_PAD src0_sel:WORD_1
	v_lshrrev_b32_e32 v17, 16, v1
	v_pk_mul_f32 v[22:23], v[14:15], v[30:31] op_sel_hi:[0,1]
	v_cvt_pk_f16_f32 v22, v22, v23
	v_pk_mul_f32 v[20:21], v[14:15], v[20:21] op_sel_hi:[0,1]
	v_cvt_pk_f16_f32 v14, v20, v21
	v_and_b32_e32 v18, 0xffff, v1
	v_and_b32_e32 v19, 0xffff0000, v14
	v_lshlrev_b32_e32 v14, 16, v14
	v_lshrrev_b32_e32 v23, 16, v22
	v_and_b32_e32 v22, 0xffff, v22
	v_cmp_eq_u32_e32 vcc, s26, v25
	v_or_b32_e32 v1, v15, v17
	v_or_b32_e32 v2, v16, v18
	;; [unrolled: 1-line block ×4, first 2 shown]
	v_add_u32_e32 v36, 2, v27
	v_or_b32_e32 v35, 1, v27
	v_or_b32_e32 v34, 3, v27
	;; [unrolled: 1-line block ×6, first 2 shown]
	s_and_saveexec_b64 s[12:13], vcc
	s_cbranch_execz .LBB233_91
; %bb.90:                               ;   in Loop: Header=BB233_41 Depth=1
	v_cmp_gt_i32_e64 s[0:1], s27, v27
	s_nop 1
	v_cndmask_b32_e64 v1, 0, v17, s[0:1]
	v_cmp_gt_i32_e64 s[0:1], s33, v36
	s_nop 1
	v_cndmask_b32_e64 v2, 0, v18, s[0:1]
	;; [unrolled: 3-line block ×3, first 2 shown]
	v_cmp_gt_i32_e64 s[0:1], s33, v34
	v_or_b32_e32 v1, v15, v1
	s_nop 0
	v_cndmask_b32_e64 v16, 0, v16, s[0:1]
	v_cmp_gt_i32_e64 s[0:1], s27, v33
	v_or_b32_e32 v2, v16, v2
	s_nop 0
	v_cndmask_b32_e64 v15, 0, v23, s[0:1]
	v_cmp_gt_i32_e64 s[0:1], s33, v32
	s_nop 1
	v_cndmask_b32_e64 v16, 0, v22, s[0:1]
	v_cmp_gt_i32_e64 s[0:1], s27, v31
	s_nop 1
	v_cndmask_b32_e64 v17, 0, v19, s[0:1]
	v_cmp_gt_i32_e64 s[0:1], s33, v30
	v_or_b32_e32 v21, v17, v15
	s_nop 0
	v_cndmask_b32_e64 v14, 0, v14, s[0:1]
	v_or_b32_e32 v20, v14, v16
.LBB233_91:                             ;   in Loop: Header=BB233_41 Depth=1
	s_or_b64 exec, exec, s[12:13]
	v_and_b32_e32 v14, 0xffff, v37
	v_lshl_or_b32 v40, v38, 16, v14
	v_and_b32_e32 v14, 0xffff, v39
	v_lshl_or_b32 v39, v41, 16, v14
	;; [unrolled: 2-line block ×3, first 2 shown]
	v_and_b32_e32 v14, 0xffff, v44
	;;#ASMSTART
	v_pk_mul_f16 v1, v40, v1;

	;;#ASMEND
	v_lshl_or_b32 v37, v45, 16, v14
	;;#ASMSTART
	v_pk_mul_f16 v2, v39, v2;

	;;#ASMEND
	;;#ASMSTART
	v_pk_mul_f16 v14, v38, v21;

	;;#ASMEND
	;; [unrolled: 4-line block ×3, first 2 shown]
	s_nop 0
	;;#ASMSTART
	v_pk_add_f16 v1, v1, v2;

	;;#ASMEND
	s_nop 0
	;;#ASMSTART
	v_pk_add_f16 v1, v1, v14;

	;;#ASMEND
	;; [unrolled: 5-line block ×3, first 2 shown]
	v_mov_b32_e32 v15, 0
	v_lshrrev_b32_e32 v2, 16, v1
	v_and_b32_e32 v1, 0xffff, v1
	;;#ASMSTART
	v_cvt_f32_f16 v41, v1;
	;;#ASMEND
	;;#ASMSTART
	v_cvt_f32_f16 v42, v2;
	;;#ASMEND
	global_load_dwordx2 v[16:17], v[12:13], off offset:512
	v_mov_b32_e32 v1, 0
	global_load_dword v14, v1, s[10:11]
	s_waitcnt vmcnt(1)
	v_cmp_ne_u16_sdwa s[0:1], v16, v3 src0_sel:BYTE_0 src1_sel:DWORD
	s_and_saveexec_b64 s[12:13], s[0:1]
	s_cbranch_execz .LBB233_97
; %bb.92:                               ;   in Loop: Header=BB233_41 Depth=1
	v_cmp_ne_u16_sdwa s[0:1], v16, s24 src0_sel:BYTE_0 src1_sel:DWORD
	v_mov_b32_e32 v15, 0x8000
	s_and_saveexec_b64 s[14:15], s[0:1]
	s_cbranch_execz .LBB233_96
; %bb.93:                               ;   in Loop: Header=BB233_41 Depth=1
	v_and_b32_e32 v2, 0x7f, v16
	v_cmp_ne_u32_e64 s[0:1], s25, v2
	v_mov_b32_e32 v15, 0x7c01
	s_and_saveexec_b64 s[22:23], s[0:1]
	s_cbranch_execz .LBB233_95
; %bb.94:                               ;   in Loop: Header=BB233_41 Depth=1
	v_and_b32_e32 v15, 7, v16
	v_ffbh_u32_e32 v18, v15
	v_min_u32_e32 v21, 32, v18
	v_subrev_u32_e32 v18, 28, v21
	v_lshlrev_b64 v[18:19], v18, v[16:17]
	v_lshrrev_b32_e32 v20, 3, v2
	v_sub_u32_e32 v19, 29, v21
	v_cmp_gt_u32_e64 s[0:1], 8, v2
	v_and_b32_e32 v18, 7, v18
	s_nop 0
	v_cndmask_b32_e64 v2, v20, v19, s[0:1]
	v_lshl_add_u32 v2, v2, 10, v29
	v_lshlrev_b32_e32 v19, 8, v16
	v_and_b32_e32 v2, 0xfc00, v2
	v_cndmask_b32_e64 v15, v15, v18, s[0:1]
	v_and_or_b32 v2, v19, s29, v2
	v_lshl_or_b32 v15, v15, 7, v2
.LBB233_95:                             ;   in Loop: Header=BB233_41 Depth=1
	s_or_b64 exec, exec, s[22:23]
.LBB233_96:                             ;   in Loop: Header=BB233_41 Depth=1
	s_or_b64 exec, exec, s[14:15]
.LBB233_97:                             ;   in Loop: Header=BB233_41 Depth=1
	s_or_b64 exec, exec, s[12:13]
	v_lshrrev_b16_e32 v2, 8, v16
	v_cmp_ne_u16_e64 s[0:1], 0, v2
	s_and_saveexec_b64 s[12:13], s[0:1]
	s_cbranch_execz .LBB233_103
; %bb.98:                               ;   in Loop: Header=BB233_41 Depth=1
	v_cmp_ne_u16_e64 s[0:1], s24, v2
	v_bfrev_b32_e32 v1, 1
	s_and_saveexec_b64 s[14:15], s[0:1]
	s_cbranch_execz .LBB233_102
; %bb.99:                               ;   in Loop: Header=BB233_41 Depth=1
	v_and_b32_e32 v18, 0x7f, v2
	v_cmp_ne_u32_e64 s[0:1], s25, v18
	v_mov_b32_e32 v1, 0x7c010000
	s_and_saveexec_b64 s[22:23], s[0:1]
	s_cbranch_execz .LBB233_101
; %bb.100:                              ;   in Loop: Header=BB233_41 Depth=1
	v_and_b32_e32 v1, 7, v2
	v_ffbh_u32_e32 v20, v1
	v_min_u32_e32 v22, 32, v20
	v_subrev_u32_e32 v20, 28, v22
	v_lshlrev_b64 v[20:21], v20, v[2:3]
	v_lshrrev_b32_e32 v19, 3, v18
	v_sub_u32_e32 v21, 29, v22
	v_cmp_gt_u32_e64 s[0:1], 8, v18
	v_lshlrev_b32_e32 v2, 8, v2
	s_nop 0
	v_cndmask_b32_e64 v18, v19, v21, s[0:1]
	v_lshl_add_u32 v18, v18, 10, v29
	v_and_b32_e32 v19, 7, v20
	v_and_or_b32 v2, v2, s29, v18
	v_cndmask_b32_e64 v1, v1, v19, s[0:1]
	v_lshlrev_b32_e32 v2, 16, v2
	v_lshl_or_b32 v1, v1, 23, v2
.LBB233_101:                            ;   in Loop: Header=BB233_41 Depth=1
	s_or_b64 exec, exec, s[22:23]
.LBB233_102:                            ;   in Loop: Header=BB233_41 Depth=1
	s_or_b64 exec, exec, s[14:15]
.LBB233_103:                            ;   in Loop: Header=BB233_41 Depth=1
	s_or_b64 exec, exec, s[12:13]
	v_lshrrev_b32_e32 v2, 16, v16
	v_cmp_ne_u16_sdwa s[0:1], v2, v3 src0_sel:BYTE_0 src1_sel:DWORD
	v_mov_b32_e32 v19, 0
	v_mov_b32_e32 v18, 0
	s_and_saveexec_b64 s[12:13], s[0:1]
	s_cbranch_execz .LBB233_109
; %bb.104:                              ;   in Loop: Header=BB233_41 Depth=1
	v_cmp_ne_u16_sdwa s[0:1], v2, s24 src0_sel:BYTE_0 src1_sel:DWORD
	v_mov_b32_e32 v18, 0x8000
	s_and_saveexec_b64 s[14:15], s[0:1]
	s_cbranch_execz .LBB233_108
; %bb.105:                              ;   in Loop: Header=BB233_41 Depth=1
	v_bfe_u32 v20, v16, 16, 7
	v_cmp_ne_u32_e64 s[0:1], s25, v20
	v_mov_b32_e32 v18, 0x7c01
	s_and_saveexec_b64 s[22:23], s[0:1]
	s_cbranch_execz .LBB233_107
; %bb.106:                              ;   in Loop: Header=BB233_41 Depth=1
	v_and_b32_e32 v18, 7, v2
	v_ffbh_u32_e32 v22, v18
	v_min_u32_e32 v43, 32, v22
	v_subrev_u32_e32 v22, 28, v43
	v_lshlrev_b64 v[22:23], v22, v[2:3]
	v_lshrrev_b32_e32 v21, 3, v20
	v_sub_u32_e32 v23, 29, v43
	v_cmp_gt_u32_e64 s[0:1], 8, v20
	v_lshlrev_b32_e32 v2, 8, v2
	s_nop 0
	v_cndmask_b32_e64 v20, v21, v23, s[0:1]
	v_lshl_add_u32 v20, v20, 10, v29
	v_and_b32_e32 v21, 7, v22
	v_and_b32_e32 v20, 0xfc00, v20
	v_cndmask_b32_e64 v18, v18, v21, s[0:1]
	v_and_or_b32 v2, v2, s29, v20
	v_lshl_or_b32 v18, v18, 7, v2
.LBB233_107:                            ;   in Loop: Header=BB233_41 Depth=1
	s_or_b64 exec, exec, s[22:23]
.LBB233_108:                            ;   in Loop: Header=BB233_41 Depth=1
	s_or_b64 exec, exec, s[14:15]
.LBB233_109:                            ;   in Loop: Header=BB233_41 Depth=1
	s_or_b64 exec, exec, s[12:13]
	v_cmp_lt_u32_e64 s[0:1], s7, v16
	s_and_saveexec_b64 s[12:13], s[0:1]
	s_cbranch_execz .LBB233_115
; %bb.110:                              ;   in Loop: Header=BB233_41 Depth=1
	v_lshrrev_b32_e32 v2, 24, v16
	v_cmp_ne_u32_e64 s[0:1], s24, v2
	v_bfrev_b32_e32 v19, 1
	s_and_saveexec_b64 s[14:15], s[0:1]
	s_cbranch_execz .LBB233_114
; %bb.111:                              ;   in Loop: Header=BB233_41 Depth=1
	v_and_b32_e32 v20, 0x7f, v2
	v_cmp_ne_u32_e64 s[0:1], s25, v20
	v_mov_b32_e32 v19, 0x7c010000
	s_and_saveexec_b64 s[22:23], s[0:1]
	s_cbranch_execz .LBB233_113
; %bb.112:                              ;   in Loop: Header=BB233_41 Depth=1
	v_and_b32_e32 v19, 7, v2
	v_ffbh_u32_e32 v22, v19
	v_min_u32_e32 v43, 32, v22
	v_subrev_u32_e32 v22, 28, v43
	v_lshlrev_b64 v[22:23], v22, v[2:3]
	v_lshrrev_b32_e32 v21, 3, v20
	v_sub_u32_e32 v23, 29, v43
	v_cmp_gt_u32_e64 s[0:1], 8, v20
	v_lshlrev_b32_e32 v2, 8, v2
	s_nop 0
	v_cndmask_b32_e64 v20, v21, v23, s[0:1]
	v_lshl_add_u32 v20, v20, 10, v29
	v_and_b32_e32 v21, 7, v22
	v_and_or_b32 v2, v2, s29, v20
	v_cndmask_b32_e64 v19, v19, v21, s[0:1]
	v_lshlrev_b32_e32 v2, 16, v2
	v_lshl_or_b32 v19, v19, 23, v2
.LBB233_113:                            ;   in Loop: Header=BB233_41 Depth=1
	s_or_b64 exec, exec, s[22:23]
.LBB233_114:                            ;   in Loop: Header=BB233_41 Depth=1
	s_or_b64 exec, exec, s[14:15]
.LBB233_115:                            ;   in Loop: Header=BB233_41 Depth=1
	s_or_b64 exec, exec, s[12:13]
	v_mov_b32_e32 v2, v17
	v_cmp_ne_u16_sdwa s[0:1], v17, v3 src0_sel:BYTE_0 src1_sel:DWORD
	v_mov_b32_e32 v20, 0
	v_mov_b32_e32 v21, 0
	s_and_saveexec_b64 s[12:13], s[0:1]
	s_cbranch_execz .LBB233_121
; %bb.116:                              ;   in Loop: Header=BB233_41 Depth=1
	v_cmp_ne_u16_sdwa s[0:1], v17, s24 src0_sel:BYTE_0 src1_sel:DWORD
	v_mov_b32_e32 v21, 0x8000
	s_and_saveexec_b64 s[14:15], s[0:1]
	s_cbranch_execz .LBB233_120
; %bb.117:                              ;   in Loop: Header=BB233_41 Depth=1
	v_and_b32_e32 v22, 0x7f, v17
	v_cmp_ne_u32_e64 s[0:1], s25, v22
	v_mov_b32_e32 v21, 0x7c01
	s_and_saveexec_b64 s[22:23], s[0:1]
	s_cbranch_execz .LBB233_119
; %bb.118:                              ;   in Loop: Header=BB233_41 Depth=1
	v_and_b32_e32 v21, 7, v17
	v_ffbh_u32_e32 v43, v21
	v_min_u32_e32 v43, 32, v43
	v_lshrrev_b32_e32 v23, 3, v22
	v_subrev_u32_e32 v44, 28, v43
	v_sub_u32_e32 v43, 29, v43
	v_cmp_gt_u32_e64 s[0:1], 8, v22
	v_lshlrev_b64 v[44:45], v44, v[2:3]
	s_nop 0
	v_cndmask_b32_e64 v22, v23, v43, s[0:1]
	v_lshl_add_u32 v22, v22, 10, v29
	v_lshlrev_b32_e32 v23, 8, v17
	v_and_b32_e32 v43, 7, v44
	v_and_b32_e32 v22, 0xfc00, v22
	v_cndmask_b32_e64 v21, v21, v43, s[0:1]
	v_and_or_b32 v22, v23, s29, v22
	v_lshl_or_b32 v21, v21, 7, v22
.LBB233_119:                            ;   in Loop: Header=BB233_41 Depth=1
	s_or_b64 exec, exec, s[22:23]
.LBB233_120:                            ;   in Loop: Header=BB233_41 Depth=1
	s_or_b64 exec, exec, s[14:15]
.LBB233_121:                            ;   in Loop: Header=BB233_41 Depth=1
	s_or_b64 exec, exec, s[12:13]
	v_lshrrev_b16_e32 v2, 8, v2
	v_cmp_ne_u16_e64 s[0:1], 0, v2
	v_mov_b32_e32 v22, 0
	s_and_saveexec_b64 s[12:13], s[0:1]
	s_cbranch_execz .LBB233_127
; %bb.122:                              ;   in Loop: Header=BB233_41 Depth=1
	v_cmp_ne_u16_e64 s[0:1], s24, v2
	v_bfrev_b32_e32 v22, 1
	s_and_saveexec_b64 s[14:15], s[0:1]
	s_cbranch_execz .LBB233_126
; %bb.123:                              ;   in Loop: Header=BB233_41 Depth=1
	v_and_b32_e32 v23, 0x7f, v2
	v_cmp_ne_u32_e64 s[0:1], s25, v23
	v_mov_b32_e32 v22, 0x7c010000
	s_and_saveexec_b64 s[22:23], s[0:1]
	s_cbranch_execz .LBB233_125
; %bb.124:                              ;   in Loop: Header=BB233_41 Depth=1
	v_and_b32_e32 v22, 7, v2
	v_ffbh_u32_e32 v44, v22
	v_min_u32_e32 v46, 32, v44
	v_subrev_u32_e32 v44, 28, v46
	v_lshlrev_b64 v[44:45], v44, v[2:3]
	v_lshrrev_b32_e32 v43, 3, v23
	v_sub_u32_e32 v45, 29, v46
	v_cmp_gt_u32_e64 s[0:1], 8, v23
	v_lshlrev_b32_e32 v2, 8, v2
	s_nop 0
	v_cndmask_b32_e64 v23, v43, v45, s[0:1]
	v_lshl_add_u32 v23, v23, 10, v29
	v_and_b32_e32 v43, 7, v44
	v_and_or_b32 v2, v2, s29, v23
	v_cndmask_b32_e64 v22, v22, v43, s[0:1]
	v_lshlrev_b32_e32 v2, 16, v2
	v_lshl_or_b32 v22, v22, 23, v2
.LBB233_125:                            ;   in Loop: Header=BB233_41 Depth=1
	s_or_b64 exec, exec, s[22:23]
.LBB233_126:                            ;   in Loop: Header=BB233_41 Depth=1
	s_or_b64 exec, exec, s[14:15]
.LBB233_127:                            ;   in Loop: Header=BB233_41 Depth=1
	s_or_b64 exec, exec, s[12:13]
	v_lshrrev_b32_e32 v2, 16, v17
	v_cmp_ne_u16_sdwa s[0:1], v2, v3 src0_sel:BYTE_0 src1_sel:DWORD
	s_and_saveexec_b64 s[12:13], s[0:1]
	s_cbranch_execz .LBB233_133
; %bb.128:                              ;   in Loop: Header=BB233_41 Depth=1
	v_cmp_ne_u16_sdwa s[0:1], v2, s24 src0_sel:BYTE_0 src1_sel:DWORD
	v_mov_b32_e32 v20, 0x8000
	s_and_saveexec_b64 s[14:15], s[0:1]
	s_cbranch_execz .LBB233_132
; %bb.129:                              ;   in Loop: Header=BB233_41 Depth=1
	v_bfe_u32 v23, v17, 16, 7
	v_cmp_ne_u32_e64 s[0:1], s25, v23
	v_mov_b32_e32 v20, 0x7c01
	s_and_saveexec_b64 s[22:23], s[0:1]
	s_cbranch_execz .LBB233_131
; %bb.130:                              ;   in Loop: Header=BB233_41 Depth=1
	v_and_b32_e32 v20, 7, v2
	v_ffbh_u32_e32 v44, v20
	v_min_u32_e32 v46, 32, v44
	v_subrev_u32_e32 v44, 28, v46
	v_lshlrev_b64 v[44:45], v44, v[2:3]
	v_lshrrev_b32_e32 v43, 3, v23
	v_sub_u32_e32 v45, 29, v46
	v_cmp_gt_u32_e64 s[0:1], 8, v23
	v_lshlrev_b32_e32 v2, 8, v2
	s_nop 0
	v_cndmask_b32_e64 v23, v43, v45, s[0:1]
	v_lshl_add_u32 v23, v23, 10, v29
	v_and_b32_e32 v43, 7, v44
	v_and_b32_e32 v23, 0xfc00, v23
	v_cndmask_b32_e64 v20, v20, v43, s[0:1]
	v_and_or_b32 v2, v2, s29, v23
	v_lshl_or_b32 v20, v20, 7, v2
.LBB233_131:                            ;   in Loop: Header=BB233_41 Depth=1
	s_or_b64 exec, exec, s[22:23]
.LBB233_132:                            ;   in Loop: Header=BB233_41 Depth=1
	s_or_b64 exec, exec, s[14:15]
.LBB233_133:                            ;   in Loop: Header=BB233_41 Depth=1
	s_or_b64 exec, exec, s[12:13]
	v_cmp_lt_u64_e64 s[0:1], s[6:7], v[16:17]
	v_mov_b32_e32 v16, 0
	s_and_saveexec_b64 s[12:13], s[0:1]
	s_cbranch_execz .LBB233_139
; %bb.134:                              ;   in Loop: Header=BB233_41 Depth=1
	v_lshrrev_b32_e32 v2, 24, v17
	v_cmp_ne_u32_e64 s[0:1], s24, v2
	v_bfrev_b32_e32 v16, 1
	s_and_saveexec_b64 s[14:15], s[0:1]
	s_cbranch_execz .LBB233_138
; %bb.135:                              ;   in Loop: Header=BB233_41 Depth=1
	v_and_b32_e32 v17, 0x7f, v2
	v_cmp_ne_u32_e64 s[0:1], s25, v17
	v_mov_b32_e32 v16, 0x7c010000
	s_and_saveexec_b64 s[22:23], s[0:1]
	s_cbranch_execz .LBB233_137
; %bb.136:                              ;   in Loop: Header=BB233_41 Depth=1
	v_and_b32_e32 v16, 7, v2
	v_ffbh_u32_e32 v43, v16
	v_min_u32_e32 v43, 32, v43
	v_lshrrev_b32_e32 v23, 3, v17
	v_subrev_u32_e32 v44, 28, v43
	v_sub_u32_e32 v43, 29, v43
	v_cmp_gt_u32_e64 s[0:1], 8, v17
	v_lshlrev_b64 v[44:45], v44, v[2:3]
	v_lshlrev_b32_e32 v2, 8, v2
	v_cndmask_b32_e64 v17, v23, v43, s[0:1]
	v_lshl_add_u32 v17, v17, 10, v29
	v_and_b32_e32 v23, 7, v44
	v_and_or_b32 v2, v2, s29, v17
	v_cndmask_b32_e64 v16, v16, v23, s[0:1]
	v_lshlrev_b32_e32 v2, 16, v2
	v_lshl_or_b32 v16, v16, 23, v2
.LBB233_137:                            ;   in Loop: Header=BB233_41 Depth=1
	s_or_b64 exec, exec, s[22:23]
.LBB233_138:                            ;   in Loop: Header=BB233_41 Depth=1
	s_or_b64 exec, exec, s[14:15]
.LBB233_139:                            ;   in Loop: Header=BB233_41 Depth=1
	s_or_b64 exec, exec, s[12:13]
	v_cvt_f32_f16_sdwa v45, v1 dst_sel:DWORD dst_unused:UNUSED_PAD src0_sel:WORD_1
	v_cvt_f32_f16_sdwa v44, v19 dst_sel:DWORD dst_unused:UNUSED_PAD src0_sel:WORD_1
	v_or_b32_e32 v1, v1, v15
	v_or_b32_e32 v2, v19, v18
	;; [unrolled: 1-line block ×3, first 2 shown]
	s_waitcnt vmcnt(0)
	v_pk_mul_f32 v[18:19], v[14:15], v[44:45] op_sel_hi:[0,1]
	v_cvt_f32_f16_e32 v44, v2
	v_cvt_f32_f16_e32 v45, v1
	v_cvt_pk_f16_f32 v1, v18, v19
	v_and_b32_e32 v15, 0xffff0000, v1
	v_lshlrev_b32_e32 v2, 16, v1
	v_pk_mul_f32 v[18:19], v[14:15], v[44:45] op_sel_hi:[0,1]
	v_cvt_pk_f16_f32 v1, v18, v19
	v_or_b32_e32 v19, v22, v21
	v_cvt_f32_f16_e32 v20, v20
	v_cvt_f32_f16_e32 v21, v19
	v_cvt_f32_f16_sdwa v23, v22 dst_sel:DWORD dst_unused:UNUSED_PAD src0_sel:WORD_1
	v_cvt_f32_f16_sdwa v22, v16 dst_sel:DWORD dst_unused:UNUSED_PAD src0_sel:WORD_1
	v_lshrrev_b32_e32 v17, 16, v1
	v_pk_mul_f32 v[20:21], v[14:15], v[20:21] op_sel_hi:[0,1]
	v_cvt_pk_f16_f32 v43, v20, v21
	v_pk_mul_f32 v[20:21], v[14:15], v[22:23] op_sel_hi:[0,1]
	v_cvt_pk_f16_f32 v14, v20, v21
	v_and_b32_e32 v18, 0xffff, v1
	v_and_b32_e32 v19, 0xffff0000, v14
	v_lshlrev_b32_e32 v14, 16, v14
	v_lshrrev_b32_e32 v21, 16, v43
	v_and_b32_e32 v20, 0xffff, v43
	v_or_b32_e32 v1, v15, v17
	v_or_b32_e32 v16, v2, v18
	;; [unrolled: 1-line block ×4, first 2 shown]
	s_and_saveexec_b64 s[12:13], vcc
	s_cbranch_execz .LBB233_141
; %bb.140:                              ;   in Loop: Header=BB233_41 Depth=1
	v_cmp_gt_i32_e64 s[0:1], s27, v27
	s_nop 1
	v_cndmask_b32_e64 v1, 0, v17, s[0:1]
	v_cmp_gt_i32_e64 s[0:1], s33, v36
	s_nop 1
	v_cndmask_b32_e64 v16, 0, v18, s[0:1]
	;; [unrolled: 3-line block ×3, first 2 shown]
	v_cmp_gt_i32_e64 s[0:1], s33, v34
	v_or_b32_e32 v1, v15, v1
	s_nop 0
	v_cndmask_b32_e64 v2, 0, v2, s[0:1]
	v_cmp_gt_i32_e64 s[0:1], s27, v33
	v_or_b32_e32 v16, v2, v16
	s_nop 0
	v_cndmask_b32_e64 v2, 0, v21, s[0:1]
	v_cmp_gt_i32_e64 s[0:1], s33, v32
	s_nop 1
	v_cndmask_b32_e64 v15, 0, v20, s[0:1]
	v_cmp_gt_i32_e64 s[0:1], s27, v31
	;; [unrolled: 3-line block ×3, first 2 shown]
	v_or_b32_e32 v23, v17, v2
	s_nop 0
	v_cndmask_b32_e64 v14, 0, v14, s[0:1]
	v_or_b32_e32 v22, v14, v15
.LBB233_141:                            ;   in Loop: Header=BB233_41 Depth=1
	s_or_b64 exec, exec, s[12:13]
	;;#ASMSTART
	v_pk_mul_f16 v1, v40, v1;

	;;#ASMEND
	;;#ASMSTART
	v_pk_mul_f16 v2, v39, v16;

	;;#ASMEND
	;; [unrolled: 4-line block ×4, first 2 shown]
	s_nop 0
	;;#ASMSTART
	v_pk_add_f16 v1, v1, v2;

	;;#ASMEND
	s_nop 0
	;;#ASMSTART
	v_pk_add_f16 v1, v1, v14;

	;;#ASMEND
	;; [unrolled: 5-line block ×3, first 2 shown]
	v_mov_b32_e32 v15, 0
	v_lshrrev_b32_e32 v2, 16, v1
	v_and_b32_e32 v1, 0xffff, v1
	;;#ASMSTART
	v_cvt_f32_f16 v43, v1;
	;;#ASMEND
	;;#ASMSTART
	v_cvt_f32_f16 v44, v2;
	;;#ASMEND
	global_load_dwordx2 v[16:17], v[12:13], off offset:1024
	v_mov_b32_e32 v1, 0
	global_load_dword v14, v1, s[10:11]
	s_waitcnt vmcnt(1)
	v_cmp_ne_u16_sdwa s[0:1], v16, v3 src0_sel:BYTE_0 src1_sel:DWORD
	s_and_saveexec_b64 s[12:13], s[0:1]
	s_cbranch_execz .LBB233_147
; %bb.142:                              ;   in Loop: Header=BB233_41 Depth=1
	v_cmp_ne_u16_sdwa s[0:1], v16, s24 src0_sel:BYTE_0 src1_sel:DWORD
	v_mov_b32_e32 v15, 0x8000
	s_and_saveexec_b64 s[14:15], s[0:1]
	s_cbranch_execz .LBB233_146
; %bb.143:                              ;   in Loop: Header=BB233_41 Depth=1
	v_and_b32_e32 v2, 0x7f, v16
	v_cmp_ne_u32_e64 s[0:1], s25, v2
	v_mov_b32_e32 v15, 0x7c01
	s_and_saveexec_b64 s[22:23], s[0:1]
	s_cbranch_execz .LBB233_145
; %bb.144:                              ;   in Loop: Header=BB233_41 Depth=1
	v_and_b32_e32 v15, 7, v16
	v_ffbh_u32_e32 v18, v15
	v_min_u32_e32 v21, 32, v18
	v_subrev_u32_e32 v18, 28, v21
	v_lshlrev_b64 v[18:19], v18, v[16:17]
	v_lshrrev_b32_e32 v20, 3, v2
	v_sub_u32_e32 v19, 29, v21
	v_cmp_gt_u32_e64 s[0:1], 8, v2
	v_and_b32_e32 v18, 7, v18
	s_nop 0
	v_cndmask_b32_e64 v2, v20, v19, s[0:1]
	v_lshl_add_u32 v2, v2, 10, v29
	v_lshlrev_b32_e32 v19, 8, v16
	v_and_b32_e32 v2, 0xfc00, v2
	v_cndmask_b32_e64 v15, v15, v18, s[0:1]
	v_and_or_b32 v2, v19, s29, v2
	v_lshl_or_b32 v15, v15, 7, v2
.LBB233_145:                            ;   in Loop: Header=BB233_41 Depth=1
	s_or_b64 exec, exec, s[22:23]
.LBB233_146:                            ;   in Loop: Header=BB233_41 Depth=1
	s_or_b64 exec, exec, s[14:15]
.LBB233_147:                            ;   in Loop: Header=BB233_41 Depth=1
	s_or_b64 exec, exec, s[12:13]
	v_lshrrev_b16_e32 v2, 8, v16
	v_cmp_ne_u16_e64 s[0:1], 0, v2
	s_and_saveexec_b64 s[12:13], s[0:1]
	s_cbranch_execz .LBB233_153
; %bb.148:                              ;   in Loop: Header=BB233_41 Depth=1
	v_cmp_ne_u16_e64 s[0:1], s24, v2
	v_bfrev_b32_e32 v1, 1
	s_and_saveexec_b64 s[14:15], s[0:1]
	s_cbranch_execz .LBB233_152
; %bb.149:                              ;   in Loop: Header=BB233_41 Depth=1
	v_and_b32_e32 v18, 0x7f, v2
	v_cmp_ne_u32_e64 s[0:1], s25, v18
	v_mov_b32_e32 v1, 0x7c010000
	s_and_saveexec_b64 s[22:23], s[0:1]
	s_cbranch_execz .LBB233_151
; %bb.150:                              ;   in Loop: Header=BB233_41 Depth=1
	v_and_b32_e32 v1, 7, v2
	v_ffbh_u32_e32 v20, v1
	v_min_u32_e32 v22, 32, v20
	v_subrev_u32_e32 v20, 28, v22
	v_lshlrev_b64 v[20:21], v20, v[2:3]
	v_lshrrev_b32_e32 v19, 3, v18
	v_sub_u32_e32 v21, 29, v22
	v_cmp_gt_u32_e64 s[0:1], 8, v18
	v_lshlrev_b32_e32 v2, 8, v2
	s_nop 0
	v_cndmask_b32_e64 v18, v19, v21, s[0:1]
	v_lshl_add_u32 v18, v18, 10, v29
	v_and_b32_e32 v19, 7, v20
	v_and_or_b32 v2, v2, s29, v18
	v_cndmask_b32_e64 v1, v1, v19, s[0:1]
	v_lshlrev_b32_e32 v2, 16, v2
	v_lshl_or_b32 v1, v1, 23, v2
.LBB233_151:                            ;   in Loop: Header=BB233_41 Depth=1
	s_or_b64 exec, exec, s[22:23]
.LBB233_152:                            ;   in Loop: Header=BB233_41 Depth=1
	s_or_b64 exec, exec, s[14:15]
.LBB233_153:                            ;   in Loop: Header=BB233_41 Depth=1
	s_or_b64 exec, exec, s[12:13]
	v_lshrrev_b32_e32 v2, 16, v16
	v_cmp_ne_u16_sdwa s[0:1], v2, v3 src0_sel:BYTE_0 src1_sel:DWORD
	v_mov_b32_e32 v19, 0
	v_mov_b32_e32 v18, 0
	s_and_saveexec_b64 s[12:13], s[0:1]
	s_cbranch_execz .LBB233_159
; %bb.154:                              ;   in Loop: Header=BB233_41 Depth=1
	v_cmp_ne_u16_sdwa s[0:1], v2, s24 src0_sel:BYTE_0 src1_sel:DWORD
	v_mov_b32_e32 v18, 0x8000
	s_and_saveexec_b64 s[14:15], s[0:1]
	s_cbranch_execz .LBB233_158
; %bb.155:                              ;   in Loop: Header=BB233_41 Depth=1
	v_bfe_u32 v20, v16, 16, 7
	v_cmp_ne_u32_e64 s[0:1], s25, v20
	v_mov_b32_e32 v18, 0x7c01
	s_and_saveexec_b64 s[22:23], s[0:1]
	s_cbranch_execz .LBB233_157
; %bb.156:                              ;   in Loop: Header=BB233_41 Depth=1
	v_and_b32_e32 v18, 7, v2
	v_ffbh_u32_e32 v22, v18
	v_min_u32_e32 v45, 32, v22
	v_subrev_u32_e32 v22, 28, v45
	v_lshlrev_b64 v[22:23], v22, v[2:3]
	v_lshrrev_b32_e32 v21, 3, v20
	v_sub_u32_e32 v23, 29, v45
	v_cmp_gt_u32_e64 s[0:1], 8, v20
	v_lshlrev_b32_e32 v2, 8, v2
	s_nop 0
	v_cndmask_b32_e64 v20, v21, v23, s[0:1]
	v_lshl_add_u32 v20, v20, 10, v29
	v_and_b32_e32 v21, 7, v22
	v_and_b32_e32 v20, 0xfc00, v20
	v_cndmask_b32_e64 v18, v18, v21, s[0:1]
	v_and_or_b32 v2, v2, s29, v20
	v_lshl_or_b32 v18, v18, 7, v2
.LBB233_157:                            ;   in Loop: Header=BB233_41 Depth=1
	s_or_b64 exec, exec, s[22:23]
.LBB233_158:                            ;   in Loop: Header=BB233_41 Depth=1
	s_or_b64 exec, exec, s[14:15]
.LBB233_159:                            ;   in Loop: Header=BB233_41 Depth=1
	s_or_b64 exec, exec, s[12:13]
	v_cmp_lt_u32_e64 s[0:1], s7, v16
	s_and_saveexec_b64 s[12:13], s[0:1]
	s_cbranch_execz .LBB233_165
; %bb.160:                              ;   in Loop: Header=BB233_41 Depth=1
	v_lshrrev_b32_e32 v2, 24, v16
	v_cmp_ne_u32_e64 s[0:1], s24, v2
	v_bfrev_b32_e32 v19, 1
	s_and_saveexec_b64 s[14:15], s[0:1]
	s_cbranch_execz .LBB233_164
; %bb.161:                              ;   in Loop: Header=BB233_41 Depth=1
	v_and_b32_e32 v20, 0x7f, v2
	v_cmp_ne_u32_e64 s[0:1], s25, v20
	v_mov_b32_e32 v19, 0x7c010000
	s_and_saveexec_b64 s[22:23], s[0:1]
	s_cbranch_execz .LBB233_163
; %bb.162:                              ;   in Loop: Header=BB233_41 Depth=1
	v_and_b32_e32 v19, 7, v2
	v_ffbh_u32_e32 v22, v19
	v_min_u32_e32 v45, 32, v22
	v_subrev_u32_e32 v22, 28, v45
	v_lshlrev_b64 v[22:23], v22, v[2:3]
	v_lshrrev_b32_e32 v21, 3, v20
	v_sub_u32_e32 v23, 29, v45
	v_cmp_gt_u32_e64 s[0:1], 8, v20
	v_lshlrev_b32_e32 v2, 8, v2
	s_nop 0
	v_cndmask_b32_e64 v20, v21, v23, s[0:1]
	v_lshl_add_u32 v20, v20, 10, v29
	v_and_b32_e32 v21, 7, v22
	v_and_or_b32 v2, v2, s29, v20
	v_cndmask_b32_e64 v19, v19, v21, s[0:1]
	v_lshlrev_b32_e32 v2, 16, v2
	v_lshl_or_b32 v19, v19, 23, v2
.LBB233_163:                            ;   in Loop: Header=BB233_41 Depth=1
	s_or_b64 exec, exec, s[22:23]
.LBB233_164:                            ;   in Loop: Header=BB233_41 Depth=1
	s_or_b64 exec, exec, s[14:15]
.LBB233_165:                            ;   in Loop: Header=BB233_41 Depth=1
	s_or_b64 exec, exec, s[12:13]
	v_mov_b32_e32 v2, v17
	v_cmp_ne_u16_sdwa s[0:1], v17, v3 src0_sel:BYTE_0 src1_sel:DWORD
	v_mov_b32_e32 v20, 0
	v_mov_b32_e32 v21, 0
	s_and_saveexec_b64 s[12:13], s[0:1]
	s_cbranch_execz .LBB233_171
; %bb.166:                              ;   in Loop: Header=BB233_41 Depth=1
	v_cmp_ne_u16_sdwa s[0:1], v17, s24 src0_sel:BYTE_0 src1_sel:DWORD
	v_mov_b32_e32 v21, 0x8000
	s_and_saveexec_b64 s[14:15], s[0:1]
	s_cbranch_execz .LBB233_170
; %bb.167:                              ;   in Loop: Header=BB233_41 Depth=1
	v_and_b32_e32 v22, 0x7f, v17
	v_cmp_ne_u32_e64 s[0:1], s25, v22
	v_mov_b32_e32 v21, 0x7c01
	s_and_saveexec_b64 s[22:23], s[0:1]
	s_cbranch_execz .LBB233_169
; %bb.168:                              ;   in Loop: Header=BB233_41 Depth=1
	v_and_b32_e32 v21, 7, v17
	v_ffbh_u32_e32 v45, v21
	v_min_u32_e32 v45, 32, v45
	v_lshrrev_b32_e32 v23, 3, v22
	v_subrev_u32_e32 v46, 28, v45
	v_sub_u32_e32 v45, 29, v45
	v_cmp_gt_u32_e64 s[0:1], 8, v22
	v_lshlrev_b64 v[46:47], v46, v[2:3]
	s_nop 0
	v_cndmask_b32_e64 v22, v23, v45, s[0:1]
	v_lshl_add_u32 v22, v22, 10, v29
	v_lshlrev_b32_e32 v23, 8, v17
	v_and_b32_e32 v45, 7, v46
	v_and_b32_e32 v22, 0xfc00, v22
	v_cndmask_b32_e64 v21, v21, v45, s[0:1]
	v_and_or_b32 v22, v23, s29, v22
	v_lshl_or_b32 v21, v21, 7, v22
.LBB233_169:                            ;   in Loop: Header=BB233_41 Depth=1
	s_or_b64 exec, exec, s[22:23]
.LBB233_170:                            ;   in Loop: Header=BB233_41 Depth=1
	s_or_b64 exec, exec, s[14:15]
.LBB233_171:                            ;   in Loop: Header=BB233_41 Depth=1
	s_or_b64 exec, exec, s[12:13]
	v_lshrrev_b16_e32 v2, 8, v2
	v_cmp_ne_u16_e64 s[0:1], 0, v2
	v_mov_b32_e32 v22, 0
	s_and_saveexec_b64 s[12:13], s[0:1]
	s_cbranch_execz .LBB233_177
; %bb.172:                              ;   in Loop: Header=BB233_41 Depth=1
	v_cmp_ne_u16_e64 s[0:1], s24, v2
	v_bfrev_b32_e32 v22, 1
	s_and_saveexec_b64 s[14:15], s[0:1]
	s_cbranch_execz .LBB233_176
; %bb.173:                              ;   in Loop: Header=BB233_41 Depth=1
	v_and_b32_e32 v23, 0x7f, v2
	v_cmp_ne_u32_e64 s[0:1], s25, v23
	v_mov_b32_e32 v22, 0x7c010000
	s_and_saveexec_b64 s[22:23], s[0:1]
	s_cbranch_execz .LBB233_175
; %bb.174:                              ;   in Loop: Header=BB233_41 Depth=1
	v_and_b32_e32 v22, 7, v2
	v_ffbh_u32_e32 v46, v22
	v_min_u32_e32 v48, 32, v46
	v_subrev_u32_e32 v46, 28, v48
	v_lshlrev_b64 v[46:47], v46, v[2:3]
	v_lshrrev_b32_e32 v45, 3, v23
	v_sub_u32_e32 v47, 29, v48
	v_cmp_gt_u32_e64 s[0:1], 8, v23
	v_lshlrev_b32_e32 v2, 8, v2
	s_nop 0
	v_cndmask_b32_e64 v23, v45, v47, s[0:1]
	v_lshl_add_u32 v23, v23, 10, v29
	v_and_b32_e32 v45, 7, v46
	v_and_or_b32 v2, v2, s29, v23
	v_cndmask_b32_e64 v22, v22, v45, s[0:1]
	v_lshlrev_b32_e32 v2, 16, v2
	v_lshl_or_b32 v22, v22, 23, v2
.LBB233_175:                            ;   in Loop: Header=BB233_41 Depth=1
	s_or_b64 exec, exec, s[22:23]
.LBB233_176:                            ;   in Loop: Header=BB233_41 Depth=1
	s_or_b64 exec, exec, s[14:15]
.LBB233_177:                            ;   in Loop: Header=BB233_41 Depth=1
	s_or_b64 exec, exec, s[12:13]
	v_lshrrev_b32_e32 v2, 16, v17
	v_cmp_ne_u16_sdwa s[0:1], v2, v3 src0_sel:BYTE_0 src1_sel:DWORD
	s_and_saveexec_b64 s[12:13], s[0:1]
	s_cbranch_execz .LBB233_183
; %bb.178:                              ;   in Loop: Header=BB233_41 Depth=1
	v_cmp_ne_u16_sdwa s[0:1], v2, s24 src0_sel:BYTE_0 src1_sel:DWORD
	v_mov_b32_e32 v20, 0x8000
	s_and_saveexec_b64 s[14:15], s[0:1]
	s_cbranch_execz .LBB233_182
; %bb.179:                              ;   in Loop: Header=BB233_41 Depth=1
	v_bfe_u32 v23, v17, 16, 7
	v_cmp_ne_u32_e64 s[0:1], s25, v23
	v_mov_b32_e32 v20, 0x7c01
	s_and_saveexec_b64 s[22:23], s[0:1]
	s_cbranch_execz .LBB233_181
; %bb.180:                              ;   in Loop: Header=BB233_41 Depth=1
	v_and_b32_e32 v20, 7, v2
	v_ffbh_u32_e32 v46, v20
	v_min_u32_e32 v48, 32, v46
	v_subrev_u32_e32 v46, 28, v48
	v_lshlrev_b64 v[46:47], v46, v[2:3]
	v_lshrrev_b32_e32 v45, 3, v23
	v_sub_u32_e32 v47, 29, v48
	v_cmp_gt_u32_e64 s[0:1], 8, v23
	v_lshlrev_b32_e32 v2, 8, v2
	s_nop 0
	v_cndmask_b32_e64 v23, v45, v47, s[0:1]
	v_lshl_add_u32 v23, v23, 10, v29
	v_and_b32_e32 v45, 7, v46
	v_and_b32_e32 v23, 0xfc00, v23
	v_cndmask_b32_e64 v20, v20, v45, s[0:1]
	v_and_or_b32 v2, v2, s29, v23
	v_lshl_or_b32 v20, v20, 7, v2
.LBB233_181:                            ;   in Loop: Header=BB233_41 Depth=1
	s_or_b64 exec, exec, s[22:23]
.LBB233_182:                            ;   in Loop: Header=BB233_41 Depth=1
	s_or_b64 exec, exec, s[14:15]
.LBB233_183:                            ;   in Loop: Header=BB233_41 Depth=1
	s_or_b64 exec, exec, s[12:13]
	v_cmp_lt_u64_e64 s[0:1], s[6:7], v[16:17]
	v_mov_b32_e32 v16, 0
	s_and_saveexec_b64 s[12:13], s[0:1]
	s_cbranch_execz .LBB233_189
; %bb.184:                              ;   in Loop: Header=BB233_41 Depth=1
	v_lshrrev_b32_e32 v2, 24, v17
	v_cmp_ne_u32_e64 s[0:1], s24, v2
	v_bfrev_b32_e32 v16, 1
	s_and_saveexec_b64 s[14:15], s[0:1]
	s_cbranch_execz .LBB233_188
; %bb.185:                              ;   in Loop: Header=BB233_41 Depth=1
	v_and_b32_e32 v17, 0x7f, v2
	v_cmp_ne_u32_e64 s[0:1], s25, v17
	v_mov_b32_e32 v16, 0x7c010000
	s_and_saveexec_b64 s[22:23], s[0:1]
	s_cbranch_execz .LBB233_187
; %bb.186:                              ;   in Loop: Header=BB233_41 Depth=1
	v_and_b32_e32 v16, 7, v2
	v_ffbh_u32_e32 v45, v16
	v_min_u32_e32 v45, 32, v45
	v_lshrrev_b32_e32 v23, 3, v17
	v_subrev_u32_e32 v46, 28, v45
	v_sub_u32_e32 v45, 29, v45
	v_cmp_gt_u32_e64 s[0:1], 8, v17
	v_lshlrev_b64 v[46:47], v46, v[2:3]
	v_lshlrev_b32_e32 v2, 8, v2
	v_cndmask_b32_e64 v17, v23, v45, s[0:1]
	v_lshl_add_u32 v17, v17, 10, v29
	v_and_b32_e32 v23, 7, v46
	v_and_or_b32 v2, v2, s29, v17
	v_cndmask_b32_e64 v16, v16, v23, s[0:1]
	v_lshlrev_b32_e32 v2, 16, v2
	v_lshl_or_b32 v16, v16, 23, v2
.LBB233_187:                            ;   in Loop: Header=BB233_41 Depth=1
	s_or_b64 exec, exec, s[22:23]
.LBB233_188:                            ;   in Loop: Header=BB233_41 Depth=1
	s_or_b64 exec, exec, s[14:15]
.LBB233_189:                            ;   in Loop: Header=BB233_41 Depth=1
	s_or_b64 exec, exec, s[12:13]
	v_cvt_f32_f16_sdwa v47, v1 dst_sel:DWORD dst_unused:UNUSED_PAD src0_sel:WORD_1
	v_cvt_f32_f16_sdwa v46, v19 dst_sel:DWORD dst_unused:UNUSED_PAD src0_sel:WORD_1
	v_or_b32_e32 v1, v1, v15
	v_or_b32_e32 v2, v19, v18
	;; [unrolled: 1-line block ×3, first 2 shown]
	s_waitcnt vmcnt(0)
	v_pk_mul_f32 v[18:19], v[14:15], v[46:47] op_sel_hi:[0,1]
	v_cvt_f32_f16_e32 v46, v2
	v_cvt_f32_f16_e32 v47, v1
	v_cvt_pk_f16_f32 v1, v18, v19
	v_and_b32_e32 v15, 0xffff0000, v1
	v_lshlrev_b32_e32 v2, 16, v1
	v_pk_mul_f32 v[18:19], v[14:15], v[46:47] op_sel_hi:[0,1]
	v_cvt_pk_f16_f32 v1, v18, v19
	v_or_b32_e32 v19, v22, v21
	v_cvt_f32_f16_e32 v20, v20
	v_cvt_f32_f16_e32 v21, v19
	v_cvt_f32_f16_sdwa v23, v22 dst_sel:DWORD dst_unused:UNUSED_PAD src0_sel:WORD_1
	v_cvt_f32_f16_sdwa v22, v16 dst_sel:DWORD dst_unused:UNUSED_PAD src0_sel:WORD_1
	v_lshrrev_b32_e32 v17, 16, v1
	v_pk_mul_f32 v[20:21], v[14:15], v[20:21] op_sel_hi:[0,1]
	v_cvt_pk_f16_f32 v45, v20, v21
	v_pk_mul_f32 v[20:21], v[14:15], v[22:23] op_sel_hi:[0,1]
	v_cvt_pk_f16_f32 v14, v20, v21
	v_and_b32_e32 v18, 0xffff, v1
	v_and_b32_e32 v19, 0xffff0000, v14
	v_lshlrev_b32_e32 v14, 16, v14
	v_lshrrev_b32_e32 v21, 16, v45
	v_and_b32_e32 v20, 0xffff, v45
	v_or_b32_e32 v1, v15, v17
	v_or_b32_e32 v16, v2, v18
	;; [unrolled: 1-line block ×4, first 2 shown]
	s_and_saveexec_b64 s[12:13], vcc
	s_cbranch_execz .LBB233_191
; %bb.190:                              ;   in Loop: Header=BB233_41 Depth=1
	v_cmp_gt_i32_e64 s[0:1], s27, v27
	s_nop 1
	v_cndmask_b32_e64 v1, 0, v17, s[0:1]
	v_cmp_gt_i32_e64 s[0:1], s33, v36
	s_nop 1
	v_cndmask_b32_e64 v16, 0, v18, s[0:1]
	;; [unrolled: 3-line block ×3, first 2 shown]
	v_cmp_gt_i32_e64 s[0:1], s33, v34
	v_or_b32_e32 v1, v15, v1
	s_nop 0
	v_cndmask_b32_e64 v2, 0, v2, s[0:1]
	v_cmp_gt_i32_e64 s[0:1], s27, v33
	v_or_b32_e32 v16, v2, v16
	s_nop 0
	v_cndmask_b32_e64 v2, 0, v21, s[0:1]
	v_cmp_gt_i32_e64 s[0:1], s33, v32
	s_nop 1
	v_cndmask_b32_e64 v15, 0, v20, s[0:1]
	v_cmp_gt_i32_e64 s[0:1], s27, v31
	s_nop 1
	v_cndmask_b32_e64 v17, 0, v19, s[0:1]
	v_cmp_gt_i32_e64 s[0:1], s33, v30
	v_or_b32_e32 v23, v17, v2
	s_nop 0
	v_cndmask_b32_e64 v14, 0, v14, s[0:1]
	v_or_b32_e32 v22, v14, v15
.LBB233_191:                            ;   in Loop: Header=BB233_41 Depth=1
	s_or_b64 exec, exec, s[12:13]
	;;#ASMSTART
	v_pk_mul_f16 v1, v40, v1;

	;;#ASMEND
	;;#ASMSTART
	v_pk_mul_f16 v2, v39, v16;

	;;#ASMEND
	;; [unrolled: 4-line block ×4, first 2 shown]
	s_nop 0
	;;#ASMSTART
	v_pk_add_f16 v1, v1, v2;

	;;#ASMEND
	s_nop 0
	;;#ASMSTART
	v_pk_add_f16 v1, v1, v14;

	;;#ASMEND
	;; [unrolled: 5-line block ×3, first 2 shown]
	s_nop 0
	v_lshrrev_b32_e32 v2, 16, v1
	v_and_b32_e32 v1, 0xffff, v1
	;;#ASMSTART
	v_cvt_f32_f16 v22, v1;
	;;#ASMEND
	;;#ASMSTART
	v_cvt_f32_f16 v23, v2;
	;;#ASMEND
	global_load_dwordx2 v[14:15], v[12:13], off offset:1536
	v_mov_b32_e32 v1, 0
	global_load_dword v12, v1, s[10:11]
	v_mov_b32_e32 v13, 0
	s_waitcnt vmcnt(1)
	v_cmp_ne_u16_sdwa s[0:1], v14, v3 src0_sel:BYTE_0 src1_sel:DWORD
	s_and_saveexec_b64 s[12:13], s[0:1]
	s_cbranch_execz .LBB233_197
; %bb.192:                              ;   in Loop: Header=BB233_41 Depth=1
	v_cmp_ne_u16_sdwa s[0:1], v14, s24 src0_sel:BYTE_0 src1_sel:DWORD
	v_mov_b32_e32 v13, 0x8000
	s_and_saveexec_b64 s[14:15], s[0:1]
	s_cbranch_execz .LBB233_196
; %bb.193:                              ;   in Loop: Header=BB233_41 Depth=1
	v_and_b32_e32 v2, 0x7f, v14
	v_cmp_ne_u32_e64 s[0:1], s25, v2
	v_mov_b32_e32 v13, 0x7c01
	s_and_saveexec_b64 s[22:23], s[0:1]
	s_cbranch_execz .LBB233_195
; %bb.194:                              ;   in Loop: Header=BB233_41 Depth=1
	v_and_b32_e32 v13, 7, v14
	v_ffbh_u32_e32 v16, v13
	v_min_u32_e32 v19, 32, v16
	v_subrev_u32_e32 v16, 28, v19
	v_lshlrev_b64 v[16:17], v16, v[14:15]
	v_lshrrev_b32_e32 v18, 3, v2
	v_sub_u32_e32 v17, 29, v19
	v_cmp_gt_u32_e64 s[0:1], 8, v2
	v_and_b32_e32 v16, 7, v16
	s_nop 0
	v_cndmask_b32_e64 v2, v18, v17, s[0:1]
	v_lshl_add_u32 v2, v2, 10, v29
	v_lshlrev_b32_e32 v17, 8, v14
	v_and_b32_e32 v2, 0xfc00, v2
	v_cndmask_b32_e64 v13, v13, v16, s[0:1]
	v_and_or_b32 v2, v17, s29, v2
	v_lshl_or_b32 v13, v13, 7, v2
.LBB233_195:                            ;   in Loop: Header=BB233_41 Depth=1
	s_or_b64 exec, exec, s[22:23]
.LBB233_196:                            ;   in Loop: Header=BB233_41 Depth=1
	s_or_b64 exec, exec, s[14:15]
.LBB233_197:                            ;   in Loop: Header=BB233_41 Depth=1
	s_or_b64 exec, exec, s[12:13]
	v_lshrrev_b16_e32 v2, 8, v14
	v_cmp_ne_u16_e64 s[0:1], 0, v2
	s_and_saveexec_b64 s[12:13], s[0:1]
	s_cbranch_execz .LBB233_203
; %bb.198:                              ;   in Loop: Header=BB233_41 Depth=1
	v_cmp_ne_u16_e64 s[0:1], s24, v2
	v_bfrev_b32_e32 v1, 1
	s_and_saveexec_b64 s[14:15], s[0:1]
	s_cbranch_execz .LBB233_202
; %bb.199:                              ;   in Loop: Header=BB233_41 Depth=1
	v_and_b32_e32 v16, 0x7f, v2
	v_cmp_ne_u32_e64 s[0:1], s25, v16
	v_mov_b32_e32 v1, 0x7c010000
	s_and_saveexec_b64 s[22:23], s[0:1]
	s_cbranch_execz .LBB233_201
; %bb.200:                              ;   in Loop: Header=BB233_41 Depth=1
	v_and_b32_e32 v1, 7, v2
	v_ffbh_u32_e32 v18, v1
	v_min_u32_e32 v20, 32, v18
	v_subrev_u32_e32 v18, 28, v20
	v_lshlrev_b64 v[18:19], v18, v[2:3]
	v_lshrrev_b32_e32 v17, 3, v16
	v_sub_u32_e32 v19, 29, v20
	v_cmp_gt_u32_e64 s[0:1], 8, v16
	v_lshlrev_b32_e32 v2, 8, v2
	s_nop 0
	v_cndmask_b32_e64 v16, v17, v19, s[0:1]
	v_lshl_add_u32 v16, v16, 10, v29
	v_and_b32_e32 v17, 7, v18
	v_and_or_b32 v2, v2, s29, v16
	v_cndmask_b32_e64 v1, v1, v17, s[0:1]
	v_lshlrev_b32_e32 v2, 16, v2
	v_lshl_or_b32 v1, v1, 23, v2
.LBB233_201:                            ;   in Loop: Header=BB233_41 Depth=1
	s_or_b64 exec, exec, s[22:23]
.LBB233_202:                            ;   in Loop: Header=BB233_41 Depth=1
	s_or_b64 exec, exec, s[14:15]
.LBB233_203:                            ;   in Loop: Header=BB233_41 Depth=1
	s_or_b64 exec, exec, s[12:13]
	v_lshrrev_b32_e32 v2, 16, v14
	v_cmp_ne_u16_sdwa s[0:1], v2, v3 src0_sel:BYTE_0 src1_sel:DWORD
	v_mov_b32_e32 v17, 0
	v_mov_b32_e32 v16, 0
	s_and_saveexec_b64 s[12:13], s[0:1]
	s_cbranch_execz .LBB233_209
; %bb.204:                              ;   in Loop: Header=BB233_41 Depth=1
	v_cmp_ne_u16_sdwa s[0:1], v2, s24 src0_sel:BYTE_0 src1_sel:DWORD
	v_mov_b32_e32 v16, 0x8000
	s_and_saveexec_b64 s[14:15], s[0:1]
	s_cbranch_execz .LBB233_208
; %bb.205:                              ;   in Loop: Header=BB233_41 Depth=1
	v_bfe_u32 v18, v14, 16, 7
	v_cmp_ne_u32_e64 s[0:1], s25, v18
	v_mov_b32_e32 v16, 0x7c01
	s_and_saveexec_b64 s[22:23], s[0:1]
	s_cbranch_execz .LBB233_207
; %bb.206:                              ;   in Loop: Header=BB233_41 Depth=1
	v_and_b32_e32 v16, 7, v2
	v_ffbh_u32_e32 v20, v16
	v_min_u32_e32 v45, 32, v20
	v_subrev_u32_e32 v20, 28, v45
	v_lshlrev_b64 v[20:21], v20, v[2:3]
	v_lshrrev_b32_e32 v19, 3, v18
	v_sub_u32_e32 v21, 29, v45
	v_cmp_gt_u32_e64 s[0:1], 8, v18
	v_lshlrev_b32_e32 v2, 8, v2
	s_nop 0
	v_cndmask_b32_e64 v18, v19, v21, s[0:1]
	v_lshl_add_u32 v18, v18, 10, v29
	v_and_b32_e32 v19, 7, v20
	v_and_b32_e32 v18, 0xfc00, v18
	v_cndmask_b32_e64 v16, v16, v19, s[0:1]
	v_and_or_b32 v2, v2, s29, v18
	v_lshl_or_b32 v16, v16, 7, v2
.LBB233_207:                            ;   in Loop: Header=BB233_41 Depth=1
	s_or_b64 exec, exec, s[22:23]
.LBB233_208:                            ;   in Loop: Header=BB233_41 Depth=1
	s_or_b64 exec, exec, s[14:15]
.LBB233_209:                            ;   in Loop: Header=BB233_41 Depth=1
	s_or_b64 exec, exec, s[12:13]
	v_cmp_lt_u32_e64 s[0:1], s7, v14
	s_and_saveexec_b64 s[12:13], s[0:1]
	s_cbranch_execz .LBB233_215
; %bb.210:                              ;   in Loop: Header=BB233_41 Depth=1
	v_lshrrev_b32_e32 v2, 24, v14
	v_cmp_ne_u32_e64 s[0:1], s24, v2
	v_bfrev_b32_e32 v17, 1
	s_and_saveexec_b64 s[14:15], s[0:1]
	s_cbranch_execz .LBB233_214
; %bb.211:                              ;   in Loop: Header=BB233_41 Depth=1
	v_and_b32_e32 v18, 0x7f, v2
	v_cmp_ne_u32_e64 s[0:1], s25, v18
	v_mov_b32_e32 v17, 0x7c010000
	s_and_saveexec_b64 s[22:23], s[0:1]
	s_cbranch_execz .LBB233_213
; %bb.212:                              ;   in Loop: Header=BB233_41 Depth=1
	v_and_b32_e32 v17, 7, v2
	v_ffbh_u32_e32 v20, v17
	v_min_u32_e32 v45, 32, v20
	v_subrev_u32_e32 v20, 28, v45
	v_lshlrev_b64 v[20:21], v20, v[2:3]
	v_lshrrev_b32_e32 v19, 3, v18
	v_sub_u32_e32 v21, 29, v45
	v_cmp_gt_u32_e64 s[0:1], 8, v18
	v_lshlrev_b32_e32 v2, 8, v2
	s_nop 0
	v_cndmask_b32_e64 v18, v19, v21, s[0:1]
	v_lshl_add_u32 v18, v18, 10, v29
	v_and_b32_e32 v19, 7, v20
	v_and_or_b32 v2, v2, s29, v18
	v_cndmask_b32_e64 v17, v17, v19, s[0:1]
	v_lshlrev_b32_e32 v2, 16, v2
	v_lshl_or_b32 v17, v17, 23, v2
.LBB233_213:                            ;   in Loop: Header=BB233_41 Depth=1
	s_or_b64 exec, exec, s[22:23]
.LBB233_214:                            ;   in Loop: Header=BB233_41 Depth=1
	s_or_b64 exec, exec, s[14:15]
.LBB233_215:                            ;   in Loop: Header=BB233_41 Depth=1
	s_or_b64 exec, exec, s[12:13]
	v_mov_b32_e32 v2, v15
	v_cmp_ne_u16_sdwa s[0:1], v15, v3 src0_sel:BYTE_0 src1_sel:DWORD
	v_mov_b32_e32 v18, 0
	v_mov_b32_e32 v19, 0
	s_and_saveexec_b64 s[12:13], s[0:1]
	s_cbranch_execz .LBB233_221
; %bb.216:                              ;   in Loop: Header=BB233_41 Depth=1
	v_cmp_ne_u16_sdwa s[0:1], v15, s24 src0_sel:BYTE_0 src1_sel:DWORD
	v_mov_b32_e32 v19, 0x8000
	s_and_saveexec_b64 s[14:15], s[0:1]
	s_cbranch_execz .LBB233_220
; %bb.217:                              ;   in Loop: Header=BB233_41 Depth=1
	v_and_b32_e32 v20, 0x7f, v15
	v_cmp_ne_u32_e64 s[0:1], s25, v20
	v_mov_b32_e32 v19, 0x7c01
	s_and_saveexec_b64 s[22:23], s[0:1]
	s_cbranch_execz .LBB233_219
; %bb.218:                              ;   in Loop: Header=BB233_41 Depth=1
	v_and_b32_e32 v19, 7, v15
	v_ffbh_u32_e32 v45, v19
	v_min_u32_e32 v45, 32, v45
	v_lshrrev_b32_e32 v21, 3, v20
	v_subrev_u32_e32 v46, 28, v45
	v_sub_u32_e32 v45, 29, v45
	v_cmp_gt_u32_e64 s[0:1], 8, v20
	v_lshlrev_b64 v[46:47], v46, v[2:3]
	s_nop 0
	v_cndmask_b32_e64 v20, v21, v45, s[0:1]
	v_lshl_add_u32 v20, v20, 10, v29
	v_lshlrev_b32_e32 v21, 8, v15
	v_and_b32_e32 v45, 7, v46
	v_and_b32_e32 v20, 0xfc00, v20
	v_cndmask_b32_e64 v19, v19, v45, s[0:1]
	v_and_or_b32 v20, v21, s29, v20
	v_lshl_or_b32 v19, v19, 7, v20
.LBB233_219:                            ;   in Loop: Header=BB233_41 Depth=1
	s_or_b64 exec, exec, s[22:23]
.LBB233_220:                            ;   in Loop: Header=BB233_41 Depth=1
	s_or_b64 exec, exec, s[14:15]
.LBB233_221:                            ;   in Loop: Header=BB233_41 Depth=1
	s_or_b64 exec, exec, s[12:13]
	v_lshrrev_b16_e32 v2, 8, v2
	v_cmp_ne_u16_e64 s[0:1], 0, v2
	v_mov_b32_e32 v20, 0
	s_and_saveexec_b64 s[12:13], s[0:1]
	s_cbranch_execz .LBB233_227
; %bb.222:                              ;   in Loop: Header=BB233_41 Depth=1
	v_cmp_ne_u16_e64 s[0:1], s24, v2
	v_bfrev_b32_e32 v20, 1
	s_and_saveexec_b64 s[14:15], s[0:1]
	s_cbranch_execz .LBB233_226
; %bb.223:                              ;   in Loop: Header=BB233_41 Depth=1
	v_and_b32_e32 v21, 0x7f, v2
	v_cmp_ne_u32_e64 s[0:1], s25, v21
	v_mov_b32_e32 v20, 0x7c010000
	s_and_saveexec_b64 s[22:23], s[0:1]
	s_cbranch_execz .LBB233_225
; %bb.224:                              ;   in Loop: Header=BB233_41 Depth=1
	v_and_b32_e32 v20, 7, v2
	v_ffbh_u32_e32 v46, v20
	v_min_u32_e32 v48, 32, v46
	v_subrev_u32_e32 v46, 28, v48
	v_lshlrev_b64 v[46:47], v46, v[2:3]
	v_lshrrev_b32_e32 v45, 3, v21
	v_sub_u32_e32 v47, 29, v48
	v_cmp_gt_u32_e64 s[0:1], 8, v21
	v_lshlrev_b32_e32 v2, 8, v2
	s_nop 0
	v_cndmask_b32_e64 v21, v45, v47, s[0:1]
	v_lshl_add_u32 v21, v21, 10, v29
	v_and_b32_e32 v45, 7, v46
	v_and_or_b32 v2, v2, s29, v21
	v_cndmask_b32_e64 v20, v20, v45, s[0:1]
	v_lshlrev_b32_e32 v2, 16, v2
	v_lshl_or_b32 v20, v20, 23, v2
.LBB233_225:                            ;   in Loop: Header=BB233_41 Depth=1
	s_or_b64 exec, exec, s[22:23]
.LBB233_226:                            ;   in Loop: Header=BB233_41 Depth=1
	s_or_b64 exec, exec, s[14:15]
.LBB233_227:                            ;   in Loop: Header=BB233_41 Depth=1
	s_or_b64 exec, exec, s[12:13]
	v_lshrrev_b32_e32 v2, 16, v15
	v_cmp_ne_u16_sdwa s[0:1], v2, v3 src0_sel:BYTE_0 src1_sel:DWORD
	s_and_saveexec_b64 s[12:13], s[0:1]
	s_cbranch_execz .LBB233_233
; %bb.228:                              ;   in Loop: Header=BB233_41 Depth=1
	v_cmp_ne_u16_sdwa s[0:1], v2, s24 src0_sel:BYTE_0 src1_sel:DWORD
	v_mov_b32_e32 v18, 0x8000
	s_and_saveexec_b64 s[14:15], s[0:1]
	s_cbranch_execz .LBB233_232
; %bb.229:                              ;   in Loop: Header=BB233_41 Depth=1
	v_bfe_u32 v21, v15, 16, 7
	v_cmp_ne_u32_e64 s[0:1], s25, v21
	v_mov_b32_e32 v18, 0x7c01
	s_and_saveexec_b64 s[22:23], s[0:1]
	s_cbranch_execz .LBB233_231
; %bb.230:                              ;   in Loop: Header=BB233_41 Depth=1
	v_and_b32_e32 v18, 7, v2
	v_ffbh_u32_e32 v46, v18
	v_min_u32_e32 v48, 32, v46
	v_subrev_u32_e32 v46, 28, v48
	v_lshlrev_b64 v[46:47], v46, v[2:3]
	v_lshrrev_b32_e32 v45, 3, v21
	v_sub_u32_e32 v47, 29, v48
	v_cmp_gt_u32_e64 s[0:1], 8, v21
	v_lshlrev_b32_e32 v2, 8, v2
	s_nop 0
	v_cndmask_b32_e64 v21, v45, v47, s[0:1]
	v_lshl_add_u32 v21, v21, 10, v29
	v_and_b32_e32 v45, 7, v46
	v_and_b32_e32 v21, 0xfc00, v21
	v_cndmask_b32_e64 v18, v18, v45, s[0:1]
	v_and_or_b32 v2, v2, s29, v21
	v_lshl_or_b32 v18, v18, 7, v2
.LBB233_231:                            ;   in Loop: Header=BB233_41 Depth=1
	s_or_b64 exec, exec, s[22:23]
.LBB233_232:                            ;   in Loop: Header=BB233_41 Depth=1
	s_or_b64 exec, exec, s[14:15]
.LBB233_233:                            ;   in Loop: Header=BB233_41 Depth=1
	s_or_b64 exec, exec, s[12:13]
	v_cmp_lt_u64_e64 s[0:1], s[6:7], v[14:15]
	v_mov_b32_e32 v21, 0
	s_and_saveexec_b64 s[12:13], s[0:1]
	s_cbranch_execz .LBB233_239
; %bb.234:                              ;   in Loop: Header=BB233_41 Depth=1
	v_lshrrev_b32_e32 v2, 24, v15
	v_cmp_ne_u32_e64 s[0:1], s24, v2
	v_bfrev_b32_e32 v21, 1
	s_and_saveexec_b64 s[14:15], s[0:1]
	s_cbranch_execz .LBB233_238
; %bb.235:                              ;   in Loop: Header=BB233_41 Depth=1
	v_and_b32_e32 v14, 0x7f, v2
	v_cmp_ne_u32_e64 s[0:1], s25, v14
	v_mov_b32_e32 v21, 0x7c010000
	s_and_saveexec_b64 s[22:23], s[0:1]
	s_cbranch_execz .LBB233_237
; %bb.236:                              ;   in Loop: Header=BB233_41 Depth=1
	v_and_b32_e32 v15, 7, v2
	v_ffbh_u32_e32 v45, v15
	v_min_u32_e32 v45, 32, v45
	v_lshrrev_b32_e32 v21, 3, v14
	v_subrev_u32_e32 v46, 28, v45
	v_sub_u32_e32 v45, 29, v45
	v_cmp_gt_u32_e64 s[0:1], 8, v14
	v_lshlrev_b64 v[46:47], v46, v[2:3]
	v_lshlrev_b32_e32 v2, 8, v2
	v_cndmask_b32_e64 v14, v21, v45, s[0:1]
	v_lshl_add_u32 v14, v14, 10, v29
	v_and_b32_e32 v21, 7, v46
	v_and_or_b32 v2, v2, s29, v14
	v_cndmask_b32_e64 v15, v15, v21, s[0:1]
	v_lshlrev_b32_e32 v2, 16, v2
	v_lshl_or_b32 v21, v15, 23, v2
.LBB233_237:                            ;   in Loop: Header=BB233_41 Depth=1
	s_or_b64 exec, exec, s[22:23]
.LBB233_238:                            ;   in Loop: Header=BB233_41 Depth=1
	s_or_b64 exec, exec, s[14:15]
.LBB233_239:                            ;   in Loop: Header=BB233_41 Depth=1
	s_or_b64 exec, exec, s[12:13]
	v_cvt_f32_f16_sdwa v15, v1 dst_sel:DWORD dst_unused:UNUSED_PAD src0_sel:WORD_1
	v_cvt_f32_f16_sdwa v14, v17 dst_sel:DWORD dst_unused:UNUSED_PAD src0_sel:WORD_1
	v_or_b32_e32 v1, v1, v13
	v_or_b32_e32 v2, v17, v16
	v_cvt_f32_f16_e32 v16, v2
	v_cvt_f32_f16_e32 v17, v1
	s_waitcnt vmcnt(0)
	v_pk_mul_f32 v[14:15], v[12:13], v[14:15] op_sel_hi:[0,1]
	v_cvt_pk_f16_f32 v1, v14, v15
	v_and_b32_e32 v13, 0xffff0000, v1
	v_pk_mul_f32 v[16:17], v[12:13], v[16:17] op_sel_hi:[0,1]
	v_lshlrev_b32_e32 v14, 16, v1
	v_cvt_pk_f16_f32 v1, v16, v17
	v_or_b32_e32 v2, v20, v19
	v_or_b32_e32 v17, v21, v18
	v_cvt_f32_f16_e32 v18, v17
	v_cvt_f32_f16_e32 v19, v2
	v_cvt_f32_f16_sdwa v47, v20 dst_sel:DWORD dst_unused:UNUSED_PAD src0_sel:WORD_1
	v_cvt_f32_f16_sdwa v46, v21 dst_sel:DWORD dst_unused:UNUSED_PAD src0_sel:WORD_1
	v_lshrrev_b32_e32 v15, 16, v1
	v_pk_mul_f32 v[18:19], v[12:13], v[18:19] op_sel_hi:[0,1]
	v_cvt_pk_f16_f32 v20, v18, v19
	v_pk_mul_f32 v[18:19], v[12:13], v[46:47] op_sel_hi:[0,1]
	v_cvt_pk_f16_f32 v12, v18, v19
	v_and_b32_e32 v16, 0xffff, v1
	v_and_b32_e32 v17, 0xffff0000, v12
	v_lshlrev_b32_e32 v12, 16, v12
	v_lshrrev_b32_e32 v21, 16, v20
	v_and_b32_e32 v20, 0xffff, v20
	v_or_b32_e32 v1, v13, v15
	v_or_b32_e32 v2, v14, v16
	;; [unrolled: 1-line block ×4, first 2 shown]
	s_and_saveexec_b64 s[0:1], vcc
	s_cbranch_execz .LBB233_40
; %bb.240:                              ;   in Loop: Header=BB233_41 Depth=1
	v_cmp_gt_i32_e32 vcc, s27, v27
	s_nop 1
	v_cndmask_b32_e32 v1, 0, v15, vcc
	v_cmp_gt_i32_e32 vcc, s33, v36
	s_nop 1
	v_cndmask_b32_e32 v2, 0, v16, vcc
	;; [unrolled: 3-line block ×3, first 2 shown]
	v_cmp_gt_i32_e32 vcc, s33, v34
	v_or_b32_e32 v1, v13, v1
	s_nop 0
	v_cndmask_b32_e32 v14, 0, v14, vcc
	v_cmp_gt_i32_e32 vcc, s27, v33
	v_or_b32_e32 v2, v14, v2
	s_nop 0
	v_cndmask_b32_e32 v13, 0, v21, vcc
	v_cmp_gt_i32_e32 vcc, s33, v32
	s_nop 1
	v_cndmask_b32_e32 v14, 0, v20, vcc
	v_cmp_gt_i32_e32 vcc, s27, v31
	;; [unrolled: 3-line block ×3, first 2 shown]
	v_or_b32_e32 v19, v15, v13
	s_nop 0
	v_cndmask_b32_e32 v12, 0, v12, vcc
	v_or_b32_e32 v18, v12, v14
	s_branch .LBB233_40
.LBB233_241:
	s_or_b64 exec, exec, s[8:9]
	v_mov_b64_e32 v[2:3], v[10:11]
.LBB233_242:
	s_or_b64 exec, exec, s[2:3]
	v_and_b32_e32 v1, 0x3c0, v0
	v_cmp_eq_u32_e32 vcc, 64, v1
	s_barrier
	s_and_saveexec_b64 s[0:1], vcc
	s_cbranch_execz .LBB233_244
; %bb.243:
	v_mov_b32_e32 v1, 0x210
	v_lshl_add_u32 v1, v26, 2, v1
	ds_write2st64_b32 v1, v4, v5 offset1:1
	ds_write2st64_b32 v1, v2, v3 offset0:2 offset1:3
.LBB233_244:
	s_or_b64 exec, exec, s[0:1]
	v_cmp_gt_u32_e32 vcc, 64, v0
	s_waitcnt lgkmcnt(0)
	s_barrier
	s_and_saveexec_b64 s[0:1], vcc
	s_cbranch_execz .LBB233_246
; %bb.245:
	v_mov_b32_e32 v1, 0x210
	v_lshl_add_u32 v6, v0, 2, v1
	ds_read2st64_b32 v[0:1], v6 offset1:1
	ds_read2st64_b32 v[6:7], v6 offset0:2 offset1:3
	s_waitcnt lgkmcnt(1)
	v_pk_add_f32 v[4:5], v[4:5], v[0:1]
	s_waitcnt lgkmcnt(0)
	v_pk_add_f32 v[2:3], v[2:3], v[6:7]
.LBB233_246:
	s_or_b64 exec, exec, s[0:1]
	s_barrier
	s_and_saveexec_b64 s[0:1], vcc
	s_cbranch_execz .LBB233_248
; %bb.247:
	s_mul_i32 s0, s16, s17
	s_mul_i32 s0, s0, s5
	s_lshl_b32 s0, s0, 8
	s_ashr_i32 s1, s0, 31
	s_lshl_b64 s[0:1], s[0:1], 1
	s_add_u32 s2, s20, s0
	s_mul_i32 s0, s17, s18
	s_addc_u32 s3, s21, s1
	s_ashr_i32 s1, s0, 31
	s_lshl_b64 s[0:1], s[0:1], 1
	s_add_u32 s2, s2, s0
	s_addc_u32 s3, s3, s1
	s_lshl_b32 s0, s4, 8
	s_ashr_i32 s1, s0, 31
	s_lshl_b64 s[0:1], s[0:1], 1
	s_add_u32 s0, s2, s0
	s_addc_u32 s1, s3, s1
	;;#ASMSTART
	v_cvt_f16_f32 v0, v4;

	;;#ASMEND
	global_store_short v24, v0, s[0:1]
	;;#ASMSTART
	v_cvt_f16_f32 v0, v5;

	;;#ASMEND
	global_store_short v24, v0, s[0:1] offset:128
	;;#ASMSTART
	v_cvt_f16_f32 v0, v2;

	;;#ASMEND
	global_store_short v24, v0, s[0:1] offset:256
	;; [unrolled: 5-line block ×3, first 2 shown]
.LBB233_248:
	s_endpgm
	.section	.rodata,"a",@progbits
	.p2align	6, 0x0
	.amdhsa_kernel _ZN4vllm25paged_attention_v1_kernelIthLi256ELi8ELi128ELNS_18Fp8KVCacheDataTypeE1ELb0EEEvPT_PKS2_PKT0_S8_ifPKiSA_iPKfiiiSC_SC_iiiii
		.amdhsa_group_segment_fixed_size 528
		.amdhsa_private_segment_fixed_size 0
		.amdhsa_kernarg_size 384
		.amdhsa_user_sgpr_count 2
		.amdhsa_user_sgpr_dispatch_ptr 0
		.amdhsa_user_sgpr_queue_ptr 0
		.amdhsa_user_sgpr_kernarg_segment_ptr 1
		.amdhsa_user_sgpr_dispatch_id 0
		.amdhsa_user_sgpr_kernarg_preload_length 0
		.amdhsa_user_sgpr_kernarg_preload_offset 0
		.amdhsa_user_sgpr_private_segment_size 0
		.amdhsa_uses_dynamic_stack 0
		.amdhsa_enable_private_segment 0
		.amdhsa_system_sgpr_workgroup_id_x 1
		.amdhsa_system_sgpr_workgroup_id_y 1
		.amdhsa_system_sgpr_workgroup_id_z 1
		.amdhsa_system_sgpr_workgroup_info 0
		.amdhsa_system_vgpr_workitem_id 0
		.amdhsa_next_free_vgpr 63
		.amdhsa_next_free_sgpr 38
		.amdhsa_accum_offset 64
		.amdhsa_reserve_vcc 1
		.amdhsa_float_round_mode_32 0
		.amdhsa_float_round_mode_16_64 0
		.amdhsa_float_denorm_mode_32 3
		.amdhsa_float_denorm_mode_16_64 3
		.amdhsa_dx10_clamp 1
		.amdhsa_ieee_mode 1
		.amdhsa_fp16_overflow 0
		.amdhsa_tg_split 0
		.amdhsa_exception_fp_ieee_invalid_op 0
		.amdhsa_exception_fp_denorm_src 0
		.amdhsa_exception_fp_ieee_div_zero 0
		.amdhsa_exception_fp_ieee_overflow 0
		.amdhsa_exception_fp_ieee_underflow 0
		.amdhsa_exception_fp_ieee_inexact 0
		.amdhsa_exception_int_div_zero 0
	.end_amdhsa_kernel
	.section	.text._ZN4vllm25paged_attention_v1_kernelIthLi256ELi8ELi128ELNS_18Fp8KVCacheDataTypeE1ELb0EEEvPT_PKS2_PKT0_S8_ifPKiSA_iPKfiiiSC_SC_iiiii,"axG",@progbits,_ZN4vllm25paged_attention_v1_kernelIthLi256ELi8ELi128ELNS_18Fp8KVCacheDataTypeE1ELb0EEEvPT_PKS2_PKT0_S8_ifPKiSA_iPKfiiiSC_SC_iiiii,comdat
.Lfunc_end233:
	.size	_ZN4vllm25paged_attention_v1_kernelIthLi256ELi8ELi128ELNS_18Fp8KVCacheDataTypeE1ELb0EEEvPT_PKS2_PKT0_S8_ifPKiSA_iPKfiiiSC_SC_iiiii, .Lfunc_end233-_ZN4vllm25paged_attention_v1_kernelIthLi256ELi8ELi128ELNS_18Fp8KVCacheDataTypeE1ELb0EEEvPT_PKS2_PKT0_S8_ifPKiSA_iPKfiiiSC_SC_iiiii
                                        ; -- End function
	.set _ZN4vllm25paged_attention_v1_kernelIthLi256ELi8ELi128ELNS_18Fp8KVCacheDataTypeE1ELb0EEEvPT_PKS2_PKT0_S8_ifPKiSA_iPKfiiiSC_SC_iiiii.num_vgpr, 63
	.set _ZN4vllm25paged_attention_v1_kernelIthLi256ELi8ELi128ELNS_18Fp8KVCacheDataTypeE1ELb0EEEvPT_PKS2_PKT0_S8_ifPKiSA_iPKfiiiSC_SC_iiiii.num_agpr, 0
	.set _ZN4vllm25paged_attention_v1_kernelIthLi256ELi8ELi128ELNS_18Fp8KVCacheDataTypeE1ELb0EEEvPT_PKS2_PKT0_S8_ifPKiSA_iPKfiiiSC_SC_iiiii.numbered_sgpr, 38
	.set _ZN4vllm25paged_attention_v1_kernelIthLi256ELi8ELi128ELNS_18Fp8KVCacheDataTypeE1ELb0EEEvPT_PKS2_PKT0_S8_ifPKiSA_iPKfiiiSC_SC_iiiii.num_named_barrier, 0
	.set _ZN4vllm25paged_attention_v1_kernelIthLi256ELi8ELi128ELNS_18Fp8KVCacheDataTypeE1ELb0EEEvPT_PKS2_PKT0_S8_ifPKiSA_iPKfiiiSC_SC_iiiii.private_seg_size, 0
	.set _ZN4vllm25paged_attention_v1_kernelIthLi256ELi8ELi128ELNS_18Fp8KVCacheDataTypeE1ELb0EEEvPT_PKS2_PKT0_S8_ifPKiSA_iPKfiiiSC_SC_iiiii.uses_vcc, 1
	.set _ZN4vllm25paged_attention_v1_kernelIthLi256ELi8ELi128ELNS_18Fp8KVCacheDataTypeE1ELb0EEEvPT_PKS2_PKT0_S8_ifPKiSA_iPKfiiiSC_SC_iiiii.uses_flat_scratch, 0
	.set _ZN4vllm25paged_attention_v1_kernelIthLi256ELi8ELi128ELNS_18Fp8KVCacheDataTypeE1ELb0EEEvPT_PKS2_PKT0_S8_ifPKiSA_iPKfiiiSC_SC_iiiii.has_dyn_sized_stack, 0
	.set _ZN4vllm25paged_attention_v1_kernelIthLi256ELi8ELi128ELNS_18Fp8KVCacheDataTypeE1ELb0EEEvPT_PKS2_PKT0_S8_ifPKiSA_iPKfiiiSC_SC_iiiii.has_recursion, 0
	.set _ZN4vllm25paged_attention_v1_kernelIthLi256ELi8ELi128ELNS_18Fp8KVCacheDataTypeE1ELb0EEEvPT_PKS2_PKT0_S8_ifPKiSA_iPKfiiiSC_SC_iiiii.has_indirect_call, 0
	.section	.AMDGPU.csdata,"",@progbits
; Kernel info:
; codeLenInByte = 13824
; TotalNumSgprs: 44
; NumVgprs: 63
; NumAgprs: 0
; TotalNumVgprs: 63
; ScratchSize: 0
; MemoryBound: 0
; FloatMode: 240
; IeeeMode: 1
; LDSByteSize: 528 bytes/workgroup (compile time only)
; SGPRBlocks: 5
; VGPRBlocks: 7
; NumSGPRsForWavesPerEU: 44
; NumVGPRsForWavesPerEU: 63
; AccumOffset: 64
; Occupancy: 8
; WaveLimiterHint : 1
; COMPUTE_PGM_RSRC2:SCRATCH_EN: 0
; COMPUTE_PGM_RSRC2:USER_SGPR: 2
; COMPUTE_PGM_RSRC2:TRAP_HANDLER: 0
; COMPUTE_PGM_RSRC2:TGID_X_EN: 1
; COMPUTE_PGM_RSRC2:TGID_Y_EN: 1
; COMPUTE_PGM_RSRC2:TGID_Z_EN: 1
; COMPUTE_PGM_RSRC2:TIDIG_COMP_CNT: 0
; COMPUTE_PGM_RSRC3_GFX90A:ACCUM_OFFSET: 15
; COMPUTE_PGM_RSRC3_GFX90A:TG_SPLIT: 0
	.section	.text._ZN4vllm25paged_attention_v1_kernelIthLi32ELi16ELi128ELNS_18Fp8KVCacheDataTypeE1ELb1EEEvPT_PKS2_PKT0_S8_ifPKiSA_iPKfiiiSC_SC_iiiii,"axG",@progbits,_ZN4vllm25paged_attention_v1_kernelIthLi32ELi16ELi128ELNS_18Fp8KVCacheDataTypeE1ELb1EEEvPT_PKS2_PKT0_S8_ifPKiSA_iPKfiiiSC_SC_iiiii,comdat
	.protected	_ZN4vllm25paged_attention_v1_kernelIthLi32ELi16ELi128ELNS_18Fp8KVCacheDataTypeE1ELb1EEEvPT_PKS2_PKT0_S8_ifPKiSA_iPKfiiiSC_SC_iiiii ; -- Begin function _ZN4vllm25paged_attention_v1_kernelIthLi32ELi16ELi128ELNS_18Fp8KVCacheDataTypeE1ELb1EEEvPT_PKS2_PKT0_S8_ifPKiSA_iPKfiiiSC_SC_iiiii
	.globl	_ZN4vllm25paged_attention_v1_kernelIthLi32ELi16ELi128ELNS_18Fp8KVCacheDataTypeE1ELb1EEEvPT_PKS2_PKT0_S8_ifPKiSA_iPKfiiiSC_SC_iiiii
	.p2align	8
	.type	_ZN4vllm25paged_attention_v1_kernelIthLi32ELi16ELi128ELNS_18Fp8KVCacheDataTypeE1ELb1EEEvPT_PKS2_PKT0_S8_ifPKiSA_iPKfiiiSC_SC_iiiii,@function
_ZN4vllm25paged_attention_v1_kernelIthLi32ELi16ELi128ELNS_18Fp8KVCacheDataTypeE1ELb1EEEvPT_PKS2_PKT0_S8_ifPKiSA_iPKfiiiSC_SC_iiiii: ; @_ZN4vllm25paged_attention_v1_kernelIthLi32ELi16ELi128ELNS_18Fp8KVCacheDataTypeE1ELb1EEEvPT_PKS2_PKT0_S8_ifPKiSA_iPKfiiiSC_SC_iiiii
; %bb.0:
	s_load_dword s5, s[0:1], 0x80
	s_load_dwordx2 s[6:7], s[0:1], 0x30
	s_load_dwordx2 s[36:37], s[0:1], 0x20
	s_mov_b32 s10, s3
	s_ashr_i32 s11, s3, 31
	s_lshl_b64 s[8:9], s[10:11], 2
	s_waitcnt lgkmcnt(0)
	s_add_u32 s6, s6, s8
	s_addc_u32 s7, s7, s9
	s_abs_i32 s3, s36
	v_cvt_f32_u32_e32 v1, s3
	s_sub_i32 s11, 0, s3
	s_abs_i32 s9, s5
	s_xor_b32 s8, s5, s36
	v_rcp_iflag_f32_e32 v1, v1
	s_ashr_i32 s8, s8, 31
	s_mov_b32 s48, 0
	v_mul_f32_e32 v1, 0x4f7ffffe, v1
	v_cvt_u32_f32_e32 v1, v1
	s_nop 0
	v_readfirstlane_b32 s12, v1
	s_mul_i32 s11, s11, s12
	s_mul_hi_u32 s11, s12, s11
	s_add_i32 s12, s12, s11
	s_mul_hi_u32 s11, s9, s12
	s_mul_i32 s12, s11, s3
	s_sub_i32 s9, s9, s12
	s_add_i32 s12, s11, 1
	s_sub_i32 s13, s9, s3
	s_cmp_ge_u32 s9, s3
	s_cselect_b32 s11, s12, s11
	s_cselect_b32 s9, s13, s9
	s_add_i32 s12, s11, 1
	s_cmp_ge_u32 s9, s3
	s_cselect_b32 s3, s12, s11
	s_xor_b32 s3, s3, s8
	s_sub_i32 s15, s3, s8
	s_abs_i32 s12, s15
	v_cvt_f32_u32_e32 v1, s12
	s_load_dwordx2 s[8:9], s[0:1], 0x40
	s_sub_i32 s3, 0, s12
	s_abs_i32 s13, s2
	v_rcp_iflag_f32_e32 v1, v1
	s_nop 0
	v_mul_f32_e32 v1, 0x4f7ffffe, v1
	v_cvt_u32_f32_e32 v1, v1
	s_nop 0
	v_readfirstlane_b32 s11, v1
	s_mul_i32 s3, s3, s11
	s_mul_hi_u32 s3, s11, s3
	s_add_i32 s11, s11, s3
	s_waitcnt lgkmcnt(0)
	s_cmp_eq_u64 s[8:9], 0
	s_mul_hi_u32 s14, s13, s11
	s_cbranch_scc1 .LBB234_2
; %bb.1:
	s_ashr_i32 s3, s2, 31
	s_lshl_b64 s[16:17], s[2:3], 2
	s_add_u32 s8, s8, s16
	s_addc_u32 s9, s9, s17
	s_load_dword s48, s[8:9], 0x0
.LBB234_2:
	s_load_dword s11, s[6:7], 0x0
	s_load_dwordx4 s[16:19], s[0:1], 0x48
	s_ashr_i32 s8, s2, 31
	s_ashr_i32 s9, s15, 31
	v_and_b32_e32 v4, 3, v0
	s_lshl_b32 s24, s2, 5
	v_cmp_gt_u32_e32 vcc, 16, v0
	s_and_saveexec_b64 s[6:7], vcc
	s_cbranch_execz .LBB234_4
; %bb.3:
	s_load_dwordx2 s[20:21], s[0:1], 0x8
	s_waitcnt lgkmcnt(0)
	s_mul_i32 s22, s16, s10
	s_ashr_i32 s23, s22, 31
	s_lshl_b64 s[22:23], s[22:23], 1
	v_lshlrev_b32_e32 v1, 2, v0
	s_add_u32 s3, s20, s22
	s_addc_u32 s15, s21, s23
	s_ashr_i32 s25, s24, 31
	s_lshl_b64 s[20:21], s[24:25], 1
	s_add_u32 s20, s3, s20
	s_addc_u32 s21, s15, s21
	global_load_dword v1, v1, s[20:21]
	v_and_b32_e32 v2, 0x3fc, v0
	v_lshl_add_u32 v2, v4, 4, v2
	s_waitcnt vmcnt(0)
	ds_write_b32 v2, v1
.LBB234_4:
	s_or_b64 exec, exec, s[6:7]
	s_mul_i32 s7, s14, s12
	s_sub_i32 s7, s13, s7
	s_xor_b32 s6, s8, s9
	s_add_i32 s8, s14, 1
	s_sub_i32 s9, s7, s12
	s_load_dwordx4 s[20:23], s[0:1], 0x68
	s_load_dword s3, s[0:1], 0x78
	s_cmp_ge_u32 s7, s12
	s_cselect_b32 s8, s8, s14
	s_cselect_b32 s7, s9, s7
	s_add_i32 s9, s8, 1
	s_cmp_ge_u32 s7, s12
	s_cselect_b32 s7, s9, s8
	s_waitcnt lgkmcnt(0)
	s_abs_i32 s25, s23
	v_cvt_f32_u32_e32 v1, s25
	s_xor_b32 s7, s7, s6
	s_sub_i32 s47, s7, s6
	s_sub_i32 s6, 0, s25
	v_rcp_iflag_f32_e32 v1, v1
	s_add_i32 s12, s11, -1
	s_abs_i32 s8, s12
	v_mul_f32_e32 v1, 0x4f7ffffe, v1
	v_cvt_u32_f32_e32 v1, v1
	s_barrier
	v_readfirstlane_b32 s33, v1
	s_mul_i32 s6, s6, s33
	s_mul_hi_u32 s6, s33, s6
	s_add_i32 s33, s33, s6
	s_cmp_lt_i32 s3, 0
	s_mul_hi_u32 s9, s8, s33
	s_cbranch_scc0 .LBB234_6
; %bb.5:
	s_mul_i32 s6, s20, s36
	s_add_i32 s6, s47, s6
	s_mul_i32 s6, s6, s3
	s_sub_i32 s36, 1, s6
	s_mov_b64 s[6:7], 0
	s_branch .LBB234_7
.LBB234_6:
	s_mov_b64 s[6:7], -1
                                        ; implicit-def: $sgpr36
.LBB234_7:
	s_load_dwordx2 s[28:29], s[0:1], 0x28
	s_ashr_i32 s16, s12, 31
	s_andn2_b64 vcc, exec, s[6:7]
	s_ashr_i32 s23, s23, 31
	s_cbranch_vccnz .LBB234_9
; %bb.8:
	s_mul_i32 s6, s5, s20
	s_add_i32 s2, s6, s2
	s_mul_i32 s2, s2, s3
	s_add_i32 s36, s2, 1
.LBB234_9:
	s_load_dword s2, s[0:1], 0x38
	s_load_dwordx2 s[26:27], s[0:1], 0x0
	s_load_dwordx2 s[34:35], s[0:1], 0x18
	s_load_dword s20, s[0:1], 0x88
	s_load_dwordx4 s[12:15], s[0:1], 0x58
	s_mul_i32 s3, s9, s25
	s_waitcnt lgkmcnt(0)
	s_mul_i32 s30, s2, s10
	s_sub_i32 s3, s8, s3
	s_ashr_i32 s31, s30, 31
	s_xor_b32 s2, s16, s23
	s_add_i32 s6, s9, 1
	s_sub_i32 s7, s3, s25
	s_cmp_ge_u32 s3, s25
	s_cselect_b32 s6, s6, s9
	s_cselect_b32 s3, s7, s3
	s_add_i32 s7, s6, 1
	s_cmp_ge_u32 s3, s25
	s_cselect_b32 s3, s7, s6
	s_xor_b32 s3, s3, s2
	s_sub_i32 s16, s3, s2
	s_add_i32 s2, s11, 15
	s_ashr_i32 s3, s2, 31
	s_lshr_b32 s3, s3, 28
	s_add_i32 s2, s2, s3
	s_ashr_i32 s46, s2, 4
	v_lshrrev_b32_e32 v18, 6, v0
	v_cmp_gt_i32_e64 s[6:7], s46, v18
	v_mov_b32_e32 v13, 0xff7fffff
	s_mul_i32 s47, s47, s18
	v_lshrrev_b32_e32 v1, 4, v0
	v_lshlrev_b32_e32 v19, 4, v18
	v_mbcnt_lo_u32_b32 v10, -1, 0
	s_and_saveexec_b64 s[18:19], s[6:7]
	s_cbranch_execz .LBB234_69
; %bb.10:
	s_load_dwordx2 s[0:1], s[0:1], 0x10
	s_sub_i32 s49, s16, s21
	s_ashr_i32 s2, s47, 31
	v_bfe_u32 v11, v0, 2, 4
	v_mov_b32_e32 v3, 0
	s_waitcnt lgkmcnt(0)
	s_add_u32 s0, s0, s47
	s_addc_u32 s1, s1, s2
	s_abs_i32 s50, s22
	v_cvt_f32_u32_e32 v2, s50
	v_cmp_eq_u32_e32 vcc, 0, v4
	v_lshlrev_b32_e32 v12, 4, v4
	s_mov_b32 s51, s17
	v_rcp_iflag_f32_e32 v5, v2
	v_lshlrev_b32_e32 v2, 4, v11
	v_lshl_add_u64 v[6:7], s[0:1], 0, v[2:3]
	s_sub_i32 s0, 0, s50
	v_mul_f32_e32 v5, 0x4f7ffffe, v5
	v_cvt_u32_f32_e32 v5, v5
	v_lshlrev_b32_e32 v2, 1, v4
	v_cmp_neq_f32_e64 s[2:3], s48, 0
	v_lshlrev_b32_e32 v15, 4, v18
	v_mul_lo_u32 v4, s0, v5
	s_lshl_b64 s[0:1], s[30:31], 2
	v_mul_hi_u32 v4, v5, v4
	s_add_u32 s0, s28, s0
	v_add_u32_e32 v14, v5, v4
	v_lshl_add_u64 v[4:5], v[6:7], 0, v[2:3]
	v_and_b32_e32 v2, 60, v1
	s_addc_u32 s1, s29, s1
	v_lshl_add_u64 v[6:7], s[0:1], 0, v[2:3]
	v_subrev_u32_e32 v2, s11, v11
	v_add_u32_e32 v16, 1, v2
	v_lshlrev_b32_e32 v2, 2, v11
	v_lshl_or_b32 v2, v18, 6, v2
	v_add_u32_e32 v17, 0x50, v2
	v_mov_b32_e32 v20, 0xff7fffff
	s_mov_b64 s[38:39], 0
	s_movk_i32 s52, 0x80
	s_movk_i32 s53, 0x7f
	s_mov_b32 s54, 0x8000
	v_mov_b32_e32 v21, 0x2000
	v_mbcnt_hi_u32_b32 v22, -1, v10
	v_mov_b32_e32 v13, 0xff7fffff
	v_mov_b32_e32 v23, v18
	s_branch .LBB234_13
.LBB234_11:                             ;   in Loop: Header=BB234_13 Depth=1
	s_or_b64 exec, exec, s[40:41]
.LBB234_12:                             ;   in Loop: Header=BB234_13 Depth=1
	s_or_b64 exec, exec, s[8:9]
	v_add_u32_e32 v23, 2, v23
	v_cmp_le_i32_e64 s[0:1], s46, v23
	v_lshl_add_u64 v[6:7], v[6:7], 0, 8
	v_add_u32_e32 v15, 32, v15
	s_or_b64 s[38:39], s[0:1], s[38:39]
	v_add_u32_e32 v17, 0x80, v17
	s_andn2_b64 exec, exec, s[38:39]
	s_cbranch_execz .LBB234_68
.LBB234_13:                             ; =>This Inner Loop Header: Depth=1
	v_mul_hi_u32 v2, v15, s33
	s_waitcnt lgkmcnt(0)
	v_mul_lo_u32 v8, v2, s25
	v_sub_u32_e32 v8, v15, v8
	v_add_u32_e32 v9, 1, v2
	v_cmp_le_u32_e64 s[0:1], s25, v8
	s_nop 1
	v_cndmask_b32_e64 v2, v2, v9, s[0:1]
	v_subrev_u32_e32 v9, s25, v8
	v_cndmask_b32_e64 v8, v8, v9, s[0:1]
	v_add_u32_e32 v9, 1, v2
	v_cmp_le_u32_e64 s[0:1], s25, v8
	s_nop 1
	v_cndmask_b32_e64 v2, v2, v9, s[0:1]
	v_xor_b32_e32 v2, s23, v2
	v_subrev_u32_e32 v2, s23, v2
	v_add_u32_e32 v8, s36, v2
	v_sub_u32_e32 v24, 0, v8
	v_ashrrev_i32_e32 v9, 31, v8
	v_max_i32_e32 v8, v8, v24
	v_mul_hi_u32 v24, v8, v14
	v_mul_lo_u32 v24, v24, s50
	v_sub_u32_e32 v8, v8, v24
	v_subrev_u32_e32 v24, s50, v8
	v_cmp_le_u32_e64 s[0:1], s50, v8
	v_cmp_ge_i32_e64 s[8:9], s49, v2
	s_nop 0
	v_cndmask_b32_e64 v8, v8, v24, s[0:1]
	v_subrev_u32_e32 v24, s50, v8
	v_cmp_le_u32_e64 s[0:1], s50, v8
	s_nop 1
	v_cndmask_b32_e64 v8, v8, v24, s[0:1]
	v_xor_b32_e32 v8, v8, v9
	v_sub_u32_e32 v8, v8, v9
	v_cmp_ne_u32_e64 s[0:1], 0, v8
	s_and_b64 s[0:1], s[0:1], s[8:9]
	s_and_saveexec_b64 s[8:9], s[0:1]
	s_xor_b64 s[0:1], exec, s[8:9]
	s_cbranch_execz .LBB234_17
; %bb.14:                               ;   in Loop: Header=BB234_13 Depth=1
	s_and_saveexec_b64 s[8:9], vcc
; %bb.15:                               ;   in Loop: Header=BB234_13 Depth=1
	ds_write_b32 v17, v20
; %bb.16:                               ;   in Loop: Header=BB234_13 Depth=1
	s_or_b64 exec, exec, s[8:9]
.LBB234_17:                             ;   in Loop: Header=BB234_13 Depth=1
	s_andn2_saveexec_b64 s[8:9], s[0:1]
	s_cbranch_execz .LBB234_12
; %bb.18:                               ;   in Loop: Header=BB234_13 Depth=1
	global_load_dword v2, v[6:7], off
	v_mov_b32_e32 v25, 0
	global_load_dword v24, v25, s[12:13]
	s_waitcnt vmcnt(1)
	v_mad_i64_i32 v[8:9], s[0:1], v2, s51, v[4:5]
	global_load_ushort v26, v[8:9], off
	s_waitcnt vmcnt(0)
	v_and_b32_e32 v2, 0xffff, v26
	v_cmp_ne_u16_sdwa s[0:1], v26, v3 src0_sel:BYTE_0 src1_sel:DWORD
	v_mov_b32_e32 v26, 0
	s_and_saveexec_b64 s[40:41], s[0:1]
	s_cbranch_execz .LBB234_24
; %bb.19:                               ;   in Loop: Header=BB234_13 Depth=1
	v_cmp_ne_u16_sdwa s[0:1], v2, s52 src0_sel:BYTE_0 src1_sel:DWORD
	v_mov_b32_e32 v26, 0x8000
	s_and_saveexec_b64 s[42:43], s[0:1]
	s_cbranch_execz .LBB234_23
; %bb.20:                               ;   in Loop: Header=BB234_13 Depth=1
	v_and_b32_e32 v27, 0x7f, v2
	v_cmp_ne_u32_e64 s[0:1], s53, v27
	v_mov_b32_e32 v26, 0x7c01
	s_and_saveexec_b64 s[44:45], s[0:1]
	s_cbranch_execz .LBB234_22
; %bb.21:                               ;   in Loop: Header=BB234_13 Depth=1
	v_and_b32_e32 v26, 7, v2
	v_ffbh_u32_e32 v28, v26
	v_min_u32_e32 v31, 32, v28
	v_subrev_u32_e32 v28, 28, v31
	v_lshlrev_b64 v[28:29], v28, v[2:3]
	v_lshrrev_b32_e32 v30, 3, v27
	v_sub_u32_e32 v29, 29, v31
	v_cmp_gt_u32_e64 s[0:1], 8, v27
	v_and_b32_e32 v28, 7, v28
	s_nop 0
	v_cndmask_b32_e64 v27, v30, v29, s[0:1]
	v_lshl_add_u32 v27, v27, 10, v21
	v_lshlrev_b32_e32 v29, 8, v2
	v_and_b32_e32 v27, 0xfc00, v27
	v_cndmask_b32_e64 v26, v26, v28, s[0:1]
	v_and_or_b32 v27, v29, s54, v27
	v_lshl_or_b32 v26, v26, 7, v27
.LBB234_22:                             ;   in Loop: Header=BB234_13 Depth=1
	s_or_b64 exec, exec, s[44:45]
.LBB234_23:                             ;   in Loop: Header=BB234_13 Depth=1
	s_or_b64 exec, exec, s[42:43]
.LBB234_24:                             ;   in Loop: Header=BB234_13 Depth=1
	s_or_b64 exec, exec, s[40:41]
	v_lshrrev_b16_e32 v2, 8, v2
	v_cmp_ne_u16_e64 s[0:1], 0, v2
	s_and_saveexec_b64 s[40:41], s[0:1]
	s_cbranch_execz .LBB234_30
; %bb.25:                               ;   in Loop: Header=BB234_13 Depth=1
	v_cmp_ne_u16_e64 s[0:1], s52, v2
	v_bfrev_b32_e32 v25, 1
	s_and_saveexec_b64 s[42:43], s[0:1]
	s_cbranch_execz .LBB234_29
; %bb.26:                               ;   in Loop: Header=BB234_13 Depth=1
	v_and_b32_e32 v27, 0x7f, v2
	v_cmp_ne_u32_e64 s[0:1], s53, v27
	v_mov_b32_e32 v25, 0x7c010000
	s_and_saveexec_b64 s[44:45], s[0:1]
	s_cbranch_execz .LBB234_28
; %bb.27:                               ;   in Loop: Header=BB234_13 Depth=1
	v_and_b32_e32 v25, 7, v2
	v_ffbh_u32_e32 v28, v25
	v_min_u32_e32 v31, 32, v28
	v_subrev_u32_e32 v28, 28, v31
	v_lshlrev_b64 v[28:29], v28, v[2:3]
	v_lshrrev_b32_e32 v30, 3, v27
	v_sub_u32_e32 v29, 29, v31
	v_cmp_gt_u32_e64 s[0:1], 8, v27
	v_lshlrev_b32_e32 v2, 8, v2
	v_and_b32_e32 v28, 7, v28
	v_cndmask_b32_e64 v27, v30, v29, s[0:1]
	v_lshl_add_u32 v27, v27, 10, v21
	v_and_or_b32 v2, v2, s54, v27
	v_cndmask_b32_e64 v25, v25, v28, s[0:1]
	v_lshlrev_b32_e32 v2, 16, v2
	v_lshl_or_b32 v25, v25, 23, v2
.LBB234_28:                             ;   in Loop: Header=BB234_13 Depth=1
	s_or_b64 exec, exec, s[44:45]
.LBB234_29:                             ;   in Loop: Header=BB234_13 Depth=1
	s_or_b64 exec, exec, s[42:43]
.LBB234_30:                             ;   in Loop: Header=BB234_13 Depth=1
	s_or_b64 exec, exec, s[40:41]
	global_load_ushort v28, v[8:9], off offset:8
	v_mov_b32_e32 v27, 0
	s_waitcnt vmcnt(0)
	v_and_b32_e32 v2, 0xffff, v28
	v_cmp_ne_u16_sdwa s[0:1], v28, v3 src0_sel:BYTE_0 src1_sel:DWORD
	v_mov_b32_e32 v28, 0
	s_and_saveexec_b64 s[40:41], s[0:1]
	s_cbranch_execz .LBB234_36
; %bb.31:                               ;   in Loop: Header=BB234_13 Depth=1
	v_cmp_ne_u16_sdwa s[0:1], v2, s52 src0_sel:BYTE_0 src1_sel:DWORD
	v_mov_b32_e32 v28, 0x8000
	s_and_saveexec_b64 s[42:43], s[0:1]
	s_cbranch_execz .LBB234_35
; %bb.32:                               ;   in Loop: Header=BB234_13 Depth=1
	v_and_b32_e32 v29, 0x7f, v2
	v_cmp_ne_u32_e64 s[0:1], s53, v29
	v_mov_b32_e32 v28, 0x7c01
	s_and_saveexec_b64 s[44:45], s[0:1]
	s_cbranch_execz .LBB234_34
; %bb.33:                               ;   in Loop: Header=BB234_13 Depth=1
	v_and_b32_e32 v28, 7, v2
	v_ffbh_u32_e32 v30, v28
	v_min_u32_e32 v33, 32, v30
	v_subrev_u32_e32 v30, 28, v33
	v_lshlrev_b64 v[30:31], v30, v[2:3]
	v_lshrrev_b32_e32 v32, 3, v29
	v_sub_u32_e32 v31, 29, v33
	v_cmp_gt_u32_e64 s[0:1], 8, v29
	v_and_b32_e32 v30, 7, v30
	s_nop 0
	v_cndmask_b32_e64 v29, v32, v31, s[0:1]
	v_lshl_add_u32 v29, v29, 10, v21
	v_lshlrev_b32_e32 v31, 8, v2
	v_and_b32_e32 v29, 0xfc00, v29
	v_cndmask_b32_e64 v28, v28, v30, s[0:1]
	v_and_or_b32 v29, v31, s54, v29
	v_lshl_or_b32 v28, v28, 7, v29
.LBB234_34:                             ;   in Loop: Header=BB234_13 Depth=1
	s_or_b64 exec, exec, s[44:45]
.LBB234_35:                             ;   in Loop: Header=BB234_13 Depth=1
	s_or_b64 exec, exec, s[42:43]
.LBB234_36:                             ;   in Loop: Header=BB234_13 Depth=1
	s_or_b64 exec, exec, s[40:41]
	v_lshrrev_b16_e32 v2, 8, v2
	v_cmp_ne_u16_e64 s[0:1], 0, v2
	s_and_saveexec_b64 s[40:41], s[0:1]
	s_cbranch_execz .LBB234_42
; %bb.37:                               ;   in Loop: Header=BB234_13 Depth=1
	v_cmp_ne_u16_e64 s[0:1], s52, v2
	v_bfrev_b32_e32 v27, 1
	s_and_saveexec_b64 s[42:43], s[0:1]
	s_cbranch_execz .LBB234_41
; %bb.38:                               ;   in Loop: Header=BB234_13 Depth=1
	v_and_b32_e32 v29, 0x7f, v2
	v_cmp_ne_u32_e64 s[0:1], s53, v29
	v_mov_b32_e32 v27, 0x7c010000
	s_and_saveexec_b64 s[44:45], s[0:1]
	s_cbranch_execz .LBB234_40
; %bb.39:                               ;   in Loop: Header=BB234_13 Depth=1
	v_and_b32_e32 v27, 7, v2
	v_ffbh_u32_e32 v30, v27
	v_min_u32_e32 v33, 32, v30
	v_subrev_u32_e32 v30, 28, v33
	v_lshlrev_b64 v[30:31], v30, v[2:3]
	v_lshrrev_b32_e32 v32, 3, v29
	v_sub_u32_e32 v31, 29, v33
	v_cmp_gt_u32_e64 s[0:1], 8, v29
	v_lshlrev_b32_e32 v2, 8, v2
	v_and_b32_e32 v30, 7, v30
	v_cndmask_b32_e64 v29, v32, v31, s[0:1]
	v_lshl_add_u32 v29, v29, 10, v21
	v_and_or_b32 v2, v2, s54, v29
	v_cndmask_b32_e64 v27, v27, v30, s[0:1]
	v_lshlrev_b32_e32 v2, 16, v2
	v_lshl_or_b32 v27, v27, 23, v2
.LBB234_40:                             ;   in Loop: Header=BB234_13 Depth=1
	s_or_b64 exec, exec, s[44:45]
.LBB234_41:                             ;   in Loop: Header=BB234_13 Depth=1
	s_or_b64 exec, exec, s[42:43]
.LBB234_42:                             ;   in Loop: Header=BB234_13 Depth=1
	s_or_b64 exec, exec, s[40:41]
	global_load_ushort v30, v[8:9], off offset:256
	v_mov_b32_e32 v29, 0
	s_waitcnt vmcnt(0)
	v_and_b32_e32 v2, 0xffff, v30
	v_cmp_ne_u16_sdwa s[0:1], v30, v3 src0_sel:BYTE_0 src1_sel:DWORD
	v_mov_b32_e32 v30, 0
	s_and_saveexec_b64 s[40:41], s[0:1]
	s_cbranch_execz .LBB234_48
; %bb.43:                               ;   in Loop: Header=BB234_13 Depth=1
	v_cmp_ne_u16_sdwa s[0:1], v2, s52 src0_sel:BYTE_0 src1_sel:DWORD
	v_mov_b32_e32 v30, 0x8000
	s_and_saveexec_b64 s[42:43], s[0:1]
	s_cbranch_execz .LBB234_47
; %bb.44:                               ;   in Loop: Header=BB234_13 Depth=1
	v_and_b32_e32 v31, 0x7f, v2
	v_cmp_ne_u32_e64 s[0:1], s53, v31
	v_mov_b32_e32 v30, 0x7c01
	s_and_saveexec_b64 s[44:45], s[0:1]
	s_cbranch_execz .LBB234_46
; %bb.45:                               ;   in Loop: Header=BB234_13 Depth=1
	v_and_b32_e32 v30, 7, v2
	v_ffbh_u32_e32 v32, v30
	v_min_u32_e32 v35, 32, v32
	v_subrev_u32_e32 v32, 28, v35
	v_lshlrev_b64 v[32:33], v32, v[2:3]
	v_lshrrev_b32_e32 v34, 3, v31
	v_sub_u32_e32 v33, 29, v35
	v_cmp_gt_u32_e64 s[0:1], 8, v31
	v_and_b32_e32 v32, 7, v32
	s_nop 0
	v_cndmask_b32_e64 v31, v34, v33, s[0:1]
	v_lshl_add_u32 v31, v31, 10, v21
	v_lshlrev_b32_e32 v33, 8, v2
	v_and_b32_e32 v31, 0xfc00, v31
	v_cndmask_b32_e64 v30, v30, v32, s[0:1]
	v_and_or_b32 v31, v33, s54, v31
	v_lshl_or_b32 v30, v30, 7, v31
.LBB234_46:                             ;   in Loop: Header=BB234_13 Depth=1
	s_or_b64 exec, exec, s[44:45]
.LBB234_47:                             ;   in Loop: Header=BB234_13 Depth=1
	s_or_b64 exec, exec, s[42:43]
.LBB234_48:                             ;   in Loop: Header=BB234_13 Depth=1
	s_or_b64 exec, exec, s[40:41]
	v_lshrrev_b16_e32 v2, 8, v2
	v_cmp_ne_u16_e64 s[0:1], 0, v2
	s_and_saveexec_b64 s[40:41], s[0:1]
	s_cbranch_execz .LBB234_54
; %bb.49:                               ;   in Loop: Header=BB234_13 Depth=1
	v_cmp_ne_u16_e64 s[0:1], s52, v2
	v_bfrev_b32_e32 v29, 1
	s_and_saveexec_b64 s[42:43], s[0:1]
	s_cbranch_execz .LBB234_53
; %bb.50:                               ;   in Loop: Header=BB234_13 Depth=1
	v_and_b32_e32 v31, 0x7f, v2
	v_cmp_ne_u32_e64 s[0:1], s53, v31
	v_mov_b32_e32 v29, 0x7c010000
	s_and_saveexec_b64 s[44:45], s[0:1]
	s_cbranch_execz .LBB234_52
; %bb.51:                               ;   in Loop: Header=BB234_13 Depth=1
	v_and_b32_e32 v29, 7, v2
	v_ffbh_u32_e32 v32, v29
	v_min_u32_e32 v35, 32, v32
	v_subrev_u32_e32 v32, 28, v35
	v_lshlrev_b64 v[32:33], v32, v[2:3]
	v_lshrrev_b32_e32 v34, 3, v31
	v_sub_u32_e32 v33, 29, v35
	v_cmp_gt_u32_e64 s[0:1], 8, v31
	v_lshlrev_b32_e32 v2, 8, v2
	v_and_b32_e32 v32, 7, v32
	v_cndmask_b32_e64 v31, v34, v33, s[0:1]
	v_lshl_add_u32 v31, v31, 10, v21
	v_and_or_b32 v2, v2, s54, v31
	v_cndmask_b32_e64 v29, v29, v32, s[0:1]
	v_lshlrev_b32_e32 v2, 16, v2
	v_lshl_or_b32 v29, v29, 23, v2
.LBB234_52:                             ;   in Loop: Header=BB234_13 Depth=1
	s_or_b64 exec, exec, s[44:45]
.LBB234_53:                             ;   in Loop: Header=BB234_13 Depth=1
	s_or_b64 exec, exec, s[42:43]
.LBB234_54:                             ;   in Loop: Header=BB234_13 Depth=1
	s_or_b64 exec, exec, s[40:41]
	global_load_ushort v9, v[8:9], off offset:264
	v_mov_b32_e32 v8, 0
	s_waitcnt vmcnt(0)
	v_and_b32_e32 v2, 0xffff, v9
	v_cmp_ne_u16_sdwa s[0:1], v9, v3 src0_sel:BYTE_0 src1_sel:DWORD
	v_mov_b32_e32 v9, 0
	s_and_saveexec_b64 s[40:41], s[0:1]
	s_cbranch_execz .LBB234_60
; %bb.55:                               ;   in Loop: Header=BB234_13 Depth=1
	v_cmp_ne_u16_sdwa s[0:1], v2, s52 src0_sel:BYTE_0 src1_sel:DWORD
	v_mov_b32_e32 v9, 0x8000
	s_and_saveexec_b64 s[42:43], s[0:1]
	s_cbranch_execz .LBB234_59
; %bb.56:                               ;   in Loop: Header=BB234_13 Depth=1
	v_and_b32_e32 v31, 0x7f, v2
	v_cmp_ne_u32_e64 s[0:1], s53, v31
	v_mov_b32_e32 v9, 0x7c01
	s_and_saveexec_b64 s[44:45], s[0:1]
	s_cbranch_execz .LBB234_58
; %bb.57:                               ;   in Loop: Header=BB234_13 Depth=1
	v_and_b32_e32 v9, 7, v2
	v_ffbh_u32_e32 v32, v9
	v_min_u32_e32 v35, 32, v32
	v_subrev_u32_e32 v32, 28, v35
	v_lshlrev_b64 v[32:33], v32, v[2:3]
	v_lshrrev_b32_e32 v34, 3, v31
	v_sub_u32_e32 v33, 29, v35
	v_cmp_gt_u32_e64 s[0:1], 8, v31
	v_and_b32_e32 v32, 7, v32
	s_nop 0
	v_cndmask_b32_e64 v31, v34, v33, s[0:1]
	v_lshl_add_u32 v31, v31, 10, v21
	v_lshlrev_b32_e32 v33, 8, v2
	v_and_b32_e32 v31, 0xfc00, v31
	v_cndmask_b32_e64 v9, v9, v32, s[0:1]
	v_and_or_b32 v31, v33, s54, v31
	v_lshl_or_b32 v9, v9, 7, v31
.LBB234_58:                             ;   in Loop: Header=BB234_13 Depth=1
	s_or_b64 exec, exec, s[44:45]
.LBB234_59:                             ;   in Loop: Header=BB234_13 Depth=1
	s_or_b64 exec, exec, s[42:43]
.LBB234_60:                             ;   in Loop: Header=BB234_13 Depth=1
	s_or_b64 exec, exec, s[40:41]
	v_lshrrev_b16_e32 v2, 8, v2
	v_cmp_ne_u16_e64 s[0:1], 0, v2
	s_and_saveexec_b64 s[40:41], s[0:1]
	s_cbranch_execz .LBB234_66
; %bb.61:                               ;   in Loop: Header=BB234_13 Depth=1
	v_cmp_ne_u16_e64 s[0:1], s52, v2
	v_bfrev_b32_e32 v8, 1
	s_and_saveexec_b64 s[42:43], s[0:1]
	s_cbranch_execz .LBB234_65
; %bb.62:                               ;   in Loop: Header=BB234_13 Depth=1
	v_and_b32_e32 v31, 0x7f, v2
	v_cmp_ne_u32_e64 s[0:1], s53, v31
	v_mov_b32_e32 v8, 0x7c010000
	s_and_saveexec_b64 s[44:45], s[0:1]
	s_cbranch_execz .LBB234_64
; %bb.63:                               ;   in Loop: Header=BB234_13 Depth=1
	v_and_b32_e32 v8, 7, v2
	v_ffbh_u32_e32 v32, v8
	v_min_u32_e32 v35, 32, v32
	v_subrev_u32_e32 v32, 28, v35
	v_lshlrev_b64 v[32:33], v32, v[2:3]
	v_lshrrev_b32_e32 v34, 3, v31
	v_sub_u32_e32 v33, 29, v35
	v_cmp_gt_u32_e64 s[0:1], 8, v31
	v_lshlrev_b32_e32 v2, 8, v2
	v_and_b32_e32 v32, 7, v32
	v_cndmask_b32_e64 v31, v34, v33, s[0:1]
	v_lshl_add_u32 v31, v31, 10, v21
	v_and_or_b32 v2, v2, s54, v31
	v_cndmask_b32_e64 v8, v8, v32, s[0:1]
	v_lshlrev_b32_e32 v2, 16, v2
	v_lshl_or_b32 v8, v8, 23, v2
.LBB234_64:                             ;   in Loop: Header=BB234_13 Depth=1
	s_or_b64 exec, exec, s[44:45]
.LBB234_65:                             ;   in Loop: Header=BB234_13 Depth=1
	s_or_b64 exec, exec, s[42:43]
.LBB234_66:                             ;   in Loop: Header=BB234_13 Depth=1
	s_or_b64 exec, exec, s[40:41]
	v_or_b32_e32 v2, v25, v26
	v_or_b32_e32 v26, v27, v28
	ds_read_b32 v28, v12
	v_fma_mixlo_f16 v2, v24, v2, 0 op_sel_hi:[0,1,0]
	v_fma_mixlo_f16 v25, v24, v25, 0 op_sel:[0,1,0] op_sel_hi:[0,1,0]
	v_fma_mixlo_f16 v26, v24, v26, 0 op_sel_hi:[0,1,0]
	v_and_b32_e32 v33, 0xffff, v26
	v_or_b32_e32 v26, v29, v30
	s_waitcnt lgkmcnt(0)
	v_lshrrev_b32_e32 v30, 16, v28
	v_and_b32_e32 v28, 0xffff, v28
	v_and_b32_e32 v25, 0xffff, v25
	;; [unrolled: 1-line block ×3, first 2 shown]
	;;#ASMSTART
	v_cvt_f32_f16 v28, v28;
	;;#ASMEND
	;;#ASMSTART
	v_cvt_f32_f16 v30, v30;
	;;#ASMEND
	;; [unrolled: 3-line block ×4, first 2 shown]
	ds_read_b32 v31, v12 offset:4
	v_fma_mixlo_f16 v27, v24, v27, 0 op_sel:[0,1,0] op_sel_hi:[0,1,0]
	v_and_b32_e32 v34, 0xffff, v27
	v_or_b32_e32 v9, v8, v9
	v_fma_mixlo_f16 v9, v24, v9, 0 op_sel_hi:[0,1,0]
	s_waitcnt lgkmcnt(0)
	v_lshrrev_b32_e32 v32, 16, v31
	v_and_b32_e32 v31, 0xffff, v31
	;;#ASMSTART
	v_cvt_f32_f16 v31, v31;
	;;#ASMEND
	;;#ASMSTART
	v_cvt_f32_f16 v32, v32;
	;;#ASMEND
	;; [unrolled: 3-line block ×4, first 2 shown]
	ds_read_b32 v34, v12 offset:8
	v_fma_mixlo_f16 v26, v24, v26, 0 op_sel_hi:[0,1,0]
	v_fma_mixlo_f16 v29, v24, v29, 0 op_sel:[0,1,0] op_sel_hi:[0,1,0]
	v_and_b32_e32 v35, 0xffff, v9
	v_mul_f32_e32 v9, v31, v27
	v_fma_mixlo_f16 v8, v24, v8, 0 op_sel:[0,1,0] op_sel_hi:[0,1,0]
	v_fmac_f32_e32 v9, v28, v2
	s_waitcnt lgkmcnt(0)
	v_lshrrev_b32_e32 v24, 16, v34
	v_and_b32_e32 v2, 0xffff, v34
	v_and_b32_e32 v27, 0xffff, v29
	;; [unrolled: 1-line block ×3, first 2 shown]
	;;#ASMSTART
	v_cvt_f32_f16 v2, v2;
	;;#ASMEND
	;;#ASMSTART
	v_cvt_f32_f16 v24, v24;
	;;#ASMEND
	;;#ASMSTART
	v_cvt_f32_f16 v26, v26;
	;;#ASMEND
	;;#ASMSTART
	v_cvt_f32_f16 v27, v27;
	;;#ASMEND
	ds_read_b32 v28, v12 offset:12
	v_mul_f32_e32 v29, v32, v33
	v_fmac_f32_e32 v29, v30, v25
	v_fmac_f32_e32 v9, v2, v26
	;; [unrolled: 1-line block ×3, first 2 shown]
	s_waitcnt lgkmcnt(0)
	v_lshrrev_b32_e32 v24, 16, v28
	v_and_b32_e32 v2, 0xffff, v28
	;;#ASMSTART
	v_cvt_f32_f16 v2, v2;
	;;#ASMEND
	;;#ASMSTART
	v_cvt_f32_f16 v24, v24;
	;;#ASMEND
	v_and_b32_e32 v25, 0xffff, v8
	;;#ASMSTART
	v_cvt_f32_f16 v8, v35;
	;;#ASMEND
	;;#ASMSTART
	v_cvt_f32_f16 v25, v25;
	;;#ASMEND
	s_nop 0
	v_fmac_f32_e32 v9, v2, v8
	v_fmac_f32_e32 v29, v24, v25
	v_and_b32_e32 v8, 64, v22
	v_add_f32_e32 v2, v9, v29
	v_add_u32_e32 v8, 64, v8
	v_xor_b32_e32 v9, 2, v22
	v_cmp_lt_i32_e64 s[0:1], v9, v8
	s_nop 1
	v_cndmask_b32_e64 v9, v22, v9, s[0:1]
	v_lshlrev_b32_e32 v9, 2, v9
	ds_bpermute_b32 v9, v9, v2
	s_waitcnt lgkmcnt(0)
	v_add_f32_e32 v2, v2, v9
	v_xor_b32_e32 v9, 1, v22
	v_cmp_lt_i32_e64 s[0:1], v9, v8
	s_nop 1
	v_cndmask_b32_e64 v8, v22, v9, s[0:1]
	v_lshlrev_b32_e32 v8, 2, v8
	ds_bpermute_b32 v8, v8, v2
	s_and_saveexec_b64 s[40:41], vcc
	s_cbranch_execz .LBB234_11
; %bb.67:                               ;   in Loop: Header=BB234_13 Depth=1
	v_add_u32_e32 v9, v16, v15
	v_cvt_f32_i32_e32 v9, v9
	s_waitcnt lgkmcnt(0)
	v_add_f32_e32 v2, v2, v8
	v_add_u32_e32 v24, v11, v15
	v_cmp_gt_i32_e64 s[0:1], s11, v24
	v_mul_f32_e32 v8, s48, v9
	v_cndmask_b32_e64 v8, 0, v8, s[2:3]
	v_fmac_f32_e32 v8, s37, v2
	v_cndmask_b32_e64 v2, 0, v8, s[0:1]
	ds_write_b32 v17, v2
	v_max_f32_e32 v2, v13, v13
	v_max_f32_e32 v2, v2, v8
	v_cndmask_b32_e64 v13, v13, v2, s[0:1]
	s_branch .LBB234_11
.LBB234_68:
	s_or_b64 exec, exec, s[38:39]
.LBB234_69:
	s_or_b64 exec, exec, s[18:19]
	v_mbcnt_hi_u32_b32 v2, -1, v10
	v_and_b32_e32 v10, 64, v2
	v_add_u32_e32 v3, 64, v10
	v_xor_b32_e32 v4, 32, v2
	v_cmp_lt_i32_e32 vcc, v4, v3
	v_xor_b32_e32 v7, 16, v2
	v_max_f32_e32 v6, v13, v13
	v_cndmask_b32_e32 v4, v2, v4, vcc
	v_lshlrev_b32_e32 v4, 2, v4
	ds_bpermute_b32 v5, v4, v13
	v_cmp_lt_i32_e32 vcc, v7, v3
	s_waitcnt lgkmcnt(1)
	v_xor_b32_e32 v8, 8, v2
	v_xor_b32_e32 v9, 4, v2
	v_and_b32_e32 v20, 63, v0
	s_waitcnt lgkmcnt(0)
	v_max_f32_e32 v5, v5, v5
	v_max_f32_e32 v6, v6, v5
	v_cndmask_b32_e32 v5, v2, v7, vcc
	v_lshlrev_b32_e32 v5, 2, v5
	ds_bpermute_b32 v7, v5, v6
	v_cmp_lt_i32_e32 vcc, v8, v3
	s_waitcnt lgkmcnt(0)
	v_max_f32_e32 v7, v7, v7
	v_max_f32_e32 v6, v6, v7
	v_cndmask_b32_e32 v7, v2, v8, vcc
	v_lshlrev_b32_e32 v8, 2, v7
	ds_bpermute_b32 v7, v8, v6
	v_cmp_lt_i32_e32 vcc, v9, v3
	s_waitcnt lgkmcnt(0)
	v_max_f32_e32 v7, v7, v7
	v_max_f32_e32 v7, v6, v7
	v_cndmask_b32_e32 v6, v2, v9, vcc
	v_lshlrev_b32_e32 v9, 2, v6
	ds_bpermute_b32 v11, v9, v7
	v_cmp_eq_u32_e32 vcc, 0, v20
	v_lshlrev_b32_e32 v6, 2, v18
	s_and_saveexec_b64 s[0:1], vcc
	s_cbranch_execz .LBB234_71
; %bb.70:
	s_waitcnt lgkmcnt(0)
	v_max_f32_e32 v11, v11, v11
	v_max_f32_e32 v7, v7, v7
	;; [unrolled: 1-line block ×3, first 2 shown]
	ds_write_b32 v6, v7 offset:64
.LBB234_71:
	s_or_b64 exec, exec, s[0:1]
	v_cmp_gt_u32_e64 s[0:1], 2, v20
	s_waitcnt lgkmcnt(0)
	v_mov_b32_e32 v11, 0xff7fffff
	v_lshlrev_b32_e32 v7, 2, v20
	s_barrier
	s_and_saveexec_b64 s[2:3], s[0:1]
; %bb.72:
	ds_read_b32 v11, v7 offset:64
; %bb.73:
	s_or_b64 exec, exec, s[2:3]
	v_xor_b32_e32 v12, 1, v2
	v_cmp_lt_i32_e64 s[2:3], v12, v3
	v_lshlrev_b32_e32 v10, 2, v10
	s_nop 0
	v_cndmask_b32_e64 v12, v2, v12, s[2:3]
	v_lshlrev_b32_e32 v21, 2, v12
	s_waitcnt lgkmcnt(0)
	ds_bpermute_b32 v12, v21, v11
	v_max_f32_e32 v11, v11, v11
	s_lshl_b32 s2, s46, 4
	s_min_i32 s37, s2, s11
	v_cmp_gt_i32_e64 s[2:3], s37, v0
	s_waitcnt lgkmcnt(0)
	v_max_f32_e32 v12, v12, v12
	v_max_f32_e32 v11, v11, v12
	ds_bpermute_b32 v11, v10, v11
	v_mov_b32_e32 v10, 0
	s_and_saveexec_b64 s[12:13], s[2:3]
	s_cbranch_execz .LBB234_77
; %bb.74:
	v_mov_b32_e32 v10, 0x50
	v_lshl_add_u32 v12, v0, 2, v10
	v_mov_b32_e32 v10, 0
	s_mov_b64 s[18:19], 0
	v_mov_b32_e32 v13, v0
.LBB234_75:                             ; =>This Inner Loop Header: Depth=1
	ds_read_b32 v14, v12
	v_add_u32_e32 v13, 0x80, v13
	v_cmp_le_i32_e64 s[8:9], s37, v13
	s_or_b64 s[18:19], s[8:9], s[18:19]
	s_waitcnt lgkmcnt(0)
	v_sub_f32_e32 v14, v14, v11
	v_mul_f32_e32 v14, 0x3fb8aa3b, v14
	v_exp_f32_e32 v14, v14
	ds_write_b32 v12, v14
	v_add_f32_e32 v10, v10, v14
	v_add_u32_e32 v12, 0x200, v12
	s_andn2_b64 exec, exec, s[18:19]
	s_cbranch_execnz .LBB234_75
; %bb.76:
	s_or_b64 exec, exec, s[18:19]
.LBB234_77:
	s_or_b64 exec, exec, s[12:13]
	ds_bpermute_b32 v4, v4, v10
	s_waitcnt lgkmcnt(0)
	v_add_f32_e32 v4, v10, v4
	ds_bpermute_b32 v5, v5, v4
	s_waitcnt lgkmcnt(0)
	v_add_f32_e32 v4, v4, v5
	ds_bpermute_b32 v5, v8, v4
	v_xor_b32_e32 v8, 2, v2
	v_cmp_lt_i32_e64 s[8:9], v8, v3
	s_waitcnt lgkmcnt(0)
	v_add_f32_e32 v4, v4, v5
	ds_bpermute_b32 v5, v9, v4
	v_cndmask_b32_e64 v3, v2, v8, s[8:9]
	v_lshlrev_b32_e32 v3, 2, v3
	s_waitcnt lgkmcnt(0)
	v_add_f32_e32 v4, v4, v5
	ds_bpermute_b32 v3, v3, v4
	s_waitcnt lgkmcnt(0)
	v_add_f32_e32 v3, v4, v3
	ds_bpermute_b32 v4, v21, v3
	s_waitcnt lgkmcnt(0)
	v_add_f32_e32 v3, v3, v4
	s_and_saveexec_b64 s[8:9], vcc
; %bb.78:
	ds_write_b32 v6, v3 offset:72
; %bb.79:
	s_or_b64 exec, exec, s[8:9]
	s_waitcnt lgkmcnt(0)
	s_barrier
	s_and_saveexec_b64 s[8:9], s[0:1]
; %bb.80:
	ds_read_b32 v3, v7 offset:72
; %bb.81:
	s_or_b64 exec, exec, s[8:9]
	s_waitcnt lgkmcnt(0)
	ds_bpermute_b32 v4, v21, v3
	v_lshlrev_b32_e32 v2, 2, v2
	v_and_b32_e32 v2, 0x100, v2
	s_waitcnt lgkmcnt(0)
	v_add_f32_e32 v3, v3, v4
	ds_bpermute_b32 v2, v2, v3
	s_and_saveexec_b64 s[0:1], s[2:3]
	s_cbranch_execz .LBB234_94
; %bb.82:
	s_waitcnt lgkmcnt(0)
	v_add_f32_e32 v2, 0x358637bd, v2
	v_div_scale_f32 v3, s[2:3], v2, v2, 1.0
	v_rcp_f32_e32 v4, v3
	v_div_scale_f32 v5, vcc, 1.0, v2, 1.0
	s_movk_i32 s2, 0x7f
	v_fma_f32 v6, -v3, v4, 1.0
	v_fmac_f32_e32 v4, v6, v4
	v_mul_f32_e32 v6, v5, v4
	v_fma_f32 v7, -v3, v6, v5
	v_fmac_f32_e32 v6, v7, v4
	v_fma_f32 v3, -v3, v6, v5
	v_div_fmas_f32 v3, v3, v4, v6
	v_xad_u32 v4, v0, -1, s37
	v_div_fixup_f32 v2, v3, v2, 1.0
	v_cmp_lt_u32_e32 vcc, s2, v4
	s_mov_b64 s[8:9], -1
	v_mov_b32_e32 v3, v0
	s_and_saveexec_b64 s[2:3], vcc
	s_cbranch_execz .LBB234_91
; %bb.83:
	v_lshrrev_b32_e32 v4, 7, v4
	v_add_u32_e32 v6, -1, v4
	v_lshrrev_b32_e32 v5, 1, v6
	v_mov_b32_e32 v3, v2
	v_add_u32_e32 v5, 1, v5
	v_cmp_lt_u32_e32 vcc, 13, v6
	v_mov_b32_e32 v8, 0
	s_and_saveexec_b64 s[8:9], vcc
	s_cbranch_execz .LBB234_87
; %bb.84:
	v_mov_b32_e32 v7, 0x50
	v_and_b32_e32 v6, -8, v5
	v_lshl_add_u32 v7, v0, 2, v7
	s_mov_b32 s18, 0
	s_mov_b64 s[12:13], 0
.LBB234_85:                             ; =>This Inner Loop Header: Depth=1
	ds_read2st64_b32 v[8:9], v7 offset1:2
	ds_read2st64_b32 v[10:11], v7 offset0:4 offset1:6
	ds_read2st64_b32 v[12:13], v7 offset0:8 offset1:10
	ds_read2st64_b32 v[14:15], v7 offset0:12 offset1:14
	v_add_u32_e32 v6, -8, v6
	s_waitcnt lgkmcnt(3)
	v_pk_mul_f32 v[8:9], v[2:3], v[8:9]
	s_waitcnt lgkmcnt(2)
	v_pk_mul_f32 v[10:11], v[2:3], v[10:11]
	ds_write2st64_b32 v7, v8, v9 offset1:2
	ds_write2st64_b32 v7, v10, v11 offset0:4 offset1:6
	ds_read2st64_b32 v[10:11], v7 offset0:16 offset1:18
	s_waitcnt lgkmcnt(4)
	v_pk_mul_f32 v[8:9], v[2:3], v[12:13]
	ds_write2st64_b32 v7, v8, v9 offset0:8 offset1:10
	s_waitcnt lgkmcnt(4)
	v_pk_mul_f32 v[8:9], v[2:3], v[14:15]
	ds_write2st64_b32 v7, v8, v9 offset0:12 offset1:14
	ds_read2st64_b32 v[8:9], v7 offset0:20 offset1:22
	s_waitcnt lgkmcnt(3)
	v_pk_mul_f32 v[10:11], v[2:3], v[10:11]
	ds_read2st64_b32 v[12:13], v7 offset0:24 offset1:26
	ds_write2st64_b32 v7, v10, v11 offset0:16 offset1:18
	ds_read2st64_b32 v[10:11], v7 offset0:28 offset1:30
	s_waitcnt lgkmcnt(3)
	v_pk_mul_f32 v[8:9], v[2:3], v[8:9]
	ds_write2st64_b32 v7, v8, v9 offset0:20 offset1:22
	s_waitcnt lgkmcnt(3)
	v_pk_mul_f32 v[8:9], v[2:3], v[12:13]
	ds_write2st64_b32 v7, v8, v9 offset0:24 offset1:26
	s_waitcnt lgkmcnt(2)
	v_pk_mul_f32 v[8:9], v[2:3], v[10:11]
	s_add_i32 s18, s18, 16
	v_cmp_eq_u32_e32 vcc, 0, v6
	ds_write2st64_b32 v7, v8, v9 offset0:28 offset1:30
	v_add_u32_e32 v7, 0x2000, v7
	s_or_b64 s[12:13], vcc, s[12:13]
	v_mov_b32_e32 v8, s18
	s_andn2_b64 exec, exec, s[12:13]
	s_cbranch_execnz .LBB234_85
; %bb.86:
	s_or_b64 exec, exec, s[12:13]
.LBB234_87:
	s_or_b64 exec, exec, s[8:9]
	v_and_b32_e32 v5, 7, v5
	v_cmp_ne_u32_e32 vcc, 0, v5
	s_and_saveexec_b64 s[8:9], vcc
	s_cbranch_execz .LBB234_90
; %bb.88:
	v_lshlrev_b32_e32 v6, 9, v8
	v_lshlrev_b32_e32 v7, 2, v0
	s_movk_i32 s12, 0x50
	v_add3_u32 v6, v6, v7, s12
	s_mov_b64 s[12:13], 0
.LBB234_89:                             ; =>This Inner Loop Header: Depth=1
	ds_read2st64_b32 v[8:9], v6 offset1:2
	v_add_u32_e32 v5, -1, v5
	v_cmp_eq_u32_e32 vcc, 0, v5
	s_or_b64 s[12:13], vcc, s[12:13]
	s_waitcnt lgkmcnt(0)
	v_pk_mul_f32 v[8:9], v[2:3], v[8:9]
	ds_write2st64_b32 v6, v8, v9 offset1:2
	v_add_u32_e32 v6, 0x400, v6
	s_andn2_b64 exec, exec, s[12:13]
	s_cbranch_execnz .LBB234_89
.LBB234_90:
	s_or_b64 exec, exec, s[8:9]
	v_add_u32_e32 v4, 1, v4
	v_and_b32_e32 v5, 0x3fffffe, v4
	v_cmp_ne_u32_e32 vcc, v4, v5
	v_lshl_add_u32 v3, v5, 7, v0
	s_orn2_b64 s[8:9], vcc, exec
.LBB234_91:
	s_or_b64 exec, exec, s[2:3]
	s_and_b64 exec, exec, s[8:9]
	s_cbranch_execz .LBB234_94
; %bb.92:
	v_mov_b32_e32 v4, 0x50
	v_lshl_add_u32 v4, v3, 2, v4
	s_mov_b64 s[2:3], 0
.LBB234_93:                             ; =>This Inner Loop Header: Depth=1
	ds_read_b32 v5, v4
	v_add_u32_e32 v3, 0x80, v3
	v_cmp_le_i32_e32 vcc, s37, v3
	s_or_b64 s[2:3], vcc, s[2:3]
	s_waitcnt lgkmcnt(0)
	v_mul_f32_e32 v5, v2, v5
	ds_write_b32 v4, v5
	v_add_u32_e32 v4, 0x200, v4
	s_andn2_b64 exec, exec, s[2:3]
	s_cbranch_execnz .LBB234_93
.LBB234_94:
	s_or_b64 exec, exec, s[0:1]
	v_mov_b32_e32 v24, 0
	s_waitcnt lgkmcnt(0)
	s_barrier
	s_and_saveexec_b64 s[2:3], s[6:7]
	s_cbranch_execz .LBB234_150
; %bb.95:
	s_sub_i32 s21, s16, s21
	s_ashr_i32 s1, s47, 31
	s_add_u32 s0, s34, s47
	s_addc_u32 s1, s35, s1
	s_abs_i32 s22, s22
	v_cvt_f32_u32_e32 v3, s22
	v_lshlrev_b32_e32 v2, 3, v0
	v_and_b32_e32 v22, 8, v2
	v_and_b32_e32 v2, 0x1f8, v2
	v_rcp_iflag_f32_e32 v6, v3
	v_mov_b32_e32 v3, 0
	v_lshl_add_u64 v[4:5], s[0:1], 0, v[2:3]
	s_sub_i32 s0, 0, s22
	v_mul_f32_e32 v2, 0x4f7ffffe, v6
	v_cvt_u32_f32_e32 v2, v2
	s_add_i32 s35, s46, -1
	s_mov_b32 s6, -1
	s_mov_b32 s34, s17
	v_mul_lo_u32 v6, s0, v2
	v_mul_hi_u32 v6, v2, v6
	v_add_u32_e32 v23, v2, v6
	v_and_b32_e32 v2, 60, v1
	s_lshl_b64 s[0:1], s[30:31], 2
	v_and_b32_e32 v1, 1, v0
	s_add_u32 s0, s28, s0
	v_lshlrev_b32_e32 v1, 5, v1
	s_addc_u32 s1, s29, s1
	v_lshl_or_b32 v1, v18, 6, v1
	s_mov_b32 s7, 0xffffff
	s_mov_b32 s37, s11
	v_lshl_add_u64 v[6:7], s[0:1], 0, v[2:3]
	v_add_u32_e32 v25, 0x50, v1
	s_mov_b64 s[8:9], 0
	s_movk_i32 s28, 0x7f
	s_movk_i32 s29, 0x80
	s_mov_b32 s30, 0xffff
	s_mov_b32 s31, 0x8000
	v_mov_b32_e32 v26, 0x2000
	v_mov_b32_e32 v27, 0x7c01
	;; [unrolled: 1-line block ×3, first 2 shown]
	v_bfrev_b32_e32 v29, 1
	v_mov_b32_e32 v24, 0
	s_branch .LBB234_98
.LBB234_96:                             ;   in Loop: Header=BB234_98 Depth=1
	s_or_b64 exec, exec, s[0:1]
	v_and_b32_e32 v8, 0xffff, v30
	v_and_b32_e32 v9, 0xffff, v32
	v_lshl_or_b32 v8, v31, 16, v8
	v_lshl_or_b32 v9, v33, 16, v9
	v_and_b32_e32 v10, 0xffff, v34
	v_and_b32_e32 v11, 0xffff, v36
	;;#ASMSTART
	v_pk_mul_f16 v1, v8, v1;

	;;#ASMEND
	v_lshl_or_b32 v10, v35, 16, v10
	v_lshl_or_b32 v11, v37, 16, v11
	;;#ASMSTART
	v_pk_mul_f16 v2, v9, v2;

	;;#ASMEND
	;;#ASMSTART
	v_pk_mul_f16 v8, v10, v17;

	;;#ASMEND
	;; [unrolled: 4-line block ×3, first 2 shown]
	s_nop 0
	;;#ASMSTART
	v_pk_add_f16 v1, v1, v2;

	;;#ASMEND
	s_nop 0
	;;#ASMSTART
	v_pk_add_f16 v1, v1, v8;

	;;#ASMEND
	;; [unrolled: 5-line block ×3, first 2 shown]
	s_nop 0
	v_lshrrev_b32_e32 v2, 16, v1
	v_and_b32_e32 v1, 0xffff, v1
	;;#ASMSTART
	v_cvt_f32_f16 v1, v1;
	;;#ASMEND
	;;#ASMSTART
	v_cvt_f32_f16 v2, v2;
	;;#ASMEND
	s_nop 0
	v_add_f32_e32 v1, v1, v2
	v_add_f32_e32 v24, v24, v1
.LBB234_97:                             ;   in Loop: Header=BB234_98 Depth=1
	s_or_b64 exec, exec, s[12:13]
	v_add_u32_e32 v18, 2, v18
	v_cmp_le_i32_e32 vcc, s46, v18
	v_lshl_add_u64 v[6:7], v[6:7], 0, 8
	v_add_u32_e32 v19, 32, v19
	s_or_b64 s[8:9], vcc, s[8:9]
	v_add_u32_e32 v25, 0x80, v25
	s_andn2_b64 exec, exec, s[8:9]
	s_cbranch_execz .LBB234_149
.LBB234_98:                             ; =>This Inner Loop Header: Depth=1
	v_mul_hi_u32 v1, v19, s33
	v_mul_lo_u32 v2, v1, s25
	v_sub_u32_e32 v2, v19, v2
	v_add_u32_e32 v8, 1, v1
	v_cmp_le_u32_e32 vcc, s25, v2
	s_nop 1
	v_cndmask_b32_e32 v1, v1, v8, vcc
	v_subrev_u32_e32 v8, s25, v2
	v_cndmask_b32_e32 v2, v2, v8, vcc
	v_add_u32_e32 v8, 1, v1
	v_cmp_le_u32_e32 vcc, s25, v2
	s_nop 1
	v_cndmask_b32_e32 v1, v1, v8, vcc
	v_xor_b32_e32 v1, s23, v1
	v_subrev_u32_e32 v1, s23, v1
	v_add_u32_e32 v2, s36, v1
	v_sub_u32_e32 v9, 0, v2
	v_ashrrev_i32_e32 v8, 31, v2
	v_max_i32_e32 v2, v2, v9
	v_mul_hi_u32 v9, v2, v23
	v_mul_lo_u32 v9, v9, s22
	v_sub_u32_e32 v2, v2, v9
	v_subrev_u32_e32 v9, s22, v2
	v_cmp_le_u32_e32 vcc, s22, v2
	v_cmp_lt_i32_e64 s[0:1], s21, v1
	s_nop 0
	v_cndmask_b32_e32 v2, v2, v9, vcc
	v_subrev_u32_e32 v9, s22, v2
	v_cmp_le_u32_e32 vcc, s22, v2
	s_nop 1
	v_cndmask_b32_e32 v2, v2, v9, vcc
	v_xor_b32_e32 v2, v2, v8
	v_sub_u32_e32 v2, v2, v8
	v_cmp_eq_u32_e32 vcc, 0, v2
	s_or_b64 s[0:1], vcc, s[0:1]
	s_and_saveexec_b64 s[12:13], s[0:1]
	s_cbranch_execz .LBB234_97
; %bb.99:                               ;   in Loop: Header=BB234_98 Depth=1
	ds_read2_b64 v[8:11], v25 offset1:1
	ds_read2_b64 v[12:15], v25 offset0:2 offset1:3
	s_waitcnt lgkmcnt(1)
	;;#ASMSTART
	v_cvt_f16_f32 v30, v8;

	;;#ASMEND
	;;#ASMSTART
	v_cvt_f16_f32 v31, v9;

	;;#ASMEND
	;; [unrolled: 4-line block ×4, first 2 shown]
	s_waitcnt lgkmcnt(0)
	;;#ASMSTART
	v_cvt_f16_f32 v34, v12;

	;;#ASMEND
	;;#ASMSTART
	v_cvt_f16_f32 v35, v13;

	;;#ASMEND
	;; [unrolled: 4-line block ×4, first 2 shown]
	global_load_dword v1, v[6:7], off
	s_waitcnt vmcnt(0)
	v_mad_i64_i32 v[12:13], s[0:1], v1, s34, v[4:5]
	global_load_dwordx2 v[10:11], v[12:13], off
	global_load_dword v8, v3, s[14:15]
	s_mov_b64 s[0:1], 0
	s_waitcnt vmcnt(1)
	v_cmp_gt_i16_sdwa s[16:17], v10, s28 src0_sel:BYTE_0 src1_sel:DWORD
	s_and_saveexec_b64 s[18:19], s[16:17]
	s_xor_b64 s[16:17], exec, s[18:19]
	s_cbranch_execnz .LBB234_125
; %bb.100:                              ;   in Loop: Header=BB234_98 Depth=1
	s_or_saveexec_b64 s[16:17], s[16:17]
	v_mov_b32_e32 v1, 0x8000
	s_xor_b64 exec, exec, s[16:17]
	s_cbranch_execnz .LBB234_128
.LBB234_101:                            ;   in Loop: Header=BB234_98 Depth=1
	s_or_b64 exec, exec, s[16:17]
	s_and_saveexec_b64 s[16:17], s[0:1]
	s_cbranch_execz .LBB234_103
.LBB234_102:                            ;   in Loop: Header=BB234_98 Depth=1
	v_and_b32_e32 v2, 7, v10
	v_ffbh_u32_e32 v9, v2
	v_min_u32_e32 v9, 32, v9
	v_subrev_u32_e32 v12, 28, v9
	v_and_b32_e32 v1, 0x7f, v10
	v_lshlrev_b64 v[12:13], v12, v[10:11]
	v_cmp_gt_u32_e32 vcc, 8, v1
	v_sub_u32_e32 v9, 29, v9
	v_bfe_u32 v13, v10, 3, 4
	v_cndmask_b32_e32 v9, v13, v9, vcc
	v_and_b32_e32 v12, 7, v12
	v_lshl_add_u32 v9, v9, 10, v26
	v_cndmask_b32_e32 v2, v2, v12, vcc
	v_lshlrev_b32_e32 v12, 8, v10
	v_and_b32_e32 v9, 0xfc00, v9
	v_and_or_b32 v9, v12, s31, v9
	v_lshl_or_b32 v2, v2, 7, v9
	v_cmp_ne_u32_e32 vcc, s28, v1
	s_nop 1
	v_cndmask_b32_e32 v1, v27, v2, vcc
.LBB234_103:                            ;   in Loop: Header=BB234_98 Depth=1
	s_or_b64 exec, exec, s[16:17]
	v_lshrrev_b16_e32 v2, 8, v10
	v_cmp_lt_i16_e32 vcc, s28, v2
	s_mov_b64 s[0:1], 0
	s_and_saveexec_b64 s[16:17], vcc
	s_xor_b64 s[16:17], exec, s[16:17]
	s_cbranch_execnz .LBB234_129
; %bb.104:                              ;   in Loop: Header=BB234_98 Depth=1
	s_or_saveexec_b64 s[16:17], s[16:17]
	v_bfrev_b32_e32 v9, 1
	s_xor_b64 exec, exec, s[16:17]
	s_cbranch_execnz .LBB234_132
.LBB234_105:                            ;   in Loop: Header=BB234_98 Depth=1
	s_or_b64 exec, exec, s[16:17]
	s_and_saveexec_b64 s[16:17], s[0:1]
	s_cbranch_execz .LBB234_107
.LBB234_106:                            ;   in Loop: Header=BB234_98 Depth=1
	v_and_b32_e32 v9, 7, v2
	v_ffbh_u32_e32 v12, v9
	v_min_u32_e32 v16, 32, v12
	v_subrev_u32_e32 v12, 28, v16
	v_and_b32_e32 v14, 0x7f, v2
	v_lshlrev_b64 v[12:13], v12, v[2:3]
	v_bfe_u32 v15, v2, 3, 4
	v_sub_u32_e32 v13, 29, v16
	v_cmp_gt_u32_e32 vcc, 8, v14
	v_lshlrev_b32_e32 v2, 8, v2
	v_and_b32_e32 v12, 7, v12
	v_cndmask_b32_e32 v13, v15, v13, vcc
	v_lshl_add_u32 v13, v13, 10, v26
	v_and_or_b32 v2, v2, s31, v13
	v_cndmask_b32_e32 v9, v9, v12, vcc
	v_lshlrev_b32_e32 v2, 16, v2
	v_lshl_or_b32 v2, v9, 23, v2
	v_cmp_ne_u32_e32 vcc, s28, v14
	s_nop 1
	v_cndmask_b32_e32 v9, v28, v2, vcc
.LBB234_107:                            ;   in Loop: Header=BB234_98 Depth=1
	s_or_b64 exec, exec, s[16:17]
	v_lshrrev_b32_e32 v12, 16, v10
	v_cmp_gt_i16_sdwa s[16:17], v12, s28 src0_sel:BYTE_0 src1_sel:DWORD
	s_mov_b64 s[0:1], 0
	s_and_saveexec_b64 s[18:19], s[16:17]
	s_xor_b64 s[16:17], exec, s[18:19]
	s_cbranch_execnz .LBB234_133
; %bb.108:                              ;   in Loop: Header=BB234_98 Depth=1
	s_or_saveexec_b64 s[16:17], s[16:17]
	v_mov_b32_e32 v13, 0x8000
	s_xor_b64 exec, exec, s[16:17]
	s_cbranch_execnz .LBB234_136
.LBB234_109:                            ;   in Loop: Header=BB234_98 Depth=1
	s_or_b64 exec, exec, s[16:17]
	s_and_saveexec_b64 s[16:17], s[0:1]
	s_cbranch_execz .LBB234_111
.LBB234_110:                            ;   in Loop: Header=BB234_98 Depth=1
	v_and_b32_e32 v2, 7, v12
	v_ffbh_u32_e32 v14, v2
	v_min_u32_e32 v17, 32, v14
	v_and_b32_e32 v13, 0x7f, v12
	v_subrev_u32_e32 v14, 28, v17
	v_lshlrev_b64 v[14:15], v14, v[12:13]
	v_bfe_u32 v16, v12, 3, 4
	v_sub_u32_e32 v15, 29, v17
	v_cmp_gt_u32_e32 vcc, 8, v13
	v_and_b32_e32 v14, 7, v14
	s_nop 0
	v_cndmask_b32_e32 v15, v16, v15, vcc
	v_lshl_add_u32 v15, v15, 10, v26
	v_lshlrev_b32_e32 v16, 8, v12
	v_cndmask_b32_e32 v2, v2, v14, vcc
	v_and_b32_e32 v14, 0xfc00, v15
	v_and_or_b32 v14, v16, s31, v14
	v_lshl_or_b32 v2, v2, 7, v14
	v_cmp_ne_u32_e32 vcc, s28, v13
	s_nop 1
	v_cndmask_b32_e32 v13, v27, v2, vcc
.LBB234_111:                            ;   in Loop: Header=BB234_98 Depth=1
	s_or_b64 exec, exec, s[16:17]
	v_mov_b32_e32 v2, v11
	v_cmp_gt_i16_sdwa s[16:17], v11, s28 src0_sel:BYTE_0 src1_sel:DWORD
	s_mov_b64 s[0:1], 0
	s_and_saveexec_b64 s[18:19], s[16:17]
	s_xor_b64 s[16:17], exec, s[18:19]
	s_cbranch_execnz .LBB234_137
; %bb.112:                              ;   in Loop: Header=BB234_98 Depth=1
	s_or_saveexec_b64 s[16:17], s[16:17]
	v_mov_b32_e32 v14, 0x8000
	s_xor_b64 exec, exec, s[16:17]
	s_cbranch_execnz .LBB234_140
.LBB234_113:                            ;   in Loop: Header=BB234_98 Depth=1
	s_or_b64 exec, exec, s[16:17]
	s_and_saveexec_b64 s[16:17], s[0:1]
	s_cbranch_execz .LBB234_115
.LBB234_114:                            ;   in Loop: Header=BB234_98 Depth=1
	v_and_b32_e32 v16, 7, v11
	v_ffbh_u32_e32 v14, v16
	v_min_u32_e32 v39, 32, v14
	v_subrev_u32_e32 v14, 28, v39
	v_and_b32_e32 v17, 0x7f, v11
	v_lshlrev_b64 v[14:15], v14, v[2:3]
	v_bfe_u32 v38, v11, 3, 4
	v_sub_u32_e32 v15, 29, v39
	v_cmp_gt_u32_e32 vcc, 8, v17
	v_and_b32_e32 v14, 7, v14
	s_nop 0
	v_cndmask_b32_e32 v15, v38, v15, vcc
	v_lshl_add_u32 v15, v15, 10, v26
	v_lshlrev_b32_e32 v38, 8, v11
	v_and_b32_e32 v15, 0xfc00, v15
	v_cndmask_b32_e32 v14, v16, v14, vcc
	v_and_or_b32 v15, v38, s31, v15
	v_lshl_or_b32 v14, v14, 7, v15
	v_cmp_ne_u32_e32 vcc, s28, v17
	s_nop 1
	v_cndmask_b32_e32 v14, v27, v14, vcc
.LBB234_115:                            ;   in Loop: Header=BB234_98 Depth=1
	s_or_b64 exec, exec, s[16:17]
	v_lshrrev_b16_e32 v2, 8, v2
	v_cmp_lt_i16_e32 vcc, s28, v2
	s_mov_b64 s[0:1], 0
	s_and_saveexec_b64 s[16:17], vcc
	s_xor_b64 s[16:17], exec, s[16:17]
	s_cbranch_execnz .LBB234_141
; %bb.116:                              ;   in Loop: Header=BB234_98 Depth=1
	s_or_saveexec_b64 s[16:17], s[16:17]
	v_bfrev_b32_e32 v15, 1
	s_xor_b64 exec, exec, s[16:17]
	s_cbranch_execnz .LBB234_144
.LBB234_117:                            ;   in Loop: Header=BB234_98 Depth=1
	s_or_b64 exec, exec, s[16:17]
	s_and_saveexec_b64 s[16:17], s[0:1]
	s_cbranch_execz .LBB234_119
.LBB234_118:                            ;   in Loop: Header=BB234_98 Depth=1
	v_and_b32_e32 v15, 7, v2
	v_ffbh_u32_e32 v16, v15
	v_min_u32_e32 v40, 32, v16
	v_subrev_u32_e32 v16, 28, v40
	v_and_b32_e32 v38, 0x7f, v2
	v_lshlrev_b64 v[16:17], v16, v[2:3]
	v_bfe_u32 v39, v2, 3, 4
	v_sub_u32_e32 v17, 29, v40
	v_cmp_gt_u32_e32 vcc, 8, v38
	v_lshlrev_b32_e32 v2, 8, v2
	v_and_b32_e32 v16, 7, v16
	v_cndmask_b32_e32 v17, v39, v17, vcc
	v_lshl_add_u32 v17, v17, 10, v26
	v_and_or_b32 v2, v2, s31, v17
	v_cndmask_b32_e32 v15, v15, v16, vcc
	v_lshlrev_b32_e32 v2, 16, v2
	v_lshl_or_b32 v2, v15, 23, v2
	v_cmp_ne_u32_e32 vcc, s28, v38
	s_nop 1
	v_cndmask_b32_e32 v15, v28, v2, vcc
.LBB234_119:                            ;   in Loop: Header=BB234_98 Depth=1
	s_or_b64 exec, exec, s[16:17]
	v_lshrrev_b32_e32 v2, 16, v11
	v_cmp_gt_i16_sdwa s[16:17], v2, s28 src0_sel:BYTE_0 src1_sel:DWORD
	s_mov_b64 s[0:1], 0
	s_and_saveexec_b64 s[18:19], s[16:17]
	s_xor_b64 s[16:17], exec, s[18:19]
	s_cbranch_execnz .LBB234_145
; %bb.120:                              ;   in Loop: Header=BB234_98 Depth=1
	s_or_saveexec_b64 s[16:17], s[16:17]
	v_mov_b32_e32 v16, 0x8000
	s_xor_b64 exec, exec, s[16:17]
	s_cbranch_execnz .LBB234_148
.LBB234_121:                            ;   in Loop: Header=BB234_98 Depth=1
	s_or_b64 exec, exec, s[16:17]
	s_and_saveexec_b64 s[16:17], s[0:1]
	s_cbranch_execz .LBB234_123
.LBB234_122:                            ;   in Loop: Header=BB234_98 Depth=1
	v_and_b32_e32 v38, 7, v2
	v_ffbh_u32_e32 v16, v38
	v_min_u32_e32 v41, 32, v16
	v_subrev_u32_e32 v16, 28, v41
	v_and_b32_e32 v39, 0x7f, v2
	v_lshlrev_b64 v[16:17], v16, v[2:3]
	v_bfe_u32 v40, v2, 3, 4
	v_sub_u32_e32 v17, 29, v41
	v_cmp_gt_u32_e32 vcc, 8, v39
	v_and_b32_e32 v16, 7, v16
	s_nop 0
	v_cndmask_b32_e32 v17, v40, v17, vcc
	v_lshl_add_u32 v17, v17, 10, v26
	v_lshlrev_b32_e32 v40, 8, v2
	v_and_b32_e32 v17, 0xfc00, v17
	v_cndmask_b32_e32 v16, v38, v16, vcc
	v_and_or_b32 v17, v40, s31, v17
	v_lshl_or_b32 v16, v16, 7, v17
	v_cmp_ne_u32_e32 vcc, s28, v39
	s_nop 1
	v_cndmask_b32_e32 v16, v27, v16, vcc
.LBB234_123:                            ;   in Loop: Header=BB234_98 Depth=1
	s_or_b64 exec, exec, s[16:17]
	v_bfe_u32 v17, v10, 24, 3
	v_ffbh_u32_e32 v40, v17
	v_min_u32_e32 v43, 32, v40
	v_lshrrev_b32_e32 v38, 24, v10
	v_bfe_u32 v39, v10, 24, 7
	v_subrev_u32_e32 v40, 28, v43
	v_lshlrev_b64 v[40:41], v40, v[38:39]
	v_bfe_u32 v42, v38, 3, 4
	v_sub_u32_e32 v41, 29, v43
	v_cmp_gt_u32_e32 vcc, 8, v39
	v_and_b32_e32 v40, 7, v40
	v_or_b32_e32 v1, v9, v1
	v_cndmask_b32_e32 v41, v42, v41, vcc
	v_lshl_add_u32 v41, v41, 10, v26
	v_and_or_b32 v12, v12, s31, v41
	v_cndmask_b32_e32 v17, v17, v40, vcc
	v_lshlrev_b32_e32 v12, 16, v12
	v_lshl_or_b32 v12, v17, 23, v12
	v_cmp_ne_u32_e32 vcc, s28, v39
	v_bfe_u32 v40, v11, 24, 3
	v_bfe_u32 v41, v11, 24, 7
	v_cndmask_b32_e32 v12, v28, v12, vcc
	v_cmp_ne_u32_e32 vcc, s29, v38
	v_ffbh_u32_e32 v38, v40
	v_min_u32_e32 v43, 32, v38
	v_cndmask_b32_e32 v12, v29, v12, vcc
	v_cmp_lt_u32_e32 vcc, s7, v10
	v_subrev_u32_e32 v38, 28, v43
	v_cmp_ne_u32_e64 s[0:1], s28, v41
	v_cndmask_b32_e32 v17, 0, v12, vcc
	v_lshrrev_b32_e32 v12, 24, v11
	v_lshlrev_b64 v[38:39], v38, v[12:13]
	v_bfe_u32 v42, v12, 3, 4
	v_sub_u32_e32 v39, 29, v43
	v_cmp_gt_u32_e32 vcc, 8, v41
	v_and_b32_e32 v38, 7, v38
	s_nop 0
	v_cndmask_b32_e32 v39, v42, v39, vcc
	v_lshl_add_u32 v39, v39, 10, v26
	v_and_or_b32 v2, v2, s31, v39
	v_cndmask_b32_e32 v38, v40, v38, vcc
	v_lshlrev_b32_e32 v2, 16, v2
	v_lshl_or_b32 v2, v38, 23, v2
	v_cvt_f32_f16_sdwa v38, v17 dst_sel:DWORD dst_unused:UNUSED_PAD src0_sel:WORD_1
	v_cvt_f32_f16_sdwa v39, v9 dst_sel:DWORD dst_unused:UNUSED_PAD src0_sel:WORD_1
	v_or_b32_e32 v9, v13, v17
	v_cndmask_b32_e64 v2, v28, v2, s[0:1]
	v_cmp_ne_u32_e64 s[0:1], s29, v12
	v_cvt_f32_f16_e32 v12, v9
	v_cvt_f32_f16_e32 v13, v1
	v_cndmask_b32_e64 v2, v29, v2, s[0:1]
	v_cmp_lt_u64_e64 s[0:1], s[6:7], v[10:11]
	s_waitcnt vmcnt(0)
	v_pk_mul_f32 v[10:11], v[8:9], v[38:39] op_sel_hi:[0,1]
	v_cvt_pk_f16_f32 v1, v10, v11
	v_and_b32_e32 v9, 0xffff0000, v1
	v_cndmask_b32_e64 v2, 0, v2, s[0:1]
	v_pk_mul_f32 v[12:13], v[8:9], v[12:13] op_sel_hi:[0,1]
	v_lshlrev_b32_e32 v10, 16, v1
	v_cvt_pk_f16_f32 v1, v12, v13
	v_or_b32_e32 v13, v15, v14
	v_or_b32_e32 v14, v16, v2
	v_cvt_f32_f16_e32 v16, v14
	v_cvt_f32_f16_e32 v17, v13
	v_cvt_f32_f16_sdwa v14, v2 dst_sel:DWORD dst_unused:UNUSED_PAD src0_sel:WORD_1
	v_cvt_f32_f16_sdwa v15, v15 dst_sel:DWORD dst_unused:UNUSED_PAD src0_sel:WORD_1
	v_lshrrev_b32_e32 v11, 16, v1
	v_pk_mul_f32 v[16:17], v[8:9], v[16:17] op_sel_hi:[0,1]
	v_cvt_pk_f16_f32 v16, v16, v17
	v_pk_mul_f32 v[14:15], v[8:9], v[14:15] op_sel_hi:[0,1]
	v_cvt_pk_f16_f32 v8, v14, v15
	v_and_b32_e32 v12, 0xffff, v1
	v_and_b32_e32 v13, 0xffff0000, v8
	v_lshlrev_b32_e32 v8, 16, v8
	v_lshrrev_b32_e32 v15, 16, v16
	v_and_b32_e32 v14, 0xffff, v16
	v_cmp_eq_u32_e32 vcc, s35, v18
	v_or_b32_e32 v1, v9, v11
	v_or_b32_e32 v2, v10, v12
	;; [unrolled: 1-line block ×4, first 2 shown]
	s_and_saveexec_b64 s[0:1], vcc
	s_cbranch_execz .LBB234_96
; %bb.124:                              ;   in Loop: Header=BB234_98 Depth=1
	v_add_u32_e32 v16, v22, v19
	v_add_u32_e32 v17, 2, v16
	v_cmp_gt_i32_e32 vcc, s37, v16
	v_or_b32_e32 v1, 1, v16
	v_or_b32_e32 v2, 3, v16
	v_cndmask_b32_e32 v11, 0, v11, vcc
	v_cmp_gt_i32_e32 vcc, s11, v17
	s_nop 1
	v_cndmask_b32_e32 v12, 0, v12, vcc
	v_cmp_gt_i32_e32 vcc, s37, v1
	s_nop 1
	v_cndmask_b32_e32 v1, 0, v9, vcc
	v_cmp_gt_i32_e32 vcc, s11, v2
	v_or_b32_e32 v9, 4, v16
	v_or_b32_e32 v1, v1, v11
	v_cndmask_b32_e32 v2, 0, v10, vcc
	v_or_b32_e32 v10, 6, v16
	v_cmp_gt_i32_e32 vcc, s37, v9
	v_or_b32_e32 v11, 5, v16
	v_or_b32_e32 v2, v2, v12
	v_cndmask_b32_e32 v9, 0, v15, vcc
	v_cmp_gt_i32_e32 vcc, s11, v10
	v_or_b32_e32 v12, 7, v16
	s_nop 0
	v_cndmask_b32_e32 v10, 0, v14, vcc
	v_cmp_gt_i32_e32 vcc, s37, v11
	s_nop 1
	v_cndmask_b32_e32 v11, 0, v13, vcc
	v_cmp_gt_i32_e32 vcc, s11, v12
	v_or_b32_e32 v17, v11, v9
	s_nop 0
	v_cndmask_b32_e32 v8, 0, v8, vcc
	v_or_b32_e32 v16, v8, v10
	s_branch .LBB234_96
.LBB234_125:                            ;   in Loop: Header=BB234_98 Depth=1
	v_cmp_eq_u16_sdwa s[38:39], v10, s29 src0_sel:BYTE_0 src1_sel:DWORD
	s_mov_b64 s[0:1], -1
	s_and_saveexec_b64 s[18:19], s[38:39]
; %bb.126:                              ;   in Loop: Header=BB234_98 Depth=1
	s_xor_b64 s[0:1], exec, -1
; %bb.127:                              ;   in Loop: Header=BB234_98 Depth=1
	s_or_b64 exec, exec, s[18:19]
	s_and_b64 s[0:1], s[0:1], exec
	s_or_saveexec_b64 s[16:17], s[16:17]
	v_mov_b32_e32 v1, 0x8000
	s_xor_b64 exec, exec, s[16:17]
	s_cbranch_execz .LBB234_101
.LBB234_128:                            ;   in Loop: Header=BB234_98 Depth=1
	v_cmp_ne_u16_sdwa s[18:19], v10, v3 src0_sel:BYTE_0 src1_sel:DWORD
	s_andn2_b64 s[0:1], s[0:1], exec
	s_and_b64 s[18:19], s[18:19], exec
	v_and_b32_sdwa v1, s30, v10 dst_sel:DWORD dst_unused:UNUSED_PAD src0_sel:DWORD src1_sel:BYTE_0
	s_or_b64 s[0:1], s[0:1], s[18:19]
	s_or_b64 exec, exec, s[16:17]
	s_and_saveexec_b64 s[16:17], s[0:1]
	s_cbranch_execnz .LBB234_102
	s_branch .LBB234_103
.LBB234_129:                            ;   in Loop: Header=BB234_98 Depth=1
	v_cmp_eq_u16_e32 vcc, s29, v2
	s_mov_b64 s[0:1], -1
	s_and_saveexec_b64 s[18:19], vcc
; %bb.130:                              ;   in Loop: Header=BB234_98 Depth=1
	s_xor_b64 s[0:1], exec, -1
; %bb.131:                              ;   in Loop: Header=BB234_98 Depth=1
	s_or_b64 exec, exec, s[18:19]
	s_and_b64 s[0:1], s[0:1], exec
	s_or_saveexec_b64 s[16:17], s[16:17]
	v_bfrev_b32_e32 v9, 1
	s_xor_b64 exec, exec, s[16:17]
	s_cbranch_execz .LBB234_105
.LBB234_132:                            ;   in Loop: Header=BB234_98 Depth=1
	v_cmp_ne_u16_e32 vcc, 0, v2
	s_andn2_b64 s[0:1], s[0:1], exec
	s_and_b64 s[18:19], vcc, exec
	s_or_b64 s[0:1], s[0:1], s[18:19]
	v_mov_b32_e32 v9, v2
	s_or_b64 exec, exec, s[16:17]
	s_and_saveexec_b64 s[16:17], s[0:1]
	s_cbranch_execnz .LBB234_106
	s_branch .LBB234_107
.LBB234_133:                            ;   in Loop: Header=BB234_98 Depth=1
	v_cmp_eq_u16_sdwa s[38:39], v12, s29 src0_sel:BYTE_0 src1_sel:DWORD
	s_mov_b64 s[0:1], -1
	s_and_saveexec_b64 s[18:19], s[38:39]
; %bb.134:                              ;   in Loop: Header=BB234_98 Depth=1
	s_xor_b64 s[0:1], exec, -1
; %bb.135:                              ;   in Loop: Header=BB234_98 Depth=1
	s_or_b64 exec, exec, s[18:19]
	s_and_b64 s[0:1], s[0:1], exec
	s_or_saveexec_b64 s[16:17], s[16:17]
	v_mov_b32_e32 v13, 0x8000
	s_xor_b64 exec, exec, s[16:17]
	s_cbranch_execz .LBB234_109
.LBB234_136:                            ;   in Loop: Header=BB234_98 Depth=1
	v_cmp_ne_u16_sdwa s[18:19], v12, v3 src0_sel:BYTE_0 src1_sel:DWORD
	s_andn2_b64 s[0:1], s[0:1], exec
	s_and_b64 s[18:19], s[18:19], exec
	v_and_b32_sdwa v13, s30, v12 dst_sel:DWORD dst_unused:UNUSED_PAD src0_sel:DWORD src1_sel:BYTE_0
	s_or_b64 s[0:1], s[0:1], s[18:19]
	s_or_b64 exec, exec, s[16:17]
	s_and_saveexec_b64 s[16:17], s[0:1]
	s_cbranch_execnz .LBB234_110
	s_branch .LBB234_111
.LBB234_137:                            ;   in Loop: Header=BB234_98 Depth=1
	v_cmp_eq_u16_sdwa s[38:39], v11, s29 src0_sel:BYTE_0 src1_sel:DWORD
	s_mov_b64 s[0:1], -1
	s_and_saveexec_b64 s[18:19], s[38:39]
; %bb.138:                              ;   in Loop: Header=BB234_98 Depth=1
	s_xor_b64 s[0:1], exec, -1
; %bb.139:                              ;   in Loop: Header=BB234_98 Depth=1
	s_or_b64 exec, exec, s[18:19]
	s_and_b64 s[0:1], s[0:1], exec
	s_or_saveexec_b64 s[16:17], s[16:17]
	v_mov_b32_e32 v14, 0x8000
	s_xor_b64 exec, exec, s[16:17]
	s_cbranch_execz .LBB234_113
.LBB234_140:                            ;   in Loop: Header=BB234_98 Depth=1
	v_cmp_ne_u16_sdwa s[18:19], v11, v3 src0_sel:BYTE_0 src1_sel:DWORD
	s_andn2_b64 s[0:1], s[0:1], exec
	s_and_b64 s[18:19], s[18:19], exec
	v_and_b32_sdwa v14, s30, v11 dst_sel:DWORD dst_unused:UNUSED_PAD src0_sel:DWORD src1_sel:BYTE_0
	s_or_b64 s[0:1], s[0:1], s[18:19]
	s_or_b64 exec, exec, s[16:17]
	s_and_saveexec_b64 s[16:17], s[0:1]
	s_cbranch_execnz .LBB234_114
	s_branch .LBB234_115
.LBB234_141:                            ;   in Loop: Header=BB234_98 Depth=1
	v_cmp_eq_u16_e32 vcc, s29, v2
	s_mov_b64 s[0:1], -1
	s_and_saveexec_b64 s[18:19], vcc
; %bb.142:                              ;   in Loop: Header=BB234_98 Depth=1
	s_xor_b64 s[0:1], exec, -1
; %bb.143:                              ;   in Loop: Header=BB234_98 Depth=1
	s_or_b64 exec, exec, s[18:19]
	s_and_b64 s[0:1], s[0:1], exec
	s_or_saveexec_b64 s[16:17], s[16:17]
	v_bfrev_b32_e32 v15, 1
	s_xor_b64 exec, exec, s[16:17]
	s_cbranch_execz .LBB234_117
.LBB234_144:                            ;   in Loop: Header=BB234_98 Depth=1
	v_cmp_ne_u16_e32 vcc, 0, v2
	s_andn2_b64 s[0:1], s[0:1], exec
	s_and_b64 s[18:19], vcc, exec
	s_or_b64 s[0:1], s[0:1], s[18:19]
	v_mov_b32_e32 v15, v2
	s_or_b64 exec, exec, s[16:17]
	s_and_saveexec_b64 s[16:17], s[0:1]
	s_cbranch_execnz .LBB234_118
	s_branch .LBB234_119
.LBB234_145:                            ;   in Loop: Header=BB234_98 Depth=1
	v_cmp_eq_u16_sdwa s[38:39], v2, s29 src0_sel:BYTE_0 src1_sel:DWORD
	s_mov_b64 s[0:1], -1
	s_and_saveexec_b64 s[18:19], s[38:39]
; %bb.146:                              ;   in Loop: Header=BB234_98 Depth=1
	s_xor_b64 s[0:1], exec, -1
; %bb.147:                              ;   in Loop: Header=BB234_98 Depth=1
	s_or_b64 exec, exec, s[18:19]
	s_and_b64 s[0:1], s[0:1], exec
	s_or_saveexec_b64 s[16:17], s[16:17]
	v_mov_b32_e32 v16, 0x8000
	s_xor_b64 exec, exec, s[16:17]
	s_cbranch_execz .LBB234_121
.LBB234_148:                            ;   in Loop: Header=BB234_98 Depth=1
	v_cmp_ne_u16_sdwa s[18:19], v2, v3 src0_sel:BYTE_0 src1_sel:DWORD
	s_andn2_b64 s[0:1], s[0:1], exec
	s_and_b64 s[18:19], s[18:19], exec
	v_and_b32_sdwa v16, s30, v2 dst_sel:DWORD dst_unused:UNUSED_PAD src0_sel:DWORD src1_sel:BYTE_0
	s_or_b64 s[0:1], s[0:1], s[18:19]
	s_or_b64 exec, exec, s[16:17]
	s_and_saveexec_b64 s[16:17], s[0:1]
	s_cbranch_execnz .LBB234_122
	s_branch .LBB234_123
.LBB234_149:
	s_or_b64 exec, exec, s[8:9]
.LBB234_150:
	s_or_b64 exec, exec, s[2:3]
	ds_bpermute_b32 v1, v21, v24
	v_and_b32_e32 v2, 0x3c1, v0
	v_cmp_eq_u32_e32 vcc, 64, v2
	s_waitcnt lgkmcnt(0)
	s_barrier
	v_add_f32_e32 v1, v24, v1
	s_and_saveexec_b64 s[0:1], vcc
; %bb.151:
	v_mov_b32_e32 v3, 0x50
	v_lshl_add_u32 v3, v20, 1, v3
	ds_write_b32 v3, v1
; %bb.152:
	s_or_b64 exec, exec, s[0:1]
	v_lshrrev_b32_e32 v0, 1, v0
	v_cmp_eq_u32_e32 vcc, 0, v2
	s_waitcnt lgkmcnt(0)
	s_barrier
	s_and_saveexec_b64 s[0:1], vcc
	s_cbranch_execz .LBB234_154
; %bb.153:
	v_mov_b32_e32 v2, 0x50
	v_lshl_add_u32 v2, v0, 2, v2
	ds_read_b32 v2, v2
	s_waitcnt lgkmcnt(0)
	v_add_f32_e32 v1, v1, v2
.LBB234_154:
	s_or_b64 exec, exec, s[0:1]
	s_barrier
	s_and_saveexec_b64 s[0:1], vcc
	s_cbranch_execz .LBB234_156
; %bb.155:
	s_mul_i32 s0, s10, s20
	s_mul_i32 s0, s0, s5
	s_lshl_b32 s0, s0, 5
	s_ashr_i32 s1, s0, 31
	s_lshl_b64 s[0:1], s[0:1], 1
	s_add_u32 s2, s26, s0
	s_mul_i32 s0, s20, s24
	s_addc_u32 s3, s27, s1
	s_ashr_i32 s1, s0, 31
	s_lshl_b64 s[0:1], s[0:1], 1
	s_add_u32 s2, s2, s0
	s_addc_u32 s3, s3, s1
	s_lshl_b32 s0, s4, 5
	s_ashr_i32 s1, s0, 31
	s_lshl_b64 s[0:1], s[0:1], 1
	s_add_u32 s0, s2, s0
	s_addc_u32 s1, s3, s1
	v_lshlrev_b32_e32 v0, 1, v0
	;;#ASMSTART
	v_cvt_f16_f32 v1, v1;

	;;#ASMEND
	global_store_short v0, v1, s[0:1]
.LBB234_156:
	s_endpgm
	.section	.rodata,"a",@progbits
	.p2align	6, 0x0
	.amdhsa_kernel _ZN4vllm25paged_attention_v1_kernelIthLi32ELi16ELi128ELNS_18Fp8KVCacheDataTypeE1ELb1EEEvPT_PKS2_PKT0_S8_ifPKiSA_iPKfiiiSC_SC_iiiii
		.amdhsa_group_segment_fixed_size 80
		.amdhsa_private_segment_fixed_size 0
		.amdhsa_kernarg_size 384
		.amdhsa_user_sgpr_count 2
		.amdhsa_user_sgpr_dispatch_ptr 0
		.amdhsa_user_sgpr_queue_ptr 0
		.amdhsa_user_sgpr_kernarg_segment_ptr 1
		.amdhsa_user_sgpr_dispatch_id 0
		.amdhsa_user_sgpr_kernarg_preload_length 0
		.amdhsa_user_sgpr_kernarg_preload_offset 0
		.amdhsa_user_sgpr_private_segment_size 0
		.amdhsa_uses_dynamic_stack 0
		.amdhsa_enable_private_segment 0
		.amdhsa_system_sgpr_workgroup_id_x 1
		.amdhsa_system_sgpr_workgroup_id_y 1
		.amdhsa_system_sgpr_workgroup_id_z 1
		.amdhsa_system_sgpr_workgroup_info 0
		.amdhsa_system_vgpr_workitem_id 0
		.amdhsa_next_free_vgpr 44
		.amdhsa_next_free_sgpr 55
		.amdhsa_accum_offset 44
		.amdhsa_reserve_vcc 1
		.amdhsa_float_round_mode_32 0
		.amdhsa_float_round_mode_16_64 0
		.amdhsa_float_denorm_mode_32 3
		.amdhsa_float_denorm_mode_16_64 3
		.amdhsa_dx10_clamp 1
		.amdhsa_ieee_mode 1
		.amdhsa_fp16_overflow 0
		.amdhsa_tg_split 0
		.amdhsa_exception_fp_ieee_invalid_op 0
		.amdhsa_exception_fp_denorm_src 0
		.amdhsa_exception_fp_ieee_div_zero 0
		.amdhsa_exception_fp_ieee_overflow 0
		.amdhsa_exception_fp_ieee_underflow 0
		.amdhsa_exception_fp_ieee_inexact 0
		.amdhsa_exception_int_div_zero 0
	.end_amdhsa_kernel
	.section	.text._ZN4vllm25paged_attention_v1_kernelIthLi32ELi16ELi128ELNS_18Fp8KVCacheDataTypeE1ELb1EEEvPT_PKS2_PKT0_S8_ifPKiSA_iPKfiiiSC_SC_iiiii,"axG",@progbits,_ZN4vllm25paged_attention_v1_kernelIthLi32ELi16ELi128ELNS_18Fp8KVCacheDataTypeE1ELb1EEEvPT_PKS2_PKT0_S8_ifPKiSA_iPKfiiiSC_SC_iiiii,comdat
.Lfunc_end234:
	.size	_ZN4vllm25paged_attention_v1_kernelIthLi32ELi16ELi128ELNS_18Fp8KVCacheDataTypeE1ELb1EEEvPT_PKS2_PKT0_S8_ifPKiSA_iPKfiiiSC_SC_iiiii, .Lfunc_end234-_ZN4vllm25paged_attention_v1_kernelIthLi32ELi16ELi128ELNS_18Fp8KVCacheDataTypeE1ELb1EEEvPT_PKS2_PKT0_S8_ifPKiSA_iPKfiiiSC_SC_iiiii
                                        ; -- End function
	.set _ZN4vllm25paged_attention_v1_kernelIthLi32ELi16ELi128ELNS_18Fp8KVCacheDataTypeE1ELb1EEEvPT_PKS2_PKT0_S8_ifPKiSA_iPKfiiiSC_SC_iiiii.num_vgpr, 44
	.set _ZN4vllm25paged_attention_v1_kernelIthLi32ELi16ELi128ELNS_18Fp8KVCacheDataTypeE1ELb1EEEvPT_PKS2_PKT0_S8_ifPKiSA_iPKfiiiSC_SC_iiiii.num_agpr, 0
	.set _ZN4vllm25paged_attention_v1_kernelIthLi32ELi16ELi128ELNS_18Fp8KVCacheDataTypeE1ELb1EEEvPT_PKS2_PKT0_S8_ifPKiSA_iPKfiiiSC_SC_iiiii.numbered_sgpr, 55
	.set _ZN4vllm25paged_attention_v1_kernelIthLi32ELi16ELi128ELNS_18Fp8KVCacheDataTypeE1ELb1EEEvPT_PKS2_PKT0_S8_ifPKiSA_iPKfiiiSC_SC_iiiii.num_named_barrier, 0
	.set _ZN4vllm25paged_attention_v1_kernelIthLi32ELi16ELi128ELNS_18Fp8KVCacheDataTypeE1ELb1EEEvPT_PKS2_PKT0_S8_ifPKiSA_iPKfiiiSC_SC_iiiii.private_seg_size, 0
	.set _ZN4vllm25paged_attention_v1_kernelIthLi32ELi16ELi128ELNS_18Fp8KVCacheDataTypeE1ELb1EEEvPT_PKS2_PKT0_S8_ifPKiSA_iPKfiiiSC_SC_iiiii.uses_vcc, 1
	.set _ZN4vllm25paged_attention_v1_kernelIthLi32ELi16ELi128ELNS_18Fp8KVCacheDataTypeE1ELb1EEEvPT_PKS2_PKT0_S8_ifPKiSA_iPKfiiiSC_SC_iiiii.uses_flat_scratch, 0
	.set _ZN4vllm25paged_attention_v1_kernelIthLi32ELi16ELi128ELNS_18Fp8KVCacheDataTypeE1ELb1EEEvPT_PKS2_PKT0_S8_ifPKiSA_iPKfiiiSC_SC_iiiii.has_dyn_sized_stack, 0
	.set _ZN4vllm25paged_attention_v1_kernelIthLi32ELi16ELi128ELNS_18Fp8KVCacheDataTypeE1ELb1EEEvPT_PKS2_PKT0_S8_ifPKiSA_iPKfiiiSC_SC_iiiii.has_recursion, 0
	.set _ZN4vllm25paged_attention_v1_kernelIthLi32ELi16ELi128ELNS_18Fp8KVCacheDataTypeE1ELb1EEEvPT_PKS2_PKT0_S8_ifPKiSA_iPKfiiiSC_SC_iiiii.has_indirect_call, 0
	.section	.AMDGPU.csdata,"",@progbits
; Kernel info:
; codeLenInByte = 8252
; TotalNumSgprs: 61
; NumVgprs: 44
; NumAgprs: 0
; TotalNumVgprs: 44
; ScratchSize: 0
; MemoryBound: 0
; FloatMode: 240
; IeeeMode: 1
; LDSByteSize: 80 bytes/workgroup (compile time only)
; SGPRBlocks: 7
; VGPRBlocks: 5
; NumSGPRsForWavesPerEU: 61
; NumVGPRsForWavesPerEU: 44
; AccumOffset: 44
; Occupancy: 8
; WaveLimiterHint : 1
; COMPUTE_PGM_RSRC2:SCRATCH_EN: 0
; COMPUTE_PGM_RSRC2:USER_SGPR: 2
; COMPUTE_PGM_RSRC2:TRAP_HANDLER: 0
; COMPUTE_PGM_RSRC2:TGID_X_EN: 1
; COMPUTE_PGM_RSRC2:TGID_Y_EN: 1
; COMPUTE_PGM_RSRC2:TGID_Z_EN: 1
; COMPUTE_PGM_RSRC2:TIDIG_COMP_CNT: 0
; COMPUTE_PGM_RSRC3_GFX90A:ACCUM_OFFSET: 10
; COMPUTE_PGM_RSRC3_GFX90A:TG_SPLIT: 0
	.section	.text._ZN4vllm25paged_attention_v1_kernelIthLi64ELi16ELi128ELNS_18Fp8KVCacheDataTypeE1ELb1EEEvPT_PKS2_PKT0_S8_ifPKiSA_iPKfiiiSC_SC_iiiii,"axG",@progbits,_ZN4vllm25paged_attention_v1_kernelIthLi64ELi16ELi128ELNS_18Fp8KVCacheDataTypeE1ELb1EEEvPT_PKS2_PKT0_S8_ifPKiSA_iPKfiiiSC_SC_iiiii,comdat
	.protected	_ZN4vllm25paged_attention_v1_kernelIthLi64ELi16ELi128ELNS_18Fp8KVCacheDataTypeE1ELb1EEEvPT_PKS2_PKT0_S8_ifPKiSA_iPKfiiiSC_SC_iiiii ; -- Begin function _ZN4vllm25paged_attention_v1_kernelIthLi64ELi16ELi128ELNS_18Fp8KVCacheDataTypeE1ELb1EEEvPT_PKS2_PKT0_S8_ifPKiSA_iPKfiiiSC_SC_iiiii
	.globl	_ZN4vllm25paged_attention_v1_kernelIthLi64ELi16ELi128ELNS_18Fp8KVCacheDataTypeE1ELb1EEEvPT_PKS2_PKT0_S8_ifPKiSA_iPKfiiiSC_SC_iiiii
	.p2align	8
	.type	_ZN4vllm25paged_attention_v1_kernelIthLi64ELi16ELi128ELNS_18Fp8KVCacheDataTypeE1ELb1EEEvPT_PKS2_PKT0_S8_ifPKiSA_iPKfiiiSC_SC_iiiii,@function
_ZN4vllm25paged_attention_v1_kernelIthLi64ELi16ELi128ELNS_18Fp8KVCacheDataTypeE1ELb1EEEvPT_PKS2_PKT0_S8_ifPKiSA_iPKfiiiSC_SC_iiiii: ; @_ZN4vllm25paged_attention_v1_kernelIthLi64ELi16ELi128ELNS_18Fp8KVCacheDataTypeE1ELb1EEEvPT_PKS2_PKT0_S8_ifPKiSA_iPKfiiiSC_SC_iiiii
; %bb.0:
	s_load_dword s5, s[0:1], 0x80
	s_load_dwordx2 s[6:7], s[0:1], 0x30
	s_load_dwordx2 s[36:37], s[0:1], 0x20
	s_mov_b32 s10, s3
	s_ashr_i32 s11, s3, 31
	s_lshl_b64 s[8:9], s[10:11], 2
	s_waitcnt lgkmcnt(0)
	s_add_u32 s6, s6, s8
	s_addc_u32 s7, s7, s9
	s_abs_i32 s3, s36
	v_cvt_f32_u32_e32 v1, s3
	s_sub_i32 s11, 0, s3
	s_abs_i32 s9, s5
	s_xor_b32 s8, s5, s36
	v_rcp_iflag_f32_e32 v1, v1
	s_ashr_i32 s8, s8, 31
	s_mov_b32 s48, 0
	v_mul_f32_e32 v1, 0x4f7ffffe, v1
	v_cvt_u32_f32_e32 v1, v1
	s_nop 0
	v_readfirstlane_b32 s12, v1
	s_mul_i32 s11, s11, s12
	s_mul_hi_u32 s11, s12, s11
	s_add_i32 s12, s12, s11
	s_mul_hi_u32 s11, s9, s12
	s_mul_i32 s12, s11, s3
	s_sub_i32 s9, s9, s12
	s_add_i32 s12, s11, 1
	s_sub_i32 s13, s9, s3
	s_cmp_ge_u32 s9, s3
	s_cselect_b32 s11, s12, s11
	s_cselect_b32 s9, s13, s9
	s_add_i32 s12, s11, 1
	s_cmp_ge_u32 s9, s3
	s_cselect_b32 s3, s12, s11
	s_xor_b32 s3, s3, s8
	s_sub_i32 s15, s3, s8
	s_abs_i32 s12, s15
	v_cvt_f32_u32_e32 v1, s12
	s_load_dwordx2 s[8:9], s[0:1], 0x40
	s_sub_i32 s3, 0, s12
	s_abs_i32 s13, s2
	v_rcp_iflag_f32_e32 v1, v1
	s_nop 0
	v_mul_f32_e32 v1, 0x4f7ffffe, v1
	v_cvt_u32_f32_e32 v1, v1
	s_nop 0
	v_readfirstlane_b32 s11, v1
	s_mul_i32 s3, s3, s11
	s_mul_hi_u32 s3, s11, s3
	s_add_i32 s11, s11, s3
	s_waitcnt lgkmcnt(0)
	s_cmp_eq_u64 s[8:9], 0
	s_mul_hi_u32 s14, s13, s11
	s_cbranch_scc1 .LBB235_2
; %bb.1:
	s_ashr_i32 s3, s2, 31
	s_lshl_b64 s[16:17], s[2:3], 2
	s_add_u32 s8, s8, s16
	s_addc_u32 s9, s9, s17
	s_load_dword s48, s[8:9], 0x0
.LBB235_2:
	s_load_dword s11, s[6:7], 0x0
	s_load_dwordx4 s[16:19], s[0:1], 0x48
	s_ashr_i32 s3, s2, 31
	s_ashr_i32 s9, s15, 31
	v_and_b32_e32 v4, 3, v0
	s_lshl_b32 s24, s2, 6
	v_cmp_gt_u32_e32 vcc, 32, v0
	s_and_saveexec_b64 s[6:7], vcc
	s_cbranch_execz .LBB235_4
; %bb.3:
	s_load_dwordx2 s[20:21], s[0:1], 0x8
	s_waitcnt lgkmcnt(0)
	s_mul_i32 s22, s16, s10
	s_ashr_i32 s23, s22, 31
	s_lshl_b64 s[22:23], s[22:23], 1
	v_lshlrev_b32_e32 v1, 2, v0
	s_add_u32 s8, s20, s22
	s_addc_u32 s15, s21, s23
	s_ashr_i32 s25, s24, 31
	s_lshl_b64 s[20:21], s[24:25], 1
	s_add_u32 s20, s8, s20
	s_addc_u32 s21, s15, s21
	global_load_dword v1, v1, s[20:21]
	v_and_b32_e32 v2, 0x3fc, v0
	v_lshl_add_u32 v2, v4, 5, v2
	s_waitcnt vmcnt(0)
	ds_write_b32 v2, v1
.LBB235_4:
	s_or_b64 exec, exec, s[6:7]
	s_mul_i32 s6, s14, s12
	s_sub_i32 s6, s13, s6
	s_xor_b32 s3, s3, s9
	s_add_i32 s7, s14, 1
	s_sub_i32 s9, s6, s12
	s_load_dwordx4 s[20:23], s[0:1], 0x68
	s_load_dword s8, s[0:1], 0x78
	s_cmp_ge_u32 s6, s12
	s_cselect_b32 s7, s7, s14
	s_cselect_b32 s6, s9, s6
	s_add_i32 s9, s7, 1
	s_cmp_ge_u32 s6, s12
	s_cselect_b32 s6, s9, s7
	s_waitcnt lgkmcnt(0)
	s_abs_i32 s25, s23
	v_cvt_f32_u32_e32 v1, s25
	s_xor_b32 s6, s6, s3
	s_sub_i32 s3, s6, s3
	s_sub_i32 s6, 0, s25
	v_rcp_iflag_f32_e32 v1, v1
	s_add_i32 s12, s11, -1
	s_abs_i32 s9, s12
	v_mul_f32_e32 v1, 0x4f7ffffe, v1
	v_cvt_u32_f32_e32 v1, v1
	s_barrier
	v_readfirstlane_b32 s33, v1
	s_mul_i32 s6, s6, s33
	s_mul_hi_u32 s6, s33, s6
	s_add_i32 s33, s33, s6
	s_cmp_lt_i32 s8, 0
	s_mul_hi_u32 s16, s9, s33
	s_cbranch_scc0 .LBB235_6
; %bb.5:
	s_mul_i32 s6, s20, s36
	s_add_i32 s6, s3, s6
	s_mul_i32 s6, s6, s8
	s_sub_i32 s36, 1, s6
	s_mov_b64 s[6:7], 0
	s_branch .LBB235_7
.LBB235_6:
	s_mov_b64 s[6:7], -1
                                        ; implicit-def: $sgpr36
.LBB235_7:
	s_load_dwordx2 s[28:29], s[0:1], 0x28
	s_ashr_i32 s19, s12, 31
	s_andn2_b64 vcc, exec, s[6:7]
	s_ashr_i32 s46, s23, 31
	s_cbranch_vccnz .LBB235_9
; %bb.8:
	s_mul_i32 s6, s5, s20
	s_add_i32 s2, s6, s2
	s_mul_i32 s2, s2, s8
	s_add_i32 s36, s2, 1
.LBB235_9:
	s_load_dword s2, s[0:1], 0x38
	s_load_dwordx2 s[26:27], s[0:1], 0x0
	s_load_dwordx2 s[34:35], s[0:1], 0x18
	s_load_dword s23, s[0:1], 0x88
	s_load_dwordx4 s[12:15], s[0:1], 0x58
	s_mul_i32 s6, s16, s25
	s_waitcnt lgkmcnt(0)
	s_mul_i32 s30, s2, s10
	s_sub_i32 s6, s9, s6
	s_ashr_i32 s31, s30, 31
	s_xor_b32 s2, s19, s46
	s_add_i32 s7, s16, 1
	s_sub_i32 s8, s6, s25
	s_cmp_ge_u32 s6, s25
	s_cselect_b32 s7, s7, s16
	s_cselect_b32 s6, s8, s6
	s_add_i32 s8, s7, 1
	s_cmp_ge_u32 s6, s25
	s_cselect_b32 s6, s8, s7
	s_xor_b32 s6, s6, s2
	s_sub_i32 s16, s6, s2
	s_add_i32 s2, s11, 15
	s_ashr_i32 s6, s2, 31
	s_lshr_b32 s6, s6, 28
	s_add_i32 s2, s2, s6
	s_ashr_i32 s47, s2, 4
	v_lshrrev_b32_e32 v22, 6, v0
	v_cmp_gt_i32_e64 s[6:7], s47, v22
	v_mov_b32_e32 v13, 0xff7fffff
	s_mul_i32 s20, s3, s18
	v_lshrrev_b32_e32 v1, 4, v0
	v_lshlrev_b32_e32 v23, 4, v22
	v_mbcnt_lo_u32_b32 v10, -1, 0
	s_and_saveexec_b64 s[18:19], s[6:7]
	s_cbranch_execz .LBB235_117
; %bb.10:
	s_load_dwordx2 s[0:1], s[0:1], 0x10
	s_sub_i32 s49, s16, s21
	s_ashr_i32 s2, s20, 31
	v_bfe_u32 v11, v0, 2, 4
	v_mov_b32_e32 v3, 0
	s_waitcnt lgkmcnt(0)
	s_add_u32 s0, s0, s20
	s_addc_u32 s1, s1, s2
	s_abs_i32 s50, s22
	v_cvt_f32_u32_e32 v2, s50
	v_cmp_eq_u32_e32 vcc, 0, v4
	v_lshlrev_b32_e32 v12, 5, v4
	s_mov_b32 s51, s17
	v_rcp_iflag_f32_e32 v5, v2
	v_lshlrev_b32_e32 v2, 4, v11
	v_lshl_add_u64 v[6:7], s[0:1], 0, v[2:3]
	s_sub_i32 s0, 0, s50
	v_mul_f32_e32 v5, 0x4f7ffffe, v5
	v_cvt_u32_f32_e32 v5, v5
	v_lshlrev_b32_e32 v2, 1, v4
	v_cmp_neq_f32_e64 s[2:3], s48, 0
	v_lshlrev_b32_e32 v15, 4, v22
	v_mul_lo_u32 v4, s0, v5
	s_lshl_b64 s[0:1], s[30:31], 2
	v_mul_hi_u32 v4, v5, v4
	s_add_u32 s0, s28, s0
	v_add_u32_e32 v14, v5, v4
	v_lshl_add_u64 v[4:5], v[6:7], 0, v[2:3]
	v_and_b32_e32 v2, 60, v1
	s_addc_u32 s1, s29, s1
	v_lshl_add_u64 v[6:7], s[0:1], 0, v[2:3]
	v_subrev_u32_e32 v2, s11, v11
	v_add_u32_e32 v16, 1, v2
	v_lshlrev_b32_e32 v2, 2, v11
	v_lshl_or_b32 v2, v22, 6, v2
	v_add_u32_e32 v17, 0x90, v2
	v_mov_b32_e32 v18, 0xff7fffff
	s_mov_b64 s[38:39], 0
	s_movk_i32 s52, 0x80
	s_movk_i32 s53, 0x7f
	s_mov_b32 s54, 0x8000
	v_mov_b32_e32 v19, 0x2000
	v_mbcnt_hi_u32_b32 v20, -1, v10
	v_mov_b32_e32 v13, 0xff7fffff
	v_mov_b32_e32 v21, v22
	s_branch .LBB235_13
.LBB235_11:                             ;   in Loop: Header=BB235_13 Depth=1
	s_or_b64 exec, exec, s[40:41]
.LBB235_12:                             ;   in Loop: Header=BB235_13 Depth=1
	s_or_b64 exec, exec, s[8:9]
	v_add_u32_e32 v21, 2, v21
	v_cmp_le_i32_e64 s[0:1], s47, v21
	v_lshl_add_u64 v[6:7], v[6:7], 0, 8
	v_add_u32_e32 v15, 32, v15
	s_or_b64 s[38:39], s[0:1], s[38:39]
	v_add_u32_e32 v17, 0x80, v17
	s_andn2_b64 exec, exec, s[38:39]
	s_cbranch_execz .LBB235_116
.LBB235_13:                             ; =>This Inner Loop Header: Depth=1
	v_mul_hi_u32 v2, v15, s33
	s_waitcnt lgkmcnt(0)
	v_mul_lo_u32 v8, v2, s25
	v_sub_u32_e32 v8, v15, v8
	v_add_u32_e32 v9, 1, v2
	v_cmp_le_u32_e64 s[0:1], s25, v8
	s_nop 1
	v_cndmask_b32_e64 v2, v2, v9, s[0:1]
	v_subrev_u32_e32 v9, s25, v8
	v_cndmask_b32_e64 v8, v8, v9, s[0:1]
	v_add_u32_e32 v9, 1, v2
	v_cmp_le_u32_e64 s[0:1], s25, v8
	s_nop 1
	v_cndmask_b32_e64 v2, v2, v9, s[0:1]
	v_xor_b32_e32 v2, s46, v2
	v_subrev_u32_e32 v2, s46, v2
	v_add_u32_e32 v8, s36, v2
	v_sub_u32_e32 v24, 0, v8
	v_ashrrev_i32_e32 v9, 31, v8
	v_max_i32_e32 v8, v8, v24
	v_mul_hi_u32 v24, v8, v14
	v_mul_lo_u32 v24, v24, s50
	v_sub_u32_e32 v8, v8, v24
	v_subrev_u32_e32 v24, s50, v8
	v_cmp_le_u32_e64 s[0:1], s50, v8
	v_cmp_ge_i32_e64 s[8:9], s49, v2
	s_nop 0
	v_cndmask_b32_e64 v8, v8, v24, s[0:1]
	v_subrev_u32_e32 v24, s50, v8
	v_cmp_le_u32_e64 s[0:1], s50, v8
	s_nop 1
	v_cndmask_b32_e64 v8, v8, v24, s[0:1]
	v_xor_b32_e32 v8, v8, v9
	v_sub_u32_e32 v8, v8, v9
	v_cmp_ne_u32_e64 s[0:1], 0, v8
	s_and_b64 s[0:1], s[0:1], s[8:9]
	s_and_saveexec_b64 s[8:9], s[0:1]
	s_xor_b64 s[0:1], exec, s[8:9]
	s_cbranch_execz .LBB235_17
; %bb.14:                               ;   in Loop: Header=BB235_13 Depth=1
	s_and_saveexec_b64 s[8:9], vcc
; %bb.15:                               ;   in Loop: Header=BB235_13 Depth=1
	ds_write_b32 v17, v18
; %bb.16:                               ;   in Loop: Header=BB235_13 Depth=1
	s_or_b64 exec, exec, s[8:9]
.LBB235_17:                             ;   in Loop: Header=BB235_13 Depth=1
	s_andn2_saveexec_b64 s[8:9], s[0:1]
	s_cbranch_execz .LBB235_12
; %bb.18:                               ;   in Loop: Header=BB235_13 Depth=1
	global_load_dword v2, v[6:7], off
	v_mov_b32_e32 v25, 0
	global_load_dword v24, v25, s[12:13]
	s_waitcnt vmcnt(1)
	v_mad_i64_i32 v[8:9], s[0:1], v2, s51, v[4:5]
	global_load_ushort v26, v[8:9], off
	s_waitcnt vmcnt(0)
	v_and_b32_e32 v2, 0xffff, v26
	v_cmp_ne_u16_sdwa s[0:1], v26, v3 src0_sel:BYTE_0 src1_sel:DWORD
	v_mov_b32_e32 v26, 0
	s_and_saveexec_b64 s[40:41], s[0:1]
	s_cbranch_execz .LBB235_24
; %bb.19:                               ;   in Loop: Header=BB235_13 Depth=1
	v_cmp_ne_u16_sdwa s[0:1], v2, s52 src0_sel:BYTE_0 src1_sel:DWORD
	v_mov_b32_e32 v26, 0x8000
	s_and_saveexec_b64 s[42:43], s[0:1]
	s_cbranch_execz .LBB235_23
; %bb.20:                               ;   in Loop: Header=BB235_13 Depth=1
	v_and_b32_e32 v27, 0x7f, v2
	v_cmp_ne_u32_e64 s[0:1], s53, v27
	v_mov_b32_e32 v26, 0x7c01
	s_and_saveexec_b64 s[44:45], s[0:1]
	s_cbranch_execz .LBB235_22
; %bb.21:                               ;   in Loop: Header=BB235_13 Depth=1
	v_and_b32_e32 v26, 7, v2
	v_ffbh_u32_e32 v28, v26
	v_min_u32_e32 v31, 32, v28
	v_subrev_u32_e32 v28, 28, v31
	v_lshlrev_b64 v[28:29], v28, v[2:3]
	v_lshrrev_b32_e32 v30, 3, v27
	v_sub_u32_e32 v29, 29, v31
	v_cmp_gt_u32_e64 s[0:1], 8, v27
	v_and_b32_e32 v28, 7, v28
	s_nop 0
	v_cndmask_b32_e64 v27, v30, v29, s[0:1]
	v_lshl_add_u32 v27, v27, 10, v19
	v_lshlrev_b32_e32 v29, 8, v2
	v_and_b32_e32 v27, 0xfc00, v27
	v_cndmask_b32_e64 v26, v26, v28, s[0:1]
	v_and_or_b32 v27, v29, s54, v27
	v_lshl_or_b32 v26, v26, 7, v27
.LBB235_22:                             ;   in Loop: Header=BB235_13 Depth=1
	s_or_b64 exec, exec, s[44:45]
.LBB235_23:                             ;   in Loop: Header=BB235_13 Depth=1
	s_or_b64 exec, exec, s[42:43]
.LBB235_24:                             ;   in Loop: Header=BB235_13 Depth=1
	s_or_b64 exec, exec, s[40:41]
	v_lshrrev_b16_e32 v2, 8, v2
	v_cmp_ne_u16_e64 s[0:1], 0, v2
	s_and_saveexec_b64 s[40:41], s[0:1]
	s_cbranch_execz .LBB235_30
; %bb.25:                               ;   in Loop: Header=BB235_13 Depth=1
	v_cmp_ne_u16_e64 s[0:1], s52, v2
	v_bfrev_b32_e32 v25, 1
	s_and_saveexec_b64 s[42:43], s[0:1]
	s_cbranch_execz .LBB235_29
; %bb.26:                               ;   in Loop: Header=BB235_13 Depth=1
	v_and_b32_e32 v27, 0x7f, v2
	v_cmp_ne_u32_e64 s[0:1], s53, v27
	v_mov_b32_e32 v25, 0x7c010000
	s_and_saveexec_b64 s[44:45], s[0:1]
	s_cbranch_execz .LBB235_28
; %bb.27:                               ;   in Loop: Header=BB235_13 Depth=1
	v_and_b32_e32 v25, 7, v2
	v_ffbh_u32_e32 v28, v25
	v_min_u32_e32 v31, 32, v28
	v_subrev_u32_e32 v28, 28, v31
	v_lshlrev_b64 v[28:29], v28, v[2:3]
	v_lshrrev_b32_e32 v30, 3, v27
	v_sub_u32_e32 v29, 29, v31
	v_cmp_gt_u32_e64 s[0:1], 8, v27
	v_lshlrev_b32_e32 v2, 8, v2
	v_and_b32_e32 v28, 7, v28
	v_cndmask_b32_e64 v27, v30, v29, s[0:1]
	v_lshl_add_u32 v27, v27, 10, v19
	v_and_or_b32 v2, v2, s54, v27
	v_cndmask_b32_e64 v25, v25, v28, s[0:1]
	v_lshlrev_b32_e32 v2, 16, v2
	v_lshl_or_b32 v25, v25, 23, v2
.LBB235_28:                             ;   in Loop: Header=BB235_13 Depth=1
	s_or_b64 exec, exec, s[44:45]
.LBB235_29:                             ;   in Loop: Header=BB235_13 Depth=1
	s_or_b64 exec, exec, s[42:43]
.LBB235_30:                             ;   in Loop: Header=BB235_13 Depth=1
	s_or_b64 exec, exec, s[40:41]
	global_load_ushort v28, v[8:9], off offset:8
	v_mov_b32_e32 v27, 0
	s_waitcnt vmcnt(0)
	v_and_b32_e32 v2, 0xffff, v28
	v_cmp_ne_u16_sdwa s[0:1], v28, v3 src0_sel:BYTE_0 src1_sel:DWORD
	v_mov_b32_e32 v28, 0
	s_and_saveexec_b64 s[40:41], s[0:1]
	s_cbranch_execz .LBB235_36
; %bb.31:                               ;   in Loop: Header=BB235_13 Depth=1
	v_cmp_ne_u16_sdwa s[0:1], v2, s52 src0_sel:BYTE_0 src1_sel:DWORD
	v_mov_b32_e32 v28, 0x8000
	s_and_saveexec_b64 s[42:43], s[0:1]
	s_cbranch_execz .LBB235_35
; %bb.32:                               ;   in Loop: Header=BB235_13 Depth=1
	v_and_b32_e32 v29, 0x7f, v2
	v_cmp_ne_u32_e64 s[0:1], s53, v29
	v_mov_b32_e32 v28, 0x7c01
	s_and_saveexec_b64 s[44:45], s[0:1]
	s_cbranch_execz .LBB235_34
; %bb.33:                               ;   in Loop: Header=BB235_13 Depth=1
	v_and_b32_e32 v28, 7, v2
	v_ffbh_u32_e32 v30, v28
	v_min_u32_e32 v33, 32, v30
	v_subrev_u32_e32 v30, 28, v33
	v_lshlrev_b64 v[30:31], v30, v[2:3]
	v_lshrrev_b32_e32 v32, 3, v29
	v_sub_u32_e32 v31, 29, v33
	v_cmp_gt_u32_e64 s[0:1], 8, v29
	v_and_b32_e32 v30, 7, v30
	s_nop 0
	v_cndmask_b32_e64 v29, v32, v31, s[0:1]
	v_lshl_add_u32 v29, v29, 10, v19
	v_lshlrev_b32_e32 v31, 8, v2
	v_and_b32_e32 v29, 0xfc00, v29
	v_cndmask_b32_e64 v28, v28, v30, s[0:1]
	v_and_or_b32 v29, v31, s54, v29
	v_lshl_or_b32 v28, v28, 7, v29
.LBB235_34:                             ;   in Loop: Header=BB235_13 Depth=1
	s_or_b64 exec, exec, s[44:45]
.LBB235_35:                             ;   in Loop: Header=BB235_13 Depth=1
	s_or_b64 exec, exec, s[42:43]
.LBB235_36:                             ;   in Loop: Header=BB235_13 Depth=1
	s_or_b64 exec, exec, s[40:41]
	v_lshrrev_b16_e32 v2, 8, v2
	v_cmp_ne_u16_e64 s[0:1], 0, v2
	s_and_saveexec_b64 s[40:41], s[0:1]
	s_cbranch_execz .LBB235_42
; %bb.37:                               ;   in Loop: Header=BB235_13 Depth=1
	v_cmp_ne_u16_e64 s[0:1], s52, v2
	v_bfrev_b32_e32 v27, 1
	s_and_saveexec_b64 s[42:43], s[0:1]
	s_cbranch_execz .LBB235_41
; %bb.38:                               ;   in Loop: Header=BB235_13 Depth=1
	v_and_b32_e32 v29, 0x7f, v2
	v_cmp_ne_u32_e64 s[0:1], s53, v29
	v_mov_b32_e32 v27, 0x7c010000
	s_and_saveexec_b64 s[44:45], s[0:1]
	s_cbranch_execz .LBB235_40
; %bb.39:                               ;   in Loop: Header=BB235_13 Depth=1
	v_and_b32_e32 v27, 7, v2
	v_ffbh_u32_e32 v30, v27
	v_min_u32_e32 v33, 32, v30
	v_subrev_u32_e32 v30, 28, v33
	v_lshlrev_b64 v[30:31], v30, v[2:3]
	v_lshrrev_b32_e32 v32, 3, v29
	v_sub_u32_e32 v31, 29, v33
	v_cmp_gt_u32_e64 s[0:1], 8, v29
	v_lshlrev_b32_e32 v2, 8, v2
	v_and_b32_e32 v30, 7, v30
	v_cndmask_b32_e64 v29, v32, v31, s[0:1]
	v_lshl_add_u32 v29, v29, 10, v19
	v_and_or_b32 v2, v2, s54, v29
	v_cndmask_b32_e64 v27, v27, v30, s[0:1]
	v_lshlrev_b32_e32 v2, 16, v2
	v_lshl_or_b32 v27, v27, 23, v2
.LBB235_40:                             ;   in Loop: Header=BB235_13 Depth=1
	s_or_b64 exec, exec, s[44:45]
.LBB235_41:                             ;   in Loop: Header=BB235_13 Depth=1
	s_or_b64 exec, exec, s[42:43]
.LBB235_42:                             ;   in Loop: Header=BB235_13 Depth=1
	s_or_b64 exec, exec, s[40:41]
	global_load_ushort v30, v[8:9], off offset:256
	v_mov_b32_e32 v29, 0
	s_waitcnt vmcnt(0)
	v_and_b32_e32 v2, 0xffff, v30
	v_cmp_ne_u16_sdwa s[0:1], v30, v3 src0_sel:BYTE_0 src1_sel:DWORD
	v_mov_b32_e32 v30, 0
	s_and_saveexec_b64 s[40:41], s[0:1]
	s_cbranch_execz .LBB235_48
; %bb.43:                               ;   in Loop: Header=BB235_13 Depth=1
	v_cmp_ne_u16_sdwa s[0:1], v2, s52 src0_sel:BYTE_0 src1_sel:DWORD
	v_mov_b32_e32 v30, 0x8000
	s_and_saveexec_b64 s[42:43], s[0:1]
	s_cbranch_execz .LBB235_47
; %bb.44:                               ;   in Loop: Header=BB235_13 Depth=1
	v_and_b32_e32 v31, 0x7f, v2
	v_cmp_ne_u32_e64 s[0:1], s53, v31
	v_mov_b32_e32 v30, 0x7c01
	s_and_saveexec_b64 s[44:45], s[0:1]
	s_cbranch_execz .LBB235_46
; %bb.45:                               ;   in Loop: Header=BB235_13 Depth=1
	v_and_b32_e32 v30, 7, v2
	v_ffbh_u32_e32 v32, v30
	v_min_u32_e32 v35, 32, v32
	v_subrev_u32_e32 v32, 28, v35
	v_lshlrev_b64 v[32:33], v32, v[2:3]
	v_lshrrev_b32_e32 v34, 3, v31
	v_sub_u32_e32 v33, 29, v35
	v_cmp_gt_u32_e64 s[0:1], 8, v31
	v_and_b32_e32 v32, 7, v32
	s_nop 0
	v_cndmask_b32_e64 v31, v34, v33, s[0:1]
	v_lshl_add_u32 v31, v31, 10, v19
	v_lshlrev_b32_e32 v33, 8, v2
	v_and_b32_e32 v31, 0xfc00, v31
	v_cndmask_b32_e64 v30, v30, v32, s[0:1]
	v_and_or_b32 v31, v33, s54, v31
	v_lshl_or_b32 v30, v30, 7, v31
.LBB235_46:                             ;   in Loop: Header=BB235_13 Depth=1
	s_or_b64 exec, exec, s[44:45]
.LBB235_47:                             ;   in Loop: Header=BB235_13 Depth=1
	s_or_b64 exec, exec, s[42:43]
.LBB235_48:                             ;   in Loop: Header=BB235_13 Depth=1
	s_or_b64 exec, exec, s[40:41]
	v_lshrrev_b16_e32 v2, 8, v2
	v_cmp_ne_u16_e64 s[0:1], 0, v2
	s_and_saveexec_b64 s[40:41], s[0:1]
	s_cbranch_execz .LBB235_54
; %bb.49:                               ;   in Loop: Header=BB235_13 Depth=1
	v_cmp_ne_u16_e64 s[0:1], s52, v2
	v_bfrev_b32_e32 v29, 1
	s_and_saveexec_b64 s[42:43], s[0:1]
	s_cbranch_execz .LBB235_53
; %bb.50:                               ;   in Loop: Header=BB235_13 Depth=1
	v_and_b32_e32 v31, 0x7f, v2
	v_cmp_ne_u32_e64 s[0:1], s53, v31
	v_mov_b32_e32 v29, 0x7c010000
	s_and_saveexec_b64 s[44:45], s[0:1]
	s_cbranch_execz .LBB235_52
; %bb.51:                               ;   in Loop: Header=BB235_13 Depth=1
	v_and_b32_e32 v29, 7, v2
	v_ffbh_u32_e32 v32, v29
	v_min_u32_e32 v35, 32, v32
	v_subrev_u32_e32 v32, 28, v35
	v_lshlrev_b64 v[32:33], v32, v[2:3]
	v_lshrrev_b32_e32 v34, 3, v31
	v_sub_u32_e32 v33, 29, v35
	v_cmp_gt_u32_e64 s[0:1], 8, v31
	v_lshlrev_b32_e32 v2, 8, v2
	v_and_b32_e32 v32, 7, v32
	v_cndmask_b32_e64 v31, v34, v33, s[0:1]
	v_lshl_add_u32 v31, v31, 10, v19
	v_and_or_b32 v2, v2, s54, v31
	v_cndmask_b32_e64 v29, v29, v32, s[0:1]
	v_lshlrev_b32_e32 v2, 16, v2
	v_lshl_or_b32 v29, v29, 23, v2
.LBB235_52:                             ;   in Loop: Header=BB235_13 Depth=1
	s_or_b64 exec, exec, s[44:45]
.LBB235_53:                             ;   in Loop: Header=BB235_13 Depth=1
	s_or_b64 exec, exec, s[42:43]
.LBB235_54:                             ;   in Loop: Header=BB235_13 Depth=1
	s_or_b64 exec, exec, s[40:41]
	global_load_ushort v32, v[8:9], off offset:264
	v_mov_b32_e32 v31, 0
	s_waitcnt vmcnt(0)
	v_and_b32_e32 v2, 0xffff, v32
	v_cmp_ne_u16_sdwa s[0:1], v32, v3 src0_sel:BYTE_0 src1_sel:DWORD
	v_mov_b32_e32 v32, 0
	s_and_saveexec_b64 s[40:41], s[0:1]
	s_cbranch_execz .LBB235_60
; %bb.55:                               ;   in Loop: Header=BB235_13 Depth=1
	v_cmp_ne_u16_sdwa s[0:1], v2, s52 src0_sel:BYTE_0 src1_sel:DWORD
	v_mov_b32_e32 v32, 0x8000
	s_and_saveexec_b64 s[42:43], s[0:1]
	s_cbranch_execz .LBB235_59
; %bb.56:                               ;   in Loop: Header=BB235_13 Depth=1
	v_and_b32_e32 v33, 0x7f, v2
	v_cmp_ne_u32_e64 s[0:1], s53, v33
	v_mov_b32_e32 v32, 0x7c01
	s_and_saveexec_b64 s[44:45], s[0:1]
	s_cbranch_execz .LBB235_58
; %bb.57:                               ;   in Loop: Header=BB235_13 Depth=1
	v_and_b32_e32 v32, 7, v2
	v_ffbh_u32_e32 v34, v32
	v_min_u32_e32 v37, 32, v34
	v_subrev_u32_e32 v34, 28, v37
	v_lshlrev_b64 v[34:35], v34, v[2:3]
	v_lshrrev_b32_e32 v36, 3, v33
	v_sub_u32_e32 v35, 29, v37
	v_cmp_gt_u32_e64 s[0:1], 8, v33
	v_and_b32_e32 v34, 7, v34
	s_nop 0
	v_cndmask_b32_e64 v33, v36, v35, s[0:1]
	v_lshl_add_u32 v33, v33, 10, v19
	v_lshlrev_b32_e32 v35, 8, v2
	v_and_b32_e32 v33, 0xfc00, v33
	v_cndmask_b32_e64 v32, v32, v34, s[0:1]
	v_and_or_b32 v33, v35, s54, v33
	v_lshl_or_b32 v32, v32, 7, v33
.LBB235_58:                             ;   in Loop: Header=BB235_13 Depth=1
	s_or_b64 exec, exec, s[44:45]
.LBB235_59:                             ;   in Loop: Header=BB235_13 Depth=1
	s_or_b64 exec, exec, s[42:43]
.LBB235_60:                             ;   in Loop: Header=BB235_13 Depth=1
	s_or_b64 exec, exec, s[40:41]
	v_lshrrev_b16_e32 v2, 8, v2
	v_cmp_ne_u16_e64 s[0:1], 0, v2
	s_and_saveexec_b64 s[40:41], s[0:1]
	s_cbranch_execz .LBB235_66
; %bb.61:                               ;   in Loop: Header=BB235_13 Depth=1
	v_cmp_ne_u16_e64 s[0:1], s52, v2
	v_bfrev_b32_e32 v31, 1
	s_and_saveexec_b64 s[42:43], s[0:1]
	s_cbranch_execz .LBB235_65
; %bb.62:                               ;   in Loop: Header=BB235_13 Depth=1
	v_and_b32_e32 v33, 0x7f, v2
	v_cmp_ne_u32_e64 s[0:1], s53, v33
	v_mov_b32_e32 v31, 0x7c010000
	s_and_saveexec_b64 s[44:45], s[0:1]
	s_cbranch_execz .LBB235_64
; %bb.63:                               ;   in Loop: Header=BB235_13 Depth=1
	v_and_b32_e32 v31, 7, v2
	v_ffbh_u32_e32 v34, v31
	v_min_u32_e32 v37, 32, v34
	v_subrev_u32_e32 v34, 28, v37
	v_lshlrev_b64 v[34:35], v34, v[2:3]
	v_lshrrev_b32_e32 v36, 3, v33
	v_sub_u32_e32 v35, 29, v37
	v_cmp_gt_u32_e64 s[0:1], 8, v33
	v_lshlrev_b32_e32 v2, 8, v2
	v_and_b32_e32 v34, 7, v34
	v_cndmask_b32_e64 v33, v36, v35, s[0:1]
	v_lshl_add_u32 v33, v33, 10, v19
	v_and_or_b32 v2, v2, s54, v33
	v_cndmask_b32_e64 v31, v31, v34, s[0:1]
	v_lshlrev_b32_e32 v2, 16, v2
	v_lshl_or_b32 v31, v31, 23, v2
.LBB235_64:                             ;   in Loop: Header=BB235_13 Depth=1
	s_or_b64 exec, exec, s[44:45]
.LBB235_65:                             ;   in Loop: Header=BB235_13 Depth=1
	s_or_b64 exec, exec, s[42:43]
.LBB235_66:                             ;   in Loop: Header=BB235_13 Depth=1
	s_or_b64 exec, exec, s[40:41]
	global_load_ushort v34, v[8:9], off offset:512
	v_mov_b32_e32 v33, 0
	s_waitcnt vmcnt(0)
	v_and_b32_e32 v2, 0xffff, v34
	v_cmp_ne_u16_sdwa s[0:1], v34, v3 src0_sel:BYTE_0 src1_sel:DWORD
	v_mov_b32_e32 v34, 0
	s_and_saveexec_b64 s[40:41], s[0:1]
	s_cbranch_execz .LBB235_72
; %bb.67:                               ;   in Loop: Header=BB235_13 Depth=1
	v_cmp_ne_u16_sdwa s[0:1], v2, s52 src0_sel:BYTE_0 src1_sel:DWORD
	v_mov_b32_e32 v34, 0x8000
	s_and_saveexec_b64 s[42:43], s[0:1]
	s_cbranch_execz .LBB235_71
; %bb.68:                               ;   in Loop: Header=BB235_13 Depth=1
	v_and_b32_e32 v35, 0x7f, v2
	v_cmp_ne_u32_e64 s[0:1], s53, v35
	v_mov_b32_e32 v34, 0x7c01
	s_and_saveexec_b64 s[44:45], s[0:1]
	s_cbranch_execz .LBB235_70
; %bb.69:                               ;   in Loop: Header=BB235_13 Depth=1
	v_and_b32_e32 v34, 7, v2
	v_ffbh_u32_e32 v36, v34
	v_min_u32_e32 v39, 32, v36
	v_subrev_u32_e32 v36, 28, v39
	v_lshlrev_b64 v[36:37], v36, v[2:3]
	v_lshrrev_b32_e32 v38, 3, v35
	v_sub_u32_e32 v37, 29, v39
	v_cmp_gt_u32_e64 s[0:1], 8, v35
	v_and_b32_e32 v36, 7, v36
	s_nop 0
	v_cndmask_b32_e64 v35, v38, v37, s[0:1]
	v_lshl_add_u32 v35, v35, 10, v19
	v_lshlrev_b32_e32 v37, 8, v2
	v_and_b32_e32 v35, 0xfc00, v35
	v_cndmask_b32_e64 v34, v34, v36, s[0:1]
	v_and_or_b32 v35, v37, s54, v35
	v_lshl_or_b32 v34, v34, 7, v35
.LBB235_70:                             ;   in Loop: Header=BB235_13 Depth=1
	s_or_b64 exec, exec, s[44:45]
.LBB235_71:                             ;   in Loop: Header=BB235_13 Depth=1
	s_or_b64 exec, exec, s[42:43]
.LBB235_72:                             ;   in Loop: Header=BB235_13 Depth=1
	s_or_b64 exec, exec, s[40:41]
	v_lshrrev_b16_e32 v2, 8, v2
	v_cmp_ne_u16_e64 s[0:1], 0, v2
	s_and_saveexec_b64 s[40:41], s[0:1]
	s_cbranch_execz .LBB235_78
; %bb.73:                               ;   in Loop: Header=BB235_13 Depth=1
	v_cmp_ne_u16_e64 s[0:1], s52, v2
	v_bfrev_b32_e32 v33, 1
	s_and_saveexec_b64 s[42:43], s[0:1]
	s_cbranch_execz .LBB235_77
; %bb.74:                               ;   in Loop: Header=BB235_13 Depth=1
	v_and_b32_e32 v35, 0x7f, v2
	v_cmp_ne_u32_e64 s[0:1], s53, v35
	v_mov_b32_e32 v33, 0x7c010000
	s_and_saveexec_b64 s[44:45], s[0:1]
	s_cbranch_execz .LBB235_76
; %bb.75:                               ;   in Loop: Header=BB235_13 Depth=1
	v_and_b32_e32 v33, 7, v2
	v_ffbh_u32_e32 v36, v33
	v_min_u32_e32 v39, 32, v36
	v_subrev_u32_e32 v36, 28, v39
	v_lshlrev_b64 v[36:37], v36, v[2:3]
	v_lshrrev_b32_e32 v38, 3, v35
	v_sub_u32_e32 v37, 29, v39
	v_cmp_gt_u32_e64 s[0:1], 8, v35
	v_lshlrev_b32_e32 v2, 8, v2
	v_and_b32_e32 v36, 7, v36
	v_cndmask_b32_e64 v35, v38, v37, s[0:1]
	v_lshl_add_u32 v35, v35, 10, v19
	v_and_or_b32 v2, v2, s54, v35
	v_cndmask_b32_e64 v33, v33, v36, s[0:1]
	v_lshlrev_b32_e32 v2, 16, v2
	v_lshl_or_b32 v33, v33, 23, v2
.LBB235_76:                             ;   in Loop: Header=BB235_13 Depth=1
	s_or_b64 exec, exec, s[44:45]
.LBB235_77:                             ;   in Loop: Header=BB235_13 Depth=1
	s_or_b64 exec, exec, s[42:43]
.LBB235_78:                             ;   in Loop: Header=BB235_13 Depth=1
	s_or_b64 exec, exec, s[40:41]
	global_load_ushort v36, v[8:9], off offset:520
	v_mov_b32_e32 v35, 0
	s_waitcnt vmcnt(0)
	v_and_b32_e32 v2, 0xffff, v36
	v_cmp_ne_u16_sdwa s[0:1], v36, v3 src0_sel:BYTE_0 src1_sel:DWORD
	v_mov_b32_e32 v36, 0
	s_and_saveexec_b64 s[40:41], s[0:1]
	s_cbranch_execz .LBB235_84
; %bb.79:                               ;   in Loop: Header=BB235_13 Depth=1
	v_cmp_ne_u16_sdwa s[0:1], v2, s52 src0_sel:BYTE_0 src1_sel:DWORD
	v_mov_b32_e32 v36, 0x8000
	s_and_saveexec_b64 s[42:43], s[0:1]
	s_cbranch_execz .LBB235_83
; %bb.80:                               ;   in Loop: Header=BB235_13 Depth=1
	v_and_b32_e32 v37, 0x7f, v2
	v_cmp_ne_u32_e64 s[0:1], s53, v37
	v_mov_b32_e32 v36, 0x7c01
	s_and_saveexec_b64 s[44:45], s[0:1]
	s_cbranch_execz .LBB235_82
; %bb.81:                               ;   in Loop: Header=BB235_13 Depth=1
	v_and_b32_e32 v36, 7, v2
	v_ffbh_u32_e32 v38, v36
	v_min_u32_e32 v41, 32, v38
	v_subrev_u32_e32 v38, 28, v41
	v_lshlrev_b64 v[38:39], v38, v[2:3]
	v_lshrrev_b32_e32 v40, 3, v37
	v_sub_u32_e32 v39, 29, v41
	v_cmp_gt_u32_e64 s[0:1], 8, v37
	v_and_b32_e32 v38, 7, v38
	s_nop 0
	v_cndmask_b32_e64 v37, v40, v39, s[0:1]
	v_lshl_add_u32 v37, v37, 10, v19
	v_lshlrev_b32_e32 v39, 8, v2
	v_and_b32_e32 v37, 0xfc00, v37
	v_cndmask_b32_e64 v36, v36, v38, s[0:1]
	v_and_or_b32 v37, v39, s54, v37
	v_lshl_or_b32 v36, v36, 7, v37
.LBB235_82:                             ;   in Loop: Header=BB235_13 Depth=1
	s_or_b64 exec, exec, s[44:45]
.LBB235_83:                             ;   in Loop: Header=BB235_13 Depth=1
	s_or_b64 exec, exec, s[42:43]
.LBB235_84:                             ;   in Loop: Header=BB235_13 Depth=1
	s_or_b64 exec, exec, s[40:41]
	v_lshrrev_b16_e32 v2, 8, v2
	v_cmp_ne_u16_e64 s[0:1], 0, v2
	s_and_saveexec_b64 s[40:41], s[0:1]
	s_cbranch_execz .LBB235_90
; %bb.85:                               ;   in Loop: Header=BB235_13 Depth=1
	v_cmp_ne_u16_e64 s[0:1], s52, v2
	v_bfrev_b32_e32 v35, 1
	s_and_saveexec_b64 s[42:43], s[0:1]
	s_cbranch_execz .LBB235_89
; %bb.86:                               ;   in Loop: Header=BB235_13 Depth=1
	v_and_b32_e32 v37, 0x7f, v2
	v_cmp_ne_u32_e64 s[0:1], s53, v37
	v_mov_b32_e32 v35, 0x7c010000
	s_and_saveexec_b64 s[44:45], s[0:1]
	s_cbranch_execz .LBB235_88
; %bb.87:                               ;   in Loop: Header=BB235_13 Depth=1
	v_and_b32_e32 v35, 7, v2
	v_ffbh_u32_e32 v38, v35
	v_min_u32_e32 v41, 32, v38
	v_subrev_u32_e32 v38, 28, v41
	v_lshlrev_b64 v[38:39], v38, v[2:3]
	v_lshrrev_b32_e32 v40, 3, v37
	v_sub_u32_e32 v39, 29, v41
	v_cmp_gt_u32_e64 s[0:1], 8, v37
	v_lshlrev_b32_e32 v2, 8, v2
	v_and_b32_e32 v38, 7, v38
	v_cndmask_b32_e64 v37, v40, v39, s[0:1]
	v_lshl_add_u32 v37, v37, 10, v19
	v_and_or_b32 v2, v2, s54, v37
	v_cndmask_b32_e64 v35, v35, v38, s[0:1]
	v_lshlrev_b32_e32 v2, 16, v2
	v_lshl_or_b32 v35, v35, 23, v2
.LBB235_88:                             ;   in Loop: Header=BB235_13 Depth=1
	s_or_b64 exec, exec, s[44:45]
.LBB235_89:                             ;   in Loop: Header=BB235_13 Depth=1
	s_or_b64 exec, exec, s[42:43]
.LBB235_90:                             ;   in Loop: Header=BB235_13 Depth=1
	s_or_b64 exec, exec, s[40:41]
	global_load_ushort v38, v[8:9], off offset:768
	v_mov_b32_e32 v37, 0
	s_waitcnt vmcnt(0)
	v_and_b32_e32 v2, 0xffff, v38
	v_cmp_ne_u16_sdwa s[0:1], v38, v3 src0_sel:BYTE_0 src1_sel:DWORD
	v_mov_b32_e32 v38, 0
	s_and_saveexec_b64 s[40:41], s[0:1]
	s_cbranch_execz .LBB235_96
; %bb.91:                               ;   in Loop: Header=BB235_13 Depth=1
	v_cmp_ne_u16_sdwa s[0:1], v2, s52 src0_sel:BYTE_0 src1_sel:DWORD
	v_mov_b32_e32 v38, 0x8000
	s_and_saveexec_b64 s[42:43], s[0:1]
	s_cbranch_execz .LBB235_95
; %bb.92:                               ;   in Loop: Header=BB235_13 Depth=1
	v_and_b32_e32 v39, 0x7f, v2
	v_cmp_ne_u32_e64 s[0:1], s53, v39
	v_mov_b32_e32 v38, 0x7c01
	s_and_saveexec_b64 s[44:45], s[0:1]
	s_cbranch_execz .LBB235_94
; %bb.93:                               ;   in Loop: Header=BB235_13 Depth=1
	v_and_b32_e32 v38, 7, v2
	v_ffbh_u32_e32 v40, v38
	v_min_u32_e32 v43, 32, v40
	v_subrev_u32_e32 v40, 28, v43
	v_lshlrev_b64 v[40:41], v40, v[2:3]
	v_lshrrev_b32_e32 v42, 3, v39
	v_sub_u32_e32 v41, 29, v43
	v_cmp_gt_u32_e64 s[0:1], 8, v39
	v_and_b32_e32 v40, 7, v40
	s_nop 0
	v_cndmask_b32_e64 v39, v42, v41, s[0:1]
	v_lshl_add_u32 v39, v39, 10, v19
	v_lshlrev_b32_e32 v41, 8, v2
	v_and_b32_e32 v39, 0xfc00, v39
	v_cndmask_b32_e64 v38, v38, v40, s[0:1]
	v_and_or_b32 v39, v41, s54, v39
	v_lshl_or_b32 v38, v38, 7, v39
.LBB235_94:                             ;   in Loop: Header=BB235_13 Depth=1
	s_or_b64 exec, exec, s[44:45]
.LBB235_95:                             ;   in Loop: Header=BB235_13 Depth=1
	s_or_b64 exec, exec, s[42:43]
.LBB235_96:                             ;   in Loop: Header=BB235_13 Depth=1
	s_or_b64 exec, exec, s[40:41]
	v_lshrrev_b16_e32 v2, 8, v2
	v_cmp_ne_u16_e64 s[0:1], 0, v2
	s_and_saveexec_b64 s[40:41], s[0:1]
	s_cbranch_execz .LBB235_102
; %bb.97:                               ;   in Loop: Header=BB235_13 Depth=1
	v_cmp_ne_u16_e64 s[0:1], s52, v2
	v_bfrev_b32_e32 v37, 1
	s_and_saveexec_b64 s[42:43], s[0:1]
	s_cbranch_execz .LBB235_101
; %bb.98:                               ;   in Loop: Header=BB235_13 Depth=1
	v_and_b32_e32 v39, 0x7f, v2
	v_cmp_ne_u32_e64 s[0:1], s53, v39
	v_mov_b32_e32 v37, 0x7c010000
	s_and_saveexec_b64 s[44:45], s[0:1]
	s_cbranch_execz .LBB235_100
; %bb.99:                               ;   in Loop: Header=BB235_13 Depth=1
	v_and_b32_e32 v37, 7, v2
	v_ffbh_u32_e32 v40, v37
	v_min_u32_e32 v43, 32, v40
	v_subrev_u32_e32 v40, 28, v43
	v_lshlrev_b64 v[40:41], v40, v[2:3]
	v_lshrrev_b32_e32 v42, 3, v39
	v_sub_u32_e32 v41, 29, v43
	v_cmp_gt_u32_e64 s[0:1], 8, v39
	v_lshlrev_b32_e32 v2, 8, v2
	v_and_b32_e32 v40, 7, v40
	v_cndmask_b32_e64 v39, v42, v41, s[0:1]
	v_lshl_add_u32 v39, v39, 10, v19
	v_and_or_b32 v2, v2, s54, v39
	v_cndmask_b32_e64 v37, v37, v40, s[0:1]
	v_lshlrev_b32_e32 v2, 16, v2
	v_lshl_or_b32 v37, v37, 23, v2
.LBB235_100:                            ;   in Loop: Header=BB235_13 Depth=1
	s_or_b64 exec, exec, s[44:45]
.LBB235_101:                            ;   in Loop: Header=BB235_13 Depth=1
	s_or_b64 exec, exec, s[42:43]
.LBB235_102:                            ;   in Loop: Header=BB235_13 Depth=1
	s_or_b64 exec, exec, s[40:41]
	global_load_ushort v9, v[8:9], off offset:776
	v_mov_b32_e32 v8, 0
	s_waitcnt vmcnt(0)
	v_and_b32_e32 v2, 0xffff, v9
	v_cmp_ne_u16_sdwa s[0:1], v9, v3 src0_sel:BYTE_0 src1_sel:DWORD
	v_mov_b32_e32 v9, 0
	s_and_saveexec_b64 s[40:41], s[0:1]
	s_cbranch_execz .LBB235_108
; %bb.103:                              ;   in Loop: Header=BB235_13 Depth=1
	v_cmp_ne_u16_sdwa s[0:1], v2, s52 src0_sel:BYTE_0 src1_sel:DWORD
	v_mov_b32_e32 v9, 0x8000
	s_and_saveexec_b64 s[42:43], s[0:1]
	s_cbranch_execz .LBB235_107
; %bb.104:                              ;   in Loop: Header=BB235_13 Depth=1
	v_and_b32_e32 v39, 0x7f, v2
	v_cmp_ne_u32_e64 s[0:1], s53, v39
	v_mov_b32_e32 v9, 0x7c01
	s_and_saveexec_b64 s[44:45], s[0:1]
	s_cbranch_execz .LBB235_106
; %bb.105:                              ;   in Loop: Header=BB235_13 Depth=1
	v_and_b32_e32 v9, 7, v2
	v_ffbh_u32_e32 v40, v9
	v_min_u32_e32 v43, 32, v40
	v_subrev_u32_e32 v40, 28, v43
	v_lshlrev_b64 v[40:41], v40, v[2:3]
	v_lshrrev_b32_e32 v42, 3, v39
	v_sub_u32_e32 v41, 29, v43
	v_cmp_gt_u32_e64 s[0:1], 8, v39
	v_and_b32_e32 v40, 7, v40
	s_nop 0
	v_cndmask_b32_e64 v39, v42, v41, s[0:1]
	v_lshl_add_u32 v39, v39, 10, v19
	v_lshlrev_b32_e32 v41, 8, v2
	v_and_b32_e32 v39, 0xfc00, v39
	v_cndmask_b32_e64 v9, v9, v40, s[0:1]
	v_and_or_b32 v39, v41, s54, v39
	v_lshl_or_b32 v9, v9, 7, v39
.LBB235_106:                            ;   in Loop: Header=BB235_13 Depth=1
	s_or_b64 exec, exec, s[44:45]
.LBB235_107:                            ;   in Loop: Header=BB235_13 Depth=1
	s_or_b64 exec, exec, s[42:43]
.LBB235_108:                            ;   in Loop: Header=BB235_13 Depth=1
	s_or_b64 exec, exec, s[40:41]
	v_lshrrev_b16_e32 v2, 8, v2
	v_cmp_ne_u16_e64 s[0:1], 0, v2
	s_and_saveexec_b64 s[40:41], s[0:1]
	s_cbranch_execz .LBB235_114
; %bb.109:                              ;   in Loop: Header=BB235_13 Depth=1
	v_cmp_ne_u16_e64 s[0:1], s52, v2
	v_bfrev_b32_e32 v8, 1
	s_and_saveexec_b64 s[42:43], s[0:1]
	s_cbranch_execz .LBB235_113
; %bb.110:                              ;   in Loop: Header=BB235_13 Depth=1
	v_and_b32_e32 v39, 0x7f, v2
	v_cmp_ne_u32_e64 s[0:1], s53, v39
	v_mov_b32_e32 v8, 0x7c010000
	s_and_saveexec_b64 s[44:45], s[0:1]
	s_cbranch_execz .LBB235_112
; %bb.111:                              ;   in Loop: Header=BB235_13 Depth=1
	v_and_b32_e32 v8, 7, v2
	v_ffbh_u32_e32 v40, v8
	v_min_u32_e32 v43, 32, v40
	v_subrev_u32_e32 v40, 28, v43
	v_lshlrev_b64 v[40:41], v40, v[2:3]
	v_lshrrev_b32_e32 v42, 3, v39
	v_sub_u32_e32 v41, 29, v43
	v_cmp_gt_u32_e64 s[0:1], 8, v39
	v_lshlrev_b32_e32 v2, 8, v2
	v_and_b32_e32 v40, 7, v40
	v_cndmask_b32_e64 v39, v42, v41, s[0:1]
	v_lshl_add_u32 v39, v39, 10, v19
	v_and_or_b32 v2, v2, s54, v39
	v_cndmask_b32_e64 v8, v8, v40, s[0:1]
	v_lshlrev_b32_e32 v2, 16, v2
	v_lshl_or_b32 v8, v8, 23, v2
.LBB235_112:                            ;   in Loop: Header=BB235_13 Depth=1
	s_or_b64 exec, exec, s[44:45]
.LBB235_113:                            ;   in Loop: Header=BB235_13 Depth=1
	s_or_b64 exec, exec, s[42:43]
.LBB235_114:                            ;   in Loop: Header=BB235_13 Depth=1
	s_or_b64 exec, exec, s[40:41]
	v_or_b32_e32 v2, v25, v26
	v_or_b32_e32 v26, v27, v28
	v_fma_mixlo_f16 v26, v24, v26, 0 op_sel_hi:[0,1,0]
	v_and_b32_e32 v40, 0xffff, v26
	v_or_b32_e32 v26, v29, v30
	v_fma_mixlo_f16 v28, v24, v29, 0 op_sel:[0,1,0] op_sel_hi:[0,1,0]
	ds_read_b32 v29, v12
	v_or_b32_e32 v30, v31, v32
	v_fma_mixlo_f16 v2, v24, v2, 0 op_sel_hi:[0,1,0]
	v_fma_mixlo_f16 v25, v24, v25, 0 op_sel:[0,1,0] op_sel_hi:[0,1,0]
	v_fma_mixlo_f16 v30, v24, v30, 0 op_sel_hi:[0,1,0]
	v_and_b32_e32 v44, 0xffff, v30
	s_waitcnt lgkmcnt(0)
	v_lshrrev_b32_e32 v30, 16, v29
	v_and_b32_e32 v29, 0xffff, v29
	v_and_b32_e32 v25, 0xffff, v25
	;; [unrolled: 1-line block ×3, first 2 shown]
	;;#ASMSTART
	v_cvt_f32_f16 v29, v29;
	;;#ASMEND
	;;#ASMSTART
	v_cvt_f32_f16 v30, v30;
	;;#ASMEND
	;; [unrolled: 3-line block ×4, first 2 shown]
	ds_read_b32 v32, v12 offset:4
	v_fma_mixlo_f16 v27, v24, v27, 0 op_sel:[0,1,0] op_sel_hi:[0,1,0]
	v_and_b32_e32 v41, 0xffff, v27
	v_or_b32_e32 v36, v35, v36
	v_fma_mixlo_f16 v26, v24, v26, 0 op_sel_hi:[0,1,0]
	s_waitcnt lgkmcnt(0)
	v_lshrrev_b32_e32 v39, 16, v32
	v_and_b32_e32 v32, 0xffff, v32
	;;#ASMSTART
	v_cvt_f32_f16 v32, v32;
	;;#ASMEND
	;;#ASMSTART
	v_cvt_f32_f16 v39, v39;
	;;#ASMEND
	;;#ASMSTART
	v_cvt_f32_f16 v27, v40;
	;;#ASMEND
	;;#ASMSTART
	v_cvt_f32_f16 v40, v41;
	;;#ASMEND
	ds_read_b32 v41, v12 offset:8
	v_fma_mixlo_f16 v36, v24, v36, 0 op_sel_hi:[0,1,0]
	v_and_b32_e32 v46, 0xffff, v36
	v_or_b32_e32 v36, v37, v38
	v_and_b32_e32 v28, 0xffff, v28
	s_waitcnt lgkmcnt(0)
	v_lshrrev_b32_e32 v42, 16, v41
	v_and_b32_e32 v38, 0xffff, v41
	v_and_b32_e32 v26, 0xffff, v26
	;;#ASMSTART
	v_cvt_f32_f16 v38, v38;
	;;#ASMEND
	;;#ASMSTART
	v_cvt_f32_f16 v41, v42;
	;;#ASMEND
	;; [unrolled: 3-line block ×4, first 2 shown]
	ds_read_b32 v42, v12 offset:12
	v_fma_mixlo_f16 v31, v24, v31, 0 op_sel:[0,1,0] op_sel_hi:[0,1,0]
	v_and_b32_e32 v45, 0xffff, v31
	v_or_b32_e32 v9, v8, v9
	v_or_b32_e32 v34, v33, v34
	s_waitcnt lgkmcnt(0)
	v_lshrrev_b32_e32 v43, 16, v42
	v_and_b32_e32 v42, 0xffff, v42
	;;#ASMSTART
	v_cvt_f32_f16 v42, v42;
	;;#ASMEND
	;;#ASMSTART
	v_cvt_f32_f16 v43, v43;
	;;#ASMEND
	;; [unrolled: 3-line block ×4, first 2 shown]
	ds_read_b32 v45, v12 offset:16
	v_fma_mixlo_f16 v9, v24, v9, 0 op_sel_hi:[0,1,0]
	v_fma_mixlo_f16 v34, v24, v34, 0 op_sel_hi:[0,1,0]
	v_fma_mixlo_f16 v33, v24, v33, 0 op_sel:[0,1,0] op_sel_hi:[0,1,0]
	v_and_b32_e32 v47, 0xffff, v9
	v_mul_f32_e32 v9, v32, v27
	v_fma_mixlo_f16 v35, v24, v35, 0 op_sel:[0,1,0] op_sel_hi:[0,1,0]
	v_fma_mixlo_f16 v36, v24, v36, 0 op_sel_hi:[0,1,0]
	v_fma_mixlo_f16 v37, v24, v37, 0 op_sel:[0,1,0] op_sel_hi:[0,1,0]
	v_fma_mixlo_f16 v8, v24, v8, 0 op_sel:[0,1,0] op_sel_hi:[0,1,0]
	v_fmac_f32_e32 v9, v29, v2
	s_waitcnt lgkmcnt(0)
	v_lshrrev_b32_e32 v24, 16, v45
	v_and_b32_e32 v2, 0xffff, v45
	v_and_b32_e32 v29, 0xffff, v33
	;; [unrolled: 1-line block ×3, first 2 shown]
	;;#ASMSTART
	v_cvt_f32_f16 v2, v2;
	;;#ASMEND
	;;#ASMSTART
	v_cvt_f32_f16 v24, v24;
	;;#ASMEND
	;; [unrolled: 3-line block ×4, first 2 shown]
	ds_read_b32 v32, v12 offset:20
	v_mul_f32_e32 v33, v39, v40
	v_fmac_f32_e32 v33, v30, v25
	v_fmac_f32_e32 v9, v38, v26
	v_and_b32_e32 v30, 0xffff, v35
	s_waitcnt lgkmcnt(0)
	v_lshrrev_b32_e32 v26, 16, v32
	v_and_b32_e32 v25, 0xffff, v32
	v_fmac_f32_e32 v33, v41, v28
	;;#ASMSTART
	v_cvt_f32_f16 v25, v25;
	;;#ASMEND
	;;#ASMSTART
	v_cvt_f32_f16 v26, v26;
	;;#ASMEND
	;; [unrolled: 3-line block ×4, first 2 shown]
	ds_read_b32 v32, v12 offset:24
	v_fmac_f32_e32 v9, v42, v31
	v_fmac_f32_e32 v33, v43, v44
	v_fmac_f32_e32 v9, v2, v27
	v_fmac_f32_e32 v33, v24, v29
	s_waitcnt lgkmcnt(0)
	v_lshrrev_b32_e32 v24, 16, v32
	v_and_b32_e32 v2, 0xffff, v32
	v_and_b32_e32 v29, 0xffff, v37
	;; [unrolled: 1-line block ×3, first 2 shown]
	;;#ASMSTART
	v_cvt_f32_f16 v2, v2;
	;;#ASMEND
	;;#ASMSTART
	v_cvt_f32_f16 v24, v24;
	;;#ASMEND
	;; [unrolled: 3-line block ×4, first 2 shown]
	ds_read_b32 v31, v12 offset:28
	v_fmac_f32_e32 v9, v25, v28
	v_fmac_f32_e32 v33, v26, v30
	;; [unrolled: 1-line block ×4, first 2 shown]
	s_waitcnt lgkmcnt(0)
	v_lshrrev_b32_e32 v24, 16, v31
	v_and_b32_e32 v2, 0xffff, v31
	;;#ASMSTART
	v_cvt_f32_f16 v2, v2;
	;;#ASMEND
	;;#ASMSTART
	v_cvt_f32_f16 v24, v24;
	;;#ASMEND
	v_and_b32_e32 v25, 0xffff, v8
	;;#ASMSTART
	v_cvt_f32_f16 v8, v47;
	;;#ASMEND
	;;#ASMSTART
	v_cvt_f32_f16 v25, v25;
	;;#ASMEND
	s_nop 0
	v_fmac_f32_e32 v9, v2, v8
	v_fmac_f32_e32 v33, v24, v25
	v_and_b32_e32 v8, 64, v20
	v_add_f32_e32 v2, v9, v33
	v_add_u32_e32 v8, 64, v8
	v_xor_b32_e32 v9, 2, v20
	v_cmp_lt_i32_e64 s[0:1], v9, v8
	s_nop 1
	v_cndmask_b32_e64 v9, v20, v9, s[0:1]
	v_lshlrev_b32_e32 v9, 2, v9
	ds_bpermute_b32 v9, v9, v2
	s_waitcnt lgkmcnt(0)
	v_add_f32_e32 v2, v2, v9
	v_xor_b32_e32 v9, 1, v20
	v_cmp_lt_i32_e64 s[0:1], v9, v8
	s_nop 1
	v_cndmask_b32_e64 v8, v20, v9, s[0:1]
	v_lshlrev_b32_e32 v8, 2, v8
	ds_bpermute_b32 v8, v8, v2
	s_and_saveexec_b64 s[40:41], vcc
	s_cbranch_execz .LBB235_11
; %bb.115:                              ;   in Loop: Header=BB235_13 Depth=1
	v_add_u32_e32 v9, v16, v15
	v_cvt_f32_i32_e32 v9, v9
	s_waitcnt lgkmcnt(0)
	v_add_f32_e32 v2, v2, v8
	v_add_u32_e32 v24, v11, v15
	v_cmp_gt_i32_e64 s[0:1], s11, v24
	v_mul_f32_e32 v8, s48, v9
	v_cndmask_b32_e64 v8, 0, v8, s[2:3]
	v_fmac_f32_e32 v8, s37, v2
	v_cndmask_b32_e64 v2, 0, v8, s[0:1]
	ds_write_b32 v17, v2
	v_max_f32_e32 v2, v13, v13
	v_max_f32_e32 v2, v2, v8
	v_cndmask_b32_e64 v13, v13, v2, s[0:1]
	s_branch .LBB235_11
.LBB235_116:
	s_or_b64 exec, exec, s[38:39]
.LBB235_117:
	s_or_b64 exec, exec, s[18:19]
	v_mbcnt_hi_u32_b32 v2, -1, v10
	v_and_b32_e32 v10, 64, v2
	v_add_u32_e32 v3, 64, v10
	v_xor_b32_e32 v4, 32, v2
	v_cmp_lt_i32_e32 vcc, v4, v3
	v_xor_b32_e32 v7, 16, v2
	v_max_f32_e32 v6, v13, v13
	v_cndmask_b32_e32 v4, v2, v4, vcc
	v_lshlrev_b32_e32 v4, 2, v4
	ds_bpermute_b32 v5, v4, v13
	v_cmp_lt_i32_e32 vcc, v7, v3
	s_waitcnt lgkmcnt(1)
	v_xor_b32_e32 v8, 8, v2
	v_xor_b32_e32 v9, 4, v2
	v_and_b32_e32 v24, 63, v0
	s_waitcnt lgkmcnt(0)
	v_max_f32_e32 v5, v5, v5
	v_max_f32_e32 v6, v6, v5
	v_cndmask_b32_e32 v5, v2, v7, vcc
	v_lshlrev_b32_e32 v5, 2, v5
	ds_bpermute_b32 v7, v5, v6
	v_cmp_lt_i32_e32 vcc, v8, v3
	s_waitcnt lgkmcnt(0)
	v_max_f32_e32 v7, v7, v7
	v_max_f32_e32 v6, v6, v7
	v_cndmask_b32_e32 v7, v2, v8, vcc
	v_lshlrev_b32_e32 v8, 2, v7
	ds_bpermute_b32 v7, v8, v6
	v_cmp_lt_i32_e32 vcc, v9, v3
	s_waitcnt lgkmcnt(0)
	v_max_f32_e32 v7, v7, v7
	v_max_f32_e32 v7, v6, v7
	v_cndmask_b32_e32 v6, v2, v9, vcc
	v_lshlrev_b32_e32 v9, 2, v6
	ds_bpermute_b32 v11, v9, v7
	v_cmp_eq_u32_e32 vcc, 0, v24
	v_lshlrev_b32_e32 v6, 2, v22
	s_and_saveexec_b64 s[0:1], vcc
	s_cbranch_execz .LBB235_119
; %bb.118:
	s_waitcnt lgkmcnt(0)
	v_max_f32_e32 v11, v11, v11
	v_max_f32_e32 v7, v7, v7
	;; [unrolled: 1-line block ×3, first 2 shown]
	ds_write_b32 v6, v7 offset:128
.LBB235_119:
	s_or_b64 exec, exec, s[0:1]
	v_cmp_gt_u32_e64 s[0:1], 2, v24
	s_waitcnt lgkmcnt(0)
	v_mov_b32_e32 v11, 0xff7fffff
	v_lshlrev_b32_e32 v7, 2, v24
	s_barrier
	s_and_saveexec_b64 s[2:3], s[0:1]
; %bb.120:
	ds_read_b32 v11, v7 offset:128
; %bb.121:
	s_or_b64 exec, exec, s[2:3]
	v_xor_b32_e32 v12, 1, v2
	v_cmp_lt_i32_e64 s[2:3], v12, v3
	v_lshlrev_b32_e32 v10, 2, v10
	s_nop 0
	v_cndmask_b32_e64 v12, v2, v12, s[2:3]
	v_lshlrev_b32_e32 v25, 2, v12
	s_waitcnt lgkmcnt(0)
	ds_bpermute_b32 v12, v25, v11
	v_max_f32_e32 v11, v11, v11
	s_lshl_b32 s2, s47, 4
	s_min_i32 s37, s2, s11
	v_cmp_gt_i32_e64 s[2:3], s37, v0
	s_waitcnt lgkmcnt(0)
	v_max_f32_e32 v12, v12, v12
	v_max_f32_e32 v11, v11, v12
	ds_bpermute_b32 v11, v10, v11
	v_mov_b32_e32 v10, 0
	s_and_saveexec_b64 s[12:13], s[2:3]
	s_cbranch_execz .LBB235_125
; %bb.122:
	v_mov_b32_e32 v10, 0x90
	v_lshl_add_u32 v12, v0, 2, v10
	v_mov_b32_e32 v10, 0
	s_mov_b64 s[18:19], 0
	v_mov_b32_e32 v13, v0
.LBB235_123:                            ; =>This Inner Loop Header: Depth=1
	ds_read_b32 v14, v12
	v_add_u32_e32 v13, 0x80, v13
	v_cmp_le_i32_e64 s[8:9], s37, v13
	s_or_b64 s[18:19], s[8:9], s[18:19]
	s_waitcnt lgkmcnt(0)
	v_sub_f32_e32 v14, v14, v11
	v_mul_f32_e32 v14, 0x3fb8aa3b, v14
	v_exp_f32_e32 v14, v14
	ds_write_b32 v12, v14
	v_add_f32_e32 v10, v10, v14
	v_add_u32_e32 v12, 0x200, v12
	s_andn2_b64 exec, exec, s[18:19]
	s_cbranch_execnz .LBB235_123
; %bb.124:
	s_or_b64 exec, exec, s[18:19]
.LBB235_125:
	s_or_b64 exec, exec, s[12:13]
	ds_bpermute_b32 v4, v4, v10
	s_waitcnt lgkmcnt(0)
	v_add_f32_e32 v4, v10, v4
	ds_bpermute_b32 v5, v5, v4
	s_waitcnt lgkmcnt(0)
	v_add_f32_e32 v4, v4, v5
	ds_bpermute_b32 v5, v8, v4
	v_xor_b32_e32 v8, 2, v2
	v_cmp_lt_i32_e64 s[8:9], v8, v3
	s_waitcnt lgkmcnt(0)
	v_add_f32_e32 v4, v4, v5
	ds_bpermute_b32 v5, v9, v4
	v_cndmask_b32_e64 v3, v2, v8, s[8:9]
	v_lshlrev_b32_e32 v3, 2, v3
	s_waitcnt lgkmcnt(0)
	v_add_f32_e32 v4, v4, v5
	ds_bpermute_b32 v3, v3, v4
	s_waitcnt lgkmcnt(0)
	v_add_f32_e32 v3, v4, v3
	ds_bpermute_b32 v4, v25, v3
	s_waitcnt lgkmcnt(0)
	v_add_f32_e32 v3, v3, v4
	s_and_saveexec_b64 s[8:9], vcc
; %bb.126:
	ds_write_b32 v6, v3 offset:136
; %bb.127:
	s_or_b64 exec, exec, s[8:9]
	s_waitcnt lgkmcnt(0)
	s_barrier
	s_and_saveexec_b64 s[8:9], s[0:1]
; %bb.128:
	ds_read_b32 v3, v7 offset:136
; %bb.129:
	s_or_b64 exec, exec, s[8:9]
	s_waitcnt lgkmcnt(0)
	ds_bpermute_b32 v4, v25, v3
	v_lshlrev_b32_e32 v2, 2, v2
	v_and_b32_e32 v2, 0x100, v2
	s_waitcnt lgkmcnt(0)
	v_add_f32_e32 v3, v3, v4
	ds_bpermute_b32 v2, v2, v3
	s_and_saveexec_b64 s[0:1], s[2:3]
	s_cbranch_execz .LBB235_142
; %bb.130:
	s_waitcnt lgkmcnt(0)
	v_add_f32_e32 v2, 0x358637bd, v2
	v_div_scale_f32 v3, s[2:3], v2, v2, 1.0
	v_rcp_f32_e32 v4, v3
	v_div_scale_f32 v5, vcc, 1.0, v2, 1.0
	s_movk_i32 s2, 0x7f
	v_fma_f32 v6, -v3, v4, 1.0
	v_fmac_f32_e32 v4, v6, v4
	v_mul_f32_e32 v6, v5, v4
	v_fma_f32 v7, -v3, v6, v5
	v_fmac_f32_e32 v6, v7, v4
	v_fma_f32 v3, -v3, v6, v5
	v_div_fmas_f32 v3, v3, v4, v6
	v_xad_u32 v4, v0, -1, s37
	v_div_fixup_f32 v2, v3, v2, 1.0
	v_cmp_lt_u32_e32 vcc, s2, v4
	s_mov_b64 s[8:9], -1
	v_mov_b32_e32 v3, v0
	s_and_saveexec_b64 s[2:3], vcc
	s_cbranch_execz .LBB235_139
; %bb.131:
	v_lshrrev_b32_e32 v4, 7, v4
	v_add_u32_e32 v6, -1, v4
	v_lshrrev_b32_e32 v5, 1, v6
	v_mov_b32_e32 v3, v2
	v_add_u32_e32 v5, 1, v5
	v_cmp_lt_u32_e32 vcc, 13, v6
	v_mov_b32_e32 v8, 0
	s_and_saveexec_b64 s[8:9], vcc
	s_cbranch_execz .LBB235_135
; %bb.132:
	v_mov_b32_e32 v7, 0x90
	v_and_b32_e32 v6, -8, v5
	v_lshl_add_u32 v7, v0, 2, v7
	s_mov_b32 s18, 0
	s_mov_b64 s[12:13], 0
.LBB235_133:                            ; =>This Inner Loop Header: Depth=1
	ds_read2st64_b32 v[8:9], v7 offset1:2
	ds_read2st64_b32 v[10:11], v7 offset0:4 offset1:6
	ds_read2st64_b32 v[12:13], v7 offset0:8 offset1:10
	;; [unrolled: 1-line block ×3, first 2 shown]
	v_add_u32_e32 v6, -8, v6
	s_waitcnt lgkmcnt(3)
	v_pk_mul_f32 v[8:9], v[2:3], v[8:9]
	s_waitcnt lgkmcnt(2)
	v_pk_mul_f32 v[10:11], v[2:3], v[10:11]
	ds_write2st64_b32 v7, v8, v9 offset1:2
	ds_write2st64_b32 v7, v10, v11 offset0:4 offset1:6
	ds_read2st64_b32 v[10:11], v7 offset0:16 offset1:18
	s_waitcnt lgkmcnt(4)
	v_pk_mul_f32 v[8:9], v[2:3], v[12:13]
	ds_write2st64_b32 v7, v8, v9 offset0:8 offset1:10
	s_waitcnt lgkmcnt(4)
	v_pk_mul_f32 v[8:9], v[2:3], v[14:15]
	ds_write2st64_b32 v7, v8, v9 offset0:12 offset1:14
	ds_read2st64_b32 v[8:9], v7 offset0:20 offset1:22
	s_waitcnt lgkmcnt(3)
	v_pk_mul_f32 v[10:11], v[2:3], v[10:11]
	ds_read2st64_b32 v[12:13], v7 offset0:24 offset1:26
	ds_write2st64_b32 v7, v10, v11 offset0:16 offset1:18
	ds_read2st64_b32 v[10:11], v7 offset0:28 offset1:30
	s_waitcnt lgkmcnt(3)
	v_pk_mul_f32 v[8:9], v[2:3], v[8:9]
	ds_write2st64_b32 v7, v8, v9 offset0:20 offset1:22
	s_waitcnt lgkmcnt(3)
	v_pk_mul_f32 v[8:9], v[2:3], v[12:13]
	ds_write2st64_b32 v7, v8, v9 offset0:24 offset1:26
	s_waitcnt lgkmcnt(2)
	v_pk_mul_f32 v[8:9], v[2:3], v[10:11]
	s_add_i32 s18, s18, 16
	v_cmp_eq_u32_e32 vcc, 0, v6
	ds_write2st64_b32 v7, v8, v9 offset0:28 offset1:30
	v_add_u32_e32 v7, 0x2000, v7
	s_or_b64 s[12:13], vcc, s[12:13]
	v_mov_b32_e32 v8, s18
	s_andn2_b64 exec, exec, s[12:13]
	s_cbranch_execnz .LBB235_133
; %bb.134:
	s_or_b64 exec, exec, s[12:13]
.LBB235_135:
	s_or_b64 exec, exec, s[8:9]
	v_and_b32_e32 v5, 7, v5
	v_cmp_ne_u32_e32 vcc, 0, v5
	s_and_saveexec_b64 s[8:9], vcc
	s_cbranch_execz .LBB235_138
; %bb.136:
	v_lshlrev_b32_e32 v6, 9, v8
	v_lshlrev_b32_e32 v7, 2, v0
	s_movk_i32 s12, 0x90
	v_add3_u32 v6, v6, v7, s12
	s_mov_b64 s[12:13], 0
.LBB235_137:                            ; =>This Inner Loop Header: Depth=1
	ds_read2st64_b32 v[8:9], v6 offset1:2
	v_add_u32_e32 v5, -1, v5
	v_cmp_eq_u32_e32 vcc, 0, v5
	s_or_b64 s[12:13], vcc, s[12:13]
	s_waitcnt lgkmcnt(0)
	v_pk_mul_f32 v[8:9], v[2:3], v[8:9]
	ds_write2st64_b32 v6, v8, v9 offset1:2
	v_add_u32_e32 v6, 0x400, v6
	s_andn2_b64 exec, exec, s[12:13]
	s_cbranch_execnz .LBB235_137
.LBB235_138:
	s_or_b64 exec, exec, s[8:9]
	v_add_u32_e32 v4, 1, v4
	v_and_b32_e32 v5, 0x3fffffe, v4
	v_cmp_ne_u32_e32 vcc, v4, v5
	v_lshl_add_u32 v3, v5, 7, v0
	s_orn2_b64 s[8:9], vcc, exec
.LBB235_139:
	s_or_b64 exec, exec, s[2:3]
	s_and_b64 exec, exec, s[8:9]
	s_cbranch_execz .LBB235_142
; %bb.140:
	v_mov_b32_e32 v4, 0x90
	v_lshl_add_u32 v4, v3, 2, v4
	s_mov_b64 s[2:3], 0
.LBB235_141:                            ; =>This Inner Loop Header: Depth=1
	ds_read_b32 v5, v4
	v_add_u32_e32 v3, 0x80, v3
	v_cmp_le_i32_e32 vcc, s37, v3
	s_or_b64 s[2:3], vcc, s[2:3]
	s_waitcnt lgkmcnt(0)
	v_mul_f32_e32 v5, v2, v5
	ds_write_b32 v4, v5
	v_add_u32_e32 v4, 0x200, v4
	s_andn2_b64 exec, exec, s[2:3]
	s_cbranch_execnz .LBB235_141
.LBB235_142:
	s_or_b64 exec, exec, s[0:1]
	v_mov_b32_e32 v5, 0
	v_and_b32_e32 v26, 1, v0
	v_mov_b32_e32 v4, 0
	s_waitcnt lgkmcnt(0)
	s_barrier
	s_and_saveexec_b64 s[2:3], s[6:7]
	s_cbranch_execz .LBB235_248
; %bb.143:
	s_sub_i32 s37, s16, s21
	s_ashr_i32 s1, s20, 31
	s_add_u32 s0, s34, s20
	s_addc_u32 s1, s35, s1
	s_abs_i32 s22, s22
	v_cvt_f32_u32_e32 v3, s22
	v_lshlrev_b32_e32 v2, 3, v0
	v_and_b32_e32 v27, 8, v2
	v_and_b32_e32 v2, 0x1f8, v2
	v_rcp_iflag_f32_e32 v4, v3
	v_mov_b32_e32 v3, 0
	v_lshl_add_u64 v[6:7], s[0:1], 0, v[2:3]
	s_sub_i32 s0, 0, s22
	v_mul_f32_e32 v4, 0x4f7ffffe, v4
	v_cvt_u32_f32_e32 v4, v4
	s_add_i32 s35, s47, -1
	s_mov_b32 s6, -1
	s_mov_b32 s34, s17
	v_mul_lo_u32 v2, s0, v4
	v_mul_hi_u32 v2, v4, v2
	s_lshl_b64 s[0:1], s[30:31], 2
	v_add_u32_e32 v28, v4, v2
	v_and_b32_e32 v2, 60, v1
	s_add_u32 s0, s28, s0
	v_lshlrev_b32_e32 v1, 5, v26
	s_addc_u32 s1, s29, s1
	v_lshl_or_b32 v1, v22, 6, v1
	s_mov_b32 s7, 0xffffff
	s_mov_b32 s38, s11
	v_lshl_add_u64 v[8:9], s[0:1], 0, v[2:3]
	v_add_u32_e32 v29, 0x90, v1
	s_mov_b64 s[8:9], 0
	s_movk_i32 s28, 0x80
	s_movk_i32 s29, 0x7f
	s_mov_b32 s30, 0x8000
	v_mov_b32_e32 v30, 0x2000
	v_mov_b32_e32 v4, 0
	;; [unrolled: 1-line block ×3, first 2 shown]
	s_branch .LBB235_146
.LBB235_144:                            ;   in Loop: Header=BB235_146 Depth=1
	s_or_b64 exec, exec, s[0:1]
	v_add_f32_e32 v2, v41, v42
	;;#ASMSTART
	v_pk_mul_f16 v1, v40, v1;

	;;#ASMEND
	v_add_f32_e32 v4, v4, v2
	;;#ASMSTART
	v_pk_mul_f16 v2, v39, v12;

	;;#ASMEND
	;;#ASMSTART
	v_pk_mul_f16 v10, v21, v19;

	;;#ASMEND
	;; [unrolled: 4-line block ×3, first 2 shown]
	s_nop 0
	;;#ASMSTART
	v_pk_add_f16 v1, v1, v2;

	;;#ASMEND
	s_nop 0
	;;#ASMSTART
	v_pk_add_f16 v1, v1, v10;

	;;#ASMEND
	;; [unrolled: 5-line block ×3, first 2 shown]
	s_nop 0
	v_lshrrev_b32_e32 v2, 16, v1
	v_and_b32_e32 v1, 0xffff, v1
	;;#ASMSTART
	v_cvt_f32_f16 v1, v1;
	;;#ASMEND
	;;#ASMSTART
	v_cvt_f32_f16 v2, v2;
	;;#ASMEND
	s_nop 0
	v_add_f32_e32 v1, v1, v2
	v_add_f32_e32 v5, v5, v1
.LBB235_145:                            ;   in Loop: Header=BB235_146 Depth=1
	s_or_b64 exec, exec, s[12:13]
	v_add_u32_e32 v22, 2, v22
	v_cmp_le_i32_e32 vcc, s47, v22
	v_lshl_add_u64 v[8:9], v[8:9], 0, 8
	v_add_u32_e32 v23, 32, v23
	s_or_b64 s[8:9], vcc, s[8:9]
	v_add_u32_e32 v29, 0x80, v29
	s_andn2_b64 exec, exec, s[8:9]
	s_cbranch_execz .LBB235_247
.LBB235_146:                            ; =>This Inner Loop Header: Depth=1
	v_mul_hi_u32 v1, v23, s33
	v_mul_lo_u32 v2, v1, s25
	v_sub_u32_e32 v2, v23, v2
	v_add_u32_e32 v10, 1, v1
	v_cmp_le_u32_e32 vcc, s25, v2
	s_nop 1
	v_cndmask_b32_e32 v1, v1, v10, vcc
	v_subrev_u32_e32 v10, s25, v2
	v_cndmask_b32_e32 v2, v2, v10, vcc
	v_add_u32_e32 v10, 1, v1
	v_cmp_le_u32_e32 vcc, s25, v2
	s_nop 1
	v_cndmask_b32_e32 v1, v1, v10, vcc
	v_xor_b32_e32 v1, s46, v1
	v_subrev_u32_e32 v1, s46, v1
	v_add_u32_e32 v2, s36, v1
	v_sub_u32_e32 v11, 0, v2
	v_ashrrev_i32_e32 v10, 31, v2
	v_max_i32_e32 v2, v2, v11
	v_mul_hi_u32 v11, v2, v28
	v_mul_lo_u32 v11, v11, s22
	v_sub_u32_e32 v2, v2, v11
	v_subrev_u32_e32 v11, s22, v2
	v_cmp_le_u32_e32 vcc, s22, v2
	v_cmp_lt_i32_e64 s[0:1], s37, v1
	s_nop 0
	v_cndmask_b32_e32 v2, v2, v11, vcc
	v_subrev_u32_e32 v11, s22, v2
	v_cmp_le_u32_e32 vcc, s22, v2
	s_nop 1
	v_cndmask_b32_e32 v2, v2, v11, vcc
	v_xor_b32_e32 v2, v2, v10
	v_sub_u32_e32 v2, v2, v10
	v_cmp_eq_u32_e32 vcc, 0, v2
	s_or_b64 s[0:1], vcc, s[0:1]
	s_and_saveexec_b64 s[12:13], s[0:1]
	s_cbranch_execz .LBB235_145
; %bb.147:                              ;   in Loop: Header=BB235_146 Depth=1
	global_load_dword v1, v[8:9], off
	ds_read2_b64 v[10:13], v29 offset1:1
	ds_read2_b64 v[14:17], v29 offset0:2 offset1:3
	s_waitcnt lgkmcnt(1)
	;;#ASMSTART
	v_cvt_f16_f32 v39, v10;

	;;#ASMEND
	;;#ASMSTART
	v_cvt_f16_f32 v40, v11;

	;;#ASMEND
	;; [unrolled: 4-line block ×4, first 2 shown]
	s_waitcnt lgkmcnt(0)
	;;#ASMSTART
	v_cvt_f16_f32 v43, v14;

	;;#ASMEND
	;;#ASMSTART
	v_cvt_f16_f32 v44, v15;

	;;#ASMEND
	;; [unrolled: 4-line block ×4, first 2 shown]
	v_mov_b32_e32 v13, 0
	s_waitcnt vmcnt(0)
	v_mad_i64_i32 v[10:11], s[0:1], v1, s34, v[6:7]
	global_load_dwordx2 v[14:15], v[10:11], off
	v_mov_b32_e32 v1, 0
	global_load_dword v12, v1, s[14:15]
	s_waitcnt vmcnt(1)
	v_cmp_ne_u16_sdwa s[16:17], v14, v3 src0_sel:BYTE_0 src1_sel:DWORD
	s_and_saveexec_b64 s[0:1], s[16:17]
	s_cbranch_execz .LBB235_153
; %bb.148:                              ;   in Loop: Header=BB235_146 Depth=1
	v_cmp_ne_u16_sdwa s[18:19], v14, s28 src0_sel:BYTE_0 src1_sel:DWORD
	v_mov_b32_e32 v13, 0x8000
	s_and_saveexec_b64 s[16:17], s[18:19]
	s_cbranch_execz .LBB235_152
; %bb.149:                              ;   in Loop: Header=BB235_146 Depth=1
	v_and_b32_e32 v2, 0x7f, v14
	v_cmp_ne_u32_e32 vcc, s29, v2
	v_mov_b32_e32 v13, 0x7c01
	s_and_saveexec_b64 s[18:19], vcc
	s_cbranch_execz .LBB235_151
; %bb.150:                              ;   in Loop: Header=BB235_146 Depth=1
	v_and_b32_e32 v13, 7, v14
	v_ffbh_u32_e32 v16, v13
	v_min_u32_e32 v19, 32, v16
	v_subrev_u32_e32 v16, 28, v19
	v_lshlrev_b64 v[16:17], v16, v[14:15]
	v_lshrrev_b32_e32 v18, 3, v2
	v_sub_u32_e32 v17, 29, v19
	v_cmp_gt_u32_e32 vcc, 8, v2
	v_and_b32_e32 v16, 7, v16
	s_nop 0
	v_cndmask_b32_e32 v2, v18, v17, vcc
	v_lshl_add_u32 v2, v2, 10, v30
	v_lshlrev_b32_e32 v17, 8, v14
	v_and_b32_e32 v2, 0xfc00, v2
	v_cndmask_b32_e32 v13, v13, v16, vcc
	v_and_or_b32 v2, v17, s30, v2
	v_lshl_or_b32 v13, v13, 7, v2
.LBB235_151:                            ;   in Loop: Header=BB235_146 Depth=1
	s_or_b64 exec, exec, s[18:19]
.LBB235_152:                            ;   in Loop: Header=BB235_146 Depth=1
	s_or_b64 exec, exec, s[16:17]
.LBB235_153:                            ;   in Loop: Header=BB235_146 Depth=1
	s_or_b64 exec, exec, s[0:1]
	v_lshrrev_b16_e32 v2, 8, v14
	v_cmp_ne_u16_e32 vcc, 0, v2
	s_and_saveexec_b64 s[0:1], vcc
	s_cbranch_execz .LBB235_159
; %bb.154:                              ;   in Loop: Header=BB235_146 Depth=1
	v_cmp_ne_u16_e32 vcc, s28, v2
	v_bfrev_b32_e32 v1, 1
	s_and_saveexec_b64 s[16:17], vcc
	s_cbranch_execz .LBB235_158
; %bb.155:                              ;   in Loop: Header=BB235_146 Depth=1
	v_and_b32_e32 v16, 0x7f, v2
	v_cmp_ne_u32_e32 vcc, s29, v16
	v_mov_b32_e32 v1, 0x7c010000
	s_and_saveexec_b64 s[18:19], vcc
	s_cbranch_execz .LBB235_157
; %bb.156:                              ;   in Loop: Header=BB235_146 Depth=1
	v_and_b32_e32 v1, 7, v2
	v_ffbh_u32_e32 v18, v1
	v_min_u32_e32 v20, 32, v18
	v_subrev_u32_e32 v18, 28, v20
	v_lshlrev_b64 v[18:19], v18, v[2:3]
	v_lshrrev_b32_e32 v17, 3, v16
	v_sub_u32_e32 v19, 29, v20
	v_cmp_gt_u32_e32 vcc, 8, v16
	v_lshlrev_b32_e32 v2, 8, v2
	s_nop 0
	v_cndmask_b32_e32 v16, v17, v19, vcc
	v_lshl_add_u32 v16, v16, 10, v30
	v_and_b32_e32 v17, 7, v18
	v_and_or_b32 v2, v2, s30, v16
	v_cndmask_b32_e32 v1, v1, v17, vcc
	v_lshlrev_b32_e32 v2, 16, v2
	v_lshl_or_b32 v1, v1, 23, v2
.LBB235_157:                            ;   in Loop: Header=BB235_146 Depth=1
	s_or_b64 exec, exec, s[18:19]
.LBB235_158:                            ;   in Loop: Header=BB235_146 Depth=1
	s_or_b64 exec, exec, s[16:17]
.LBB235_159:                            ;   in Loop: Header=BB235_146 Depth=1
	s_or_b64 exec, exec, s[0:1]
	v_lshrrev_b32_e32 v2, 16, v14
	v_cmp_ne_u16_sdwa s[16:17], v2, v3 src0_sel:BYTE_0 src1_sel:DWORD
	v_mov_b32_e32 v17, 0
	v_mov_b32_e32 v16, 0
	s_and_saveexec_b64 s[0:1], s[16:17]
	s_cbranch_execz .LBB235_165
; %bb.160:                              ;   in Loop: Header=BB235_146 Depth=1
	v_cmp_ne_u16_sdwa s[18:19], v2, s28 src0_sel:BYTE_0 src1_sel:DWORD
	v_mov_b32_e32 v16, 0x8000
	s_and_saveexec_b64 s[16:17], s[18:19]
	s_cbranch_execz .LBB235_164
; %bb.161:                              ;   in Loop: Header=BB235_146 Depth=1
	v_bfe_u32 v18, v14, 16, 7
	v_cmp_ne_u32_e32 vcc, s29, v18
	v_mov_b32_e32 v16, 0x7c01
	s_and_saveexec_b64 s[18:19], vcc
	s_cbranch_execz .LBB235_163
; %bb.162:                              ;   in Loop: Header=BB235_146 Depth=1
	v_and_b32_e32 v16, 7, v2
	v_ffbh_u32_e32 v20, v16
	v_min_u32_e32 v31, 32, v20
	v_subrev_u32_e32 v20, 28, v31
	v_lshlrev_b64 v[20:21], v20, v[2:3]
	v_lshrrev_b32_e32 v19, 3, v18
	v_sub_u32_e32 v21, 29, v31
	v_cmp_gt_u32_e32 vcc, 8, v18
	v_lshlrev_b32_e32 v2, 8, v2
	s_nop 0
	v_cndmask_b32_e32 v18, v19, v21, vcc
	v_lshl_add_u32 v18, v18, 10, v30
	v_and_b32_e32 v19, 7, v20
	v_and_b32_e32 v18, 0xfc00, v18
	v_cndmask_b32_e32 v16, v16, v19, vcc
	v_and_or_b32 v2, v2, s30, v18
	v_lshl_or_b32 v16, v16, 7, v2
.LBB235_163:                            ;   in Loop: Header=BB235_146 Depth=1
	s_or_b64 exec, exec, s[18:19]
.LBB235_164:                            ;   in Loop: Header=BB235_146 Depth=1
	s_or_b64 exec, exec, s[16:17]
.LBB235_165:                            ;   in Loop: Header=BB235_146 Depth=1
	s_or_b64 exec, exec, s[0:1]
	v_cmp_lt_u32_e32 vcc, s7, v14
	s_and_saveexec_b64 s[0:1], vcc
	s_cbranch_execz .LBB235_171
; %bb.166:                              ;   in Loop: Header=BB235_146 Depth=1
	v_lshrrev_b32_e32 v2, 24, v14
	v_cmp_ne_u32_e32 vcc, s28, v2
	v_bfrev_b32_e32 v17, 1
	s_and_saveexec_b64 s[16:17], vcc
	s_cbranch_execz .LBB235_170
; %bb.167:                              ;   in Loop: Header=BB235_146 Depth=1
	v_and_b32_e32 v18, 0x7f, v2
	v_cmp_ne_u32_e32 vcc, s29, v18
	v_mov_b32_e32 v17, 0x7c010000
	s_and_saveexec_b64 s[18:19], vcc
	s_cbranch_execz .LBB235_169
; %bb.168:                              ;   in Loop: Header=BB235_146 Depth=1
	v_and_b32_e32 v17, 7, v2
	v_ffbh_u32_e32 v20, v17
	v_min_u32_e32 v31, 32, v20
	v_subrev_u32_e32 v20, 28, v31
	v_lshlrev_b64 v[20:21], v20, v[2:3]
	v_lshrrev_b32_e32 v19, 3, v18
	v_sub_u32_e32 v21, 29, v31
	v_cmp_gt_u32_e32 vcc, 8, v18
	v_lshlrev_b32_e32 v2, 8, v2
	s_nop 0
	v_cndmask_b32_e32 v18, v19, v21, vcc
	v_lshl_add_u32 v18, v18, 10, v30
	v_and_b32_e32 v19, 7, v20
	v_and_or_b32 v2, v2, s30, v18
	v_cndmask_b32_e32 v17, v17, v19, vcc
	v_lshlrev_b32_e32 v2, 16, v2
	v_lshl_or_b32 v17, v17, 23, v2
.LBB235_169:                            ;   in Loop: Header=BB235_146 Depth=1
	s_or_b64 exec, exec, s[18:19]
.LBB235_170:                            ;   in Loop: Header=BB235_146 Depth=1
	s_or_b64 exec, exec, s[16:17]
.LBB235_171:                            ;   in Loop: Header=BB235_146 Depth=1
	s_or_b64 exec, exec, s[0:1]
	v_mov_b32_e32 v2, v15
	v_cmp_ne_u16_sdwa s[16:17], v15, v3 src0_sel:BYTE_0 src1_sel:DWORD
	v_mov_b32_e32 v18, 0
	v_mov_b32_e32 v19, 0
	s_and_saveexec_b64 s[0:1], s[16:17]
	s_cbranch_execz .LBB235_177
; %bb.172:                              ;   in Loop: Header=BB235_146 Depth=1
	v_cmp_ne_u16_sdwa s[18:19], v15, s28 src0_sel:BYTE_0 src1_sel:DWORD
	v_mov_b32_e32 v19, 0x8000
	s_and_saveexec_b64 s[16:17], s[18:19]
	s_cbranch_execz .LBB235_176
; %bb.173:                              ;   in Loop: Header=BB235_146 Depth=1
	v_and_b32_e32 v20, 0x7f, v15
	v_cmp_ne_u32_e32 vcc, s29, v20
	v_mov_b32_e32 v19, 0x7c01
	s_and_saveexec_b64 s[18:19], vcc
	s_cbranch_execz .LBB235_175
; %bb.174:                              ;   in Loop: Header=BB235_146 Depth=1
	v_and_b32_e32 v19, 7, v15
	v_ffbh_u32_e32 v31, v19
	v_min_u32_e32 v31, 32, v31
	v_lshrrev_b32_e32 v21, 3, v20
	v_subrev_u32_e32 v32, 28, v31
	v_sub_u32_e32 v31, 29, v31
	v_cmp_gt_u32_e32 vcc, 8, v20
	v_lshlrev_b64 v[32:33], v32, v[2:3]
	s_nop 0
	v_cndmask_b32_e32 v20, v21, v31, vcc
	v_lshl_add_u32 v20, v20, 10, v30
	v_lshlrev_b32_e32 v21, 8, v15
	v_and_b32_e32 v31, 7, v32
	v_and_b32_e32 v20, 0xfc00, v20
	v_cndmask_b32_e32 v19, v19, v31, vcc
	v_and_or_b32 v20, v21, s30, v20
	v_lshl_or_b32 v19, v19, 7, v20
.LBB235_175:                            ;   in Loop: Header=BB235_146 Depth=1
	s_or_b64 exec, exec, s[18:19]
.LBB235_176:                            ;   in Loop: Header=BB235_146 Depth=1
	s_or_b64 exec, exec, s[16:17]
.LBB235_177:                            ;   in Loop: Header=BB235_146 Depth=1
	s_or_b64 exec, exec, s[0:1]
	v_lshrrev_b16_e32 v2, 8, v2
	v_cmp_ne_u16_e32 vcc, 0, v2
	v_mov_b32_e32 v20, 0
	s_and_saveexec_b64 s[0:1], vcc
	s_cbranch_execz .LBB235_183
; %bb.178:                              ;   in Loop: Header=BB235_146 Depth=1
	v_cmp_ne_u16_e32 vcc, s28, v2
	v_bfrev_b32_e32 v20, 1
	s_and_saveexec_b64 s[16:17], vcc
	s_cbranch_execz .LBB235_182
; %bb.179:                              ;   in Loop: Header=BB235_146 Depth=1
	v_and_b32_e32 v21, 0x7f, v2
	v_cmp_ne_u32_e32 vcc, s29, v21
	v_mov_b32_e32 v20, 0x7c010000
	s_and_saveexec_b64 s[18:19], vcc
	s_cbranch_execz .LBB235_181
; %bb.180:                              ;   in Loop: Header=BB235_146 Depth=1
	v_and_b32_e32 v20, 7, v2
	v_ffbh_u32_e32 v32, v20
	v_min_u32_e32 v34, 32, v32
	v_subrev_u32_e32 v32, 28, v34
	v_lshlrev_b64 v[32:33], v32, v[2:3]
	v_lshrrev_b32_e32 v31, 3, v21
	v_sub_u32_e32 v33, 29, v34
	v_cmp_gt_u32_e32 vcc, 8, v21
	v_lshlrev_b32_e32 v2, 8, v2
	s_nop 0
	v_cndmask_b32_e32 v21, v31, v33, vcc
	v_lshl_add_u32 v21, v21, 10, v30
	v_and_b32_e32 v31, 7, v32
	v_and_or_b32 v2, v2, s30, v21
	v_cndmask_b32_e32 v20, v20, v31, vcc
	v_lshlrev_b32_e32 v2, 16, v2
	v_lshl_or_b32 v20, v20, 23, v2
.LBB235_181:                            ;   in Loop: Header=BB235_146 Depth=1
	s_or_b64 exec, exec, s[18:19]
.LBB235_182:                            ;   in Loop: Header=BB235_146 Depth=1
	s_or_b64 exec, exec, s[16:17]
.LBB235_183:                            ;   in Loop: Header=BB235_146 Depth=1
	s_or_b64 exec, exec, s[0:1]
	v_lshrrev_b32_e32 v2, 16, v15
	v_cmp_ne_u16_sdwa s[16:17], v2, v3 src0_sel:BYTE_0 src1_sel:DWORD
	s_and_saveexec_b64 s[0:1], s[16:17]
	s_cbranch_execz .LBB235_189
; %bb.184:                              ;   in Loop: Header=BB235_146 Depth=1
	v_cmp_ne_u16_sdwa s[18:19], v2, s28 src0_sel:BYTE_0 src1_sel:DWORD
	v_mov_b32_e32 v18, 0x8000
	s_and_saveexec_b64 s[16:17], s[18:19]
	s_cbranch_execz .LBB235_188
; %bb.185:                              ;   in Loop: Header=BB235_146 Depth=1
	v_bfe_u32 v21, v15, 16, 7
	v_cmp_ne_u32_e32 vcc, s29, v21
	v_mov_b32_e32 v18, 0x7c01
	s_and_saveexec_b64 s[18:19], vcc
	s_cbranch_execz .LBB235_187
; %bb.186:                              ;   in Loop: Header=BB235_146 Depth=1
	v_and_b32_e32 v18, 7, v2
	v_ffbh_u32_e32 v32, v18
	v_min_u32_e32 v34, 32, v32
	v_subrev_u32_e32 v32, 28, v34
	v_lshlrev_b64 v[32:33], v32, v[2:3]
	v_lshrrev_b32_e32 v31, 3, v21
	v_sub_u32_e32 v33, 29, v34
	v_cmp_gt_u32_e32 vcc, 8, v21
	v_lshlrev_b32_e32 v2, 8, v2
	s_nop 0
	v_cndmask_b32_e32 v21, v31, v33, vcc
	v_lshl_add_u32 v21, v21, 10, v30
	v_and_b32_e32 v31, 7, v32
	v_and_b32_e32 v21, 0xfc00, v21
	v_cndmask_b32_e32 v18, v18, v31, vcc
	v_and_or_b32 v2, v2, s30, v21
	v_lshl_or_b32 v18, v18, 7, v2
.LBB235_187:                            ;   in Loop: Header=BB235_146 Depth=1
	s_or_b64 exec, exec, s[18:19]
.LBB235_188:                            ;   in Loop: Header=BB235_146 Depth=1
	s_or_b64 exec, exec, s[16:17]
.LBB235_189:                            ;   in Loop: Header=BB235_146 Depth=1
	s_or_b64 exec, exec, s[0:1]
	v_cmp_lt_u64_e32 vcc, s[6:7], v[14:15]
	v_mov_b32_e32 v21, 0
	s_and_saveexec_b64 s[0:1], vcc
	s_cbranch_execz .LBB235_195
; %bb.190:                              ;   in Loop: Header=BB235_146 Depth=1
	v_lshrrev_b32_e32 v2, 24, v15
	v_cmp_ne_u32_e32 vcc, s28, v2
	v_bfrev_b32_e32 v21, 1
	s_and_saveexec_b64 s[16:17], vcc
	s_cbranch_execz .LBB235_194
; %bb.191:                              ;   in Loop: Header=BB235_146 Depth=1
	v_and_b32_e32 v14, 0x7f, v2
	v_cmp_ne_u32_e32 vcc, s29, v14
	v_mov_b32_e32 v21, 0x7c010000
	s_and_saveexec_b64 s[18:19], vcc
	s_cbranch_execz .LBB235_193
; %bb.192:                              ;   in Loop: Header=BB235_146 Depth=1
	v_and_b32_e32 v15, 7, v2
	v_ffbh_u32_e32 v31, v15
	v_min_u32_e32 v31, 32, v31
	v_lshrrev_b32_e32 v21, 3, v14
	v_subrev_u32_e32 v32, 28, v31
	v_sub_u32_e32 v31, 29, v31
	v_cmp_gt_u32_e32 vcc, 8, v14
	v_lshlrev_b64 v[32:33], v32, v[2:3]
	v_lshlrev_b32_e32 v2, 8, v2
	v_cndmask_b32_e32 v14, v21, v31, vcc
	v_lshl_add_u32 v14, v14, 10, v30
	v_and_b32_e32 v21, 7, v32
	v_and_or_b32 v2, v2, s30, v14
	v_cndmask_b32_e32 v15, v15, v21, vcc
	v_lshlrev_b32_e32 v2, 16, v2
	v_lshl_or_b32 v21, v15, 23, v2
.LBB235_193:                            ;   in Loop: Header=BB235_146 Depth=1
	s_or_b64 exec, exec, s[18:19]
.LBB235_194:                            ;   in Loop: Header=BB235_146 Depth=1
	s_or_b64 exec, exec, s[16:17]
.LBB235_195:                            ;   in Loop: Header=BB235_146 Depth=1
	s_or_b64 exec, exec, s[0:1]
	v_cvt_f32_f16_sdwa v15, v1 dst_sel:DWORD dst_unused:UNUSED_PAD src0_sel:WORD_1
	v_cvt_f32_f16_sdwa v14, v17 dst_sel:DWORD dst_unused:UNUSED_PAD src0_sel:WORD_1
	v_or_b32_e32 v1, v1, v13
	v_or_b32_e32 v2, v17, v16
	v_cvt_f32_f16_e32 v16, v2
	v_cvt_f32_f16_e32 v17, v1
	s_waitcnt vmcnt(0)
	v_pk_mul_f32 v[14:15], v[12:13], v[14:15] op_sel_hi:[0,1]
	v_cvt_pk_f16_f32 v1, v14, v15
	v_and_b32_e32 v13, 0xffff0000, v1
	v_pk_mul_f32 v[16:17], v[12:13], v[16:17] op_sel_hi:[0,1]
	v_lshlrev_b32_e32 v14, 16, v1
	v_cvt_pk_f16_f32 v1, v16, v17
	v_or_b32_e32 v2, v20, v19
	v_or_b32_e32 v17, v21, v18
	v_cvt_f32_f16_e32 v18, v17
	v_cvt_f32_f16_e32 v19, v2
	v_cvt_f32_f16_sdwa v33, v20 dst_sel:DWORD dst_unused:UNUSED_PAD src0_sel:WORD_1
	v_cvt_f32_f16_sdwa v32, v21 dst_sel:DWORD dst_unused:UNUSED_PAD src0_sel:WORD_1
	v_add_u32_e32 v31, v27, v23
	v_pk_mul_f32 v[18:19], v[12:13], v[18:19] op_sel_hi:[0,1]
	v_cvt_pk_f16_f32 v20, v18, v19
	v_pk_mul_f32 v[18:19], v[12:13], v[32:33] op_sel_hi:[0,1]
	v_cvt_pk_f16_f32 v12, v18, v19
	v_lshrrev_b32_e32 v15, 16, v1
	v_and_b32_e32 v16, 0xffff, v1
	v_and_b32_e32 v17, 0xffff0000, v12
	v_lshlrev_b32_e32 v12, 16, v12
	v_lshrrev_b32_e32 v21, 16, v20
	v_and_b32_e32 v20, 0xffff, v20
	v_cmp_eq_u32_e32 vcc, s35, v22
	v_or_b32_e32 v1, v13, v15
	v_or_b32_e32 v2, v14, v16
	;; [unrolled: 1-line block ×4, first 2 shown]
	v_add_u32_e32 v38, 2, v31
	v_or_b32_e32 v37, 1, v31
	v_or_b32_e32 v36, 3, v31
	;; [unrolled: 1-line block ×6, first 2 shown]
	s_and_saveexec_b64 s[16:17], vcc
	s_cbranch_execz .LBB235_197
; %bb.196:                              ;   in Loop: Header=BB235_146 Depth=1
	v_cmp_gt_i32_e64 s[0:1], s38, v31
	s_nop 1
	v_cndmask_b32_e64 v1, 0, v15, s[0:1]
	v_cmp_gt_i32_e64 s[0:1], s11, v38
	s_nop 1
	v_cndmask_b32_e64 v2, 0, v16, s[0:1]
	;; [unrolled: 3-line block ×3, first 2 shown]
	v_cmp_gt_i32_e64 s[0:1], s11, v36
	v_or_b32_e32 v1, v13, v1
	s_nop 0
	v_cndmask_b32_e64 v14, 0, v14, s[0:1]
	v_cmp_gt_i32_e64 s[0:1], s38, v35
	v_or_b32_e32 v2, v14, v2
	s_nop 0
	v_cndmask_b32_e64 v13, 0, v21, s[0:1]
	v_cmp_gt_i32_e64 s[0:1], s11, v34
	s_nop 1
	v_cndmask_b32_e64 v14, 0, v20, s[0:1]
	v_cmp_gt_i32_e64 s[0:1], s38, v33
	;; [unrolled: 3-line block ×3, first 2 shown]
	v_or_b32_e32 v19, v15, v13
	s_nop 0
	v_cndmask_b32_e64 v12, 0, v12, s[0:1]
	v_or_b32_e32 v18, v12, v14
.LBB235_197:                            ;   in Loop: Header=BB235_146 Depth=1
	s_or_b64 exec, exec, s[16:17]
	v_and_b32_e32 v12, 0xffff, v39
	v_lshl_or_b32 v40, v40, 16, v12
	v_and_b32_e32 v12, 0xffff, v41
	v_lshl_or_b32 v39, v42, 16, v12
	;; [unrolled: 2-line block ×3, first 2 shown]
	v_and_b32_e32 v12, 0xffff, v45
	;;#ASMSTART
	v_pk_mul_f16 v1, v40, v1;

	;;#ASMEND
	v_lshl_or_b32 v20, v46, 16, v12
	;;#ASMSTART
	v_pk_mul_f16 v2, v39, v2;

	;;#ASMEND
	;;#ASMSTART
	v_pk_mul_f16 v12, v21, v19;

	;;#ASMEND
	;; [unrolled: 4-line block ×3, first 2 shown]
	s_nop 0
	;;#ASMSTART
	v_pk_add_f16 v1, v1, v2;

	;;#ASMEND
	s_nop 0
	;;#ASMSTART
	v_pk_add_f16 v1, v1, v12;

	;;#ASMEND
	;; [unrolled: 5-line block ×3, first 2 shown]
	s_nop 0
	v_lshrrev_b32_e32 v2, 16, v1
	v_and_b32_e32 v1, 0xffff, v1
	;;#ASMSTART
	v_cvt_f32_f16 v41, v1;
	;;#ASMEND
	;;#ASMSTART
	v_cvt_f32_f16 v42, v2;
	;;#ASMEND
	global_load_dwordx2 v[12:13], v[10:11], off offset:512
	v_mov_b32_e32 v1, 0
	global_load_dword v10, v1, s[14:15]
	v_mov_b32_e32 v11, 0
	s_waitcnt vmcnt(1)
	v_cmp_ne_u16_sdwa s[0:1], v12, v3 src0_sel:BYTE_0 src1_sel:DWORD
	s_and_saveexec_b64 s[16:17], s[0:1]
	s_cbranch_execz .LBB235_203
; %bb.198:                              ;   in Loop: Header=BB235_146 Depth=1
	v_cmp_ne_u16_sdwa s[0:1], v12, s28 src0_sel:BYTE_0 src1_sel:DWORD
	v_mov_b32_e32 v11, 0x8000
	s_and_saveexec_b64 s[18:19], s[0:1]
	s_cbranch_execz .LBB235_202
; %bb.199:                              ;   in Loop: Header=BB235_146 Depth=1
	v_and_b32_e32 v2, 0x7f, v12
	v_cmp_ne_u32_e64 s[0:1], s29, v2
	v_mov_b32_e32 v11, 0x7c01
	s_and_saveexec_b64 s[20:21], s[0:1]
	s_cbranch_execz .LBB235_201
; %bb.200:                              ;   in Loop: Header=BB235_146 Depth=1
	v_and_b32_e32 v11, 7, v12
	v_ffbh_u32_e32 v14, v11
	v_min_u32_e32 v17, 32, v14
	v_subrev_u32_e32 v14, 28, v17
	v_lshlrev_b64 v[14:15], v14, v[12:13]
	v_lshrrev_b32_e32 v16, 3, v2
	v_sub_u32_e32 v15, 29, v17
	v_cmp_gt_u32_e64 s[0:1], 8, v2
	v_and_b32_e32 v14, 7, v14
	s_nop 0
	v_cndmask_b32_e64 v2, v16, v15, s[0:1]
	v_lshl_add_u32 v2, v2, 10, v30
	v_lshlrev_b32_e32 v15, 8, v12
	v_and_b32_e32 v2, 0xfc00, v2
	v_cndmask_b32_e64 v11, v11, v14, s[0:1]
	v_and_or_b32 v2, v15, s30, v2
	v_lshl_or_b32 v11, v11, 7, v2
.LBB235_201:                            ;   in Loop: Header=BB235_146 Depth=1
	s_or_b64 exec, exec, s[20:21]
.LBB235_202:                            ;   in Loop: Header=BB235_146 Depth=1
	s_or_b64 exec, exec, s[18:19]
.LBB235_203:                            ;   in Loop: Header=BB235_146 Depth=1
	s_or_b64 exec, exec, s[16:17]
	v_lshrrev_b16_e32 v2, 8, v12
	v_cmp_ne_u16_e64 s[0:1], 0, v2
	s_and_saveexec_b64 s[16:17], s[0:1]
	s_cbranch_execz .LBB235_209
; %bb.204:                              ;   in Loop: Header=BB235_146 Depth=1
	v_cmp_ne_u16_e64 s[0:1], s28, v2
	v_bfrev_b32_e32 v1, 1
	s_and_saveexec_b64 s[18:19], s[0:1]
	s_cbranch_execz .LBB235_208
; %bb.205:                              ;   in Loop: Header=BB235_146 Depth=1
	v_and_b32_e32 v14, 0x7f, v2
	v_cmp_ne_u32_e64 s[0:1], s29, v14
	v_mov_b32_e32 v1, 0x7c010000
	s_and_saveexec_b64 s[20:21], s[0:1]
	s_cbranch_execz .LBB235_207
; %bb.206:                              ;   in Loop: Header=BB235_146 Depth=1
	v_and_b32_e32 v1, 7, v2
	v_ffbh_u32_e32 v16, v1
	v_min_u32_e32 v18, 32, v16
	v_subrev_u32_e32 v16, 28, v18
	v_lshlrev_b64 v[16:17], v16, v[2:3]
	v_lshrrev_b32_e32 v15, 3, v14
	v_sub_u32_e32 v17, 29, v18
	v_cmp_gt_u32_e64 s[0:1], 8, v14
	v_lshlrev_b32_e32 v2, 8, v2
	s_nop 0
	v_cndmask_b32_e64 v14, v15, v17, s[0:1]
	v_lshl_add_u32 v14, v14, 10, v30
	v_and_b32_e32 v15, 7, v16
	v_and_or_b32 v2, v2, s30, v14
	v_cndmask_b32_e64 v1, v1, v15, s[0:1]
	v_lshlrev_b32_e32 v2, 16, v2
	v_lshl_or_b32 v1, v1, 23, v2
.LBB235_207:                            ;   in Loop: Header=BB235_146 Depth=1
	s_or_b64 exec, exec, s[20:21]
.LBB235_208:                            ;   in Loop: Header=BB235_146 Depth=1
	s_or_b64 exec, exec, s[18:19]
.LBB235_209:                            ;   in Loop: Header=BB235_146 Depth=1
	s_or_b64 exec, exec, s[16:17]
	v_lshrrev_b32_e32 v2, 16, v12
	v_cmp_ne_u16_sdwa s[0:1], v2, v3 src0_sel:BYTE_0 src1_sel:DWORD
	v_mov_b32_e32 v15, 0
	v_mov_b32_e32 v14, 0
	s_and_saveexec_b64 s[16:17], s[0:1]
	s_cbranch_execz .LBB235_215
; %bb.210:                              ;   in Loop: Header=BB235_146 Depth=1
	v_cmp_ne_u16_sdwa s[0:1], v2, s28 src0_sel:BYTE_0 src1_sel:DWORD
	v_mov_b32_e32 v14, 0x8000
	s_and_saveexec_b64 s[18:19], s[0:1]
	s_cbranch_execz .LBB235_214
; %bb.211:                              ;   in Loop: Header=BB235_146 Depth=1
	v_bfe_u32 v16, v12, 16, 7
	v_cmp_ne_u32_e64 s[0:1], s29, v16
	v_mov_b32_e32 v14, 0x7c01
	s_and_saveexec_b64 s[20:21], s[0:1]
	s_cbranch_execz .LBB235_213
; %bb.212:                              ;   in Loop: Header=BB235_146 Depth=1
	v_and_b32_e32 v14, 7, v2
	v_ffbh_u32_e32 v18, v14
	v_min_u32_e32 v43, 32, v18
	v_subrev_u32_e32 v18, 28, v43
	v_lshlrev_b64 v[18:19], v18, v[2:3]
	v_lshrrev_b32_e32 v17, 3, v16
	v_sub_u32_e32 v19, 29, v43
	v_cmp_gt_u32_e64 s[0:1], 8, v16
	v_lshlrev_b32_e32 v2, 8, v2
	s_nop 0
	v_cndmask_b32_e64 v16, v17, v19, s[0:1]
	v_lshl_add_u32 v16, v16, 10, v30
	v_and_b32_e32 v17, 7, v18
	v_and_b32_e32 v16, 0xfc00, v16
	v_cndmask_b32_e64 v14, v14, v17, s[0:1]
	v_and_or_b32 v2, v2, s30, v16
	v_lshl_or_b32 v14, v14, 7, v2
.LBB235_213:                            ;   in Loop: Header=BB235_146 Depth=1
	s_or_b64 exec, exec, s[20:21]
.LBB235_214:                            ;   in Loop: Header=BB235_146 Depth=1
	s_or_b64 exec, exec, s[18:19]
.LBB235_215:                            ;   in Loop: Header=BB235_146 Depth=1
	s_or_b64 exec, exec, s[16:17]
	v_cmp_lt_u32_e64 s[0:1], s7, v12
	s_and_saveexec_b64 s[16:17], s[0:1]
	s_cbranch_execz .LBB235_221
; %bb.216:                              ;   in Loop: Header=BB235_146 Depth=1
	v_lshrrev_b32_e32 v2, 24, v12
	v_cmp_ne_u32_e64 s[0:1], s28, v2
	v_bfrev_b32_e32 v15, 1
	s_and_saveexec_b64 s[18:19], s[0:1]
	s_cbranch_execz .LBB235_220
; %bb.217:                              ;   in Loop: Header=BB235_146 Depth=1
	v_and_b32_e32 v16, 0x7f, v2
	v_cmp_ne_u32_e64 s[0:1], s29, v16
	v_mov_b32_e32 v15, 0x7c010000
	s_and_saveexec_b64 s[20:21], s[0:1]
	s_cbranch_execz .LBB235_219
; %bb.218:                              ;   in Loop: Header=BB235_146 Depth=1
	v_and_b32_e32 v15, 7, v2
	v_ffbh_u32_e32 v18, v15
	v_min_u32_e32 v43, 32, v18
	v_subrev_u32_e32 v18, 28, v43
	v_lshlrev_b64 v[18:19], v18, v[2:3]
	v_lshrrev_b32_e32 v17, 3, v16
	v_sub_u32_e32 v19, 29, v43
	v_cmp_gt_u32_e64 s[0:1], 8, v16
	v_lshlrev_b32_e32 v2, 8, v2
	s_nop 0
	v_cndmask_b32_e64 v16, v17, v19, s[0:1]
	v_lshl_add_u32 v16, v16, 10, v30
	v_and_b32_e32 v17, 7, v18
	v_and_or_b32 v2, v2, s30, v16
	v_cndmask_b32_e64 v15, v15, v17, s[0:1]
	v_lshlrev_b32_e32 v2, 16, v2
	v_lshl_or_b32 v15, v15, 23, v2
.LBB235_219:                            ;   in Loop: Header=BB235_146 Depth=1
	s_or_b64 exec, exec, s[20:21]
.LBB235_220:                            ;   in Loop: Header=BB235_146 Depth=1
	s_or_b64 exec, exec, s[18:19]
.LBB235_221:                            ;   in Loop: Header=BB235_146 Depth=1
	s_or_b64 exec, exec, s[16:17]
	v_mov_b32_e32 v2, v13
	v_cmp_ne_u16_sdwa s[0:1], v13, v3 src0_sel:BYTE_0 src1_sel:DWORD
	v_mov_b32_e32 v16, 0
	v_mov_b32_e32 v17, 0
	s_and_saveexec_b64 s[16:17], s[0:1]
	s_cbranch_execz .LBB235_227
; %bb.222:                              ;   in Loop: Header=BB235_146 Depth=1
	v_cmp_ne_u16_sdwa s[0:1], v13, s28 src0_sel:BYTE_0 src1_sel:DWORD
	v_mov_b32_e32 v17, 0x8000
	s_and_saveexec_b64 s[18:19], s[0:1]
	s_cbranch_execz .LBB235_226
; %bb.223:                              ;   in Loop: Header=BB235_146 Depth=1
	v_and_b32_e32 v18, 0x7f, v13
	v_cmp_ne_u32_e64 s[0:1], s29, v18
	v_mov_b32_e32 v17, 0x7c01
	s_and_saveexec_b64 s[20:21], s[0:1]
	s_cbranch_execz .LBB235_225
; %bb.224:                              ;   in Loop: Header=BB235_146 Depth=1
	v_and_b32_e32 v17, 7, v13
	v_ffbh_u32_e32 v43, v17
	v_min_u32_e32 v43, 32, v43
	v_lshrrev_b32_e32 v19, 3, v18
	v_subrev_u32_e32 v44, 28, v43
	v_sub_u32_e32 v43, 29, v43
	v_cmp_gt_u32_e64 s[0:1], 8, v18
	v_lshlrev_b64 v[44:45], v44, v[2:3]
	s_nop 0
	v_cndmask_b32_e64 v18, v19, v43, s[0:1]
	v_lshl_add_u32 v18, v18, 10, v30
	v_lshlrev_b32_e32 v19, 8, v13
	v_and_b32_e32 v43, 7, v44
	v_and_b32_e32 v18, 0xfc00, v18
	v_cndmask_b32_e64 v17, v17, v43, s[0:1]
	v_and_or_b32 v18, v19, s30, v18
	v_lshl_or_b32 v17, v17, 7, v18
.LBB235_225:                            ;   in Loop: Header=BB235_146 Depth=1
	s_or_b64 exec, exec, s[20:21]
.LBB235_226:                            ;   in Loop: Header=BB235_146 Depth=1
	s_or_b64 exec, exec, s[18:19]
.LBB235_227:                            ;   in Loop: Header=BB235_146 Depth=1
	s_or_b64 exec, exec, s[16:17]
	v_lshrrev_b16_e32 v2, 8, v2
	v_cmp_ne_u16_e64 s[0:1], 0, v2
	v_mov_b32_e32 v18, 0
	s_and_saveexec_b64 s[16:17], s[0:1]
	s_cbranch_execz .LBB235_233
; %bb.228:                              ;   in Loop: Header=BB235_146 Depth=1
	v_cmp_ne_u16_e64 s[0:1], s28, v2
	v_bfrev_b32_e32 v18, 1
	s_and_saveexec_b64 s[18:19], s[0:1]
	s_cbranch_execz .LBB235_232
; %bb.229:                              ;   in Loop: Header=BB235_146 Depth=1
	v_and_b32_e32 v19, 0x7f, v2
	v_cmp_ne_u32_e64 s[0:1], s29, v19
	v_mov_b32_e32 v18, 0x7c010000
	s_and_saveexec_b64 s[20:21], s[0:1]
	s_cbranch_execz .LBB235_231
; %bb.230:                              ;   in Loop: Header=BB235_146 Depth=1
	v_and_b32_e32 v18, 7, v2
	v_ffbh_u32_e32 v44, v18
	v_min_u32_e32 v46, 32, v44
	v_subrev_u32_e32 v44, 28, v46
	v_lshlrev_b64 v[44:45], v44, v[2:3]
	v_lshrrev_b32_e32 v43, 3, v19
	v_sub_u32_e32 v45, 29, v46
	v_cmp_gt_u32_e64 s[0:1], 8, v19
	v_lshlrev_b32_e32 v2, 8, v2
	s_nop 0
	v_cndmask_b32_e64 v19, v43, v45, s[0:1]
	v_lshl_add_u32 v19, v19, 10, v30
	v_and_b32_e32 v43, 7, v44
	v_and_or_b32 v2, v2, s30, v19
	v_cndmask_b32_e64 v18, v18, v43, s[0:1]
	v_lshlrev_b32_e32 v2, 16, v2
	v_lshl_or_b32 v18, v18, 23, v2
.LBB235_231:                            ;   in Loop: Header=BB235_146 Depth=1
	s_or_b64 exec, exec, s[20:21]
.LBB235_232:                            ;   in Loop: Header=BB235_146 Depth=1
	s_or_b64 exec, exec, s[18:19]
.LBB235_233:                            ;   in Loop: Header=BB235_146 Depth=1
	s_or_b64 exec, exec, s[16:17]
	v_lshrrev_b32_e32 v2, 16, v13
	v_cmp_ne_u16_sdwa s[0:1], v2, v3 src0_sel:BYTE_0 src1_sel:DWORD
	s_and_saveexec_b64 s[16:17], s[0:1]
	s_cbranch_execz .LBB235_239
; %bb.234:                              ;   in Loop: Header=BB235_146 Depth=1
	v_cmp_ne_u16_sdwa s[0:1], v2, s28 src0_sel:BYTE_0 src1_sel:DWORD
	v_mov_b32_e32 v16, 0x8000
	s_and_saveexec_b64 s[18:19], s[0:1]
	s_cbranch_execz .LBB235_238
; %bb.235:                              ;   in Loop: Header=BB235_146 Depth=1
	v_bfe_u32 v19, v13, 16, 7
	v_cmp_ne_u32_e64 s[0:1], s29, v19
	v_mov_b32_e32 v16, 0x7c01
	s_and_saveexec_b64 s[20:21], s[0:1]
	s_cbranch_execz .LBB235_237
; %bb.236:                              ;   in Loop: Header=BB235_146 Depth=1
	v_and_b32_e32 v16, 7, v2
	v_ffbh_u32_e32 v44, v16
	v_min_u32_e32 v46, 32, v44
	v_subrev_u32_e32 v44, 28, v46
	v_lshlrev_b64 v[44:45], v44, v[2:3]
	v_lshrrev_b32_e32 v43, 3, v19
	v_sub_u32_e32 v45, 29, v46
	v_cmp_gt_u32_e64 s[0:1], 8, v19
	v_lshlrev_b32_e32 v2, 8, v2
	s_nop 0
	v_cndmask_b32_e64 v19, v43, v45, s[0:1]
	v_lshl_add_u32 v19, v19, 10, v30
	v_and_b32_e32 v43, 7, v44
	v_and_b32_e32 v19, 0xfc00, v19
	v_cndmask_b32_e64 v16, v16, v43, s[0:1]
	v_and_or_b32 v2, v2, s30, v19
	v_lshl_or_b32 v16, v16, 7, v2
.LBB235_237:                            ;   in Loop: Header=BB235_146 Depth=1
	s_or_b64 exec, exec, s[20:21]
.LBB235_238:                            ;   in Loop: Header=BB235_146 Depth=1
	s_or_b64 exec, exec, s[18:19]
.LBB235_239:                            ;   in Loop: Header=BB235_146 Depth=1
	s_or_b64 exec, exec, s[16:17]
	v_cmp_lt_u64_e64 s[0:1], s[6:7], v[12:13]
	v_mov_b32_e32 v12, 0
	s_and_saveexec_b64 s[16:17], s[0:1]
	s_cbranch_execz .LBB235_245
; %bb.240:                              ;   in Loop: Header=BB235_146 Depth=1
	v_lshrrev_b32_e32 v2, 24, v13
	v_cmp_ne_u32_e64 s[0:1], s28, v2
	v_bfrev_b32_e32 v12, 1
	s_and_saveexec_b64 s[18:19], s[0:1]
	s_cbranch_execz .LBB235_244
; %bb.241:                              ;   in Loop: Header=BB235_146 Depth=1
	v_and_b32_e32 v13, 0x7f, v2
	v_cmp_ne_u32_e64 s[0:1], s29, v13
	v_mov_b32_e32 v12, 0x7c010000
	s_and_saveexec_b64 s[20:21], s[0:1]
	s_cbranch_execz .LBB235_243
; %bb.242:                              ;   in Loop: Header=BB235_146 Depth=1
	v_and_b32_e32 v12, 7, v2
	v_ffbh_u32_e32 v43, v12
	v_min_u32_e32 v43, 32, v43
	v_lshrrev_b32_e32 v19, 3, v13
	v_subrev_u32_e32 v44, 28, v43
	v_sub_u32_e32 v43, 29, v43
	v_cmp_gt_u32_e64 s[0:1], 8, v13
	v_lshlrev_b64 v[44:45], v44, v[2:3]
	v_lshlrev_b32_e32 v2, 8, v2
	v_cndmask_b32_e64 v13, v19, v43, s[0:1]
	v_lshl_add_u32 v13, v13, 10, v30
	v_and_b32_e32 v19, 7, v44
	v_and_or_b32 v2, v2, s30, v13
	v_cndmask_b32_e64 v12, v12, v19, s[0:1]
	v_lshlrev_b32_e32 v2, 16, v2
	v_lshl_or_b32 v12, v12, 23, v2
.LBB235_243:                            ;   in Loop: Header=BB235_146 Depth=1
	s_or_b64 exec, exec, s[20:21]
.LBB235_244:                            ;   in Loop: Header=BB235_146 Depth=1
	s_or_b64 exec, exec, s[18:19]
.LBB235_245:                            ;   in Loop: Header=BB235_146 Depth=1
	s_or_b64 exec, exec, s[16:17]
	v_cvt_f32_f16_sdwa v45, v1 dst_sel:DWORD dst_unused:UNUSED_PAD src0_sel:WORD_1
	v_cvt_f32_f16_sdwa v44, v15 dst_sel:DWORD dst_unused:UNUSED_PAD src0_sel:WORD_1
	v_or_b32_e32 v1, v1, v11
	v_or_b32_e32 v2, v15, v14
	;; [unrolled: 1-line block ×3, first 2 shown]
	s_waitcnt vmcnt(0)
	v_pk_mul_f32 v[14:15], v[10:11], v[44:45] op_sel_hi:[0,1]
	v_cvt_f32_f16_e32 v44, v2
	v_cvt_f32_f16_e32 v45, v1
	v_cvt_pk_f16_f32 v1, v14, v15
	v_and_b32_e32 v11, 0xffff0000, v1
	v_lshlrev_b32_e32 v2, 16, v1
	v_pk_mul_f32 v[14:15], v[10:11], v[44:45] op_sel_hi:[0,1]
	v_cvt_pk_f16_f32 v1, v14, v15
	v_or_b32_e32 v15, v18, v17
	v_cvt_f32_f16_e32 v16, v16
	v_cvt_f32_f16_e32 v17, v15
	v_cvt_f32_f16_sdwa v19, v18 dst_sel:DWORD dst_unused:UNUSED_PAD src0_sel:WORD_1
	v_cvt_f32_f16_sdwa v18, v12 dst_sel:DWORD dst_unused:UNUSED_PAD src0_sel:WORD_1
	v_lshrrev_b32_e32 v13, 16, v1
	v_pk_mul_f32 v[16:17], v[10:11], v[16:17] op_sel_hi:[0,1]
	v_cvt_pk_f16_f32 v43, v16, v17
	v_pk_mul_f32 v[16:17], v[10:11], v[18:19] op_sel_hi:[0,1]
	v_cvt_pk_f16_f32 v10, v16, v17
	v_and_b32_e32 v14, 0xffff, v1
	v_and_b32_e32 v15, 0xffff0000, v10
	v_lshlrev_b32_e32 v10, 16, v10
	v_lshrrev_b32_e32 v17, 16, v43
	v_and_b32_e32 v16, 0xffff, v43
	v_or_b32_e32 v1, v11, v13
	v_or_b32_e32 v12, v2, v14
	;; [unrolled: 1-line block ×4, first 2 shown]
	s_and_saveexec_b64 s[0:1], vcc
	s_cbranch_execz .LBB235_144
; %bb.246:                              ;   in Loop: Header=BB235_146 Depth=1
	v_cmp_gt_i32_e32 vcc, s38, v31
	s_nop 1
	v_cndmask_b32_e32 v1, 0, v13, vcc
	v_cmp_gt_i32_e32 vcc, s11, v38
	s_nop 1
	v_cndmask_b32_e32 v12, 0, v14, vcc
	;; [unrolled: 3-line block ×3, first 2 shown]
	v_cmp_gt_i32_e32 vcc, s11, v36
	v_or_b32_e32 v1, v11, v1
	s_nop 0
	v_cndmask_b32_e32 v2, 0, v2, vcc
	v_cmp_gt_i32_e32 vcc, s38, v35
	v_or_b32_e32 v12, v2, v12
	s_nop 0
	v_cndmask_b32_e32 v2, 0, v17, vcc
	v_cmp_gt_i32_e32 vcc, s11, v34
	s_nop 1
	v_cndmask_b32_e32 v11, 0, v16, vcc
	v_cmp_gt_i32_e32 vcc, s38, v33
	s_nop 1
	v_cndmask_b32_e32 v13, 0, v15, vcc
	v_cmp_gt_i32_e32 vcc, s11, v32
	v_or_b32_e32 v19, v13, v2
	s_nop 0
	v_cndmask_b32_e32 v10, 0, v10, vcc
	v_or_b32_e32 v18, v10, v11
	s_branch .LBB235_144
.LBB235_247:
	s_or_b64 exec, exec, s[8:9]
.LBB235_248:
	s_or_b64 exec, exec, s[2:3]
	ds_bpermute_b32 v2, v25, v4
	ds_bpermute_b32 v3, v25, v5
	v_and_b32_e32 v1, 0x3c1, v0
	v_cmp_eq_u32_e32 vcc, 64, v1
	s_waitcnt lgkmcnt(0)
	s_barrier
	v_pk_add_f32 v[2:3], v[4:5], v[2:3]
	s_and_saveexec_b64 s[0:1], vcc
; %bb.249:
	v_mov_b32_e32 v4, 0x90
	v_lshl_add_u32 v4, v24, 1, v4
	ds_write2_b32 v4, v2, v3 offset1:32
; %bb.250:
	s_or_b64 exec, exec, s[0:1]
	v_cmp_gt_u32_e32 vcc, 64, v0
	v_lshrrev_b32_e32 v0, 1, v0
	s_waitcnt lgkmcnt(0)
	s_barrier
	s_and_saveexec_b64 s[0:1], vcc
	s_cbranch_execz .LBB235_256
; %bb.251:
	v_mov_b32_e32 v4, 0x90
	v_cmp_eq_u32_e32 vcc, 0, v26
	v_lshl_add_u32 v4, v0, 2, v4
	s_and_saveexec_b64 s[2:3], vcc
	s_cbranch_execz .LBB235_253
; %bb.252:
	ds_read_b32 v5, v4
	s_waitcnt lgkmcnt(0)
	v_add_f32_e32 v2, v2, v5
.LBB235_253:
	s_or_b64 exec, exec, s[2:3]
	s_and_saveexec_b64 s[2:3], vcc
	s_cbranch_execz .LBB235_255
; %bb.254:
	ds_read_b32 v4, v4 offset:128
	s_waitcnt lgkmcnt(0)
	v_add_f32_e32 v3, v3, v4
.LBB235_255:
	s_or_b64 exec, exec, s[2:3]
.LBB235_256:
	s_or_b64 exec, exec, s[0:1]
	v_cmp_eq_u32_e32 vcc, 0, v1
	s_barrier
	s_and_saveexec_b64 s[0:1], vcc
	s_cbranch_execz .LBB235_258
; %bb.257:
	s_mul_i32 s0, s10, s23
	s_mul_i32 s0, s0, s5
	s_lshl_b32 s0, s0, 6
	s_ashr_i32 s1, s0, 31
	s_lshl_b64 s[0:1], s[0:1], 1
	s_add_u32 s2, s26, s0
	s_mul_i32 s0, s23, s24
	s_addc_u32 s3, s27, s1
	s_ashr_i32 s1, s0, 31
	s_lshl_b64 s[0:1], s[0:1], 1
	s_add_u32 s2, s2, s0
	s_addc_u32 s3, s3, s1
	s_lshl_b32 s0, s4, 6
	s_ashr_i32 s1, s0, 31
	s_lshl_b64 s[0:1], s[0:1], 1
	s_add_u32 s0, s2, s0
	s_addc_u32 s1, s3, s1
	v_lshlrev_b32_e32 v0, 1, v0
	;;#ASMSTART
	v_cvt_f16_f32 v1, v2;

	;;#ASMEND
	global_store_short v0, v1, s[0:1]
	;;#ASMSTART
	v_cvt_f16_f32 v1, v3;

	;;#ASMEND
	global_store_short v0, v1, s[0:1] offset:64
.LBB235_258:
	s_endpgm
	.section	.rodata,"a",@progbits
	.p2align	6, 0x0
	.amdhsa_kernel _ZN4vllm25paged_attention_v1_kernelIthLi64ELi16ELi128ELNS_18Fp8KVCacheDataTypeE1ELb1EEEvPT_PKS2_PKT0_S8_ifPKiSA_iPKfiiiSC_SC_iiiii
		.amdhsa_group_segment_fixed_size 144
		.amdhsa_private_segment_fixed_size 0
		.amdhsa_kernarg_size 384
		.amdhsa_user_sgpr_count 2
		.amdhsa_user_sgpr_dispatch_ptr 0
		.amdhsa_user_sgpr_queue_ptr 0
		.amdhsa_user_sgpr_kernarg_segment_ptr 1
		.amdhsa_user_sgpr_dispatch_id 0
		.amdhsa_user_sgpr_kernarg_preload_length 0
		.amdhsa_user_sgpr_kernarg_preload_offset 0
		.amdhsa_user_sgpr_private_segment_size 0
		.amdhsa_uses_dynamic_stack 0
		.amdhsa_enable_private_segment 0
		.amdhsa_system_sgpr_workgroup_id_x 1
		.amdhsa_system_sgpr_workgroup_id_y 1
		.amdhsa_system_sgpr_workgroup_id_z 1
		.amdhsa_system_sgpr_workgroup_info 0
		.amdhsa_system_vgpr_workitem_id 0
		.amdhsa_next_free_vgpr 48
		.amdhsa_next_free_sgpr 55
		.amdhsa_accum_offset 48
		.amdhsa_reserve_vcc 1
		.amdhsa_float_round_mode_32 0
		.amdhsa_float_round_mode_16_64 0
		.amdhsa_float_denorm_mode_32 3
		.amdhsa_float_denorm_mode_16_64 3
		.amdhsa_dx10_clamp 1
		.amdhsa_ieee_mode 1
		.amdhsa_fp16_overflow 0
		.amdhsa_tg_split 0
		.amdhsa_exception_fp_ieee_invalid_op 0
		.amdhsa_exception_fp_denorm_src 0
		.amdhsa_exception_fp_ieee_div_zero 0
		.amdhsa_exception_fp_ieee_overflow 0
		.amdhsa_exception_fp_ieee_underflow 0
		.amdhsa_exception_fp_ieee_inexact 0
		.amdhsa_exception_int_div_zero 0
	.end_amdhsa_kernel
	.section	.text._ZN4vllm25paged_attention_v1_kernelIthLi64ELi16ELi128ELNS_18Fp8KVCacheDataTypeE1ELb1EEEvPT_PKS2_PKT0_S8_ifPKiSA_iPKfiiiSC_SC_iiiii,"axG",@progbits,_ZN4vllm25paged_attention_v1_kernelIthLi64ELi16ELi128ELNS_18Fp8KVCacheDataTypeE1ELb1EEEvPT_PKS2_PKT0_S8_ifPKiSA_iPKfiiiSC_SC_iiiii,comdat
.Lfunc_end235:
	.size	_ZN4vllm25paged_attention_v1_kernelIthLi64ELi16ELi128ELNS_18Fp8KVCacheDataTypeE1ELb1EEEvPT_PKS2_PKT0_S8_ifPKiSA_iPKfiiiSC_SC_iiiii, .Lfunc_end235-_ZN4vllm25paged_attention_v1_kernelIthLi64ELi16ELi128ELNS_18Fp8KVCacheDataTypeE1ELb1EEEvPT_PKS2_PKT0_S8_ifPKiSA_iPKfiiiSC_SC_iiiii
                                        ; -- End function
	.set _ZN4vllm25paged_attention_v1_kernelIthLi64ELi16ELi128ELNS_18Fp8KVCacheDataTypeE1ELb1EEEvPT_PKS2_PKT0_S8_ifPKiSA_iPKfiiiSC_SC_iiiii.num_vgpr, 48
	.set _ZN4vllm25paged_attention_v1_kernelIthLi64ELi16ELi128ELNS_18Fp8KVCacheDataTypeE1ELb1EEEvPT_PKS2_PKT0_S8_ifPKiSA_iPKfiiiSC_SC_iiiii.num_agpr, 0
	.set _ZN4vllm25paged_attention_v1_kernelIthLi64ELi16ELi128ELNS_18Fp8KVCacheDataTypeE1ELb1EEEvPT_PKS2_PKT0_S8_ifPKiSA_iPKfiiiSC_SC_iiiii.numbered_sgpr, 55
	.set _ZN4vllm25paged_attention_v1_kernelIthLi64ELi16ELi128ELNS_18Fp8KVCacheDataTypeE1ELb1EEEvPT_PKS2_PKT0_S8_ifPKiSA_iPKfiiiSC_SC_iiiii.num_named_barrier, 0
	.set _ZN4vllm25paged_attention_v1_kernelIthLi64ELi16ELi128ELNS_18Fp8KVCacheDataTypeE1ELb1EEEvPT_PKS2_PKT0_S8_ifPKiSA_iPKfiiiSC_SC_iiiii.private_seg_size, 0
	.set _ZN4vllm25paged_attention_v1_kernelIthLi64ELi16ELi128ELNS_18Fp8KVCacheDataTypeE1ELb1EEEvPT_PKS2_PKT0_S8_ifPKiSA_iPKfiiiSC_SC_iiiii.uses_vcc, 1
	.set _ZN4vllm25paged_attention_v1_kernelIthLi64ELi16ELi128ELNS_18Fp8KVCacheDataTypeE1ELb1EEEvPT_PKS2_PKT0_S8_ifPKiSA_iPKfiiiSC_SC_iiiii.uses_flat_scratch, 0
	.set _ZN4vllm25paged_attention_v1_kernelIthLi64ELi16ELi128ELNS_18Fp8KVCacheDataTypeE1ELb1EEEvPT_PKS2_PKT0_S8_ifPKiSA_iPKfiiiSC_SC_iiiii.has_dyn_sized_stack, 0
	.set _ZN4vllm25paged_attention_v1_kernelIthLi64ELi16ELi128ELNS_18Fp8KVCacheDataTypeE1ELb1EEEvPT_PKS2_PKT0_S8_ifPKiSA_iPKfiiiSC_SC_iiiii.has_recursion, 0
	.set _ZN4vllm25paged_attention_v1_kernelIthLi64ELi16ELi128ELNS_18Fp8KVCacheDataTypeE1ELb1EEEvPT_PKS2_PKT0_S8_ifPKiSA_iPKfiiiSC_SC_iiiii.has_indirect_call, 0
	.section	.AMDGPU.csdata,"",@progbits
; Kernel info:
; codeLenInByte = 12020
; TotalNumSgprs: 61
; NumVgprs: 48
; NumAgprs: 0
; TotalNumVgprs: 48
; ScratchSize: 0
; MemoryBound: 0
; FloatMode: 240
; IeeeMode: 1
; LDSByteSize: 144 bytes/workgroup (compile time only)
; SGPRBlocks: 7
; VGPRBlocks: 5
; NumSGPRsForWavesPerEU: 61
; NumVGPRsForWavesPerEU: 48
; AccumOffset: 48
; Occupancy: 8
; WaveLimiterHint : 1
; COMPUTE_PGM_RSRC2:SCRATCH_EN: 0
; COMPUTE_PGM_RSRC2:USER_SGPR: 2
; COMPUTE_PGM_RSRC2:TRAP_HANDLER: 0
; COMPUTE_PGM_RSRC2:TGID_X_EN: 1
; COMPUTE_PGM_RSRC2:TGID_Y_EN: 1
; COMPUTE_PGM_RSRC2:TGID_Z_EN: 1
; COMPUTE_PGM_RSRC2:TIDIG_COMP_CNT: 0
; COMPUTE_PGM_RSRC3_GFX90A:ACCUM_OFFSET: 11
; COMPUTE_PGM_RSRC3_GFX90A:TG_SPLIT: 0
	.section	.text._ZN4vllm25paged_attention_v1_kernelIthLi80ELi16ELi128ELNS_18Fp8KVCacheDataTypeE1ELb1EEEvPT_PKS2_PKT0_S8_ifPKiSA_iPKfiiiSC_SC_iiiii,"axG",@progbits,_ZN4vllm25paged_attention_v1_kernelIthLi80ELi16ELi128ELNS_18Fp8KVCacheDataTypeE1ELb1EEEvPT_PKS2_PKT0_S8_ifPKiSA_iPKfiiiSC_SC_iiiii,comdat
	.protected	_ZN4vllm25paged_attention_v1_kernelIthLi80ELi16ELi128ELNS_18Fp8KVCacheDataTypeE1ELb1EEEvPT_PKS2_PKT0_S8_ifPKiSA_iPKfiiiSC_SC_iiiii ; -- Begin function _ZN4vllm25paged_attention_v1_kernelIthLi80ELi16ELi128ELNS_18Fp8KVCacheDataTypeE1ELb1EEEvPT_PKS2_PKT0_S8_ifPKiSA_iPKfiiiSC_SC_iiiii
	.globl	_ZN4vllm25paged_attention_v1_kernelIthLi80ELi16ELi128ELNS_18Fp8KVCacheDataTypeE1ELb1EEEvPT_PKS2_PKT0_S8_ifPKiSA_iPKfiiiSC_SC_iiiii
	.p2align	8
	.type	_ZN4vllm25paged_attention_v1_kernelIthLi80ELi16ELi128ELNS_18Fp8KVCacheDataTypeE1ELb1EEEvPT_PKS2_PKT0_S8_ifPKiSA_iPKfiiiSC_SC_iiiii,@function
_ZN4vllm25paged_attention_v1_kernelIthLi80ELi16ELi128ELNS_18Fp8KVCacheDataTypeE1ELb1EEEvPT_PKS2_PKT0_S8_ifPKiSA_iPKfiiiSC_SC_iiiii: ; @_ZN4vllm25paged_attention_v1_kernelIthLi80ELi16ELi128ELNS_18Fp8KVCacheDataTypeE1ELb1EEEvPT_PKS2_PKT0_S8_ifPKiSA_iPKfiiiSC_SC_iiiii
; %bb.0:
	s_load_dword s5, s[0:1], 0x80
	s_load_dwordx2 s[6:7], s[0:1], 0x30
	s_load_dwordx2 s[36:37], s[0:1], 0x20
	s_mov_b32 s10, s3
	s_ashr_i32 s11, s3, 31
	s_lshl_b64 s[8:9], s[10:11], 2
	s_waitcnt lgkmcnt(0)
	s_add_u32 s6, s6, s8
	s_addc_u32 s7, s7, s9
	s_abs_i32 s3, s36
	v_cvt_f32_u32_e32 v1, s3
	s_sub_i32 s11, 0, s3
	s_abs_i32 s9, s5
	s_xor_b32 s8, s5, s36
	v_rcp_iflag_f32_e32 v1, v1
	s_ashr_i32 s8, s8, 31
	s_mov_b32 s49, 0
	v_mul_f32_e32 v1, 0x4f7ffffe, v1
	v_cvt_u32_f32_e32 v1, v1
	s_nop 0
	v_readfirstlane_b32 s12, v1
	s_mul_i32 s11, s11, s12
	s_mul_hi_u32 s11, s12, s11
	s_add_i32 s12, s12, s11
	s_mul_hi_u32 s11, s9, s12
	s_mul_i32 s12, s11, s3
	s_sub_i32 s9, s9, s12
	s_add_i32 s12, s11, 1
	s_sub_i32 s13, s9, s3
	s_cmp_ge_u32 s9, s3
	s_cselect_b32 s11, s12, s11
	s_cselect_b32 s9, s13, s9
	s_add_i32 s12, s11, 1
	s_cmp_ge_u32 s9, s3
	s_cselect_b32 s3, s12, s11
	s_xor_b32 s3, s3, s8
	s_sub_i32 s14, s3, s8
	s_abs_i32 s11, s14
	v_cvt_f32_u32_e32 v1, s11
	s_load_dwordx2 s[8:9], s[0:1], 0x40
	s_sub_i32 s3, 0, s11
	s_abs_i32 s12, s2
	v_rcp_iflag_f32_e32 v1, v1
	s_nop 0
	v_mul_f32_e32 v1, 0x4f7ffffe, v1
	v_cvt_u32_f32_e32 v1, v1
	s_nop 0
	v_readfirstlane_b32 s13, v1
	s_mul_i32 s3, s3, s13
	s_mul_hi_u32 s3, s13, s3
	s_add_i32 s13, s13, s3
	s_waitcnt lgkmcnt(0)
	s_cmp_eq_u64 s[8:9], 0
	s_mul_hi_u32 s13, s12, s13
	s_cbranch_scc1 .LBB236_2
; %bb.1:
	s_ashr_i32 s3, s2, 31
	s_lshl_b64 s[16:17], s[2:3], 2
	s_add_u32 s8, s8, s16
	s_addc_u32 s9, s9, s17
	s_load_dword s49, s[8:9], 0x0
.LBB236_2:
	s_load_dword s33, s[6:7], 0x0
	s_load_dwordx4 s[16:19], s[0:1], 0x48
	s_ashr_i32 s3, s2, 31
	s_ashr_i32 s9, s14, 31
	v_and_b32_e32 v4, 3, v0
	s_mul_i32 s24, s2, 0x50
	v_cmp_gt_u32_e32 vcc, 40, v0
	s_and_saveexec_b64 s[6:7], vcc
	s_cbranch_execz .LBB236_4
; %bb.3:
	s_load_dwordx2 s[14:15], s[0:1], 0x8
	s_waitcnt lgkmcnt(0)
	s_mul_i32 s20, s16, s10
	s_ashr_i32 s21, s20, 31
	s_lshl_b64 s[20:21], s[20:21], 1
	v_lshlrev_b32_e32 v1, 2, v0
	s_add_u32 s8, s14, s20
	s_addc_u32 s16, s15, s21
	s_ashr_i32 s25, s24, 31
	s_lshl_b64 s[14:15], s[24:25], 1
	s_add_u32 s14, s8, s14
	s_addc_u32 s15, s16, s15
	global_load_dword v1, v1, s[14:15]
	v_and_b32_e32 v2, 0x3fc, v0
	v_mad_u32_u24 v2, v4, 40, v2
	s_waitcnt vmcnt(0)
	ds_write_b32 v2, v1
.LBB236_4:
	s_or_b64 exec, exec, s[6:7]
	s_mul_i32 s6, s13, s11
	s_sub_i32 s6, s12, s6
	s_xor_b32 s3, s3, s9
	s_add_i32 s7, s13, 1
	s_sub_i32 s9, s6, s11
	s_load_dwordx4 s[20:23], s[0:1], 0x68
	s_load_dword s8, s[0:1], 0x78
	s_cmp_ge_u32 s6, s11
	s_cselect_b32 s7, s7, s13
	s_cselect_b32 s6, s9, s6
	s_add_i32 s9, s7, 1
	s_cmp_ge_u32 s6, s11
	s_cselect_b32 s6, s9, s7
	s_waitcnt lgkmcnt(0)
	s_abs_i32 s25, s23
	v_cvt_f32_u32_e32 v1, s25
	s_xor_b32 s6, s6, s3
	s_sub_i32 s3, s6, s3
	s_sub_i32 s6, 0, s25
	v_rcp_iflag_f32_e32 v1, v1
	s_add_i32 s11, s33, -1
	s_abs_i32 s9, s11
	v_mul_f32_e32 v1, 0x4f7ffffe, v1
	v_cvt_u32_f32_e32 v1, v1
	s_barrier
	v_readfirstlane_b32 s46, v1
	s_mul_i32 s6, s6, s46
	s_mul_hi_u32 s6, s46, s6
	s_add_i32 s46, s46, s6
	s_cmp_lt_i32 s8, 0
	s_mul_hi_u32 s16, s9, s46
	s_cbranch_scc0 .LBB236_6
; %bb.5:
	s_mul_i32 s6, s20, s36
	s_add_i32 s6, s3, s6
	s_mul_i32 s6, s6, s8
	s_sub_i32 s36, 1, s6
	s_mov_b64 s[6:7], 0
	s_branch .LBB236_7
.LBB236_6:
	s_mov_b64 s[6:7], -1
                                        ; implicit-def: $sgpr36
.LBB236_7:
	s_load_dwordx2 s[28:29], s[0:1], 0x28
	s_ashr_i32 s19, s11, 31
	s_andn2_b64 vcc, exec, s[6:7]
	s_ashr_i32 s47, s23, 31
	s_cbranch_vccnz .LBB236_9
; %bb.8:
	s_mul_i32 s6, s5, s20
	s_add_i32 s2, s6, s2
	s_mul_i32 s2, s2, s8
	s_add_i32 s36, s2, 1
.LBB236_9:
	s_load_dword s2, s[0:1], 0x38
	s_load_dwordx2 s[26:27], s[0:1], 0x0
	s_load_dwordx2 s[34:35], s[0:1], 0x18
	s_load_dword s11, s[0:1], 0x88
	s_load_dwordx4 s[12:15], s[0:1], 0x58
	s_mul_i32 s6, s16, s25
	s_waitcnt lgkmcnt(0)
	s_mul_i32 s30, s2, s10
	s_sub_i32 s6, s9, s6
	s_ashr_i32 s31, s30, 31
	s_xor_b32 s2, s19, s47
	s_add_i32 s7, s16, 1
	s_sub_i32 s8, s6, s25
	s_cmp_ge_u32 s6, s25
	s_cselect_b32 s7, s7, s16
	s_cselect_b32 s6, s8, s6
	s_add_i32 s8, s7, 1
	s_cmp_ge_u32 s6, s25
	s_cselect_b32 s6, s8, s7
	s_xor_b32 s6, s6, s2
	s_sub_i32 s16, s6, s2
	s_add_i32 s2, s33, 15
	s_ashr_i32 s6, s2, 31
	s_lshr_b32 s6, s6, 28
	s_add_i32 s2, s2, s6
	s_ashr_i32 s48, s2, 4
	v_lshrrev_b32_e32 v26, 6, v0
	v_cmp_le_i32_e64 s[6:7], s48, v26
	v_cmp_gt_i32_e32 vcc, s48, v26
	v_mov_b32_e32 v13, 0xff7fffff
	s_mul_i32 s20, s3, s18
	v_lshrrev_b32_e32 v1, 4, v0
	v_lshlrev_b32_e32 v27, 4, v26
	v_mbcnt_lo_u32_b32 v10, -1, 0
	s_and_saveexec_b64 s[18:19], vcc
	s_cbranch_execz .LBB236_141
; %bb.10:
	s_load_dwordx2 s[0:1], s[0:1], 0x10
	s_sub_i32 s23, s16, s21
	s_ashr_i32 s2, s20, 31
	v_bfe_u32 v11, v0, 2, 4
	v_mov_b32_e32 v3, 0
	s_waitcnt lgkmcnt(0)
	s_add_u32 s0, s0, s20
	s_addc_u32 s1, s1, s2
	s_abs_i32 s50, s22
	v_cvt_f32_u32_e32 v2, s50
	v_cmp_eq_u32_e32 vcc, 0, v4
	v_mul_u32_u24_e32 v12, 40, v4
	s_mov_b32 s51, s17
	v_rcp_iflag_f32_e32 v5, v2
	v_lshlrev_b32_e32 v2, 4, v11
	v_lshl_add_u64 v[6:7], s[0:1], 0, v[2:3]
	s_sub_i32 s0, 0, s50
	v_mul_f32_e32 v5, 0x4f7ffffe, v5
	v_cvt_u32_f32_e32 v5, v5
	v_lshlrev_b32_e32 v2, 1, v4
	v_cmp_neq_f32_e64 s[2:3], s49, 0
	v_lshlrev_b32_e32 v15, 4, v26
	v_mul_lo_u32 v4, s0, v5
	s_lshl_b64 s[0:1], s[30:31], 2
	v_mul_hi_u32 v4, v5, v4
	s_add_u32 s0, s28, s0
	v_add_u32_e32 v14, v5, v4
	v_lshl_add_u64 v[4:5], v[6:7], 0, v[2:3]
	v_and_b32_e32 v2, 60, v1
	s_addc_u32 s1, s29, s1
	v_lshl_add_u64 v[6:7], s[0:1], 0, v[2:3]
	v_subrev_u32_e32 v2, s33, v11
	v_add_u32_e32 v16, 1, v2
	v_lshlrev_b32_e32 v2, 2, v11
	v_lshl_or_b32 v2, v26, 6, v2
	v_add_u32_e32 v17, 0xb0, v2
	v_mov_b32_e32 v18, 0xff7fffff
	s_mov_b64 s[38:39], 0
	s_movk_i32 s52, 0x80
	s_movk_i32 s53, 0x7f
	s_mov_b32 s54, 0x8000
	v_mov_b32_e32 v19, 0x2000
	v_mbcnt_hi_u32_b32 v20, -1, v10
	v_mov_b32_e32 v13, 0xff7fffff
	v_mov_b32_e32 v21, v26
	s_branch .LBB236_13
.LBB236_11:                             ;   in Loop: Header=BB236_13 Depth=1
	s_or_b64 exec, exec, s[40:41]
.LBB236_12:                             ;   in Loop: Header=BB236_13 Depth=1
	s_or_b64 exec, exec, s[8:9]
	v_add_u32_e32 v21, 2, v21
	v_cmp_le_i32_e64 s[0:1], s48, v21
	v_lshl_add_u64 v[6:7], v[6:7], 0, 8
	v_add_u32_e32 v15, 32, v15
	s_or_b64 s[38:39], s[0:1], s[38:39]
	v_add_u32_e32 v17, 0x80, v17
	s_andn2_b64 exec, exec, s[38:39]
	s_cbranch_execz .LBB236_140
.LBB236_13:                             ; =>This Inner Loop Header: Depth=1
	v_mul_hi_u32 v2, v15, s46
	s_waitcnt lgkmcnt(0)
	v_mul_lo_u32 v8, v2, s25
	v_sub_u32_e32 v8, v15, v8
	v_add_u32_e32 v9, 1, v2
	v_cmp_le_u32_e64 s[0:1], s25, v8
	s_nop 1
	v_cndmask_b32_e64 v2, v2, v9, s[0:1]
	v_subrev_u32_e32 v9, s25, v8
	v_cndmask_b32_e64 v8, v8, v9, s[0:1]
	v_add_u32_e32 v9, 1, v2
	v_cmp_le_u32_e64 s[0:1], s25, v8
	s_nop 1
	v_cndmask_b32_e64 v2, v2, v9, s[0:1]
	v_xor_b32_e32 v2, s47, v2
	v_subrev_u32_e32 v2, s47, v2
	v_add_u32_e32 v8, s36, v2
	v_sub_u32_e32 v22, 0, v8
	v_ashrrev_i32_e32 v9, 31, v8
	v_max_i32_e32 v8, v8, v22
	v_mul_hi_u32 v22, v8, v14
	v_mul_lo_u32 v22, v22, s50
	v_sub_u32_e32 v8, v8, v22
	v_subrev_u32_e32 v22, s50, v8
	v_cmp_le_u32_e64 s[0:1], s50, v8
	v_cmp_ge_i32_e64 s[8:9], s23, v2
	s_nop 0
	v_cndmask_b32_e64 v8, v8, v22, s[0:1]
	v_subrev_u32_e32 v22, s50, v8
	v_cmp_le_u32_e64 s[0:1], s50, v8
	s_nop 1
	v_cndmask_b32_e64 v8, v8, v22, s[0:1]
	v_xor_b32_e32 v8, v8, v9
	v_sub_u32_e32 v8, v8, v9
	v_cmp_ne_u32_e64 s[0:1], 0, v8
	s_and_b64 s[0:1], s[0:1], s[8:9]
	s_and_saveexec_b64 s[8:9], s[0:1]
	s_xor_b64 s[0:1], exec, s[8:9]
	s_cbranch_execz .LBB236_17
; %bb.14:                               ;   in Loop: Header=BB236_13 Depth=1
	s_and_saveexec_b64 s[8:9], vcc
; %bb.15:                               ;   in Loop: Header=BB236_13 Depth=1
	ds_write_b32 v17, v18
; %bb.16:                               ;   in Loop: Header=BB236_13 Depth=1
	s_or_b64 exec, exec, s[8:9]
.LBB236_17:                             ;   in Loop: Header=BB236_13 Depth=1
	s_andn2_saveexec_b64 s[8:9], s[0:1]
	s_cbranch_execz .LBB236_12
; %bb.18:                               ;   in Loop: Header=BB236_13 Depth=1
	global_load_dword v2, v[6:7], off
	v_mov_b32_e32 v23, 0
	global_load_dword v22, v23, s[12:13]
	s_waitcnt vmcnt(1)
	v_mad_i64_i32 v[8:9], s[0:1], v2, s51, v[4:5]
	global_load_ushort v24, v[8:9], off
	s_waitcnt vmcnt(0)
	v_and_b32_e32 v2, 0xffff, v24
	v_cmp_ne_u16_sdwa s[0:1], v24, v3 src0_sel:BYTE_0 src1_sel:DWORD
	v_mov_b32_e32 v24, 0
	s_and_saveexec_b64 s[40:41], s[0:1]
	s_cbranch_execz .LBB236_24
; %bb.19:                               ;   in Loop: Header=BB236_13 Depth=1
	v_cmp_ne_u16_sdwa s[0:1], v2, s52 src0_sel:BYTE_0 src1_sel:DWORD
	v_mov_b32_e32 v24, 0x8000
	s_and_saveexec_b64 s[42:43], s[0:1]
	s_cbranch_execz .LBB236_23
; %bb.20:                               ;   in Loop: Header=BB236_13 Depth=1
	v_and_b32_e32 v25, 0x7f, v2
	v_cmp_ne_u32_e64 s[0:1], s53, v25
	v_mov_b32_e32 v24, 0x7c01
	s_and_saveexec_b64 s[44:45], s[0:1]
	s_cbranch_execz .LBB236_22
; %bb.21:                               ;   in Loop: Header=BB236_13 Depth=1
	v_and_b32_e32 v24, 7, v2
	v_ffbh_u32_e32 v28, v24
	v_min_u32_e32 v31, 32, v28
	v_subrev_u32_e32 v28, 28, v31
	v_lshlrev_b64 v[28:29], v28, v[2:3]
	v_lshrrev_b32_e32 v30, 3, v25
	v_sub_u32_e32 v29, 29, v31
	v_cmp_gt_u32_e64 s[0:1], 8, v25
	v_and_b32_e32 v28, 7, v28
	s_nop 0
	v_cndmask_b32_e64 v25, v30, v29, s[0:1]
	v_lshl_add_u32 v25, v25, 10, v19
	v_lshlrev_b32_e32 v29, 8, v2
	v_and_b32_e32 v25, 0xfc00, v25
	v_cndmask_b32_e64 v24, v24, v28, s[0:1]
	v_and_or_b32 v25, v29, s54, v25
	v_lshl_or_b32 v24, v24, 7, v25
.LBB236_22:                             ;   in Loop: Header=BB236_13 Depth=1
	s_or_b64 exec, exec, s[44:45]
.LBB236_23:                             ;   in Loop: Header=BB236_13 Depth=1
	s_or_b64 exec, exec, s[42:43]
.LBB236_24:                             ;   in Loop: Header=BB236_13 Depth=1
	s_or_b64 exec, exec, s[40:41]
	v_lshrrev_b16_e32 v2, 8, v2
	v_cmp_ne_u16_e64 s[0:1], 0, v2
	s_and_saveexec_b64 s[40:41], s[0:1]
	s_cbranch_execz .LBB236_30
; %bb.25:                               ;   in Loop: Header=BB236_13 Depth=1
	v_cmp_ne_u16_e64 s[0:1], s52, v2
	v_bfrev_b32_e32 v23, 1
	s_and_saveexec_b64 s[42:43], s[0:1]
	s_cbranch_execz .LBB236_29
; %bb.26:                               ;   in Loop: Header=BB236_13 Depth=1
	v_and_b32_e32 v25, 0x7f, v2
	v_cmp_ne_u32_e64 s[0:1], s53, v25
	v_mov_b32_e32 v23, 0x7c010000
	s_and_saveexec_b64 s[44:45], s[0:1]
	s_cbranch_execz .LBB236_28
; %bb.27:                               ;   in Loop: Header=BB236_13 Depth=1
	v_and_b32_e32 v23, 7, v2
	v_ffbh_u32_e32 v28, v23
	v_min_u32_e32 v31, 32, v28
	v_subrev_u32_e32 v28, 28, v31
	v_lshlrev_b64 v[28:29], v28, v[2:3]
	v_lshrrev_b32_e32 v30, 3, v25
	v_sub_u32_e32 v29, 29, v31
	v_cmp_gt_u32_e64 s[0:1], 8, v25
	v_lshlrev_b32_e32 v2, 8, v2
	v_and_b32_e32 v28, 7, v28
	v_cndmask_b32_e64 v25, v30, v29, s[0:1]
	v_lshl_add_u32 v25, v25, 10, v19
	v_and_or_b32 v2, v2, s54, v25
	v_cndmask_b32_e64 v23, v23, v28, s[0:1]
	v_lshlrev_b32_e32 v2, 16, v2
	v_lshl_or_b32 v23, v23, 23, v2
.LBB236_28:                             ;   in Loop: Header=BB236_13 Depth=1
	s_or_b64 exec, exec, s[44:45]
.LBB236_29:                             ;   in Loop: Header=BB236_13 Depth=1
	s_or_b64 exec, exec, s[42:43]
.LBB236_30:                             ;   in Loop: Header=BB236_13 Depth=1
	s_or_b64 exec, exec, s[40:41]
	global_load_ushort v28, v[8:9], off offset:8
	v_mov_b32_e32 v25, 0
	s_waitcnt vmcnt(0)
	v_and_b32_e32 v2, 0xffff, v28
	v_cmp_ne_u16_sdwa s[0:1], v28, v3 src0_sel:BYTE_0 src1_sel:DWORD
	v_mov_b32_e32 v28, 0
	s_and_saveexec_b64 s[40:41], s[0:1]
	s_cbranch_execz .LBB236_36
; %bb.31:                               ;   in Loop: Header=BB236_13 Depth=1
	v_cmp_ne_u16_sdwa s[0:1], v2, s52 src0_sel:BYTE_0 src1_sel:DWORD
	v_mov_b32_e32 v28, 0x8000
	s_and_saveexec_b64 s[42:43], s[0:1]
	s_cbranch_execz .LBB236_35
; %bb.32:                               ;   in Loop: Header=BB236_13 Depth=1
	v_and_b32_e32 v29, 0x7f, v2
	v_cmp_ne_u32_e64 s[0:1], s53, v29
	v_mov_b32_e32 v28, 0x7c01
	s_and_saveexec_b64 s[44:45], s[0:1]
	s_cbranch_execz .LBB236_34
; %bb.33:                               ;   in Loop: Header=BB236_13 Depth=1
	v_and_b32_e32 v28, 7, v2
	v_ffbh_u32_e32 v30, v28
	v_min_u32_e32 v33, 32, v30
	v_subrev_u32_e32 v30, 28, v33
	v_lshlrev_b64 v[30:31], v30, v[2:3]
	v_lshrrev_b32_e32 v32, 3, v29
	v_sub_u32_e32 v31, 29, v33
	v_cmp_gt_u32_e64 s[0:1], 8, v29
	v_and_b32_e32 v30, 7, v30
	s_nop 0
	v_cndmask_b32_e64 v29, v32, v31, s[0:1]
	v_lshl_add_u32 v29, v29, 10, v19
	v_lshlrev_b32_e32 v31, 8, v2
	v_and_b32_e32 v29, 0xfc00, v29
	v_cndmask_b32_e64 v28, v28, v30, s[0:1]
	v_and_or_b32 v29, v31, s54, v29
	v_lshl_or_b32 v28, v28, 7, v29
.LBB236_34:                             ;   in Loop: Header=BB236_13 Depth=1
	s_or_b64 exec, exec, s[44:45]
.LBB236_35:                             ;   in Loop: Header=BB236_13 Depth=1
	s_or_b64 exec, exec, s[42:43]
.LBB236_36:                             ;   in Loop: Header=BB236_13 Depth=1
	s_or_b64 exec, exec, s[40:41]
	v_lshrrev_b16_e32 v2, 8, v2
	v_cmp_ne_u16_e64 s[0:1], 0, v2
	s_and_saveexec_b64 s[40:41], s[0:1]
	s_cbranch_execz .LBB236_42
; %bb.37:                               ;   in Loop: Header=BB236_13 Depth=1
	v_cmp_ne_u16_e64 s[0:1], s52, v2
	v_bfrev_b32_e32 v25, 1
	s_and_saveexec_b64 s[42:43], s[0:1]
	s_cbranch_execz .LBB236_41
; %bb.38:                               ;   in Loop: Header=BB236_13 Depth=1
	v_and_b32_e32 v29, 0x7f, v2
	v_cmp_ne_u32_e64 s[0:1], s53, v29
	v_mov_b32_e32 v25, 0x7c010000
	s_and_saveexec_b64 s[44:45], s[0:1]
	s_cbranch_execz .LBB236_40
; %bb.39:                               ;   in Loop: Header=BB236_13 Depth=1
	v_and_b32_e32 v25, 7, v2
	v_ffbh_u32_e32 v30, v25
	v_min_u32_e32 v33, 32, v30
	v_subrev_u32_e32 v30, 28, v33
	v_lshlrev_b64 v[30:31], v30, v[2:3]
	v_lshrrev_b32_e32 v32, 3, v29
	v_sub_u32_e32 v31, 29, v33
	v_cmp_gt_u32_e64 s[0:1], 8, v29
	v_lshlrev_b32_e32 v2, 8, v2
	v_and_b32_e32 v30, 7, v30
	v_cndmask_b32_e64 v29, v32, v31, s[0:1]
	v_lshl_add_u32 v29, v29, 10, v19
	v_and_or_b32 v2, v2, s54, v29
	v_cndmask_b32_e64 v25, v25, v30, s[0:1]
	v_lshlrev_b32_e32 v2, 16, v2
	v_lshl_or_b32 v25, v25, 23, v2
.LBB236_40:                             ;   in Loop: Header=BB236_13 Depth=1
	s_or_b64 exec, exec, s[44:45]
.LBB236_41:                             ;   in Loop: Header=BB236_13 Depth=1
	s_or_b64 exec, exec, s[42:43]
.LBB236_42:                             ;   in Loop: Header=BB236_13 Depth=1
	s_or_b64 exec, exec, s[40:41]
	global_load_ushort v30, v[8:9], off offset:256
	v_mov_b32_e32 v29, 0
	s_waitcnt vmcnt(0)
	v_and_b32_e32 v2, 0xffff, v30
	v_cmp_ne_u16_sdwa s[0:1], v30, v3 src0_sel:BYTE_0 src1_sel:DWORD
	v_mov_b32_e32 v30, 0
	s_and_saveexec_b64 s[40:41], s[0:1]
	s_cbranch_execz .LBB236_48
; %bb.43:                               ;   in Loop: Header=BB236_13 Depth=1
	v_cmp_ne_u16_sdwa s[0:1], v2, s52 src0_sel:BYTE_0 src1_sel:DWORD
	v_mov_b32_e32 v30, 0x8000
	s_and_saveexec_b64 s[42:43], s[0:1]
	s_cbranch_execz .LBB236_47
; %bb.44:                               ;   in Loop: Header=BB236_13 Depth=1
	v_and_b32_e32 v31, 0x7f, v2
	v_cmp_ne_u32_e64 s[0:1], s53, v31
	v_mov_b32_e32 v30, 0x7c01
	s_and_saveexec_b64 s[44:45], s[0:1]
	s_cbranch_execz .LBB236_46
; %bb.45:                               ;   in Loop: Header=BB236_13 Depth=1
	v_and_b32_e32 v30, 7, v2
	v_ffbh_u32_e32 v32, v30
	v_min_u32_e32 v35, 32, v32
	v_subrev_u32_e32 v32, 28, v35
	v_lshlrev_b64 v[32:33], v32, v[2:3]
	v_lshrrev_b32_e32 v34, 3, v31
	v_sub_u32_e32 v33, 29, v35
	v_cmp_gt_u32_e64 s[0:1], 8, v31
	v_and_b32_e32 v32, 7, v32
	s_nop 0
	v_cndmask_b32_e64 v31, v34, v33, s[0:1]
	v_lshl_add_u32 v31, v31, 10, v19
	v_lshlrev_b32_e32 v33, 8, v2
	v_and_b32_e32 v31, 0xfc00, v31
	v_cndmask_b32_e64 v30, v30, v32, s[0:1]
	v_and_or_b32 v31, v33, s54, v31
	v_lshl_or_b32 v30, v30, 7, v31
.LBB236_46:                             ;   in Loop: Header=BB236_13 Depth=1
	s_or_b64 exec, exec, s[44:45]
.LBB236_47:                             ;   in Loop: Header=BB236_13 Depth=1
	s_or_b64 exec, exec, s[42:43]
.LBB236_48:                             ;   in Loop: Header=BB236_13 Depth=1
	s_or_b64 exec, exec, s[40:41]
	v_lshrrev_b16_e32 v2, 8, v2
	v_cmp_ne_u16_e64 s[0:1], 0, v2
	s_and_saveexec_b64 s[40:41], s[0:1]
	s_cbranch_execz .LBB236_54
; %bb.49:                               ;   in Loop: Header=BB236_13 Depth=1
	v_cmp_ne_u16_e64 s[0:1], s52, v2
	v_bfrev_b32_e32 v29, 1
	s_and_saveexec_b64 s[42:43], s[0:1]
	s_cbranch_execz .LBB236_53
; %bb.50:                               ;   in Loop: Header=BB236_13 Depth=1
	v_and_b32_e32 v31, 0x7f, v2
	v_cmp_ne_u32_e64 s[0:1], s53, v31
	v_mov_b32_e32 v29, 0x7c010000
	s_and_saveexec_b64 s[44:45], s[0:1]
	s_cbranch_execz .LBB236_52
; %bb.51:                               ;   in Loop: Header=BB236_13 Depth=1
	v_and_b32_e32 v29, 7, v2
	v_ffbh_u32_e32 v32, v29
	v_min_u32_e32 v35, 32, v32
	v_subrev_u32_e32 v32, 28, v35
	v_lshlrev_b64 v[32:33], v32, v[2:3]
	v_lshrrev_b32_e32 v34, 3, v31
	v_sub_u32_e32 v33, 29, v35
	v_cmp_gt_u32_e64 s[0:1], 8, v31
	v_lshlrev_b32_e32 v2, 8, v2
	v_and_b32_e32 v32, 7, v32
	v_cndmask_b32_e64 v31, v34, v33, s[0:1]
	v_lshl_add_u32 v31, v31, 10, v19
	v_and_or_b32 v2, v2, s54, v31
	v_cndmask_b32_e64 v29, v29, v32, s[0:1]
	v_lshlrev_b32_e32 v2, 16, v2
	v_lshl_or_b32 v29, v29, 23, v2
.LBB236_52:                             ;   in Loop: Header=BB236_13 Depth=1
	s_or_b64 exec, exec, s[44:45]
.LBB236_53:                             ;   in Loop: Header=BB236_13 Depth=1
	s_or_b64 exec, exec, s[42:43]
.LBB236_54:                             ;   in Loop: Header=BB236_13 Depth=1
	s_or_b64 exec, exec, s[40:41]
	global_load_ushort v32, v[8:9], off offset:264
	v_mov_b32_e32 v31, 0
	s_waitcnt vmcnt(0)
	v_and_b32_e32 v2, 0xffff, v32
	v_cmp_ne_u16_sdwa s[0:1], v32, v3 src0_sel:BYTE_0 src1_sel:DWORD
	v_mov_b32_e32 v32, 0
	s_and_saveexec_b64 s[40:41], s[0:1]
	s_cbranch_execz .LBB236_60
; %bb.55:                               ;   in Loop: Header=BB236_13 Depth=1
	v_cmp_ne_u16_sdwa s[0:1], v2, s52 src0_sel:BYTE_0 src1_sel:DWORD
	v_mov_b32_e32 v32, 0x8000
	s_and_saveexec_b64 s[42:43], s[0:1]
	s_cbranch_execz .LBB236_59
; %bb.56:                               ;   in Loop: Header=BB236_13 Depth=1
	v_and_b32_e32 v33, 0x7f, v2
	v_cmp_ne_u32_e64 s[0:1], s53, v33
	v_mov_b32_e32 v32, 0x7c01
	s_and_saveexec_b64 s[44:45], s[0:1]
	s_cbranch_execz .LBB236_58
; %bb.57:                               ;   in Loop: Header=BB236_13 Depth=1
	v_and_b32_e32 v32, 7, v2
	v_ffbh_u32_e32 v34, v32
	v_min_u32_e32 v37, 32, v34
	v_subrev_u32_e32 v34, 28, v37
	v_lshlrev_b64 v[34:35], v34, v[2:3]
	v_lshrrev_b32_e32 v36, 3, v33
	v_sub_u32_e32 v35, 29, v37
	v_cmp_gt_u32_e64 s[0:1], 8, v33
	v_and_b32_e32 v34, 7, v34
	s_nop 0
	v_cndmask_b32_e64 v33, v36, v35, s[0:1]
	v_lshl_add_u32 v33, v33, 10, v19
	v_lshlrev_b32_e32 v35, 8, v2
	v_and_b32_e32 v33, 0xfc00, v33
	v_cndmask_b32_e64 v32, v32, v34, s[0:1]
	v_and_or_b32 v33, v35, s54, v33
	v_lshl_or_b32 v32, v32, 7, v33
.LBB236_58:                             ;   in Loop: Header=BB236_13 Depth=1
	s_or_b64 exec, exec, s[44:45]
.LBB236_59:                             ;   in Loop: Header=BB236_13 Depth=1
	s_or_b64 exec, exec, s[42:43]
.LBB236_60:                             ;   in Loop: Header=BB236_13 Depth=1
	s_or_b64 exec, exec, s[40:41]
	v_lshrrev_b16_e32 v2, 8, v2
	v_cmp_ne_u16_e64 s[0:1], 0, v2
	s_and_saveexec_b64 s[40:41], s[0:1]
	s_cbranch_execz .LBB236_66
; %bb.61:                               ;   in Loop: Header=BB236_13 Depth=1
	v_cmp_ne_u16_e64 s[0:1], s52, v2
	v_bfrev_b32_e32 v31, 1
	s_and_saveexec_b64 s[42:43], s[0:1]
	s_cbranch_execz .LBB236_65
; %bb.62:                               ;   in Loop: Header=BB236_13 Depth=1
	v_and_b32_e32 v33, 0x7f, v2
	v_cmp_ne_u32_e64 s[0:1], s53, v33
	v_mov_b32_e32 v31, 0x7c010000
	s_and_saveexec_b64 s[44:45], s[0:1]
	s_cbranch_execz .LBB236_64
; %bb.63:                               ;   in Loop: Header=BB236_13 Depth=1
	v_and_b32_e32 v31, 7, v2
	v_ffbh_u32_e32 v34, v31
	v_min_u32_e32 v37, 32, v34
	v_subrev_u32_e32 v34, 28, v37
	v_lshlrev_b64 v[34:35], v34, v[2:3]
	v_lshrrev_b32_e32 v36, 3, v33
	v_sub_u32_e32 v35, 29, v37
	v_cmp_gt_u32_e64 s[0:1], 8, v33
	v_lshlrev_b32_e32 v2, 8, v2
	v_and_b32_e32 v34, 7, v34
	v_cndmask_b32_e64 v33, v36, v35, s[0:1]
	v_lshl_add_u32 v33, v33, 10, v19
	v_and_or_b32 v2, v2, s54, v33
	v_cndmask_b32_e64 v31, v31, v34, s[0:1]
	v_lshlrev_b32_e32 v2, 16, v2
	v_lshl_or_b32 v31, v31, 23, v2
.LBB236_64:                             ;   in Loop: Header=BB236_13 Depth=1
	s_or_b64 exec, exec, s[44:45]
.LBB236_65:                             ;   in Loop: Header=BB236_13 Depth=1
	s_or_b64 exec, exec, s[42:43]
.LBB236_66:                             ;   in Loop: Header=BB236_13 Depth=1
	s_or_b64 exec, exec, s[40:41]
	global_load_ushort v34, v[8:9], off offset:512
	v_mov_b32_e32 v33, 0
	s_waitcnt vmcnt(0)
	v_and_b32_e32 v2, 0xffff, v34
	v_cmp_ne_u16_sdwa s[0:1], v34, v3 src0_sel:BYTE_0 src1_sel:DWORD
	v_mov_b32_e32 v34, 0
	s_and_saveexec_b64 s[40:41], s[0:1]
	s_cbranch_execz .LBB236_72
; %bb.67:                               ;   in Loop: Header=BB236_13 Depth=1
	v_cmp_ne_u16_sdwa s[0:1], v2, s52 src0_sel:BYTE_0 src1_sel:DWORD
	v_mov_b32_e32 v34, 0x8000
	s_and_saveexec_b64 s[42:43], s[0:1]
	s_cbranch_execz .LBB236_71
; %bb.68:                               ;   in Loop: Header=BB236_13 Depth=1
	v_and_b32_e32 v35, 0x7f, v2
	v_cmp_ne_u32_e64 s[0:1], s53, v35
	v_mov_b32_e32 v34, 0x7c01
	s_and_saveexec_b64 s[44:45], s[0:1]
	s_cbranch_execz .LBB236_70
; %bb.69:                               ;   in Loop: Header=BB236_13 Depth=1
	v_and_b32_e32 v34, 7, v2
	v_ffbh_u32_e32 v36, v34
	v_min_u32_e32 v39, 32, v36
	v_subrev_u32_e32 v36, 28, v39
	v_lshlrev_b64 v[36:37], v36, v[2:3]
	v_lshrrev_b32_e32 v38, 3, v35
	v_sub_u32_e32 v37, 29, v39
	v_cmp_gt_u32_e64 s[0:1], 8, v35
	v_and_b32_e32 v36, 7, v36
	s_nop 0
	v_cndmask_b32_e64 v35, v38, v37, s[0:1]
	v_lshl_add_u32 v35, v35, 10, v19
	v_lshlrev_b32_e32 v37, 8, v2
	v_and_b32_e32 v35, 0xfc00, v35
	v_cndmask_b32_e64 v34, v34, v36, s[0:1]
	v_and_or_b32 v35, v37, s54, v35
	v_lshl_or_b32 v34, v34, 7, v35
.LBB236_70:                             ;   in Loop: Header=BB236_13 Depth=1
	s_or_b64 exec, exec, s[44:45]
.LBB236_71:                             ;   in Loop: Header=BB236_13 Depth=1
	s_or_b64 exec, exec, s[42:43]
.LBB236_72:                             ;   in Loop: Header=BB236_13 Depth=1
	s_or_b64 exec, exec, s[40:41]
	v_lshrrev_b16_e32 v2, 8, v2
	v_cmp_ne_u16_e64 s[0:1], 0, v2
	s_and_saveexec_b64 s[40:41], s[0:1]
	s_cbranch_execz .LBB236_78
; %bb.73:                               ;   in Loop: Header=BB236_13 Depth=1
	v_cmp_ne_u16_e64 s[0:1], s52, v2
	v_bfrev_b32_e32 v33, 1
	s_and_saveexec_b64 s[42:43], s[0:1]
	s_cbranch_execz .LBB236_77
; %bb.74:                               ;   in Loop: Header=BB236_13 Depth=1
	v_and_b32_e32 v35, 0x7f, v2
	v_cmp_ne_u32_e64 s[0:1], s53, v35
	v_mov_b32_e32 v33, 0x7c010000
	s_and_saveexec_b64 s[44:45], s[0:1]
	s_cbranch_execz .LBB236_76
; %bb.75:                               ;   in Loop: Header=BB236_13 Depth=1
	v_and_b32_e32 v33, 7, v2
	v_ffbh_u32_e32 v36, v33
	v_min_u32_e32 v39, 32, v36
	v_subrev_u32_e32 v36, 28, v39
	v_lshlrev_b64 v[36:37], v36, v[2:3]
	v_lshrrev_b32_e32 v38, 3, v35
	v_sub_u32_e32 v37, 29, v39
	v_cmp_gt_u32_e64 s[0:1], 8, v35
	v_lshlrev_b32_e32 v2, 8, v2
	v_and_b32_e32 v36, 7, v36
	v_cndmask_b32_e64 v35, v38, v37, s[0:1]
	v_lshl_add_u32 v35, v35, 10, v19
	v_and_or_b32 v2, v2, s54, v35
	v_cndmask_b32_e64 v33, v33, v36, s[0:1]
	v_lshlrev_b32_e32 v2, 16, v2
	v_lshl_or_b32 v33, v33, 23, v2
.LBB236_76:                             ;   in Loop: Header=BB236_13 Depth=1
	s_or_b64 exec, exec, s[44:45]
.LBB236_77:                             ;   in Loop: Header=BB236_13 Depth=1
	s_or_b64 exec, exec, s[42:43]
.LBB236_78:                             ;   in Loop: Header=BB236_13 Depth=1
	s_or_b64 exec, exec, s[40:41]
	global_load_ushort v36, v[8:9], off offset:520
	v_mov_b32_e32 v35, 0
	s_waitcnt vmcnt(0)
	v_and_b32_e32 v2, 0xffff, v36
	v_cmp_ne_u16_sdwa s[0:1], v36, v3 src0_sel:BYTE_0 src1_sel:DWORD
	v_mov_b32_e32 v36, 0
	s_and_saveexec_b64 s[40:41], s[0:1]
	s_cbranch_execz .LBB236_84
; %bb.79:                               ;   in Loop: Header=BB236_13 Depth=1
	v_cmp_ne_u16_sdwa s[0:1], v2, s52 src0_sel:BYTE_0 src1_sel:DWORD
	v_mov_b32_e32 v36, 0x8000
	s_and_saveexec_b64 s[42:43], s[0:1]
	s_cbranch_execz .LBB236_83
; %bb.80:                               ;   in Loop: Header=BB236_13 Depth=1
	v_and_b32_e32 v37, 0x7f, v2
	v_cmp_ne_u32_e64 s[0:1], s53, v37
	v_mov_b32_e32 v36, 0x7c01
	s_and_saveexec_b64 s[44:45], s[0:1]
	s_cbranch_execz .LBB236_82
; %bb.81:                               ;   in Loop: Header=BB236_13 Depth=1
	v_and_b32_e32 v36, 7, v2
	v_ffbh_u32_e32 v38, v36
	v_min_u32_e32 v41, 32, v38
	v_subrev_u32_e32 v38, 28, v41
	v_lshlrev_b64 v[38:39], v38, v[2:3]
	v_lshrrev_b32_e32 v40, 3, v37
	v_sub_u32_e32 v39, 29, v41
	v_cmp_gt_u32_e64 s[0:1], 8, v37
	v_and_b32_e32 v38, 7, v38
	s_nop 0
	v_cndmask_b32_e64 v37, v40, v39, s[0:1]
	v_lshl_add_u32 v37, v37, 10, v19
	v_lshlrev_b32_e32 v39, 8, v2
	v_and_b32_e32 v37, 0xfc00, v37
	v_cndmask_b32_e64 v36, v36, v38, s[0:1]
	v_and_or_b32 v37, v39, s54, v37
	v_lshl_or_b32 v36, v36, 7, v37
.LBB236_82:                             ;   in Loop: Header=BB236_13 Depth=1
	s_or_b64 exec, exec, s[44:45]
.LBB236_83:                             ;   in Loop: Header=BB236_13 Depth=1
	s_or_b64 exec, exec, s[42:43]
.LBB236_84:                             ;   in Loop: Header=BB236_13 Depth=1
	s_or_b64 exec, exec, s[40:41]
	v_lshrrev_b16_e32 v2, 8, v2
	v_cmp_ne_u16_e64 s[0:1], 0, v2
	s_and_saveexec_b64 s[40:41], s[0:1]
	s_cbranch_execz .LBB236_90
; %bb.85:                               ;   in Loop: Header=BB236_13 Depth=1
	v_cmp_ne_u16_e64 s[0:1], s52, v2
	v_bfrev_b32_e32 v35, 1
	s_and_saveexec_b64 s[42:43], s[0:1]
	s_cbranch_execz .LBB236_89
; %bb.86:                               ;   in Loop: Header=BB236_13 Depth=1
	v_and_b32_e32 v37, 0x7f, v2
	v_cmp_ne_u32_e64 s[0:1], s53, v37
	v_mov_b32_e32 v35, 0x7c010000
	s_and_saveexec_b64 s[44:45], s[0:1]
	s_cbranch_execz .LBB236_88
; %bb.87:                               ;   in Loop: Header=BB236_13 Depth=1
	v_and_b32_e32 v35, 7, v2
	v_ffbh_u32_e32 v38, v35
	v_min_u32_e32 v41, 32, v38
	v_subrev_u32_e32 v38, 28, v41
	v_lshlrev_b64 v[38:39], v38, v[2:3]
	v_lshrrev_b32_e32 v40, 3, v37
	v_sub_u32_e32 v39, 29, v41
	v_cmp_gt_u32_e64 s[0:1], 8, v37
	v_lshlrev_b32_e32 v2, 8, v2
	v_and_b32_e32 v38, 7, v38
	v_cndmask_b32_e64 v37, v40, v39, s[0:1]
	v_lshl_add_u32 v37, v37, 10, v19
	v_and_or_b32 v2, v2, s54, v37
	v_cndmask_b32_e64 v35, v35, v38, s[0:1]
	v_lshlrev_b32_e32 v2, 16, v2
	v_lshl_or_b32 v35, v35, 23, v2
.LBB236_88:                             ;   in Loop: Header=BB236_13 Depth=1
	s_or_b64 exec, exec, s[44:45]
.LBB236_89:                             ;   in Loop: Header=BB236_13 Depth=1
	s_or_b64 exec, exec, s[42:43]
.LBB236_90:                             ;   in Loop: Header=BB236_13 Depth=1
	s_or_b64 exec, exec, s[40:41]
	global_load_ushort v38, v[8:9], off offset:768
	v_mov_b32_e32 v37, 0
	s_waitcnt vmcnt(0)
	v_and_b32_e32 v2, 0xffff, v38
	v_cmp_ne_u16_sdwa s[0:1], v38, v3 src0_sel:BYTE_0 src1_sel:DWORD
	v_mov_b32_e32 v38, 0
	s_and_saveexec_b64 s[40:41], s[0:1]
	s_cbranch_execz .LBB236_96
; %bb.91:                               ;   in Loop: Header=BB236_13 Depth=1
	v_cmp_ne_u16_sdwa s[0:1], v2, s52 src0_sel:BYTE_0 src1_sel:DWORD
	v_mov_b32_e32 v38, 0x8000
	s_and_saveexec_b64 s[42:43], s[0:1]
	s_cbranch_execz .LBB236_95
; %bb.92:                               ;   in Loop: Header=BB236_13 Depth=1
	v_and_b32_e32 v39, 0x7f, v2
	v_cmp_ne_u32_e64 s[0:1], s53, v39
	v_mov_b32_e32 v38, 0x7c01
	s_and_saveexec_b64 s[44:45], s[0:1]
	s_cbranch_execz .LBB236_94
; %bb.93:                               ;   in Loop: Header=BB236_13 Depth=1
	v_and_b32_e32 v38, 7, v2
	v_ffbh_u32_e32 v40, v38
	v_min_u32_e32 v43, 32, v40
	v_subrev_u32_e32 v40, 28, v43
	v_lshlrev_b64 v[40:41], v40, v[2:3]
	v_lshrrev_b32_e32 v42, 3, v39
	v_sub_u32_e32 v41, 29, v43
	v_cmp_gt_u32_e64 s[0:1], 8, v39
	v_and_b32_e32 v40, 7, v40
	s_nop 0
	v_cndmask_b32_e64 v39, v42, v41, s[0:1]
	v_lshl_add_u32 v39, v39, 10, v19
	v_lshlrev_b32_e32 v41, 8, v2
	v_and_b32_e32 v39, 0xfc00, v39
	v_cndmask_b32_e64 v38, v38, v40, s[0:1]
	v_and_or_b32 v39, v41, s54, v39
	v_lshl_or_b32 v38, v38, 7, v39
.LBB236_94:                             ;   in Loop: Header=BB236_13 Depth=1
	s_or_b64 exec, exec, s[44:45]
.LBB236_95:                             ;   in Loop: Header=BB236_13 Depth=1
	s_or_b64 exec, exec, s[42:43]
.LBB236_96:                             ;   in Loop: Header=BB236_13 Depth=1
	s_or_b64 exec, exec, s[40:41]
	v_lshrrev_b16_e32 v2, 8, v2
	v_cmp_ne_u16_e64 s[0:1], 0, v2
	s_and_saveexec_b64 s[40:41], s[0:1]
	s_cbranch_execz .LBB236_102
; %bb.97:                               ;   in Loop: Header=BB236_13 Depth=1
	v_cmp_ne_u16_e64 s[0:1], s52, v2
	v_bfrev_b32_e32 v37, 1
	s_and_saveexec_b64 s[42:43], s[0:1]
	s_cbranch_execz .LBB236_101
; %bb.98:                               ;   in Loop: Header=BB236_13 Depth=1
	v_and_b32_e32 v39, 0x7f, v2
	v_cmp_ne_u32_e64 s[0:1], s53, v39
	v_mov_b32_e32 v37, 0x7c010000
	s_and_saveexec_b64 s[44:45], s[0:1]
	s_cbranch_execz .LBB236_100
; %bb.99:                               ;   in Loop: Header=BB236_13 Depth=1
	v_and_b32_e32 v37, 7, v2
	v_ffbh_u32_e32 v40, v37
	v_min_u32_e32 v43, 32, v40
	v_subrev_u32_e32 v40, 28, v43
	v_lshlrev_b64 v[40:41], v40, v[2:3]
	v_lshrrev_b32_e32 v42, 3, v39
	v_sub_u32_e32 v41, 29, v43
	v_cmp_gt_u32_e64 s[0:1], 8, v39
	v_lshlrev_b32_e32 v2, 8, v2
	v_and_b32_e32 v40, 7, v40
	v_cndmask_b32_e64 v39, v42, v41, s[0:1]
	v_lshl_add_u32 v39, v39, 10, v19
	v_and_or_b32 v2, v2, s54, v39
	v_cndmask_b32_e64 v37, v37, v40, s[0:1]
	v_lshlrev_b32_e32 v2, 16, v2
	v_lshl_or_b32 v37, v37, 23, v2
.LBB236_100:                            ;   in Loop: Header=BB236_13 Depth=1
	s_or_b64 exec, exec, s[44:45]
.LBB236_101:                            ;   in Loop: Header=BB236_13 Depth=1
	s_or_b64 exec, exec, s[42:43]
.LBB236_102:                            ;   in Loop: Header=BB236_13 Depth=1
	s_or_b64 exec, exec, s[40:41]
	global_load_ushort v40, v[8:9], off offset:776
	v_mov_b32_e32 v39, 0
	s_waitcnt vmcnt(0)
	v_and_b32_e32 v2, 0xffff, v40
	v_cmp_ne_u16_sdwa s[0:1], v40, v3 src0_sel:BYTE_0 src1_sel:DWORD
	v_mov_b32_e32 v40, 0
	s_and_saveexec_b64 s[40:41], s[0:1]
	s_cbranch_execz .LBB236_108
; %bb.103:                              ;   in Loop: Header=BB236_13 Depth=1
	v_cmp_ne_u16_sdwa s[0:1], v2, s52 src0_sel:BYTE_0 src1_sel:DWORD
	v_mov_b32_e32 v40, 0x8000
	s_and_saveexec_b64 s[42:43], s[0:1]
	s_cbranch_execz .LBB236_107
; %bb.104:                              ;   in Loop: Header=BB236_13 Depth=1
	v_and_b32_e32 v41, 0x7f, v2
	v_cmp_ne_u32_e64 s[0:1], s53, v41
	v_mov_b32_e32 v40, 0x7c01
	s_and_saveexec_b64 s[44:45], s[0:1]
	s_cbranch_execz .LBB236_106
; %bb.105:                              ;   in Loop: Header=BB236_13 Depth=1
	v_and_b32_e32 v40, 7, v2
	v_ffbh_u32_e32 v42, v40
	v_min_u32_e32 v45, 32, v42
	v_subrev_u32_e32 v42, 28, v45
	v_lshlrev_b64 v[42:43], v42, v[2:3]
	v_lshrrev_b32_e32 v44, 3, v41
	v_sub_u32_e32 v43, 29, v45
	v_cmp_gt_u32_e64 s[0:1], 8, v41
	v_and_b32_e32 v42, 7, v42
	s_nop 0
	v_cndmask_b32_e64 v41, v44, v43, s[0:1]
	v_lshl_add_u32 v41, v41, 10, v19
	v_lshlrev_b32_e32 v43, 8, v2
	v_and_b32_e32 v41, 0xfc00, v41
	v_cndmask_b32_e64 v40, v40, v42, s[0:1]
	v_and_or_b32 v41, v43, s54, v41
	v_lshl_or_b32 v40, v40, 7, v41
.LBB236_106:                            ;   in Loop: Header=BB236_13 Depth=1
	s_or_b64 exec, exec, s[44:45]
.LBB236_107:                            ;   in Loop: Header=BB236_13 Depth=1
	s_or_b64 exec, exec, s[42:43]
.LBB236_108:                            ;   in Loop: Header=BB236_13 Depth=1
	s_or_b64 exec, exec, s[40:41]
	v_lshrrev_b16_e32 v2, 8, v2
	v_cmp_ne_u16_e64 s[0:1], 0, v2
	s_and_saveexec_b64 s[40:41], s[0:1]
	s_cbranch_execz .LBB236_114
; %bb.109:                              ;   in Loop: Header=BB236_13 Depth=1
	v_cmp_ne_u16_e64 s[0:1], s52, v2
	v_bfrev_b32_e32 v39, 1
	s_and_saveexec_b64 s[42:43], s[0:1]
	s_cbranch_execz .LBB236_113
; %bb.110:                              ;   in Loop: Header=BB236_13 Depth=1
	v_and_b32_e32 v41, 0x7f, v2
	v_cmp_ne_u32_e64 s[0:1], s53, v41
	v_mov_b32_e32 v39, 0x7c010000
	s_and_saveexec_b64 s[44:45], s[0:1]
	s_cbranch_execz .LBB236_112
; %bb.111:                              ;   in Loop: Header=BB236_13 Depth=1
	v_and_b32_e32 v39, 7, v2
	v_ffbh_u32_e32 v42, v39
	v_min_u32_e32 v45, 32, v42
	v_subrev_u32_e32 v42, 28, v45
	v_lshlrev_b64 v[42:43], v42, v[2:3]
	v_lshrrev_b32_e32 v44, 3, v41
	v_sub_u32_e32 v43, 29, v45
	v_cmp_gt_u32_e64 s[0:1], 8, v41
	v_lshlrev_b32_e32 v2, 8, v2
	v_and_b32_e32 v42, 7, v42
	v_cndmask_b32_e64 v41, v44, v43, s[0:1]
	v_lshl_add_u32 v41, v41, 10, v19
	v_and_or_b32 v2, v2, s54, v41
	v_cndmask_b32_e64 v39, v39, v42, s[0:1]
	v_lshlrev_b32_e32 v2, 16, v2
	v_lshl_or_b32 v39, v39, 23, v2
.LBB236_112:                            ;   in Loop: Header=BB236_13 Depth=1
	s_or_b64 exec, exec, s[44:45]
.LBB236_113:                            ;   in Loop: Header=BB236_13 Depth=1
	s_or_b64 exec, exec, s[42:43]
.LBB236_114:                            ;   in Loop: Header=BB236_13 Depth=1
	s_or_b64 exec, exec, s[40:41]
	global_load_ushort v42, v[8:9], off offset:1024
	v_mov_b32_e32 v41, 0
	s_waitcnt vmcnt(0)
	v_and_b32_e32 v2, 0xffff, v42
	v_cmp_ne_u16_sdwa s[0:1], v42, v3 src0_sel:BYTE_0 src1_sel:DWORD
	v_mov_b32_e32 v42, 0
	s_and_saveexec_b64 s[40:41], s[0:1]
	s_cbranch_execz .LBB236_120
; %bb.115:                              ;   in Loop: Header=BB236_13 Depth=1
	v_cmp_ne_u16_sdwa s[0:1], v2, s52 src0_sel:BYTE_0 src1_sel:DWORD
	v_mov_b32_e32 v42, 0x8000
	s_and_saveexec_b64 s[42:43], s[0:1]
	s_cbranch_execz .LBB236_119
; %bb.116:                              ;   in Loop: Header=BB236_13 Depth=1
	v_and_b32_e32 v43, 0x7f, v2
	v_cmp_ne_u32_e64 s[0:1], s53, v43
	v_mov_b32_e32 v42, 0x7c01
	s_and_saveexec_b64 s[44:45], s[0:1]
	s_cbranch_execz .LBB236_118
; %bb.117:                              ;   in Loop: Header=BB236_13 Depth=1
	v_and_b32_e32 v42, 7, v2
	v_ffbh_u32_e32 v44, v42
	v_min_u32_e32 v47, 32, v44
	v_subrev_u32_e32 v44, 28, v47
	v_lshlrev_b64 v[44:45], v44, v[2:3]
	v_lshrrev_b32_e32 v46, 3, v43
	v_sub_u32_e32 v45, 29, v47
	v_cmp_gt_u32_e64 s[0:1], 8, v43
	v_and_b32_e32 v44, 7, v44
	s_nop 0
	v_cndmask_b32_e64 v43, v46, v45, s[0:1]
	v_lshl_add_u32 v43, v43, 10, v19
	v_lshlrev_b32_e32 v45, 8, v2
	v_and_b32_e32 v43, 0xfc00, v43
	v_cndmask_b32_e64 v42, v42, v44, s[0:1]
	v_and_or_b32 v43, v45, s54, v43
	v_lshl_or_b32 v42, v42, 7, v43
.LBB236_118:                            ;   in Loop: Header=BB236_13 Depth=1
	s_or_b64 exec, exec, s[44:45]
.LBB236_119:                            ;   in Loop: Header=BB236_13 Depth=1
	s_or_b64 exec, exec, s[42:43]
.LBB236_120:                            ;   in Loop: Header=BB236_13 Depth=1
	s_or_b64 exec, exec, s[40:41]
	v_lshrrev_b16_e32 v2, 8, v2
	v_cmp_ne_u16_e64 s[0:1], 0, v2
	s_and_saveexec_b64 s[40:41], s[0:1]
	s_cbranch_execz .LBB236_126
; %bb.121:                              ;   in Loop: Header=BB236_13 Depth=1
	v_cmp_ne_u16_e64 s[0:1], s52, v2
	v_bfrev_b32_e32 v41, 1
	s_and_saveexec_b64 s[42:43], s[0:1]
	s_cbranch_execz .LBB236_125
; %bb.122:                              ;   in Loop: Header=BB236_13 Depth=1
	v_and_b32_e32 v43, 0x7f, v2
	v_cmp_ne_u32_e64 s[0:1], s53, v43
	v_mov_b32_e32 v41, 0x7c010000
	s_and_saveexec_b64 s[44:45], s[0:1]
	s_cbranch_execz .LBB236_124
; %bb.123:                              ;   in Loop: Header=BB236_13 Depth=1
	v_and_b32_e32 v41, 7, v2
	v_ffbh_u32_e32 v44, v41
	v_min_u32_e32 v47, 32, v44
	v_subrev_u32_e32 v44, 28, v47
	v_lshlrev_b64 v[44:45], v44, v[2:3]
	v_lshrrev_b32_e32 v46, 3, v43
	v_sub_u32_e32 v45, 29, v47
	v_cmp_gt_u32_e64 s[0:1], 8, v43
	v_lshlrev_b32_e32 v2, 8, v2
	v_and_b32_e32 v44, 7, v44
	v_cndmask_b32_e64 v43, v46, v45, s[0:1]
	v_lshl_add_u32 v43, v43, 10, v19
	v_and_or_b32 v2, v2, s54, v43
	v_cndmask_b32_e64 v41, v41, v44, s[0:1]
	v_lshlrev_b32_e32 v2, 16, v2
	v_lshl_or_b32 v41, v41, 23, v2
.LBB236_124:                            ;   in Loop: Header=BB236_13 Depth=1
	s_or_b64 exec, exec, s[44:45]
.LBB236_125:                            ;   in Loop: Header=BB236_13 Depth=1
	s_or_b64 exec, exec, s[42:43]
.LBB236_126:                            ;   in Loop: Header=BB236_13 Depth=1
	s_or_b64 exec, exec, s[40:41]
	global_load_ushort v9, v[8:9], off offset:1032
	v_mov_b32_e32 v8, 0
	s_waitcnt vmcnt(0)
	v_and_b32_e32 v2, 0xffff, v9
	v_cmp_ne_u16_sdwa s[0:1], v9, v3 src0_sel:BYTE_0 src1_sel:DWORD
	v_mov_b32_e32 v9, 0
	s_and_saveexec_b64 s[40:41], s[0:1]
	s_cbranch_execz .LBB236_132
; %bb.127:                              ;   in Loop: Header=BB236_13 Depth=1
	v_cmp_ne_u16_sdwa s[0:1], v2, s52 src0_sel:BYTE_0 src1_sel:DWORD
	v_mov_b32_e32 v9, 0x8000
	s_and_saveexec_b64 s[42:43], s[0:1]
	s_cbranch_execz .LBB236_131
; %bb.128:                              ;   in Loop: Header=BB236_13 Depth=1
	v_and_b32_e32 v43, 0x7f, v2
	v_cmp_ne_u32_e64 s[0:1], s53, v43
	v_mov_b32_e32 v9, 0x7c01
	s_and_saveexec_b64 s[44:45], s[0:1]
	s_cbranch_execz .LBB236_130
; %bb.129:                              ;   in Loop: Header=BB236_13 Depth=1
	v_and_b32_e32 v9, 7, v2
	v_ffbh_u32_e32 v44, v9
	v_min_u32_e32 v47, 32, v44
	v_subrev_u32_e32 v44, 28, v47
	v_lshlrev_b64 v[44:45], v44, v[2:3]
	v_lshrrev_b32_e32 v46, 3, v43
	v_sub_u32_e32 v45, 29, v47
	v_cmp_gt_u32_e64 s[0:1], 8, v43
	v_and_b32_e32 v44, 7, v44
	s_nop 0
	v_cndmask_b32_e64 v43, v46, v45, s[0:1]
	v_lshl_add_u32 v43, v43, 10, v19
	v_lshlrev_b32_e32 v45, 8, v2
	v_and_b32_e32 v43, 0xfc00, v43
	v_cndmask_b32_e64 v9, v9, v44, s[0:1]
	v_and_or_b32 v43, v45, s54, v43
	v_lshl_or_b32 v9, v9, 7, v43
.LBB236_130:                            ;   in Loop: Header=BB236_13 Depth=1
	s_or_b64 exec, exec, s[44:45]
.LBB236_131:                            ;   in Loop: Header=BB236_13 Depth=1
	s_or_b64 exec, exec, s[42:43]
.LBB236_132:                            ;   in Loop: Header=BB236_13 Depth=1
	s_or_b64 exec, exec, s[40:41]
	v_lshrrev_b16_e32 v2, 8, v2
	v_cmp_ne_u16_e64 s[0:1], 0, v2
	s_and_saveexec_b64 s[40:41], s[0:1]
	s_cbranch_execz .LBB236_138
; %bb.133:                              ;   in Loop: Header=BB236_13 Depth=1
	v_cmp_ne_u16_e64 s[0:1], s52, v2
	v_bfrev_b32_e32 v8, 1
	s_and_saveexec_b64 s[42:43], s[0:1]
	s_cbranch_execz .LBB236_137
; %bb.134:                              ;   in Loop: Header=BB236_13 Depth=1
	v_and_b32_e32 v43, 0x7f, v2
	v_cmp_ne_u32_e64 s[0:1], s53, v43
	v_mov_b32_e32 v8, 0x7c010000
	s_and_saveexec_b64 s[44:45], s[0:1]
	s_cbranch_execz .LBB236_136
; %bb.135:                              ;   in Loop: Header=BB236_13 Depth=1
	v_and_b32_e32 v8, 7, v2
	v_ffbh_u32_e32 v44, v8
	v_min_u32_e32 v47, 32, v44
	v_subrev_u32_e32 v44, 28, v47
	v_lshlrev_b64 v[44:45], v44, v[2:3]
	v_lshrrev_b32_e32 v46, 3, v43
	v_sub_u32_e32 v45, 29, v47
	v_cmp_gt_u32_e64 s[0:1], 8, v43
	v_lshlrev_b32_e32 v2, 8, v2
	v_and_b32_e32 v44, 7, v44
	v_cndmask_b32_e64 v43, v46, v45, s[0:1]
	v_lshl_add_u32 v43, v43, 10, v19
	v_and_or_b32 v2, v2, s54, v43
	v_cndmask_b32_e64 v8, v8, v44, s[0:1]
	v_lshlrev_b32_e32 v2, 16, v2
	v_lshl_or_b32 v8, v8, 23, v2
.LBB236_136:                            ;   in Loop: Header=BB236_13 Depth=1
	s_or_b64 exec, exec, s[44:45]
.LBB236_137:                            ;   in Loop: Header=BB236_13 Depth=1
	s_or_b64 exec, exec, s[42:43]
.LBB236_138:                            ;   in Loop: Header=BB236_13 Depth=1
	s_or_b64 exec, exec, s[40:41]
	v_or_b32_e32 v2, v41, v42
	ds_read_b32 v42, v12
	v_or_b32_e32 v24, v23, v24
	v_fma_mixlo_f16 v24, v22, v24, 0 op_sel_hi:[0,1,0]
	v_fma_mixlo_f16 v23, v22, v23, 0 op_sel:[0,1,0] op_sel_hi:[0,1,0]
	v_and_b32_e32 v24, 0xffff, v24
	s_waitcnt lgkmcnt(0)
	v_lshrrev_b32_e32 v43, 16, v42
	v_and_b32_e32 v42, 0xffff, v42
	v_and_b32_e32 v23, 0xffff, v23
	;;#ASMSTART
	v_cvt_f32_f16 v42, v42;
	;;#ASMEND
	;;#ASMSTART
	v_cvt_f32_f16 v43, v43;
	;;#ASMEND
	;;#ASMSTART
	v_cvt_f32_f16 v24, v24;
	;;#ASMEND
	;;#ASMSTART
	v_cvt_f32_f16 v23, v23;
	;;#ASMEND
	ds_read_b32 v44, v12 offset:4
	v_or_b32_e32 v28, v25, v28
	v_fma_mixlo_f16 v28, v22, v28, 0 op_sel_hi:[0,1,0]
	v_fma_mixlo_f16 v25, v22, v25, 0 op_sel:[0,1,0] op_sel_hi:[0,1,0]
	v_and_b32_e32 v28, 0xffff, v28
	s_waitcnt lgkmcnt(0)
	v_lshrrev_b32_e32 v45, 16, v44
	v_and_b32_e32 v44, 0xffff, v44
	v_and_b32_e32 v25, 0xffff, v25
	;;#ASMSTART
	v_cvt_f32_f16 v44, v44;
	;;#ASMEND
	;;#ASMSTART
	v_cvt_f32_f16 v45, v45;
	;;#ASMEND
	;;#ASMSTART
	v_cvt_f32_f16 v28, v28;
	;;#ASMEND
	;;#ASMSTART
	v_cvt_f32_f16 v25, v25;
	;;#ASMEND
	ds_read_b32 v46, v12 offset:8
	;; [unrolled: 21-line block ×5, first 2 shown]
	v_or_b32_e32 v40, v39, v40
	v_or_b32_e32 v38, v37, v38
	;; [unrolled: 1-line block ×4, first 2 shown]
	v_fma_mixlo_f16 v2, v22, v2, 0 op_sel_hi:[0,1,0]
	v_fma_mixlo_f16 v41, v22, v41, 0 op_sel:[0,1,0] op_sel_hi:[0,1,0]
	v_fma_mixlo_f16 v40, v22, v40, 0 op_sel_hi:[0,1,0]
	v_fma_mixlo_f16 v39, v22, v39, 0 op_sel:[0,1,0] op_sel_hi:[0,1,0]
	;; [unrolled: 2-line block ×5, first 2 shown]
	v_mul_f32_e32 v22, v44, v28
	v_fmac_f32_e32 v22, v42, v24
	s_waitcnt lgkmcnt(0)
	v_lshrrev_b32_e32 v28, 16, v52
	v_and_b32_e32 v24, 0xffff, v52
	v_and_b32_e32 v36, 0xffff, v36
	;; [unrolled: 1-line block ×3, first 2 shown]
	;;#ASMSTART
	v_cvt_f32_f16 v24, v24;
	;;#ASMEND
	;;#ASMSTART
	v_cvt_f32_f16 v28, v28;
	;;#ASMEND
	;; [unrolled: 3-line block ×4, first 2 shown]
	ds_read_b32 v42, v12 offset:24
	v_mul_f32_e32 v25, v45, v25
	v_fmac_f32_e32 v25, v43, v23
	v_fmac_f32_e32 v22, v46, v30
	;; [unrolled: 1-line block ×3, first 2 shown]
	s_waitcnt lgkmcnt(0)
	v_lshrrev_b32_e32 v29, 16, v42
	v_and_b32_e32 v23, 0xffff, v42
	v_and_b32_e32 v30, 0xffff, v38
	;; [unrolled: 1-line block ×3, first 2 shown]
	;;#ASMSTART
	v_cvt_f32_f16 v23, v23;
	;;#ASMEND
	;;#ASMSTART
	v_cvt_f32_f16 v29, v29;
	;;#ASMEND
	;; [unrolled: 3-line block ×4, first 2 shown]
	ds_read_b32 v38, v12 offset:28
	v_fmac_f32_e32 v22, v48, v32
	v_fmac_f32_e32 v25, v49, v31
	;; [unrolled: 1-line block ×4, first 2 shown]
	s_waitcnt lgkmcnt(0)
	v_lshrrev_b32_e32 v32, 16, v38
	v_and_b32_e32 v31, 0xffff, v38
	v_and_b32_e32 v33, 0xffff, v40
	;; [unrolled: 1-line block ×3, first 2 shown]
	;;#ASMSTART
	v_cvt_f32_f16 v31, v31;
	;;#ASMEND
	;;#ASMSTART
	v_cvt_f32_f16 v32, v32;
	;;#ASMEND
	;; [unrolled: 3-line block ×4, first 2 shown]
	ds_read_b32 v38, v12 offset:32
	v_fmac_f32_e32 v22, v24, v36
	v_fmac_f32_e32 v25, v28, v35
	;; [unrolled: 1-line block ×3, first 2 shown]
	v_and_b32_e32 v2, 0xffff, v2
	s_waitcnt lgkmcnt(0)
	v_lshrrev_b32_e32 v24, 16, v38
	v_and_b32_e32 v23, 0xffff, v38
	v_and_b32_e32 v28, 0xffff, v41
	v_fmac_f32_e32 v25, v29, v37
	;;#ASMSTART
	v_cvt_f32_f16 v23, v23;
	;;#ASMEND
	;;#ASMSTART
	v_cvt_f32_f16 v24, v24;
	;;#ASMEND
	;; [unrolled: 3-line block ×4, first 2 shown]
	ds_read_b32 v29, v12 offset:36
	v_fmac_f32_e32 v22, v31, v33
	v_fmac_f32_e32 v25, v32, v34
	;; [unrolled: 1-line block ×3, first 2 shown]
	v_and_b32_e32 v9, 0xffff, v9
	s_waitcnt lgkmcnt(0)
	v_lshrrev_b32_e32 v23, 16, v29
	v_and_b32_e32 v2, 0xffff, v29
	v_and_b32_e32 v8, 0xffff, v8
	v_fmac_f32_e32 v25, v24, v28
	;;#ASMSTART
	v_cvt_f32_f16 v2, v2;
	;;#ASMEND
	;;#ASMSTART
	v_cvt_f32_f16 v23, v23;
	;;#ASMEND
	;; [unrolled: 3-line block ×4, first 2 shown]
	s_nop 0
	v_fmac_f32_e32 v25, v23, v8
	v_and_b32_e32 v8, 64, v20
	v_fmac_f32_e32 v22, v2, v9
	v_add_u32_e32 v8, 64, v8
	v_xor_b32_e32 v9, 2, v20
	v_cmp_lt_i32_e64 s[0:1], v9, v8
	v_add_f32_e32 v2, v22, v25
	s_nop 0
	v_cndmask_b32_e64 v9, v20, v9, s[0:1]
	v_lshlrev_b32_e32 v9, 2, v9
	ds_bpermute_b32 v9, v9, v2
	s_waitcnt lgkmcnt(0)
	v_add_f32_e32 v2, v2, v9
	v_xor_b32_e32 v9, 1, v20
	v_cmp_lt_i32_e64 s[0:1], v9, v8
	s_nop 1
	v_cndmask_b32_e64 v8, v20, v9, s[0:1]
	v_lshlrev_b32_e32 v8, 2, v8
	ds_bpermute_b32 v8, v8, v2
	s_and_saveexec_b64 s[40:41], vcc
	s_cbranch_execz .LBB236_11
; %bb.139:                              ;   in Loop: Header=BB236_13 Depth=1
	v_add_u32_e32 v9, v16, v15
	v_cvt_f32_i32_e32 v9, v9
	s_waitcnt lgkmcnt(0)
	v_add_f32_e32 v2, v2, v8
	v_add_u32_e32 v22, v11, v15
	v_cmp_gt_i32_e64 s[0:1], s33, v22
	v_mul_f32_e32 v8, s49, v9
	v_cndmask_b32_e64 v8, 0, v8, s[2:3]
	v_fmac_f32_e32 v8, s37, v2
	v_cndmask_b32_e64 v2, 0, v8, s[0:1]
	ds_write_b32 v17, v2
	v_max_f32_e32 v2, v13, v13
	v_max_f32_e32 v2, v2, v8
	v_cndmask_b32_e64 v13, v13, v2, s[0:1]
	s_branch .LBB236_11
.LBB236_140:
	s_or_b64 exec, exec, s[38:39]
.LBB236_141:
	s_or_b64 exec, exec, s[18:19]
	v_mbcnt_hi_u32_b32 v2, -1, v10
	v_and_b32_e32 v11, 64, v2
	v_add_u32_e32 v3, 64, v11
	v_xor_b32_e32 v4, 32, v2
	v_cmp_lt_i32_e32 vcc, v4, v3
	v_xor_b32_e32 v7, 16, v2
	v_max_f32_e32 v6, v13, v13
	v_cndmask_b32_e32 v4, v2, v4, vcc
	v_lshlrev_b32_e32 v5, 2, v4
	ds_bpermute_b32 v4, v5, v13
	v_cmp_lt_i32_e32 vcc, v7, v3
	s_waitcnt lgkmcnt(1)
	v_xor_b32_e32 v8, 8, v2
	v_xor_b32_e32 v10, 4, v2
	s_waitcnt lgkmcnt(0)
	v_max_f32_e32 v4, v4, v4
	v_max_f32_e32 v4, v6, v4
	v_cndmask_b32_e32 v6, v2, v7, vcc
	v_lshlrev_b32_e32 v6, 2, v6
	ds_bpermute_b32 v7, v6, v4
	v_cmp_lt_i32_e32 vcc, v8, v3
	s_waitcnt lgkmcnt(0)
	v_max_f32_e32 v7, v7, v7
	v_max_f32_e32 v4, v4, v7
	v_cndmask_b32_e32 v7, v2, v8, vcc
	v_lshlrev_b32_e32 v9, 2, v7
	ds_bpermute_b32 v7, v9, v4
	v_cmp_lt_i32_e32 vcc, v10, v3
	s_waitcnt lgkmcnt(0)
	v_max_f32_e32 v7, v7, v7
	v_max_f32_e32 v8, v4, v7
	v_cndmask_b32_e32 v4, v2, v10, vcc
	v_lshlrev_b32_e32 v10, 2, v4
	ds_bpermute_b32 v12, v10, v8
	v_and_b32_e32 v4, 63, v0
	v_cmp_eq_u32_e32 vcc, 0, v4
	v_lshlrev_b32_e32 v7, 2, v26
	s_and_saveexec_b64 s[0:1], vcc
	s_cbranch_execz .LBB236_143
; %bb.142:
	s_waitcnt lgkmcnt(0)
	v_max_f32_e32 v12, v12, v12
	v_max_f32_e32 v8, v8, v8
	;; [unrolled: 1-line block ×3, first 2 shown]
	ds_write_b32 v7, v8 offset:160
.LBB236_143:
	s_or_b64 exec, exec, s[0:1]
	v_cmp_gt_u32_e64 s[0:1], 2, v4
	s_waitcnt lgkmcnt(0)
	v_mov_b32_e32 v12, 0xff7fffff
	v_lshlrev_b32_e32 v8, 2, v4
	s_barrier
	s_and_saveexec_b64 s[2:3], s[0:1]
; %bb.144:
	ds_read_b32 v12, v8 offset:160
; %bb.145:
	s_or_b64 exec, exec, s[2:3]
	v_xor_b32_e32 v13, 1, v2
	v_cmp_lt_i32_e64 s[2:3], v13, v3
	v_lshlrev_b32_e32 v11, 2, v11
	s_nop 0
	v_cndmask_b32_e64 v13, v2, v13, s[2:3]
	v_lshlrev_b32_e32 v28, 2, v13
	s_waitcnt lgkmcnt(0)
	ds_bpermute_b32 v13, v28, v12
	v_max_f32_e32 v12, v12, v12
	s_lshl_b32 s2, s48, 4
	s_min_i32 s23, s2, s33
	v_cmp_gt_i32_e64 s[2:3], s23, v0
	s_waitcnt lgkmcnt(0)
	v_max_f32_e32 v13, v13, v13
	v_max_f32_e32 v12, v12, v13
	ds_bpermute_b32 v12, v11, v12
	v_mov_b32_e32 v11, 0
	s_and_saveexec_b64 s[12:13], s[2:3]
	s_cbranch_execz .LBB236_149
; %bb.146:
	v_mov_b32_e32 v11, 0xb0
	v_lshl_add_u32 v13, v0, 2, v11
	v_mov_b32_e32 v11, 0
	s_mov_b64 s[18:19], 0
	v_mov_b32_e32 v14, v0
.LBB236_147:                            ; =>This Inner Loop Header: Depth=1
	ds_read_b32 v15, v13
	v_add_u32_e32 v14, 0x80, v14
	v_cmp_le_i32_e64 s[8:9], s23, v14
	s_or_b64 s[18:19], s[8:9], s[18:19]
	s_waitcnt lgkmcnt(0)
	v_sub_f32_e32 v15, v15, v12
	v_mul_f32_e32 v15, 0x3fb8aa3b, v15
	v_exp_f32_e32 v15, v15
	ds_write_b32 v13, v15
	v_add_f32_e32 v11, v11, v15
	v_add_u32_e32 v13, 0x200, v13
	s_andn2_b64 exec, exec, s[18:19]
	s_cbranch_execnz .LBB236_147
; %bb.148:
	s_or_b64 exec, exec, s[18:19]
.LBB236_149:
	s_or_b64 exec, exec, s[12:13]
	ds_bpermute_b32 v5, v5, v11
	s_waitcnt lgkmcnt(0)
	v_add_f32_e32 v5, v11, v5
	ds_bpermute_b32 v6, v6, v5
	s_waitcnt lgkmcnt(0)
	v_add_f32_e32 v5, v5, v6
	ds_bpermute_b32 v6, v9, v5
	v_xor_b32_e32 v9, 2, v2
	v_cmp_lt_i32_e64 s[8:9], v9, v3
	s_waitcnt lgkmcnt(0)
	v_add_f32_e32 v5, v5, v6
	ds_bpermute_b32 v6, v10, v5
	v_cndmask_b32_e64 v3, v2, v9, s[8:9]
	v_lshlrev_b32_e32 v3, 2, v3
	s_waitcnt lgkmcnt(0)
	v_add_f32_e32 v5, v5, v6
	ds_bpermute_b32 v3, v3, v5
	s_waitcnt lgkmcnt(0)
	v_add_f32_e32 v3, v5, v3
	ds_bpermute_b32 v5, v28, v3
	s_waitcnt lgkmcnt(0)
	v_add_f32_e32 v3, v3, v5
	s_and_saveexec_b64 s[8:9], vcc
; %bb.150:
	ds_write_b32 v7, v3 offset:168
; %bb.151:
	s_or_b64 exec, exec, s[8:9]
	s_waitcnt lgkmcnt(0)
	s_barrier
	s_and_saveexec_b64 s[8:9], s[0:1]
; %bb.152:
	ds_read_b32 v3, v8 offset:168
; %bb.153:
	s_or_b64 exec, exec, s[8:9]
	s_waitcnt lgkmcnt(0)
	ds_bpermute_b32 v5, v28, v3
	v_lshlrev_b32_e32 v2, 2, v2
	v_and_b32_e32 v2, 0x100, v2
	s_waitcnt lgkmcnt(0)
	v_add_f32_e32 v3, v3, v5
	ds_bpermute_b32 v2, v2, v3
	s_and_saveexec_b64 s[0:1], s[2:3]
	s_cbranch_execz .LBB236_166
; %bb.154:
	s_waitcnt lgkmcnt(0)
	v_add_f32_e32 v2, 0x358637bd, v2
	v_div_scale_f32 v3, s[2:3], v2, v2, 1.0
	v_rcp_f32_e32 v5, v3
	v_div_scale_f32 v6, vcc, 1.0, v2, 1.0
	s_movk_i32 s2, 0x7f
	v_fma_f32 v7, -v3, v5, 1.0
	v_fmac_f32_e32 v5, v7, v5
	v_mul_f32_e32 v7, v6, v5
	v_fma_f32 v8, -v3, v7, v6
	v_fmac_f32_e32 v7, v8, v5
	v_fma_f32 v3, -v3, v7, v6
	v_div_fmas_f32 v3, v3, v5, v7
	v_xad_u32 v5, v0, -1, s23
	v_div_fixup_f32 v2, v3, v2, 1.0
	v_cmp_lt_u32_e32 vcc, s2, v5
	s_mov_b64 s[8:9], -1
	v_mov_b32_e32 v3, v0
	s_and_saveexec_b64 s[2:3], vcc
	s_cbranch_execz .LBB236_163
; %bb.155:
	v_lshrrev_b32_e32 v5, 7, v5
	v_add_u32_e32 v7, -1, v5
	v_lshrrev_b32_e32 v6, 1, v7
	v_mov_b32_e32 v3, v2
	v_add_u32_e32 v6, 1, v6
	v_cmp_lt_u32_e32 vcc, 13, v7
	v_mov_b32_e32 v9, 0
	s_and_saveexec_b64 s[8:9], vcc
	s_cbranch_execz .LBB236_159
; %bb.156:
	v_mov_b32_e32 v8, 0xb0
	v_and_b32_e32 v7, -8, v6
	v_lshl_add_u32 v8, v0, 2, v8
	s_mov_b32 s18, 0
	s_mov_b64 s[12:13], 0
.LBB236_157:                            ; =>This Inner Loop Header: Depth=1
	ds_read2st64_b32 v[10:11], v8 offset1:2
	ds_read2st64_b32 v[12:13], v8 offset0:4 offset1:6
	ds_read2st64_b32 v[14:15], v8 offset0:8 offset1:10
	;; [unrolled: 1-line block ×3, first 2 shown]
	v_add_u32_e32 v7, -8, v7
	s_waitcnt lgkmcnt(3)
	v_pk_mul_f32 v[10:11], v[2:3], v[10:11]
	s_waitcnt lgkmcnt(2)
	v_pk_mul_f32 v[12:13], v[2:3], v[12:13]
	ds_write2st64_b32 v8, v10, v11 offset1:2
	ds_write2st64_b32 v8, v12, v13 offset0:4 offset1:6
	ds_read2st64_b32 v[12:13], v8 offset0:16 offset1:18
	s_waitcnt lgkmcnt(4)
	v_pk_mul_f32 v[10:11], v[2:3], v[14:15]
	ds_write2st64_b32 v8, v10, v11 offset0:8 offset1:10
	s_waitcnt lgkmcnt(4)
	v_pk_mul_f32 v[10:11], v[2:3], v[16:17]
	ds_write2st64_b32 v8, v10, v11 offset0:12 offset1:14
	ds_read2st64_b32 v[10:11], v8 offset0:20 offset1:22
	s_waitcnt lgkmcnt(3)
	v_pk_mul_f32 v[12:13], v[2:3], v[12:13]
	ds_read2st64_b32 v[14:15], v8 offset0:24 offset1:26
	ds_write2st64_b32 v8, v12, v13 offset0:16 offset1:18
	ds_read2st64_b32 v[12:13], v8 offset0:28 offset1:30
	s_waitcnt lgkmcnt(3)
	v_pk_mul_f32 v[10:11], v[2:3], v[10:11]
	ds_write2st64_b32 v8, v10, v11 offset0:20 offset1:22
	s_waitcnt lgkmcnt(3)
	v_pk_mul_f32 v[10:11], v[2:3], v[14:15]
	ds_write2st64_b32 v8, v10, v11 offset0:24 offset1:26
	s_waitcnt lgkmcnt(2)
	v_pk_mul_f32 v[10:11], v[2:3], v[12:13]
	s_add_i32 s18, s18, 16
	v_cmp_eq_u32_e32 vcc, 0, v7
	ds_write2st64_b32 v8, v10, v11 offset0:28 offset1:30
	v_add_u32_e32 v8, 0x2000, v8
	s_or_b64 s[12:13], vcc, s[12:13]
	v_mov_b32_e32 v9, s18
	s_andn2_b64 exec, exec, s[12:13]
	s_cbranch_execnz .LBB236_157
; %bb.158:
	s_or_b64 exec, exec, s[12:13]
.LBB236_159:
	s_or_b64 exec, exec, s[8:9]
	v_and_b32_e32 v6, 7, v6
	v_cmp_ne_u32_e32 vcc, 0, v6
	s_and_saveexec_b64 s[8:9], vcc
	s_cbranch_execz .LBB236_162
; %bb.160:
	v_lshlrev_b32_e32 v7, 9, v9
	v_lshlrev_b32_e32 v8, 2, v0
	s_movk_i32 s12, 0xb0
	v_add3_u32 v7, v7, v8, s12
	s_mov_b64 s[12:13], 0
.LBB236_161:                            ; =>This Inner Loop Header: Depth=1
	ds_read2st64_b32 v[8:9], v7 offset1:2
	v_add_u32_e32 v6, -1, v6
	v_cmp_eq_u32_e32 vcc, 0, v6
	s_or_b64 s[12:13], vcc, s[12:13]
	s_waitcnt lgkmcnt(0)
	v_pk_mul_f32 v[8:9], v[2:3], v[8:9]
	ds_write2st64_b32 v7, v8, v9 offset1:2
	v_add_u32_e32 v7, 0x400, v7
	s_andn2_b64 exec, exec, s[12:13]
	s_cbranch_execnz .LBB236_161
.LBB236_162:
	s_or_b64 exec, exec, s[8:9]
	v_add_u32_e32 v5, 1, v5
	v_and_b32_e32 v6, 0x3fffffe, v5
	v_cmp_ne_u32_e32 vcc, v5, v6
	v_lshl_add_u32 v3, v6, 7, v0
	s_orn2_b64 s[8:9], vcc, exec
.LBB236_163:
	s_or_b64 exec, exec, s[2:3]
	s_and_b64 exec, exec, s[8:9]
	s_cbranch_execz .LBB236_166
; %bb.164:
	v_mov_b32_e32 v5, 0xb0
	v_lshl_add_u32 v5, v3, 2, v5
	s_mov_b64 s[2:3], 0
.LBB236_165:                            ; =>This Inner Loop Header: Depth=1
	ds_read_b32 v6, v5
	v_add_u32_e32 v3, 0x80, v3
	v_cmp_le_i32_e32 vcc, s23, v3
	s_or_b64 s[2:3], vcc, s[2:3]
	s_waitcnt lgkmcnt(0)
	v_mul_f32_e32 v6, v2, v6
	ds_write_b32 v5, v6
	v_add_u32_e32 v5, 0x200, v5
	s_andn2_b64 exec, exec, s[2:3]
	s_cbranch_execnz .LBB236_165
.LBB236_166:
	s_or_b64 exec, exec, s[0:1]
	v_lshrrev_b32_e32 v29, 1, v4
	s_waitcnt lgkmcnt(0)
	s_barrier
	s_and_saveexec_b64 s[0:1], s[6:7]
	s_xor_b64 s[0:1], exec, s[0:1]
; %bb.167:
	v_lshrrev_b32_e32 v29, 1, v4
                                        ; implicit-def: $vgpr27
                                        ; implicit-def: $vgpr26
                                        ; implicit-def: $vgpr1
; %bb.168:
	s_or_saveexec_b64 s[6:7], s[0:1]
	v_mov_b32_e32 v7, 0
	v_and_b32_e32 v30, 1, v0
	v_mov_b32_e32 v6, 0
	v_mov_b32_e32 v32, 0
	s_xor_b64 exec, exec, s[6:7]
	s_cbranch_execz .LBB236_326
; %bb.169:
	s_sub_i32 s37, s16, s21
	s_ashr_i32 s0, s20, 31
	s_add_u32 s8, s34, s20
	s_addc_u32 s9, s35, s0
	s_abs_i32 s35, s22
	v_cvt_f32_u32_e32 v4, s35
	v_lshlrev_b32_e32 v2, 3, v0
	v_or_b32_e32 v6, 64, v29
	s_movk_i32 s0, 0x50
	v_rcp_iflag_f32_e32 v4, v4
	v_and_b32_e32 v31, 8, v2
	v_cmp_gt_u32_e32 vcc, s0, v6
	s_sub_i32 s0, 0, s35
	v_mul_f32_e32 v4, 0x4f7ffffe, v4
	v_cvt_u32_f32_e32 v4, v4
	v_lshl_or_b32 v8, v6, 4, v31
	s_add_i32 s34, s48, -1
	s_mov_b32 s12, -1
	v_mul_lo_u32 v6, s0, v4
	v_mul_hi_u32 v6, v4, v6
	s_lshl_b64 s[0:1], s[30:31], 2
	v_add_u32_e32 v33, v4, v6
	v_and_b32_e32 v4, 60, v1
	s_add_u32 s0, s28, s0
	v_lshlrev_b32_e32 v1, 5, v30
	v_mov_b32_e32 v5, 0
	s_addc_u32 s1, s29, s1
	v_lshl_or_b32 v1, v26, 6, v1
	s_mov_b32 s38, s17
	s_mov_b32 s13, 0xffffff
	v_lshl_or_b32 v2, v29, 4, v31
	v_mov_b32_e32 v3, v5
	v_mov_b32_e32 v9, v5
	s_mov_b32 s39, s33
	v_lshl_add_u64 v[10:11], s[0:1], 0, v[4:5]
	v_add_u32_e32 v34, 0xb0, v1
	s_mov_b64 s[16:17], 0
	s_movk_i32 s40, 0x80
	s_movk_i32 s41, 0x7f
	s_mov_b32 s42, 0x8000
	v_mov_b32_e32 v35, 0x2000
	v_mov_b32_e32 v32, 0
	;; [unrolled: 1-line block ×4, first 2 shown]
	s_branch .LBB236_173
.LBB236_170:                            ;   in Loop: Header=BB236_173 Depth=1
	s_or_b64 exec, exec, s[2:3]
	;;#ASMSTART
	v_pk_mul_f16 v1, v40, v1;

	;;#ASMEND
	;;#ASMSTART
	v_pk_mul_f16 v4, v39, v14;

	;;#ASMEND
	;; [unrolled: 4-line block ×4, first 2 shown]
	s_nop 0
	;;#ASMSTART
	v_pk_add_f16 v1, v1, v4;

	;;#ASMEND
	s_nop 0
	;;#ASMSTART
	v_pk_add_f16 v1, v1, v12;

	;;#ASMEND
	;; [unrolled: 5-line block ×3, first 2 shown]
	s_nop 0
	v_lshrrev_b32_e32 v4, 16, v1
	v_and_b32_e32 v1, 0xffff, v1
	;;#ASMSTART
	v_cvt_f32_f16 v1, v1;
	;;#ASMEND
	;;#ASMSTART
	v_cvt_f32_f16 v4, v4;
	;;#ASMEND
	s_nop 0
	v_add_f32_e32 v1, v1, v4
	v_add_f32_e32 v32, v32, v1
.LBB236_171:                            ;   in Loop: Header=BB236_173 Depth=1
	s_or_b64 exec, exec, s[20:21]
	v_add_f32_e32 v1, v24, v25
	v_add_f32_e32 v6, v6, v1
	;; [unrolled: 1-line block ×4, first 2 shown]
.LBB236_172:                            ;   in Loop: Header=BB236_173 Depth=1
	s_or_b64 exec, exec, s[18:19]
	v_add_u32_e32 v26, 2, v26
	v_cmp_le_i32_e64 s[0:1], s48, v26
	v_lshl_add_u64 v[10:11], v[10:11], 0, 8
	v_add_u32_e32 v27, 32, v27
	s_or_b64 s[16:17], s[0:1], s[16:17]
	v_add_u32_e32 v34, 0x80, v34
	s_andn2_b64 exec, exec, s[16:17]
	s_cbranch_execz .LBB236_325
.LBB236_173:                            ; =>This Inner Loop Header: Depth=1
	v_mul_hi_u32 v1, v27, s46
	v_mul_lo_u32 v4, v1, s25
	v_sub_u32_e32 v4, v27, v4
	v_add_u32_e32 v12, 1, v1
	v_cmp_le_u32_e64 s[0:1], s25, v4
	s_nop 1
	v_cndmask_b32_e64 v1, v1, v12, s[0:1]
	v_subrev_u32_e32 v12, s25, v4
	v_cndmask_b32_e64 v4, v4, v12, s[0:1]
	v_add_u32_e32 v12, 1, v1
	v_cmp_le_u32_e64 s[0:1], s25, v4
	s_nop 1
	v_cndmask_b32_e64 v1, v1, v12, s[0:1]
	v_xor_b32_e32 v1, s47, v1
	v_subrev_u32_e32 v1, s47, v1
	v_add_u32_e32 v4, s36, v1
	v_sub_u32_e32 v13, 0, v4
	v_ashrrev_i32_e32 v12, 31, v4
	v_max_i32_e32 v4, v4, v13
	v_mul_hi_u32 v13, v4, v33
	v_mul_lo_u32 v13, v13, s35
	v_sub_u32_e32 v4, v4, v13
	v_subrev_u32_e32 v13, s35, v4
	v_cmp_le_u32_e64 s[0:1], s35, v4
	v_cmp_lt_i32_e64 s[2:3], s37, v1
	s_nop 0
	v_cndmask_b32_e64 v4, v4, v13, s[0:1]
	v_subrev_u32_e32 v13, s35, v4
	v_cmp_le_u32_e64 s[0:1], s35, v4
	s_nop 1
	v_cndmask_b32_e64 v4, v4, v13, s[0:1]
	v_xor_b32_e32 v4, v4, v12
	v_sub_u32_e32 v4, v4, v12
	v_cmp_eq_u32_e64 s[0:1], 0, v4
	s_or_b64 s[0:1], s[0:1], s[2:3]
	s_and_saveexec_b64 s[18:19], s[0:1]
	s_cbranch_execz .LBB236_172
; %bb.174:                              ;   in Loop: Header=BB236_173 Depth=1
	global_load_dword v1, v[10:11], off
	ds_read2_b64 v[12:15], v34 offset1:1
	ds_read2_b64 v[16:19], v34 offset0:2 offset1:3
	v_mov_b64_e32 v[20:21], s[8:9]
	s_waitcnt lgkmcnt(1)
	;;#ASMSTART
	v_cvt_f16_f32 v37, v12;

	;;#ASMEND
	;;#ASMSTART
	v_cvt_f16_f32 v38, v13;

	;;#ASMEND
	;; [unrolled: 4-line block ×4, first 2 shown]
	s_waitcnt lgkmcnt(0)
	;;#ASMSTART
	v_cvt_f16_f32 v42, v16;

	;;#ASMEND
	;;#ASMSTART
	v_cvt_f16_f32 v43, v17;

	;;#ASMEND
	;; [unrolled: 4-line block ×4, first 2 shown]
	v_mov_b32_e32 v17, 0
	s_waitcnt vmcnt(0)
	v_mad_i64_i32 v[12:13], s[0:1], v1, s38, v[20:21]
	v_lshl_add_u64 v[14:15], v[12:13], 0, v[2:3]
	global_load_dwordx2 v[18:19], v[14:15], off
	v_mov_b32_e32 v1, 0
	global_load_dword v16, v1, s[14:15]
	s_waitcnt vmcnt(1)
	v_cmp_ne_u16_sdwa s[0:1], v18, v5 src0_sel:BYTE_0 src1_sel:DWORD
	s_and_saveexec_b64 s[2:3], s[0:1]
	s_cbranch_execz .LBB236_180
; %bb.175:                              ;   in Loop: Header=BB236_173 Depth=1
	v_cmp_ne_u16_sdwa s[0:1], v18, s40 src0_sel:BYTE_0 src1_sel:DWORD
	v_mov_b32_e32 v17, 0x8000
	s_and_saveexec_b64 s[20:21], s[0:1]
	s_cbranch_execz .LBB236_179
; %bb.176:                              ;   in Loop: Header=BB236_173 Depth=1
	v_and_b32_e32 v4, 0x7f, v18
	v_cmp_ne_u32_e64 s[0:1], s41, v4
	v_mov_b32_e32 v17, 0x7c01
	s_and_saveexec_b64 s[22:23], s[0:1]
	s_cbranch_execz .LBB236_178
; %bb.177:                              ;   in Loop: Header=BB236_173 Depth=1
	v_and_b32_e32 v17, 7, v18
	v_ffbh_u32_e32 v20, v17
	v_min_u32_e32 v23, 32, v20
	v_subrev_u32_e32 v20, 28, v23
	v_lshlrev_b64 v[20:21], v20, v[18:19]
	v_lshrrev_b32_e32 v22, 3, v4
	v_sub_u32_e32 v21, 29, v23
	v_cmp_gt_u32_e64 s[0:1], 8, v4
	v_and_b32_e32 v20, 7, v20
	s_nop 0
	v_cndmask_b32_e64 v4, v22, v21, s[0:1]
	v_lshl_add_u32 v4, v4, 10, v35
	v_lshlrev_b32_e32 v21, 8, v18
	v_and_b32_e32 v4, 0xfc00, v4
	v_cndmask_b32_e64 v17, v17, v20, s[0:1]
	v_and_or_b32 v4, v21, s42, v4
	v_lshl_or_b32 v17, v17, 7, v4
.LBB236_178:                            ;   in Loop: Header=BB236_173 Depth=1
	s_or_b64 exec, exec, s[22:23]
.LBB236_179:                            ;   in Loop: Header=BB236_173 Depth=1
	s_or_b64 exec, exec, s[20:21]
.LBB236_180:                            ;   in Loop: Header=BB236_173 Depth=1
	s_or_b64 exec, exec, s[2:3]
	v_lshrrev_b16_e32 v4, 8, v18
	v_cmp_ne_u16_e64 s[0:1], 0, v4
	s_and_saveexec_b64 s[2:3], s[0:1]
	s_cbranch_execz .LBB236_186
; %bb.181:                              ;   in Loop: Header=BB236_173 Depth=1
	v_cmp_ne_u16_e64 s[0:1], s40, v4
	v_bfrev_b32_e32 v1, 1
	s_and_saveexec_b64 s[20:21], s[0:1]
	s_cbranch_execz .LBB236_185
; %bb.182:                              ;   in Loop: Header=BB236_173 Depth=1
	v_and_b32_e32 v20, 0x7f, v4
	v_cmp_ne_u32_e64 s[0:1], s41, v20
	v_mov_b32_e32 v1, 0x7c010000
	s_and_saveexec_b64 s[22:23], s[0:1]
	s_cbranch_execz .LBB236_184
; %bb.183:                              ;   in Loop: Header=BB236_173 Depth=1
	v_and_b32_e32 v1, 7, v4
	v_ffbh_u32_e32 v22, v1
	v_min_u32_e32 v24, 32, v22
	v_subrev_u32_e32 v22, 28, v24
	v_lshlrev_b64 v[22:23], v22, v[4:5]
	v_lshrrev_b32_e32 v21, 3, v20
	v_sub_u32_e32 v23, 29, v24
	v_cmp_gt_u32_e64 s[0:1], 8, v20
	v_lshlrev_b32_e32 v4, 8, v4
	s_nop 0
	v_cndmask_b32_e64 v20, v21, v23, s[0:1]
	v_lshl_add_u32 v20, v20, 10, v35
	v_and_b32_e32 v21, 7, v22
	v_and_or_b32 v4, v4, s42, v20
	v_cndmask_b32_e64 v1, v1, v21, s[0:1]
	v_lshlrev_b32_e32 v4, 16, v4
	v_lshl_or_b32 v1, v1, 23, v4
.LBB236_184:                            ;   in Loop: Header=BB236_173 Depth=1
	s_or_b64 exec, exec, s[22:23]
.LBB236_185:                            ;   in Loop: Header=BB236_173 Depth=1
	s_or_b64 exec, exec, s[20:21]
.LBB236_186:                            ;   in Loop: Header=BB236_173 Depth=1
	s_or_b64 exec, exec, s[2:3]
	v_lshrrev_b32_e32 v4, 16, v18
	v_cmp_ne_u16_sdwa s[0:1], v4, v5 src0_sel:BYTE_0 src1_sel:DWORD
	v_mov_b32_e32 v21, 0
	v_mov_b32_e32 v20, 0
	s_and_saveexec_b64 s[2:3], s[0:1]
	s_cbranch_execz .LBB236_192
; %bb.187:                              ;   in Loop: Header=BB236_173 Depth=1
	v_cmp_ne_u16_sdwa s[0:1], v4, s40 src0_sel:BYTE_0 src1_sel:DWORD
	v_mov_b32_e32 v20, 0x8000
	s_and_saveexec_b64 s[20:21], s[0:1]
	s_cbranch_execz .LBB236_191
; %bb.188:                              ;   in Loop: Header=BB236_173 Depth=1
	v_bfe_u32 v22, v18, 16, 7
	v_cmp_ne_u32_e64 s[0:1], s41, v22
	v_mov_b32_e32 v20, 0x7c01
	s_and_saveexec_b64 s[22:23], s[0:1]
	s_cbranch_execz .LBB236_190
; %bb.189:                              ;   in Loop: Header=BB236_173 Depth=1
	v_and_b32_e32 v20, 7, v4
	v_ffbh_u32_e32 v24, v20
	v_min_u32_e32 v36, 32, v24
	v_subrev_u32_e32 v24, 28, v36
	v_lshlrev_b64 v[24:25], v24, v[4:5]
	v_lshrrev_b32_e32 v23, 3, v22
	v_sub_u32_e32 v25, 29, v36
	v_cmp_gt_u32_e64 s[0:1], 8, v22
	v_lshlrev_b32_e32 v4, 8, v4
	s_nop 0
	v_cndmask_b32_e64 v22, v23, v25, s[0:1]
	v_lshl_add_u32 v22, v22, 10, v35
	v_and_b32_e32 v23, 7, v24
	v_and_b32_e32 v22, 0xfc00, v22
	v_cndmask_b32_e64 v20, v20, v23, s[0:1]
	v_and_or_b32 v4, v4, s42, v22
	v_lshl_or_b32 v20, v20, 7, v4
.LBB236_190:                            ;   in Loop: Header=BB236_173 Depth=1
	s_or_b64 exec, exec, s[22:23]
.LBB236_191:                            ;   in Loop: Header=BB236_173 Depth=1
	s_or_b64 exec, exec, s[20:21]
.LBB236_192:                            ;   in Loop: Header=BB236_173 Depth=1
	s_or_b64 exec, exec, s[2:3]
	v_cmp_lt_u32_e64 s[0:1], s13, v18
	s_and_saveexec_b64 s[2:3], s[0:1]
	s_cbranch_execz .LBB236_198
; %bb.193:                              ;   in Loop: Header=BB236_173 Depth=1
	v_lshrrev_b32_e32 v4, 24, v18
	v_cmp_ne_u32_e64 s[0:1], s40, v4
	v_bfrev_b32_e32 v21, 1
	s_and_saveexec_b64 s[20:21], s[0:1]
	s_cbranch_execz .LBB236_197
; %bb.194:                              ;   in Loop: Header=BB236_173 Depth=1
	v_and_b32_e32 v22, 0x7f, v4
	v_cmp_ne_u32_e64 s[0:1], s41, v22
	v_mov_b32_e32 v21, 0x7c010000
	s_and_saveexec_b64 s[22:23], s[0:1]
	s_cbranch_execz .LBB236_196
; %bb.195:                              ;   in Loop: Header=BB236_173 Depth=1
	v_and_b32_e32 v21, 7, v4
	v_ffbh_u32_e32 v24, v21
	v_min_u32_e32 v36, 32, v24
	v_subrev_u32_e32 v24, 28, v36
	v_lshlrev_b64 v[24:25], v24, v[4:5]
	v_lshrrev_b32_e32 v23, 3, v22
	v_sub_u32_e32 v25, 29, v36
	v_cmp_gt_u32_e64 s[0:1], 8, v22
	v_lshlrev_b32_e32 v4, 8, v4
	s_nop 0
	v_cndmask_b32_e64 v22, v23, v25, s[0:1]
	v_lshl_add_u32 v22, v22, 10, v35
	v_and_b32_e32 v23, 7, v24
	v_and_or_b32 v4, v4, s42, v22
	v_cndmask_b32_e64 v21, v21, v23, s[0:1]
	v_lshlrev_b32_e32 v4, 16, v4
	v_lshl_or_b32 v21, v21, 23, v4
.LBB236_196:                            ;   in Loop: Header=BB236_173 Depth=1
	s_or_b64 exec, exec, s[22:23]
.LBB236_197:                            ;   in Loop: Header=BB236_173 Depth=1
	s_or_b64 exec, exec, s[20:21]
.LBB236_198:                            ;   in Loop: Header=BB236_173 Depth=1
	s_or_b64 exec, exec, s[2:3]
	v_mov_b32_e32 v4, v19
	v_cmp_ne_u16_sdwa s[0:1], v19, v5 src0_sel:BYTE_0 src1_sel:DWORD
	v_mov_b32_e32 v22, 0
	v_mov_b32_e32 v23, 0
	s_and_saveexec_b64 s[2:3], s[0:1]
	s_cbranch_execz .LBB236_204
; %bb.199:                              ;   in Loop: Header=BB236_173 Depth=1
	v_cmp_ne_u16_sdwa s[0:1], v19, s40 src0_sel:BYTE_0 src1_sel:DWORD
	v_mov_b32_e32 v23, 0x8000
	s_and_saveexec_b64 s[20:21], s[0:1]
	s_cbranch_execz .LBB236_203
; %bb.200:                              ;   in Loop: Header=BB236_173 Depth=1
	v_and_b32_e32 v24, 0x7f, v19
	v_cmp_ne_u32_e64 s[0:1], s41, v24
	v_mov_b32_e32 v23, 0x7c01
	s_and_saveexec_b64 s[22:23], s[0:1]
	s_cbranch_execz .LBB236_202
; %bb.201:                              ;   in Loop: Header=BB236_173 Depth=1
	v_and_b32_e32 v23, 7, v19
	v_ffbh_u32_e32 v36, v23
	v_min_u32_e32 v36, 32, v36
	v_lshrrev_b32_e32 v25, 3, v24
	v_subrev_u32_e32 v40, 28, v36
	v_sub_u32_e32 v36, 29, v36
	v_cmp_gt_u32_e64 s[0:1], 8, v24
	v_lshlrev_b64 v[46:47], v40, v[4:5]
	s_nop 0
	v_cndmask_b32_e64 v24, v25, v36, s[0:1]
	v_lshl_add_u32 v24, v24, 10, v35
	v_lshlrev_b32_e32 v25, 8, v19
	v_and_b32_e32 v36, 7, v46
	v_and_b32_e32 v24, 0xfc00, v24
	v_cndmask_b32_e64 v23, v23, v36, s[0:1]
	v_and_or_b32 v24, v25, s42, v24
	v_lshl_or_b32 v23, v23, 7, v24
.LBB236_202:                            ;   in Loop: Header=BB236_173 Depth=1
	s_or_b64 exec, exec, s[22:23]
.LBB236_203:                            ;   in Loop: Header=BB236_173 Depth=1
	s_or_b64 exec, exec, s[20:21]
.LBB236_204:                            ;   in Loop: Header=BB236_173 Depth=1
	s_or_b64 exec, exec, s[2:3]
	v_lshrrev_b16_e32 v4, 8, v4
	v_cmp_ne_u16_e64 s[0:1], 0, v4
	v_mov_b32_e32 v24, 0
	s_and_saveexec_b64 s[2:3], s[0:1]
	s_cbranch_execz .LBB236_210
; %bb.205:                              ;   in Loop: Header=BB236_173 Depth=1
	v_cmp_ne_u16_e64 s[0:1], s40, v4
	v_bfrev_b32_e32 v24, 1
	s_and_saveexec_b64 s[20:21], s[0:1]
	s_cbranch_execz .LBB236_209
; %bb.206:                              ;   in Loop: Header=BB236_173 Depth=1
	v_and_b32_e32 v25, 0x7f, v4
	v_cmp_ne_u32_e64 s[0:1], s41, v25
	v_mov_b32_e32 v24, 0x7c010000
	s_and_saveexec_b64 s[22:23], s[0:1]
	s_cbranch_execz .LBB236_208
; %bb.207:                              ;   in Loop: Header=BB236_173 Depth=1
	v_and_b32_e32 v24, 7, v4
	v_ffbh_u32_e32 v40, v24
	v_min_u32_e32 v40, 32, v40
	v_lshrrev_b32_e32 v36, 3, v25
	v_subrev_u32_e32 v46, 28, v40
	v_sub_u32_e32 v40, 29, v40
	v_cmp_gt_u32_e64 s[0:1], 8, v25
	v_lshlrev_b64 v[46:47], v46, v[4:5]
	v_lshlrev_b32_e32 v4, 8, v4
	v_cndmask_b32_e64 v25, v36, v40, s[0:1]
	v_lshl_add_u32 v25, v25, 10, v35
	v_and_b32_e32 v36, 7, v46
	v_and_or_b32 v4, v4, s42, v25
	v_cndmask_b32_e64 v24, v24, v36, s[0:1]
	v_lshlrev_b32_e32 v4, 16, v4
	v_lshl_or_b32 v24, v24, 23, v4
.LBB236_208:                            ;   in Loop: Header=BB236_173 Depth=1
	s_or_b64 exec, exec, s[22:23]
.LBB236_209:                            ;   in Loop: Header=BB236_173 Depth=1
	s_or_b64 exec, exec, s[20:21]
.LBB236_210:                            ;   in Loop: Header=BB236_173 Depth=1
	s_or_b64 exec, exec, s[2:3]
	v_lshrrev_b32_e32 v4, 16, v19
	v_cmp_ne_u16_sdwa s[0:1], v4, v5 src0_sel:BYTE_0 src1_sel:DWORD
	s_and_saveexec_b64 s[2:3], s[0:1]
	s_cbranch_execz .LBB236_216
; %bb.211:                              ;   in Loop: Header=BB236_173 Depth=1
	v_cmp_ne_u16_sdwa s[0:1], v4, s40 src0_sel:BYTE_0 src1_sel:DWORD
	v_mov_b32_e32 v22, 0x8000
	s_and_saveexec_b64 s[20:21], s[0:1]
	s_cbranch_execz .LBB236_215
; %bb.212:                              ;   in Loop: Header=BB236_173 Depth=1
	v_bfe_u32 v25, v19, 16, 7
	v_cmp_ne_u32_e64 s[0:1], s41, v25
	v_mov_b32_e32 v22, 0x7c01
	s_and_saveexec_b64 s[22:23], s[0:1]
	s_cbranch_execz .LBB236_214
; %bb.213:                              ;   in Loop: Header=BB236_173 Depth=1
	v_and_b32_e32 v22, 7, v4
	v_ffbh_u32_e32 v40, v22
	v_min_u32_e32 v40, 32, v40
	v_lshrrev_b32_e32 v36, 3, v25
	v_subrev_u32_e32 v46, 28, v40
	v_sub_u32_e32 v40, 29, v40
	v_cmp_gt_u32_e64 s[0:1], 8, v25
	v_lshlrev_b64 v[46:47], v46, v[4:5]
	v_lshlrev_b32_e32 v4, 8, v4
	v_cndmask_b32_e64 v25, v36, v40, s[0:1]
	v_lshl_add_u32 v25, v25, 10, v35
	v_and_b32_e32 v36, 7, v46
	v_and_b32_e32 v25, 0xfc00, v25
	v_cndmask_b32_e64 v22, v22, v36, s[0:1]
	v_and_or_b32 v4, v4, s42, v25
	v_lshl_or_b32 v22, v22, 7, v4
.LBB236_214:                            ;   in Loop: Header=BB236_173 Depth=1
	s_or_b64 exec, exec, s[22:23]
.LBB236_215:                            ;   in Loop: Header=BB236_173 Depth=1
	s_or_b64 exec, exec, s[20:21]
.LBB236_216:                            ;   in Loop: Header=BB236_173 Depth=1
	s_or_b64 exec, exec, s[2:3]
	v_cmp_lt_u64_e64 s[0:1], s[12:13], v[18:19]
	v_mov_b32_e32 v25, 0
	s_and_saveexec_b64 s[2:3], s[0:1]
	s_cbranch_execz .LBB236_222
; %bb.217:                              ;   in Loop: Header=BB236_173 Depth=1
	v_lshrrev_b32_e32 v4, 24, v19
	v_cmp_ne_u32_e64 s[0:1], s40, v4
	v_bfrev_b32_e32 v25, 1
	s_and_saveexec_b64 s[20:21], s[0:1]
	s_cbranch_execz .LBB236_221
; %bb.218:                              ;   in Loop: Header=BB236_173 Depth=1
	v_and_b32_e32 v18, 0x7f, v4
	v_cmp_ne_u32_e64 s[0:1], s41, v18
	v_mov_b32_e32 v25, 0x7c010000
	s_and_saveexec_b64 s[22:23], s[0:1]
	s_cbranch_execz .LBB236_220
; %bb.219:                              ;   in Loop: Header=BB236_173 Depth=1
	v_and_b32_e32 v19, 7, v4
	v_ffbh_u32_e32 v36, v19
	v_min_u32_e32 v36, 32, v36
	v_lshrrev_b32_e32 v25, 3, v18
	v_subrev_u32_e32 v40, 28, v36
	v_sub_u32_e32 v36, 29, v36
	v_cmp_gt_u32_e64 s[0:1], 8, v18
	v_lshlrev_b64 v[46:47], v40, v[4:5]
	v_lshlrev_b32_e32 v4, 8, v4
	v_cndmask_b32_e64 v18, v25, v36, s[0:1]
	v_lshl_add_u32 v18, v18, 10, v35
	v_and_b32_e32 v25, 7, v46
	v_and_or_b32 v4, v4, s42, v18
	v_cndmask_b32_e64 v19, v19, v25, s[0:1]
	v_lshlrev_b32_e32 v4, 16, v4
	v_lshl_or_b32 v25, v19, 23, v4
.LBB236_220:                            ;   in Loop: Header=BB236_173 Depth=1
	s_or_b64 exec, exec, s[22:23]
.LBB236_221:                            ;   in Loop: Header=BB236_173 Depth=1
	s_or_b64 exec, exec, s[20:21]
.LBB236_222:                            ;   in Loop: Header=BB236_173 Depth=1
	s_or_b64 exec, exec, s[2:3]
	v_cvt_f32_f16_sdwa v19, v1 dst_sel:DWORD dst_unused:UNUSED_PAD src0_sel:WORD_1
	v_cvt_f32_f16_sdwa v18, v21 dst_sel:DWORD dst_unused:UNUSED_PAD src0_sel:WORD_1
	v_or_b32_e32 v1, v1, v17
	v_or_b32_e32 v4, v21, v20
	v_cvt_f32_f16_e32 v20, v4
	v_cvt_f32_f16_e32 v21, v1
	s_waitcnt vmcnt(0)
	v_pk_mul_f32 v[18:19], v[16:17], v[18:19] op_sel_hi:[0,1]
	v_cvt_pk_f16_f32 v1, v18, v19
	v_and_b32_e32 v17, 0xffff0000, v1
	v_pk_mul_f32 v[20:21], v[16:17], v[20:21] op_sel_hi:[0,1]
	v_lshlrev_b32_e32 v18, 16, v1
	v_cvt_pk_f16_f32 v1, v20, v21
	v_or_b32_e32 v4, v24, v23
	v_or_b32_e32 v21, v25, v22
	v_cvt_f32_f16_e32 v22, v21
	v_cvt_f32_f16_e32 v23, v4
	v_cvt_f32_f16_sdwa v47, v24 dst_sel:DWORD dst_unused:UNUSED_PAD src0_sel:WORD_1
	v_cvt_f32_f16_sdwa v46, v25 dst_sel:DWORD dst_unused:UNUSED_PAD src0_sel:WORD_1
	v_lshrrev_b32_e32 v19, 16, v1
	v_pk_mul_f32 v[22:23], v[16:17], v[22:23] op_sel_hi:[0,1]
	v_cvt_pk_f16_f32 v24, v22, v23
	v_pk_mul_f32 v[22:23], v[16:17], v[46:47] op_sel_hi:[0,1]
	v_cvt_pk_f16_f32 v16, v22, v23
	v_and_b32_e32 v20, 0xffff, v1
	v_and_b32_e32 v21, 0xffff0000, v16
	v_lshlrev_b32_e32 v16, 16, v16
	v_lshrrev_b32_e32 v23, 16, v24
	v_and_b32_e32 v22, 0xffff, v24
	v_add_u32_e32 v36, v31, v27
	v_cmp_eq_u32_e64 s[0:1], s34, v26
	v_or_b32_e32 v1, v17, v19
	v_or_b32_e32 v4, v18, v20
	;; [unrolled: 1-line block ×4, first 2 shown]
	s_and_saveexec_b64 s[20:21], s[0:1]
	s_cbranch_execz .LBB236_224
; %bb.223:                              ;   in Loop: Header=BB236_173 Depth=1
	v_add_u32_e32 v24, 2, v36
	v_cmp_gt_i32_e64 s[2:3], s39, v36
	v_or_b32_e32 v1, 1, v36
	v_or_b32_e32 v4, 3, v36
	v_cndmask_b32_e64 v19, 0, v19, s[2:3]
	v_cmp_gt_i32_e64 s[2:3], s33, v24
	s_nop 1
	v_cndmask_b32_e64 v20, 0, v20, s[2:3]
	v_cmp_gt_i32_e64 s[2:3], s39, v1
	s_nop 1
	v_cndmask_b32_e64 v1, 0, v17, s[2:3]
	v_cmp_gt_i32_e64 s[2:3], s33, v4
	v_or_b32_e32 v17, 4, v36
	v_or_b32_e32 v1, v1, v19
	v_cndmask_b32_e64 v4, 0, v18, s[2:3]
	v_or_b32_e32 v18, 6, v36
	v_cmp_gt_i32_e64 s[2:3], s39, v17
	v_or_b32_e32 v19, 5, v36
	v_or_b32_e32 v4, v4, v20
	v_cndmask_b32_e64 v17, 0, v23, s[2:3]
	v_cmp_gt_i32_e64 s[2:3], s33, v18
	v_or_b32_e32 v20, 7, v36
	s_nop 0
	v_cndmask_b32_e64 v18, 0, v22, s[2:3]
	v_cmp_gt_i32_e64 s[2:3], s39, v19
	s_nop 1
	v_cndmask_b32_e64 v19, 0, v21, s[2:3]
	v_cmp_gt_i32_e64 s[2:3], s33, v20
	v_or_b32_e32 v25, v19, v17
	s_nop 0
	v_cndmask_b32_e64 v16, 0, v16, s[2:3]
	v_or_b32_e32 v24, v16, v18
.LBB236_224:                            ;   in Loop: Header=BB236_173 Depth=1
	s_or_b64 exec, exec, s[20:21]
	v_and_b32_e32 v16, 0xffff, v37
	v_lshl_or_b32 v40, v38, 16, v16
	v_and_b32_e32 v16, 0xffff, v39
	v_lshl_or_b32 v39, v41, 16, v16
	;; [unrolled: 2-line block ×3, first 2 shown]
	v_and_b32_e32 v16, 0xffff, v44
	;;#ASMSTART
	v_pk_mul_f16 v1, v40, v1;

	;;#ASMEND
	v_lshl_or_b32 v37, v45, 16, v16
	;;#ASMSTART
	v_pk_mul_f16 v4, v39, v4;

	;;#ASMEND
	;;#ASMSTART
	v_pk_mul_f16 v16, v38, v25;

	;;#ASMEND
	;;#ASMSTART
	v_pk_mul_f16 v17, v37, v24;

	;;#ASMEND
	s_nop 0
	;;#ASMSTART
	v_pk_add_f16 v1, v1, v4;

	;;#ASMEND
	s_nop 0
	;;#ASMSTART
	v_pk_add_f16 v1, v1, v16;

	;;#ASMEND
	;; [unrolled: 5-line block ×3, first 2 shown]
	s_nop 0
	v_lshrrev_b32_e32 v4, 16, v1
	v_and_b32_e32 v1, 0xffff, v1
	;;#ASMSTART
	v_cvt_f32_f16 v24, v1;
	;;#ASMEND
	;;#ASMSTART
	v_cvt_f32_f16 v25, v4;
	;;#ASMEND
	global_load_dwordx2 v[16:17], v[14:15], off offset:512
	v_mov_b32_e32 v1, 0
	global_load_dword v14, v1, s[14:15]
	v_mov_b32_e32 v15, 0
	s_waitcnt vmcnt(1)
	v_cmp_ne_u16_sdwa s[2:3], v16, v5 src0_sel:BYTE_0 src1_sel:DWORD
	s_and_saveexec_b64 s[20:21], s[2:3]
	s_cbranch_execz .LBB236_230
; %bb.225:                              ;   in Loop: Header=BB236_173 Depth=1
	v_cmp_ne_u16_sdwa s[2:3], v16, s40 src0_sel:BYTE_0 src1_sel:DWORD
	v_mov_b32_e32 v15, 0x8000
	s_and_saveexec_b64 s[22:23], s[2:3]
	s_cbranch_execz .LBB236_229
; %bb.226:                              ;   in Loop: Header=BB236_173 Depth=1
	v_and_b32_e32 v4, 0x7f, v16
	v_cmp_ne_u32_e64 s[2:3], s41, v4
	v_mov_b32_e32 v15, 0x7c01
	s_and_saveexec_b64 s[28:29], s[2:3]
	s_cbranch_execz .LBB236_228
; %bb.227:                              ;   in Loop: Header=BB236_173 Depth=1
	v_and_b32_e32 v15, 7, v16
	v_ffbh_u32_e32 v18, v15
	v_min_u32_e32 v21, 32, v18
	v_subrev_u32_e32 v18, 28, v21
	v_lshlrev_b64 v[18:19], v18, v[16:17]
	v_lshrrev_b32_e32 v20, 3, v4
	v_sub_u32_e32 v19, 29, v21
	v_cmp_gt_u32_e64 s[2:3], 8, v4
	v_and_b32_e32 v18, 7, v18
	s_nop 0
	v_cndmask_b32_e64 v4, v20, v19, s[2:3]
	v_lshl_add_u32 v4, v4, 10, v35
	v_lshlrev_b32_e32 v19, 8, v16
	v_and_b32_e32 v4, 0xfc00, v4
	v_cndmask_b32_e64 v15, v15, v18, s[2:3]
	v_and_or_b32 v4, v19, s42, v4
	v_lshl_or_b32 v15, v15, 7, v4
.LBB236_228:                            ;   in Loop: Header=BB236_173 Depth=1
	s_or_b64 exec, exec, s[28:29]
.LBB236_229:                            ;   in Loop: Header=BB236_173 Depth=1
	s_or_b64 exec, exec, s[22:23]
.LBB236_230:                            ;   in Loop: Header=BB236_173 Depth=1
	s_or_b64 exec, exec, s[20:21]
	v_lshrrev_b16_e32 v4, 8, v16
	v_cmp_ne_u16_e64 s[2:3], 0, v4
	s_and_saveexec_b64 s[20:21], s[2:3]
	s_cbranch_execz .LBB236_236
; %bb.231:                              ;   in Loop: Header=BB236_173 Depth=1
	v_cmp_ne_u16_e64 s[2:3], s40, v4
	v_bfrev_b32_e32 v1, 1
	s_and_saveexec_b64 s[22:23], s[2:3]
	s_cbranch_execz .LBB236_235
; %bb.232:                              ;   in Loop: Header=BB236_173 Depth=1
	v_and_b32_e32 v18, 0x7f, v4
	v_cmp_ne_u32_e64 s[2:3], s41, v18
	v_mov_b32_e32 v1, 0x7c010000
	s_and_saveexec_b64 s[28:29], s[2:3]
	s_cbranch_execz .LBB236_234
; %bb.233:                              ;   in Loop: Header=BB236_173 Depth=1
	v_and_b32_e32 v1, 7, v4
	v_ffbh_u32_e32 v20, v1
	v_min_u32_e32 v22, 32, v20
	v_subrev_u32_e32 v20, 28, v22
	v_lshlrev_b64 v[20:21], v20, v[4:5]
	v_lshrrev_b32_e32 v19, 3, v18
	v_sub_u32_e32 v21, 29, v22
	v_cmp_gt_u32_e64 s[2:3], 8, v18
	v_lshlrev_b32_e32 v4, 8, v4
	s_nop 0
	v_cndmask_b32_e64 v18, v19, v21, s[2:3]
	v_lshl_add_u32 v18, v18, 10, v35
	v_and_b32_e32 v19, 7, v20
	v_and_or_b32 v4, v4, s42, v18
	v_cndmask_b32_e64 v1, v1, v19, s[2:3]
	v_lshlrev_b32_e32 v4, 16, v4
	v_lshl_or_b32 v1, v1, 23, v4
.LBB236_234:                            ;   in Loop: Header=BB236_173 Depth=1
	s_or_b64 exec, exec, s[28:29]
.LBB236_235:                            ;   in Loop: Header=BB236_173 Depth=1
	s_or_b64 exec, exec, s[22:23]
.LBB236_236:                            ;   in Loop: Header=BB236_173 Depth=1
	s_or_b64 exec, exec, s[20:21]
	v_lshrrev_b32_e32 v4, 16, v16
	v_cmp_ne_u16_sdwa s[2:3], v4, v5 src0_sel:BYTE_0 src1_sel:DWORD
	v_mov_b32_e32 v19, 0
	v_mov_b32_e32 v18, 0
	s_and_saveexec_b64 s[20:21], s[2:3]
	s_cbranch_execz .LBB236_242
; %bb.237:                              ;   in Loop: Header=BB236_173 Depth=1
	v_cmp_ne_u16_sdwa s[2:3], v4, s40 src0_sel:BYTE_0 src1_sel:DWORD
	v_mov_b32_e32 v18, 0x8000
	s_and_saveexec_b64 s[22:23], s[2:3]
	s_cbranch_execz .LBB236_241
; %bb.238:                              ;   in Loop: Header=BB236_173 Depth=1
	v_bfe_u32 v20, v16, 16, 7
	v_cmp_ne_u32_e64 s[2:3], s41, v20
	v_mov_b32_e32 v18, 0x7c01
	s_and_saveexec_b64 s[28:29], s[2:3]
	s_cbranch_execz .LBB236_240
; %bb.239:                              ;   in Loop: Header=BB236_173 Depth=1
	v_and_b32_e32 v18, 7, v4
	v_ffbh_u32_e32 v22, v18
	v_min_u32_e32 v41, 32, v22
	v_subrev_u32_e32 v22, 28, v41
	v_lshlrev_b64 v[22:23], v22, v[4:5]
	v_lshrrev_b32_e32 v21, 3, v20
	v_sub_u32_e32 v23, 29, v41
	v_cmp_gt_u32_e64 s[2:3], 8, v20
	v_lshlrev_b32_e32 v4, 8, v4
	s_nop 0
	v_cndmask_b32_e64 v20, v21, v23, s[2:3]
	v_lshl_add_u32 v20, v20, 10, v35
	v_and_b32_e32 v21, 7, v22
	v_and_b32_e32 v20, 0xfc00, v20
	v_cndmask_b32_e64 v18, v18, v21, s[2:3]
	v_and_or_b32 v4, v4, s42, v20
	v_lshl_or_b32 v18, v18, 7, v4
.LBB236_240:                            ;   in Loop: Header=BB236_173 Depth=1
	s_or_b64 exec, exec, s[28:29]
.LBB236_241:                            ;   in Loop: Header=BB236_173 Depth=1
	s_or_b64 exec, exec, s[22:23]
.LBB236_242:                            ;   in Loop: Header=BB236_173 Depth=1
	s_or_b64 exec, exec, s[20:21]
	v_cmp_lt_u32_e64 s[2:3], s13, v16
	s_and_saveexec_b64 s[20:21], s[2:3]
	s_cbranch_execz .LBB236_248
; %bb.243:                              ;   in Loop: Header=BB236_173 Depth=1
	v_lshrrev_b32_e32 v4, 24, v16
	v_cmp_ne_u32_e64 s[2:3], s40, v4
	v_bfrev_b32_e32 v19, 1
	s_and_saveexec_b64 s[22:23], s[2:3]
	s_cbranch_execz .LBB236_247
; %bb.244:                              ;   in Loop: Header=BB236_173 Depth=1
	v_and_b32_e32 v20, 0x7f, v4
	v_cmp_ne_u32_e64 s[2:3], s41, v20
	v_mov_b32_e32 v19, 0x7c010000
	s_and_saveexec_b64 s[28:29], s[2:3]
	s_cbranch_execz .LBB236_246
; %bb.245:                              ;   in Loop: Header=BB236_173 Depth=1
	v_and_b32_e32 v19, 7, v4
	v_ffbh_u32_e32 v22, v19
	v_min_u32_e32 v41, 32, v22
	v_subrev_u32_e32 v22, 28, v41
	v_lshlrev_b64 v[22:23], v22, v[4:5]
	v_lshrrev_b32_e32 v21, 3, v20
	v_sub_u32_e32 v23, 29, v41
	v_cmp_gt_u32_e64 s[2:3], 8, v20
	v_lshlrev_b32_e32 v4, 8, v4
	s_nop 0
	v_cndmask_b32_e64 v20, v21, v23, s[2:3]
	v_lshl_add_u32 v20, v20, 10, v35
	v_and_b32_e32 v21, 7, v22
	v_and_or_b32 v4, v4, s42, v20
	v_cndmask_b32_e64 v19, v19, v21, s[2:3]
	v_lshlrev_b32_e32 v4, 16, v4
	v_lshl_or_b32 v19, v19, 23, v4
.LBB236_246:                            ;   in Loop: Header=BB236_173 Depth=1
	s_or_b64 exec, exec, s[28:29]
.LBB236_247:                            ;   in Loop: Header=BB236_173 Depth=1
	s_or_b64 exec, exec, s[22:23]
.LBB236_248:                            ;   in Loop: Header=BB236_173 Depth=1
	s_or_b64 exec, exec, s[20:21]
	v_mov_b32_e32 v4, v17
	v_cmp_ne_u16_sdwa s[2:3], v17, v5 src0_sel:BYTE_0 src1_sel:DWORD
	v_mov_b32_e32 v20, 0
	v_mov_b32_e32 v21, 0
	s_and_saveexec_b64 s[20:21], s[2:3]
	s_cbranch_execz .LBB236_254
; %bb.249:                              ;   in Loop: Header=BB236_173 Depth=1
	v_cmp_ne_u16_sdwa s[2:3], v17, s40 src0_sel:BYTE_0 src1_sel:DWORD
	v_mov_b32_e32 v21, 0x8000
	s_and_saveexec_b64 s[22:23], s[2:3]
	s_cbranch_execz .LBB236_253
; %bb.250:                              ;   in Loop: Header=BB236_173 Depth=1
	v_and_b32_e32 v22, 0x7f, v17
	v_cmp_ne_u32_e64 s[2:3], s41, v22
	v_mov_b32_e32 v21, 0x7c01
	s_and_saveexec_b64 s[28:29], s[2:3]
	s_cbranch_execz .LBB236_252
; %bb.251:                              ;   in Loop: Header=BB236_173 Depth=1
	v_and_b32_e32 v21, 7, v17
	v_ffbh_u32_e32 v41, v21
	v_min_u32_e32 v41, 32, v41
	v_lshrrev_b32_e32 v23, 3, v22
	v_subrev_u32_e32 v42, 28, v41
	v_sub_u32_e32 v41, 29, v41
	v_cmp_gt_u32_e64 s[2:3], 8, v22
	v_lshlrev_b64 v[42:43], v42, v[4:5]
	s_nop 0
	v_cndmask_b32_e64 v22, v23, v41, s[2:3]
	v_lshl_add_u32 v22, v22, 10, v35
	v_lshlrev_b32_e32 v23, 8, v17
	v_and_b32_e32 v41, 7, v42
	v_and_b32_e32 v22, 0xfc00, v22
	v_cndmask_b32_e64 v21, v21, v41, s[2:3]
	v_and_or_b32 v22, v23, s42, v22
	v_lshl_or_b32 v21, v21, 7, v22
.LBB236_252:                            ;   in Loop: Header=BB236_173 Depth=1
	s_or_b64 exec, exec, s[28:29]
.LBB236_253:                            ;   in Loop: Header=BB236_173 Depth=1
	s_or_b64 exec, exec, s[22:23]
.LBB236_254:                            ;   in Loop: Header=BB236_173 Depth=1
	s_or_b64 exec, exec, s[20:21]
	v_lshrrev_b16_e32 v4, 8, v4
	v_cmp_ne_u16_e64 s[2:3], 0, v4
	v_mov_b32_e32 v22, 0
	s_and_saveexec_b64 s[20:21], s[2:3]
	s_cbranch_execz .LBB236_260
; %bb.255:                              ;   in Loop: Header=BB236_173 Depth=1
	v_cmp_ne_u16_e64 s[2:3], s40, v4
	v_bfrev_b32_e32 v22, 1
	s_and_saveexec_b64 s[22:23], s[2:3]
	s_cbranch_execz .LBB236_259
; %bb.256:                              ;   in Loop: Header=BB236_173 Depth=1
	v_and_b32_e32 v23, 0x7f, v4
	v_cmp_ne_u32_e64 s[2:3], s41, v23
	v_mov_b32_e32 v22, 0x7c010000
	s_and_saveexec_b64 s[28:29], s[2:3]
	s_cbranch_execz .LBB236_258
; %bb.257:                              ;   in Loop: Header=BB236_173 Depth=1
	v_and_b32_e32 v22, 7, v4
	v_ffbh_u32_e32 v42, v22
	v_min_u32_e32 v44, 32, v42
	v_subrev_u32_e32 v42, 28, v44
	v_lshlrev_b64 v[42:43], v42, v[4:5]
	v_lshrrev_b32_e32 v41, 3, v23
	v_sub_u32_e32 v43, 29, v44
	v_cmp_gt_u32_e64 s[2:3], 8, v23
	v_lshlrev_b32_e32 v4, 8, v4
	s_nop 0
	v_cndmask_b32_e64 v23, v41, v43, s[2:3]
	v_lshl_add_u32 v23, v23, 10, v35
	v_and_b32_e32 v41, 7, v42
	v_and_or_b32 v4, v4, s42, v23
	v_cndmask_b32_e64 v22, v22, v41, s[2:3]
	v_lshlrev_b32_e32 v4, 16, v4
	v_lshl_or_b32 v22, v22, 23, v4
.LBB236_258:                            ;   in Loop: Header=BB236_173 Depth=1
	s_or_b64 exec, exec, s[28:29]
.LBB236_259:                            ;   in Loop: Header=BB236_173 Depth=1
	s_or_b64 exec, exec, s[22:23]
.LBB236_260:                            ;   in Loop: Header=BB236_173 Depth=1
	s_or_b64 exec, exec, s[20:21]
	v_lshrrev_b32_e32 v4, 16, v17
	v_cmp_ne_u16_sdwa s[2:3], v4, v5 src0_sel:BYTE_0 src1_sel:DWORD
	s_and_saveexec_b64 s[20:21], s[2:3]
	s_cbranch_execz .LBB236_266
; %bb.261:                              ;   in Loop: Header=BB236_173 Depth=1
	v_cmp_ne_u16_sdwa s[2:3], v4, s40 src0_sel:BYTE_0 src1_sel:DWORD
	v_mov_b32_e32 v20, 0x8000
	s_and_saveexec_b64 s[22:23], s[2:3]
	s_cbranch_execz .LBB236_265
; %bb.262:                              ;   in Loop: Header=BB236_173 Depth=1
	v_bfe_u32 v23, v17, 16, 7
	v_cmp_ne_u32_e64 s[2:3], s41, v23
	v_mov_b32_e32 v20, 0x7c01
	s_and_saveexec_b64 s[28:29], s[2:3]
	s_cbranch_execz .LBB236_264
; %bb.263:                              ;   in Loop: Header=BB236_173 Depth=1
	v_and_b32_e32 v20, 7, v4
	v_ffbh_u32_e32 v42, v20
	v_min_u32_e32 v44, 32, v42
	v_subrev_u32_e32 v42, 28, v44
	v_lshlrev_b64 v[42:43], v42, v[4:5]
	v_lshrrev_b32_e32 v41, 3, v23
	v_sub_u32_e32 v43, 29, v44
	v_cmp_gt_u32_e64 s[2:3], 8, v23
	v_lshlrev_b32_e32 v4, 8, v4
	s_nop 0
	v_cndmask_b32_e64 v23, v41, v43, s[2:3]
	v_lshl_add_u32 v23, v23, 10, v35
	v_and_b32_e32 v41, 7, v42
	v_and_b32_e32 v23, 0xfc00, v23
	v_cndmask_b32_e64 v20, v20, v41, s[2:3]
	v_and_or_b32 v4, v4, s42, v23
	v_lshl_or_b32 v20, v20, 7, v4
.LBB236_264:                            ;   in Loop: Header=BB236_173 Depth=1
	s_or_b64 exec, exec, s[28:29]
.LBB236_265:                            ;   in Loop: Header=BB236_173 Depth=1
	s_or_b64 exec, exec, s[22:23]
.LBB236_266:                            ;   in Loop: Header=BB236_173 Depth=1
	s_or_b64 exec, exec, s[20:21]
	v_cmp_lt_u64_e64 s[2:3], s[12:13], v[16:17]
	v_mov_b32_e32 v16, 0
	s_and_saveexec_b64 s[20:21], s[2:3]
	s_cbranch_execz .LBB236_272
; %bb.267:                              ;   in Loop: Header=BB236_173 Depth=1
	v_lshrrev_b32_e32 v4, 24, v17
	v_cmp_ne_u32_e64 s[2:3], s40, v4
	v_bfrev_b32_e32 v16, 1
	s_and_saveexec_b64 s[22:23], s[2:3]
	s_cbranch_execz .LBB236_271
; %bb.268:                              ;   in Loop: Header=BB236_173 Depth=1
	v_and_b32_e32 v17, 0x7f, v4
	v_cmp_ne_u32_e64 s[2:3], s41, v17
	v_mov_b32_e32 v16, 0x7c010000
	s_and_saveexec_b64 s[28:29], s[2:3]
	s_cbranch_execz .LBB236_270
; %bb.269:                              ;   in Loop: Header=BB236_173 Depth=1
	v_and_b32_e32 v16, 7, v4
	v_ffbh_u32_e32 v41, v16
	v_min_u32_e32 v41, 32, v41
	v_lshrrev_b32_e32 v23, 3, v17
	v_subrev_u32_e32 v42, 28, v41
	v_sub_u32_e32 v41, 29, v41
	v_cmp_gt_u32_e64 s[2:3], 8, v17
	v_lshlrev_b64 v[42:43], v42, v[4:5]
	v_lshlrev_b32_e32 v4, 8, v4
	v_cndmask_b32_e64 v17, v23, v41, s[2:3]
	v_lshl_add_u32 v17, v17, 10, v35
	v_and_b32_e32 v23, 7, v42
	v_and_or_b32 v4, v4, s42, v17
	v_cndmask_b32_e64 v16, v16, v23, s[2:3]
	v_lshlrev_b32_e32 v4, 16, v4
	v_lshl_or_b32 v16, v16, 23, v4
.LBB236_270:                            ;   in Loop: Header=BB236_173 Depth=1
	s_or_b64 exec, exec, s[28:29]
.LBB236_271:                            ;   in Loop: Header=BB236_173 Depth=1
	s_or_b64 exec, exec, s[22:23]
.LBB236_272:                            ;   in Loop: Header=BB236_173 Depth=1
	s_or_b64 exec, exec, s[20:21]
	v_cvt_f32_f16_sdwa v43, v1 dst_sel:DWORD dst_unused:UNUSED_PAD src0_sel:WORD_1
	v_cvt_f32_f16_sdwa v42, v19 dst_sel:DWORD dst_unused:UNUSED_PAD src0_sel:WORD_1
	v_or_b32_e32 v1, v1, v15
	v_or_b32_e32 v4, v19, v18
	;; [unrolled: 1-line block ×3, first 2 shown]
	s_waitcnt vmcnt(0)
	v_pk_mul_f32 v[18:19], v[14:15], v[42:43] op_sel_hi:[0,1]
	v_cvt_f32_f16_e32 v42, v4
	v_cvt_f32_f16_e32 v43, v1
	v_cvt_pk_f16_f32 v1, v18, v19
	v_and_b32_e32 v15, 0xffff0000, v1
	v_lshlrev_b32_e32 v4, 16, v1
	v_pk_mul_f32 v[18:19], v[14:15], v[42:43] op_sel_hi:[0,1]
	v_cvt_pk_f16_f32 v1, v18, v19
	v_or_b32_e32 v19, v22, v21
	v_cvt_f32_f16_e32 v20, v20
	v_cvt_f32_f16_e32 v21, v19
	v_cvt_f32_f16_sdwa v23, v22 dst_sel:DWORD dst_unused:UNUSED_PAD src0_sel:WORD_1
	v_cvt_f32_f16_sdwa v22, v16 dst_sel:DWORD dst_unused:UNUSED_PAD src0_sel:WORD_1
	v_lshrrev_b32_e32 v17, 16, v1
	v_pk_mul_f32 v[20:21], v[14:15], v[20:21] op_sel_hi:[0,1]
	v_cvt_pk_f16_f32 v41, v20, v21
	v_pk_mul_f32 v[20:21], v[14:15], v[22:23] op_sel_hi:[0,1]
	v_cvt_pk_f16_f32 v14, v20, v21
	v_and_b32_e32 v18, 0xffff, v1
	v_and_b32_e32 v19, 0xffff0000, v14
	v_lshlrev_b32_e32 v14, 16, v14
	v_lshrrev_b32_e32 v21, 16, v41
	v_and_b32_e32 v20, 0xffff, v41
	v_or_b32_e32 v1, v15, v17
	v_or_b32_e32 v16, v4, v18
	;; [unrolled: 1-line block ×4, first 2 shown]
	s_and_saveexec_b64 s[20:21], s[0:1]
	s_cbranch_execz .LBB236_274
; %bb.273:                              ;   in Loop: Header=BB236_173 Depth=1
	v_add_u32_e32 v22, 2, v36
	v_cmp_gt_i32_e64 s[2:3], s39, v36
	v_or_b32_e32 v1, 1, v36
	v_or_b32_e32 v16, 3, v36
	v_cndmask_b32_e64 v17, 0, v17, s[2:3]
	v_cmp_gt_i32_e64 s[2:3], s33, v22
	s_nop 1
	v_cndmask_b32_e64 v18, 0, v18, s[2:3]
	v_cmp_gt_i32_e64 s[2:3], s39, v1
	s_nop 1
	v_cndmask_b32_e64 v1, 0, v15, s[2:3]
	v_cmp_gt_i32_e64 s[2:3], s33, v16
	v_or_b32_e32 v15, 6, v36
	v_or_b32_e32 v1, v1, v17
	v_cndmask_b32_e64 v4, 0, v4, s[2:3]
	v_or_b32_e32 v16, v4, v18
	v_or_b32_e32 v4, 4, v36
	v_cmp_gt_i32_e64 s[2:3], s39, v4
	v_or_b32_e32 v17, 5, v36
	v_or_b32_e32 v18, 7, v36
	v_cndmask_b32_e64 v4, 0, v21, s[2:3]
	v_cmp_gt_i32_e64 s[2:3], s33, v15
	s_nop 1
	v_cndmask_b32_e64 v15, 0, v20, s[2:3]
	v_cmp_gt_i32_e64 s[2:3], s39, v17
	s_nop 1
	v_cndmask_b32_e64 v17, 0, v19, s[2:3]
	v_cmp_gt_i32_e64 s[2:3], s33, v18
	v_or_b32_e32 v23, v17, v4
	s_nop 0
	v_cndmask_b32_e64 v14, 0, v14, s[2:3]
	v_or_b32_e32 v22, v14, v15
.LBB236_274:                            ;   in Loop: Header=BB236_173 Depth=1
	s_or_b64 exec, exec, s[20:21]
	;;#ASMSTART
	v_pk_mul_f16 v1, v40, v1;

	;;#ASMEND
	;;#ASMSTART
	v_pk_mul_f16 v4, v39, v16;

	;;#ASMEND
	;; [unrolled: 4-line block ×4, first 2 shown]
	s_nop 0
	;;#ASMSTART
	v_pk_add_f16 v1, v1, v4;

	;;#ASMEND
	s_nop 0
	;;#ASMSTART
	v_pk_add_f16 v1, v1, v14;

	;;#ASMEND
	;; [unrolled: 5-line block ×3, first 2 shown]
	s_nop 0
	v_lshrrev_b32_e32 v4, 16, v1
	v_and_b32_e32 v1, 0xffff, v1
	;;#ASMSTART
	v_cvt_f32_f16 v22, v1;
	;;#ASMEND
	;;#ASMSTART
	v_cvt_f32_f16 v23, v4;
	;;#ASMEND
	s_and_saveexec_b64 s[20:21], vcc
	s_cbranch_execz .LBB236_171
; %bb.275:                              ;   in Loop: Header=BB236_173 Depth=1
	v_lshl_add_u64 v[12:13], v[12:13], 0, v[8:9]
	global_load_dwordx2 v[14:15], v[12:13], off
	v_mov_b32_e32 v1, 0
	global_load_dword v12, v1, s[14:15]
	v_mov_b32_e32 v13, 0
	s_waitcnt vmcnt(1)
	v_cmp_ne_u16_sdwa s[2:3], v14, v5 src0_sel:BYTE_0 src1_sel:DWORD
	s_and_saveexec_b64 s[22:23], s[2:3]
	s_cbranch_execz .LBB236_281
; %bb.276:                              ;   in Loop: Header=BB236_173 Depth=1
	v_cmp_ne_u16_sdwa s[2:3], v14, s40 src0_sel:BYTE_0 src1_sel:DWORD
	v_mov_b32_e32 v13, 0x8000
	s_and_saveexec_b64 s[28:29], s[2:3]
	s_cbranch_execz .LBB236_280
; %bb.277:                              ;   in Loop: Header=BB236_173 Depth=1
	v_and_b32_e32 v4, 0x7f, v14
	v_cmp_ne_u32_e64 s[2:3], s41, v4
	v_mov_b32_e32 v13, 0x7c01
	s_and_saveexec_b64 s[30:31], s[2:3]
	s_cbranch_execz .LBB236_279
; %bb.278:                              ;   in Loop: Header=BB236_173 Depth=1
	v_and_b32_e32 v13, 7, v14
	v_ffbh_u32_e32 v16, v13
	v_min_u32_e32 v19, 32, v16
	v_subrev_u32_e32 v16, 28, v19
	v_lshlrev_b64 v[16:17], v16, v[14:15]
	v_lshrrev_b32_e32 v18, 3, v4
	v_sub_u32_e32 v17, 29, v19
	v_cmp_gt_u32_e64 s[2:3], 8, v4
	v_and_b32_e32 v16, 7, v16
	s_nop 0
	v_cndmask_b32_e64 v4, v18, v17, s[2:3]
	v_lshl_add_u32 v4, v4, 10, v35
	v_lshlrev_b32_e32 v17, 8, v14
	v_and_b32_e32 v4, 0xfc00, v4
	v_cndmask_b32_e64 v13, v13, v16, s[2:3]
	v_and_or_b32 v4, v17, s42, v4
	v_lshl_or_b32 v13, v13, 7, v4
.LBB236_279:                            ;   in Loop: Header=BB236_173 Depth=1
	s_or_b64 exec, exec, s[30:31]
.LBB236_280:                            ;   in Loop: Header=BB236_173 Depth=1
	s_or_b64 exec, exec, s[28:29]
.LBB236_281:                            ;   in Loop: Header=BB236_173 Depth=1
	s_or_b64 exec, exec, s[22:23]
	v_lshrrev_b16_e32 v4, 8, v14
	v_cmp_ne_u16_e64 s[2:3], 0, v4
	s_and_saveexec_b64 s[22:23], s[2:3]
	s_cbranch_execz .LBB236_287
; %bb.282:                              ;   in Loop: Header=BB236_173 Depth=1
	v_cmp_ne_u16_e64 s[2:3], s40, v4
	v_bfrev_b32_e32 v1, 1
	s_and_saveexec_b64 s[28:29], s[2:3]
	s_cbranch_execz .LBB236_286
; %bb.283:                              ;   in Loop: Header=BB236_173 Depth=1
	v_and_b32_e32 v16, 0x7f, v4
	v_cmp_ne_u32_e64 s[2:3], s41, v16
	v_mov_b32_e32 v1, 0x7c010000
	s_and_saveexec_b64 s[30:31], s[2:3]
	s_cbranch_execz .LBB236_285
; %bb.284:                              ;   in Loop: Header=BB236_173 Depth=1
	v_and_b32_e32 v1, 7, v4
	v_ffbh_u32_e32 v18, v1
	v_min_u32_e32 v20, 32, v18
	v_subrev_u32_e32 v18, 28, v20
	v_lshlrev_b64 v[18:19], v18, v[4:5]
	v_lshrrev_b32_e32 v17, 3, v16
	v_sub_u32_e32 v19, 29, v20
	v_cmp_gt_u32_e64 s[2:3], 8, v16
	v_lshlrev_b32_e32 v4, 8, v4
	s_nop 0
	v_cndmask_b32_e64 v16, v17, v19, s[2:3]
	v_lshl_add_u32 v16, v16, 10, v35
	v_and_b32_e32 v17, 7, v18
	v_and_or_b32 v4, v4, s42, v16
	v_cndmask_b32_e64 v1, v1, v17, s[2:3]
	v_lshlrev_b32_e32 v4, 16, v4
	v_lshl_or_b32 v1, v1, 23, v4
.LBB236_285:                            ;   in Loop: Header=BB236_173 Depth=1
	s_or_b64 exec, exec, s[30:31]
.LBB236_286:                            ;   in Loop: Header=BB236_173 Depth=1
	s_or_b64 exec, exec, s[28:29]
.LBB236_287:                            ;   in Loop: Header=BB236_173 Depth=1
	s_or_b64 exec, exec, s[22:23]
	v_lshrrev_b32_e32 v4, 16, v14
	v_cmp_ne_u16_sdwa s[2:3], v4, v5 src0_sel:BYTE_0 src1_sel:DWORD
	v_mov_b32_e32 v17, 0
	v_mov_b32_e32 v16, 0
	s_and_saveexec_b64 s[22:23], s[2:3]
	s_cbranch_execz .LBB236_293
; %bb.288:                              ;   in Loop: Header=BB236_173 Depth=1
	v_cmp_ne_u16_sdwa s[2:3], v4, s40 src0_sel:BYTE_0 src1_sel:DWORD
	v_mov_b32_e32 v16, 0x8000
	s_and_saveexec_b64 s[28:29], s[2:3]
	s_cbranch_execz .LBB236_292
; %bb.289:                              ;   in Loop: Header=BB236_173 Depth=1
	v_bfe_u32 v18, v14, 16, 7
	v_cmp_ne_u32_e64 s[2:3], s41, v18
	v_mov_b32_e32 v16, 0x7c01
	s_and_saveexec_b64 s[30:31], s[2:3]
	s_cbranch_execz .LBB236_291
; %bb.290:                              ;   in Loop: Header=BB236_173 Depth=1
	v_and_b32_e32 v16, 7, v4
	v_ffbh_u32_e32 v20, v16
	v_min_u32_e32 v41, 32, v20
	v_subrev_u32_e32 v20, 28, v41
	v_lshlrev_b64 v[20:21], v20, v[4:5]
	v_lshrrev_b32_e32 v19, 3, v18
	v_sub_u32_e32 v21, 29, v41
	v_cmp_gt_u32_e64 s[2:3], 8, v18
	v_lshlrev_b32_e32 v4, 8, v4
	s_nop 0
	v_cndmask_b32_e64 v18, v19, v21, s[2:3]
	v_lshl_add_u32 v18, v18, 10, v35
	v_and_b32_e32 v19, 7, v20
	v_and_b32_e32 v18, 0xfc00, v18
	v_cndmask_b32_e64 v16, v16, v19, s[2:3]
	v_and_or_b32 v4, v4, s42, v18
	v_lshl_or_b32 v16, v16, 7, v4
.LBB236_291:                            ;   in Loop: Header=BB236_173 Depth=1
	s_or_b64 exec, exec, s[30:31]
.LBB236_292:                            ;   in Loop: Header=BB236_173 Depth=1
	s_or_b64 exec, exec, s[28:29]
.LBB236_293:                            ;   in Loop: Header=BB236_173 Depth=1
	s_or_b64 exec, exec, s[22:23]
	v_cmp_lt_u32_e64 s[2:3], s13, v14
	s_and_saveexec_b64 s[22:23], s[2:3]
	s_cbranch_execz .LBB236_299
; %bb.294:                              ;   in Loop: Header=BB236_173 Depth=1
	v_lshrrev_b32_e32 v4, 24, v14
	v_cmp_ne_u32_e64 s[2:3], s40, v4
	v_bfrev_b32_e32 v17, 1
	s_and_saveexec_b64 s[28:29], s[2:3]
	s_cbranch_execz .LBB236_298
; %bb.295:                              ;   in Loop: Header=BB236_173 Depth=1
	v_and_b32_e32 v18, 0x7f, v4
	v_cmp_ne_u32_e64 s[2:3], s41, v18
	v_mov_b32_e32 v17, 0x7c010000
	s_and_saveexec_b64 s[30:31], s[2:3]
	s_cbranch_execz .LBB236_297
; %bb.296:                              ;   in Loop: Header=BB236_173 Depth=1
	v_and_b32_e32 v17, 7, v4
	v_ffbh_u32_e32 v20, v17
	v_min_u32_e32 v41, 32, v20
	v_subrev_u32_e32 v20, 28, v41
	v_lshlrev_b64 v[20:21], v20, v[4:5]
	v_lshrrev_b32_e32 v19, 3, v18
	v_sub_u32_e32 v21, 29, v41
	v_cmp_gt_u32_e64 s[2:3], 8, v18
	v_lshlrev_b32_e32 v4, 8, v4
	s_nop 0
	v_cndmask_b32_e64 v18, v19, v21, s[2:3]
	v_lshl_add_u32 v18, v18, 10, v35
	v_and_b32_e32 v19, 7, v20
	v_and_or_b32 v4, v4, s42, v18
	v_cndmask_b32_e64 v17, v17, v19, s[2:3]
	v_lshlrev_b32_e32 v4, 16, v4
	v_lshl_or_b32 v17, v17, 23, v4
.LBB236_297:                            ;   in Loop: Header=BB236_173 Depth=1
	s_or_b64 exec, exec, s[30:31]
.LBB236_298:                            ;   in Loop: Header=BB236_173 Depth=1
	s_or_b64 exec, exec, s[28:29]
.LBB236_299:                            ;   in Loop: Header=BB236_173 Depth=1
	s_or_b64 exec, exec, s[22:23]
	v_mov_b32_e32 v4, v15
	v_cmp_ne_u16_sdwa s[2:3], v15, v5 src0_sel:BYTE_0 src1_sel:DWORD
	v_mov_b32_e32 v18, 0
	v_mov_b32_e32 v19, 0
	s_and_saveexec_b64 s[22:23], s[2:3]
	s_cbranch_execz .LBB236_305
; %bb.300:                              ;   in Loop: Header=BB236_173 Depth=1
	v_cmp_ne_u16_sdwa s[2:3], v15, s40 src0_sel:BYTE_0 src1_sel:DWORD
	v_mov_b32_e32 v19, 0x8000
	s_and_saveexec_b64 s[28:29], s[2:3]
	s_cbranch_execz .LBB236_304
; %bb.301:                              ;   in Loop: Header=BB236_173 Depth=1
	v_and_b32_e32 v20, 0x7f, v15
	v_cmp_ne_u32_e64 s[2:3], s41, v20
	v_mov_b32_e32 v19, 0x7c01
	s_and_saveexec_b64 s[30:31], s[2:3]
	s_cbranch_execz .LBB236_303
; %bb.302:                              ;   in Loop: Header=BB236_173 Depth=1
	v_and_b32_e32 v19, 7, v15
	v_ffbh_u32_e32 v41, v19
	v_min_u32_e32 v41, 32, v41
	v_lshrrev_b32_e32 v21, 3, v20
	v_subrev_u32_e32 v42, 28, v41
	v_sub_u32_e32 v41, 29, v41
	v_cmp_gt_u32_e64 s[2:3], 8, v20
	v_lshlrev_b64 v[42:43], v42, v[4:5]
	s_nop 0
	v_cndmask_b32_e64 v20, v21, v41, s[2:3]
	v_lshl_add_u32 v20, v20, 10, v35
	v_lshlrev_b32_e32 v21, 8, v15
	v_and_b32_e32 v41, 7, v42
	v_and_b32_e32 v20, 0xfc00, v20
	v_cndmask_b32_e64 v19, v19, v41, s[2:3]
	v_and_or_b32 v20, v21, s42, v20
	v_lshl_or_b32 v19, v19, 7, v20
.LBB236_303:                            ;   in Loop: Header=BB236_173 Depth=1
	s_or_b64 exec, exec, s[30:31]
.LBB236_304:                            ;   in Loop: Header=BB236_173 Depth=1
	s_or_b64 exec, exec, s[28:29]
.LBB236_305:                            ;   in Loop: Header=BB236_173 Depth=1
	s_or_b64 exec, exec, s[22:23]
	v_lshrrev_b16_e32 v4, 8, v4
	v_cmp_ne_u16_e64 s[2:3], 0, v4
	v_mov_b32_e32 v20, 0
	s_and_saveexec_b64 s[22:23], s[2:3]
	s_cbranch_execz .LBB236_311
; %bb.306:                              ;   in Loop: Header=BB236_173 Depth=1
	v_cmp_ne_u16_e64 s[2:3], s40, v4
	v_bfrev_b32_e32 v20, 1
	s_and_saveexec_b64 s[28:29], s[2:3]
	s_cbranch_execz .LBB236_310
; %bb.307:                              ;   in Loop: Header=BB236_173 Depth=1
	v_and_b32_e32 v21, 0x7f, v4
	v_cmp_ne_u32_e64 s[2:3], s41, v21
	v_mov_b32_e32 v20, 0x7c010000
	s_and_saveexec_b64 s[30:31], s[2:3]
	s_cbranch_execz .LBB236_309
; %bb.308:                              ;   in Loop: Header=BB236_173 Depth=1
	v_and_b32_e32 v20, 7, v4
	v_ffbh_u32_e32 v42, v20
	v_min_u32_e32 v44, 32, v42
	v_subrev_u32_e32 v42, 28, v44
	v_lshlrev_b64 v[42:43], v42, v[4:5]
	v_lshrrev_b32_e32 v41, 3, v21
	v_sub_u32_e32 v43, 29, v44
	v_cmp_gt_u32_e64 s[2:3], 8, v21
	v_lshlrev_b32_e32 v4, 8, v4
	s_nop 0
	v_cndmask_b32_e64 v21, v41, v43, s[2:3]
	v_lshl_add_u32 v21, v21, 10, v35
	v_and_b32_e32 v41, 7, v42
	v_and_or_b32 v4, v4, s42, v21
	v_cndmask_b32_e64 v20, v20, v41, s[2:3]
	v_lshlrev_b32_e32 v4, 16, v4
	v_lshl_or_b32 v20, v20, 23, v4
.LBB236_309:                            ;   in Loop: Header=BB236_173 Depth=1
	s_or_b64 exec, exec, s[30:31]
.LBB236_310:                            ;   in Loop: Header=BB236_173 Depth=1
	s_or_b64 exec, exec, s[28:29]
.LBB236_311:                            ;   in Loop: Header=BB236_173 Depth=1
	s_or_b64 exec, exec, s[22:23]
	v_lshrrev_b32_e32 v4, 16, v15
	v_cmp_ne_u16_sdwa s[2:3], v4, v5 src0_sel:BYTE_0 src1_sel:DWORD
	s_and_saveexec_b64 s[22:23], s[2:3]
	s_cbranch_execz .LBB236_317
; %bb.312:                              ;   in Loop: Header=BB236_173 Depth=1
	v_cmp_ne_u16_sdwa s[2:3], v4, s40 src0_sel:BYTE_0 src1_sel:DWORD
	v_mov_b32_e32 v18, 0x8000
	s_and_saveexec_b64 s[28:29], s[2:3]
	s_cbranch_execz .LBB236_316
; %bb.313:                              ;   in Loop: Header=BB236_173 Depth=1
	v_bfe_u32 v21, v15, 16, 7
	v_cmp_ne_u32_e64 s[2:3], s41, v21
	v_mov_b32_e32 v18, 0x7c01
	s_and_saveexec_b64 s[30:31], s[2:3]
	s_cbranch_execz .LBB236_315
; %bb.314:                              ;   in Loop: Header=BB236_173 Depth=1
	v_and_b32_e32 v18, 7, v4
	v_ffbh_u32_e32 v42, v18
	v_min_u32_e32 v44, 32, v42
	v_subrev_u32_e32 v42, 28, v44
	v_lshlrev_b64 v[42:43], v42, v[4:5]
	v_lshrrev_b32_e32 v41, 3, v21
	v_sub_u32_e32 v43, 29, v44
	v_cmp_gt_u32_e64 s[2:3], 8, v21
	v_lshlrev_b32_e32 v4, 8, v4
	s_nop 0
	v_cndmask_b32_e64 v21, v41, v43, s[2:3]
	v_lshl_add_u32 v21, v21, 10, v35
	v_and_b32_e32 v41, 7, v42
	v_and_b32_e32 v21, 0xfc00, v21
	v_cndmask_b32_e64 v18, v18, v41, s[2:3]
	v_and_or_b32 v4, v4, s42, v21
	v_lshl_or_b32 v18, v18, 7, v4
.LBB236_315:                            ;   in Loop: Header=BB236_173 Depth=1
	s_or_b64 exec, exec, s[30:31]
.LBB236_316:                            ;   in Loop: Header=BB236_173 Depth=1
	s_or_b64 exec, exec, s[28:29]
.LBB236_317:                            ;   in Loop: Header=BB236_173 Depth=1
	s_or_b64 exec, exec, s[22:23]
	v_cmp_lt_u64_e64 s[2:3], s[12:13], v[14:15]
	v_mov_b32_e32 v14, 0
	s_and_saveexec_b64 s[22:23], s[2:3]
	s_cbranch_execz .LBB236_323
; %bb.318:                              ;   in Loop: Header=BB236_173 Depth=1
	v_lshrrev_b32_e32 v4, 24, v15
	v_cmp_ne_u32_e64 s[2:3], s40, v4
	v_bfrev_b32_e32 v14, 1
	s_and_saveexec_b64 s[28:29], s[2:3]
	s_cbranch_execz .LBB236_322
; %bb.319:                              ;   in Loop: Header=BB236_173 Depth=1
	v_and_b32_e32 v15, 0x7f, v4
	v_cmp_ne_u32_e64 s[2:3], s41, v15
	v_mov_b32_e32 v14, 0x7c010000
	s_and_saveexec_b64 s[30:31], s[2:3]
	s_cbranch_execz .LBB236_321
; %bb.320:                              ;   in Loop: Header=BB236_173 Depth=1
	v_and_b32_e32 v14, 7, v4
	v_ffbh_u32_e32 v41, v14
	v_min_u32_e32 v41, 32, v41
	v_lshrrev_b32_e32 v21, 3, v15
	v_subrev_u32_e32 v42, 28, v41
	v_sub_u32_e32 v41, 29, v41
	v_cmp_gt_u32_e64 s[2:3], 8, v15
	v_lshlrev_b64 v[42:43], v42, v[4:5]
	v_lshlrev_b32_e32 v4, 8, v4
	v_cndmask_b32_e64 v15, v21, v41, s[2:3]
	v_lshl_add_u32 v15, v15, 10, v35
	v_and_b32_e32 v21, 7, v42
	v_and_or_b32 v4, v4, s42, v15
	v_cndmask_b32_e64 v14, v14, v21, s[2:3]
	v_lshlrev_b32_e32 v4, 16, v4
	v_lshl_or_b32 v14, v14, 23, v4
.LBB236_321:                            ;   in Loop: Header=BB236_173 Depth=1
	s_or_b64 exec, exec, s[30:31]
.LBB236_322:                            ;   in Loop: Header=BB236_173 Depth=1
	s_or_b64 exec, exec, s[28:29]
.LBB236_323:                            ;   in Loop: Header=BB236_173 Depth=1
	s_or_b64 exec, exec, s[22:23]
	v_cvt_f32_f16_sdwa v43, v1 dst_sel:DWORD dst_unused:UNUSED_PAD src0_sel:WORD_1
	v_cvt_f32_f16_sdwa v42, v17 dst_sel:DWORD dst_unused:UNUSED_PAD src0_sel:WORD_1
	v_or_b32_e32 v1, v1, v13
	v_or_b32_e32 v4, v17, v16
	;; [unrolled: 1-line block ×3, first 2 shown]
	s_waitcnt vmcnt(0)
	v_pk_mul_f32 v[16:17], v[12:13], v[42:43] op_sel_hi:[0,1]
	v_cvt_f32_f16_e32 v42, v4
	v_cvt_f32_f16_e32 v43, v1
	v_cvt_pk_f16_f32 v1, v16, v17
	v_and_b32_e32 v13, 0xffff0000, v1
	v_lshlrev_b32_e32 v4, 16, v1
	v_pk_mul_f32 v[16:17], v[12:13], v[42:43] op_sel_hi:[0,1]
	v_cvt_pk_f16_f32 v1, v16, v17
	v_or_b32_e32 v17, v20, v19
	v_cvt_f32_f16_e32 v18, v18
	v_cvt_f32_f16_e32 v19, v17
	v_cvt_f32_f16_sdwa v21, v20 dst_sel:DWORD dst_unused:UNUSED_PAD src0_sel:WORD_1
	v_cvt_f32_f16_sdwa v20, v14 dst_sel:DWORD dst_unused:UNUSED_PAD src0_sel:WORD_1
	v_lshrrev_b32_e32 v15, 16, v1
	v_pk_mul_f32 v[18:19], v[12:13], v[18:19] op_sel_hi:[0,1]
	v_cvt_pk_f16_f32 v41, v18, v19
	v_pk_mul_f32 v[18:19], v[12:13], v[20:21] op_sel_hi:[0,1]
	v_cvt_pk_f16_f32 v12, v18, v19
	v_and_b32_e32 v16, 0xffff, v1
	v_and_b32_e32 v17, 0xffff0000, v12
	v_lshlrev_b32_e32 v12, 16, v12
	v_lshrrev_b32_e32 v19, 16, v41
	v_and_b32_e32 v18, 0xffff, v41
	v_or_b32_e32 v1, v13, v15
	v_or_b32_e32 v14, v4, v16
	;; [unrolled: 1-line block ×4, first 2 shown]
	s_and_saveexec_b64 s[2:3], s[0:1]
	s_cbranch_execz .LBB236_170
; %bb.324:                              ;   in Loop: Header=BB236_173 Depth=1
	v_add_u32_e32 v20, 2, v36
	v_cmp_gt_i32_e64 s[0:1], s39, v36
	v_or_b32_e32 v1, 1, v36
	v_or_b32_e32 v14, 3, v36
	v_cndmask_b32_e64 v15, 0, v15, s[0:1]
	v_cmp_gt_i32_e64 s[0:1], s33, v20
	s_nop 1
	v_cndmask_b32_e64 v16, 0, v16, s[0:1]
	v_cmp_gt_i32_e64 s[0:1], s39, v1
	s_nop 1
	v_cndmask_b32_e64 v1, 0, v13, s[0:1]
	v_cmp_gt_i32_e64 s[0:1], s33, v14
	v_or_b32_e32 v13, 6, v36
	v_or_b32_e32 v1, v1, v15
	v_cndmask_b32_e64 v4, 0, v4, s[0:1]
	v_or_b32_e32 v14, v4, v16
	v_or_b32_e32 v4, 4, v36
	v_cmp_gt_i32_e64 s[0:1], s39, v4
	v_or_b32_e32 v15, 5, v36
	v_or_b32_e32 v16, 7, v36
	v_cndmask_b32_e64 v4, 0, v19, s[0:1]
	v_cmp_gt_i32_e64 s[0:1], s33, v13
	s_nop 1
	v_cndmask_b32_e64 v13, 0, v18, s[0:1]
	v_cmp_gt_i32_e64 s[0:1], s39, v15
	s_nop 1
	v_cndmask_b32_e64 v15, 0, v17, s[0:1]
	v_cmp_gt_i32_e64 s[0:1], s33, v16
	v_or_b32_e32 v21, v15, v4
	s_nop 0
	v_cndmask_b32_e64 v12, 0, v12, s[0:1]
	v_or_b32_e32 v20, v12, v13
	s_branch .LBB236_170
.LBB236_325:
	s_or_b64 exec, exec, s[16:17]
.LBB236_326:
	s_or_b64 exec, exec, s[6:7]
	ds_bpermute_b32 v2, v28, v6
	ds_bpermute_b32 v3, v28, v7
	;; [unrolled: 1-line block ×3, first 2 shown]
	v_and_b32_e32 v4, 0x3c0, v0
	v_cmp_eq_u32_e64 s[0:1], 64, v4
	v_cmp_eq_u32_e32 vcc, 0, v30
	s_waitcnt lgkmcnt(1)
	v_pk_add_f32 v[2:3], v[6:7], v[2:3]
	s_waitcnt lgkmcnt(0)
	v_add_f32_e32 v1, v32, v1
	s_barrier
	s_and_saveexec_b64 s[2:3], s[0:1]
	s_cbranch_execz .LBB236_331
; %bb.327:
	s_and_saveexec_b64 s[0:1], vcc
; %bb.328:
	v_mov_b32_e32 v4, 0xb0
	v_lshl_add_u32 v4, v29, 2, v4
	ds_write2_b32 v4, v2, v3 offset1:32
; %bb.329:
	s_or_b64 exec, exec, s[0:1]
	v_or_b32_e32 v4, 64, v29
	s_movk_i32 s0, 0x50
	v_cmp_gt_u32_e64 s[0:1], s0, v4
	s_and_b64 s[0:1], vcc, s[0:1]
	s_and_b64 exec, exec, s[0:1]
; %bb.330:
	v_mov_b32_e32 v4, 0xb0
	v_lshl_add_u32 v4, v29, 2, v4
	ds_write_b32 v4, v1 offset:256
.LBB236_331:
	s_or_b64 exec, exec, s[2:3]
	v_cmp_gt_u32_e64 s[0:1], 64, v0
	v_lshrrev_b32_e32 v0, 1, v0
	s_waitcnt lgkmcnt(0)
	s_barrier
	s_and_saveexec_b64 s[6:7], s[0:1]
	s_cbranch_execz .LBB236_339
; %bb.332:
	s_and_saveexec_b64 s[2:3], vcc
	s_cbranch_execz .LBB236_334
; %bb.333:
	v_mov_b32_e32 v4, 0xb0
	v_lshl_add_u32 v4, v0, 2, v4
	ds_read_b32 v4, v4
	s_waitcnt lgkmcnt(0)
	v_add_f32_e32 v2, v2, v4
.LBB236_334:
	s_or_b64 exec, exec, s[2:3]
	v_or_b32_e32 v4, 32, v0
	s_movk_i32 s8, 0x50
	v_cmp_gt_u32_e64 s[2:3], s8, v4
	s_and_b64 s[12:13], vcc, s[2:3]
	s_and_saveexec_b64 s[2:3], s[12:13]
	s_cbranch_execz .LBB236_336
; %bb.335:
	v_mov_b32_e32 v4, 0xb0
	v_lshl_add_u32 v4, v0, 2, v4
	ds_read_b32 v4, v4 offset:128
	s_waitcnt lgkmcnt(0)
	v_add_f32_e32 v3, v3, v4
.LBB236_336:
	s_or_b64 exec, exec, s[2:3]
	v_or_b32_e32 v4, 64, v0
	v_cmp_gt_u32_e64 s[2:3], s8, v4
	s_and_b64 s[8:9], vcc, s[2:3]
	s_and_saveexec_b64 s[2:3], s[8:9]
	s_cbranch_execz .LBB236_338
; %bb.337:
	v_mov_b32_e32 v4, 0xb0
	v_lshl_add_u32 v4, v0, 2, v4
	ds_read_b32 v4, v4 offset:256
	s_waitcnt lgkmcnt(0)
	v_add_f32_e32 v1, v1, v4
.LBB236_338:
	s_or_b64 exec, exec, s[2:3]
.LBB236_339:
	s_or_b64 exec, exec, s[6:7]
	s_barrier
	s_and_saveexec_b64 s[2:3], s[0:1]
	s_cbranch_execz .LBB236_346
; %bb.340:
	s_mul_i32 s0, s10, s11
	s_mul_i32 s0, s0, s5
	s_mulk_i32 s0, 0x50
	s_ashr_i32 s1, s0, 31
	s_lshl_b64 s[0:1], s[0:1], 1
	s_add_u32 s2, s26, s0
	s_mul_i32 s0, s11, s24
	s_addc_u32 s3, s27, s1
	s_ashr_i32 s1, s0, 31
	s_lshl_b64 s[0:1], s[0:1], 1
	s_add_u32 s2, s2, s0
	s_mul_i32 s0, s4, 0x50
	s_addc_u32 s3, s3, s1
	s_ashr_i32 s1, s0, 31
	s_lshl_b64 s[0:1], s[0:1], 1
	s_add_u32 s2, s2, s0
	s_movk_i32 s5, 0x50
	s_addc_u32 s3, s3, s1
	v_lshlrev_b32_e32 v4, 1, v0
	s_and_saveexec_b64 s[0:1], vcc
	s_cbranch_execz .LBB236_342
; %bb.341:
	;;#ASMSTART
	v_cvt_f16_f32 v2, v2;

	;;#ASMEND
	global_store_short v4, v2, s[2:3]
.LBB236_342:
	s_or_b64 exec, exec, s[0:1]
	v_or_b32_e32 v2, 32, v0
	v_cmp_gt_u32_e64 s[0:1], s5, v2
	s_and_b64 s[4:5], vcc, s[0:1]
	s_and_saveexec_b64 s[0:1], s[4:5]
	s_cbranch_execz .LBB236_344
; %bb.343:
	;;#ASMSTART
	v_cvt_f16_f32 v2, v3;

	;;#ASMEND
	global_store_short v4, v2, s[2:3] offset:64
.LBB236_344:
	s_or_b64 exec, exec, s[0:1]
	v_or_b32_e32 v0, 64, v0
	s_movk_i32 s0, 0x50
	v_cmp_gt_u32_e64 s[0:1], s0, v0
	s_and_b64 s[0:1], vcc, s[0:1]
	s_and_b64 exec, exec, s[0:1]
	s_cbranch_execz .LBB236_346
; %bb.345:
	;;#ASMSTART
	v_cvt_f16_f32 v0, v1;

	;;#ASMEND
	global_store_short v4, v0, s[2:3] offset:128
.LBB236_346:
	s_endpgm
	.section	.rodata,"a",@progbits
	.p2align	6, 0x0
	.amdhsa_kernel _ZN4vllm25paged_attention_v1_kernelIthLi80ELi16ELi128ELNS_18Fp8KVCacheDataTypeE1ELb1EEEvPT_PKS2_PKT0_S8_ifPKiSA_iPKfiiiSC_SC_iiiii
		.amdhsa_group_segment_fixed_size 176
		.amdhsa_private_segment_fixed_size 0
		.amdhsa_kernarg_size 384
		.amdhsa_user_sgpr_count 2
		.amdhsa_user_sgpr_dispatch_ptr 0
		.amdhsa_user_sgpr_queue_ptr 0
		.amdhsa_user_sgpr_kernarg_segment_ptr 1
		.amdhsa_user_sgpr_dispatch_id 0
		.amdhsa_user_sgpr_kernarg_preload_length 0
		.amdhsa_user_sgpr_kernarg_preload_offset 0
		.amdhsa_user_sgpr_private_segment_size 0
		.amdhsa_uses_dynamic_stack 0
		.amdhsa_enable_private_segment 0
		.amdhsa_system_sgpr_workgroup_id_x 1
		.amdhsa_system_sgpr_workgroup_id_y 1
		.amdhsa_system_sgpr_workgroup_id_z 1
		.amdhsa_system_sgpr_workgroup_info 0
		.amdhsa_system_vgpr_workitem_id 0
		.amdhsa_next_free_vgpr 53
		.amdhsa_next_free_sgpr 55
		.amdhsa_accum_offset 56
		.amdhsa_reserve_vcc 1
		.amdhsa_float_round_mode_32 0
		.amdhsa_float_round_mode_16_64 0
		.amdhsa_float_denorm_mode_32 3
		.amdhsa_float_denorm_mode_16_64 3
		.amdhsa_dx10_clamp 1
		.amdhsa_ieee_mode 1
		.amdhsa_fp16_overflow 0
		.amdhsa_tg_split 0
		.amdhsa_exception_fp_ieee_invalid_op 0
		.amdhsa_exception_fp_denorm_src 0
		.amdhsa_exception_fp_ieee_div_zero 0
		.amdhsa_exception_fp_ieee_overflow 0
		.amdhsa_exception_fp_ieee_underflow 0
		.amdhsa_exception_fp_ieee_inexact 0
		.amdhsa_exception_int_div_zero 0
	.end_amdhsa_kernel
	.section	.text._ZN4vllm25paged_attention_v1_kernelIthLi80ELi16ELi128ELNS_18Fp8KVCacheDataTypeE1ELb1EEEvPT_PKS2_PKT0_S8_ifPKiSA_iPKfiiiSC_SC_iiiii,"axG",@progbits,_ZN4vllm25paged_attention_v1_kernelIthLi80ELi16ELi128ELNS_18Fp8KVCacheDataTypeE1ELb1EEEvPT_PKS2_PKT0_S8_ifPKiSA_iPKfiiiSC_SC_iiiii,comdat
.Lfunc_end236:
	.size	_ZN4vllm25paged_attention_v1_kernelIthLi80ELi16ELi128ELNS_18Fp8KVCacheDataTypeE1ELb1EEEvPT_PKS2_PKT0_S8_ifPKiSA_iPKfiiiSC_SC_iiiii, .Lfunc_end236-_ZN4vllm25paged_attention_v1_kernelIthLi80ELi16ELi128ELNS_18Fp8KVCacheDataTypeE1ELb1EEEvPT_PKS2_PKT0_S8_ifPKiSA_iPKfiiiSC_SC_iiiii
                                        ; -- End function
	.set _ZN4vllm25paged_attention_v1_kernelIthLi80ELi16ELi128ELNS_18Fp8KVCacheDataTypeE1ELb1EEEvPT_PKS2_PKT0_S8_ifPKiSA_iPKfiiiSC_SC_iiiii.num_vgpr, 53
	.set _ZN4vllm25paged_attention_v1_kernelIthLi80ELi16ELi128ELNS_18Fp8KVCacheDataTypeE1ELb1EEEvPT_PKS2_PKT0_S8_ifPKiSA_iPKfiiiSC_SC_iiiii.num_agpr, 0
	.set _ZN4vllm25paged_attention_v1_kernelIthLi80ELi16ELi128ELNS_18Fp8KVCacheDataTypeE1ELb1EEEvPT_PKS2_PKT0_S8_ifPKiSA_iPKfiiiSC_SC_iiiii.numbered_sgpr, 55
	.set _ZN4vllm25paged_attention_v1_kernelIthLi80ELi16ELi128ELNS_18Fp8KVCacheDataTypeE1ELb1EEEvPT_PKS2_PKT0_S8_ifPKiSA_iPKfiiiSC_SC_iiiii.num_named_barrier, 0
	.set _ZN4vllm25paged_attention_v1_kernelIthLi80ELi16ELi128ELNS_18Fp8KVCacheDataTypeE1ELb1EEEvPT_PKS2_PKT0_S8_ifPKiSA_iPKfiiiSC_SC_iiiii.private_seg_size, 0
	.set _ZN4vllm25paged_attention_v1_kernelIthLi80ELi16ELi128ELNS_18Fp8KVCacheDataTypeE1ELb1EEEvPT_PKS2_PKT0_S8_ifPKiSA_iPKfiiiSC_SC_iiiii.uses_vcc, 1
	.set _ZN4vllm25paged_attention_v1_kernelIthLi80ELi16ELi128ELNS_18Fp8KVCacheDataTypeE1ELb1EEEvPT_PKS2_PKT0_S8_ifPKiSA_iPKfiiiSC_SC_iiiii.uses_flat_scratch, 0
	.set _ZN4vllm25paged_attention_v1_kernelIthLi80ELi16ELi128ELNS_18Fp8KVCacheDataTypeE1ELb1EEEvPT_PKS2_PKT0_S8_ifPKiSA_iPKfiiiSC_SC_iiiii.has_dyn_sized_stack, 0
	.set _ZN4vllm25paged_attention_v1_kernelIthLi80ELi16ELi128ELNS_18Fp8KVCacheDataTypeE1ELb1EEEvPT_PKS2_PKT0_S8_ifPKiSA_iPKfiiiSC_SC_iiiii.has_recursion, 0
	.set _ZN4vllm25paged_attention_v1_kernelIthLi80ELi16ELi128ELNS_18Fp8KVCacheDataTypeE1ELb1EEEvPT_PKS2_PKT0_S8_ifPKiSA_iPKfiiiSC_SC_iiiii.has_indirect_call, 0
	.section	.AMDGPU.csdata,"",@progbits
; Kernel info:
; codeLenInByte = 15788
; TotalNumSgprs: 61
; NumVgprs: 53
; NumAgprs: 0
; TotalNumVgprs: 53
; ScratchSize: 0
; MemoryBound: 0
; FloatMode: 240
; IeeeMode: 1
; LDSByteSize: 176 bytes/workgroup (compile time only)
; SGPRBlocks: 7
; VGPRBlocks: 6
; NumSGPRsForWavesPerEU: 61
; NumVGPRsForWavesPerEU: 53
; AccumOffset: 56
; Occupancy: 8
; WaveLimiterHint : 1
; COMPUTE_PGM_RSRC2:SCRATCH_EN: 0
; COMPUTE_PGM_RSRC2:USER_SGPR: 2
; COMPUTE_PGM_RSRC2:TRAP_HANDLER: 0
; COMPUTE_PGM_RSRC2:TGID_X_EN: 1
; COMPUTE_PGM_RSRC2:TGID_Y_EN: 1
; COMPUTE_PGM_RSRC2:TGID_Z_EN: 1
; COMPUTE_PGM_RSRC2:TIDIG_COMP_CNT: 0
; COMPUTE_PGM_RSRC3_GFX90A:ACCUM_OFFSET: 13
; COMPUTE_PGM_RSRC3_GFX90A:TG_SPLIT: 0
	.section	.text._ZN4vllm25paged_attention_v1_kernelIthLi96ELi16ELi128ELNS_18Fp8KVCacheDataTypeE1ELb1EEEvPT_PKS2_PKT0_S8_ifPKiSA_iPKfiiiSC_SC_iiiii,"axG",@progbits,_ZN4vllm25paged_attention_v1_kernelIthLi96ELi16ELi128ELNS_18Fp8KVCacheDataTypeE1ELb1EEEvPT_PKS2_PKT0_S8_ifPKiSA_iPKfiiiSC_SC_iiiii,comdat
	.protected	_ZN4vllm25paged_attention_v1_kernelIthLi96ELi16ELi128ELNS_18Fp8KVCacheDataTypeE1ELb1EEEvPT_PKS2_PKT0_S8_ifPKiSA_iPKfiiiSC_SC_iiiii ; -- Begin function _ZN4vllm25paged_attention_v1_kernelIthLi96ELi16ELi128ELNS_18Fp8KVCacheDataTypeE1ELb1EEEvPT_PKS2_PKT0_S8_ifPKiSA_iPKfiiiSC_SC_iiiii
	.globl	_ZN4vllm25paged_attention_v1_kernelIthLi96ELi16ELi128ELNS_18Fp8KVCacheDataTypeE1ELb1EEEvPT_PKS2_PKT0_S8_ifPKiSA_iPKfiiiSC_SC_iiiii
	.p2align	8
	.type	_ZN4vllm25paged_attention_v1_kernelIthLi96ELi16ELi128ELNS_18Fp8KVCacheDataTypeE1ELb1EEEvPT_PKS2_PKT0_S8_ifPKiSA_iPKfiiiSC_SC_iiiii,@function
_ZN4vllm25paged_attention_v1_kernelIthLi96ELi16ELi128ELNS_18Fp8KVCacheDataTypeE1ELb1EEEvPT_PKS2_PKT0_S8_ifPKiSA_iPKfiiiSC_SC_iiiii: ; @_ZN4vllm25paged_attention_v1_kernelIthLi96ELi16ELi128ELNS_18Fp8KVCacheDataTypeE1ELb1EEEvPT_PKS2_PKT0_S8_ifPKiSA_iPKfiiiSC_SC_iiiii
; %bb.0:
	s_load_dword s5, s[0:1], 0x80
	s_load_dwordx2 s[6:7], s[0:1], 0x30
	s_load_dwordx2 s[36:37], s[0:1], 0x20
	s_mov_b32 s10, s3
	s_ashr_i32 s11, s3, 31
	s_lshl_b64 s[8:9], s[10:11], 2
	s_waitcnt lgkmcnt(0)
	s_add_u32 s6, s6, s8
	s_addc_u32 s7, s7, s9
	s_abs_i32 s3, s36
	v_cvt_f32_u32_e32 v1, s3
	s_sub_i32 s11, 0, s3
	s_abs_i32 s9, s5
	s_xor_b32 s8, s5, s36
	v_rcp_iflag_f32_e32 v1, v1
	s_ashr_i32 s8, s8, 31
	s_mov_b32 s48, 0
	v_mul_f32_e32 v1, 0x4f7ffffe, v1
	v_cvt_u32_f32_e32 v1, v1
	s_nop 0
	v_readfirstlane_b32 s12, v1
	s_mul_i32 s11, s11, s12
	s_mul_hi_u32 s11, s12, s11
	s_add_i32 s12, s12, s11
	s_mul_hi_u32 s11, s9, s12
	s_mul_i32 s12, s11, s3
	s_sub_i32 s9, s9, s12
	s_add_i32 s12, s11, 1
	s_sub_i32 s13, s9, s3
	s_cmp_ge_u32 s9, s3
	s_cselect_b32 s11, s12, s11
	s_cselect_b32 s9, s13, s9
	s_add_i32 s12, s11, 1
	s_cmp_ge_u32 s9, s3
	s_cselect_b32 s3, s12, s11
	s_xor_b32 s3, s3, s8
	s_sub_i32 s14, s3, s8
	s_abs_i32 s11, s14
	v_cvt_f32_u32_e32 v1, s11
	s_load_dwordx2 s[8:9], s[0:1], 0x40
	s_sub_i32 s3, 0, s11
	s_abs_i32 s12, s2
	v_rcp_iflag_f32_e32 v1, v1
	s_nop 0
	v_mul_f32_e32 v1, 0x4f7ffffe, v1
	v_cvt_u32_f32_e32 v1, v1
	s_nop 0
	v_readfirstlane_b32 s13, v1
	s_mul_i32 s3, s3, s13
	s_mul_hi_u32 s3, s13, s3
	s_add_i32 s13, s13, s3
	s_waitcnt lgkmcnt(0)
	s_cmp_eq_u64 s[8:9], 0
	s_mul_hi_u32 s13, s12, s13
	s_cbranch_scc1 .LBB237_2
; %bb.1:
	s_ashr_i32 s3, s2, 31
	s_lshl_b64 s[16:17], s[2:3], 2
	s_add_u32 s8, s8, s16
	s_addc_u32 s9, s9, s17
	s_load_dword s48, s[8:9], 0x0
.LBB237_2:
	s_load_dword s33, s[6:7], 0x0
	s_load_dwordx4 s[16:19], s[0:1], 0x48
	s_ashr_i32 s3, s2, 31
	s_ashr_i32 s9, s14, 31
	v_and_b32_e32 v4, 3, v0
	s_mul_i32 s24, s2, 0x60
	v_cmp_gt_u32_e32 vcc, 48, v0
	s_and_saveexec_b64 s[6:7], vcc
	s_cbranch_execz .LBB237_4
; %bb.3:
	s_load_dwordx2 s[14:15], s[0:1], 0x8
	s_waitcnt lgkmcnt(0)
	s_mul_i32 s20, s16, s10
	s_ashr_i32 s21, s20, 31
	s_lshl_b64 s[20:21], s[20:21], 1
	v_lshlrev_b32_e32 v1, 2, v0
	s_add_u32 s8, s14, s20
	s_addc_u32 s16, s15, s21
	s_ashr_i32 s25, s24, 31
	s_lshl_b64 s[14:15], s[24:25], 1
	s_add_u32 s14, s8, s14
	s_addc_u32 s15, s16, s15
	global_load_dword v1, v1, s[14:15]
	v_and_b32_e32 v2, 0x3fc, v0
	v_mad_u32_u24 v2, v4, 48, v2
	s_waitcnt vmcnt(0)
	ds_write_b32 v2, v1
.LBB237_4:
	s_or_b64 exec, exec, s[6:7]
	s_mul_i32 s6, s13, s11
	s_sub_i32 s6, s12, s6
	s_xor_b32 s3, s3, s9
	s_add_i32 s7, s13, 1
	s_sub_i32 s9, s6, s11
	s_load_dwordx4 s[20:23], s[0:1], 0x68
	s_load_dword s8, s[0:1], 0x78
	s_cmp_ge_u32 s6, s11
	s_cselect_b32 s7, s7, s13
	s_cselect_b32 s6, s9, s6
	s_add_i32 s9, s7, 1
	s_cmp_ge_u32 s6, s11
	s_cselect_b32 s6, s9, s7
	s_waitcnt lgkmcnt(0)
	s_abs_i32 s25, s23
	v_cvt_f32_u32_e32 v1, s25
	s_xor_b32 s6, s6, s3
	s_sub_i32 s3, s6, s3
	s_sub_i32 s6, 0, s25
	v_rcp_iflag_f32_e32 v1, v1
	s_add_i32 s11, s33, -1
	s_abs_i32 s9, s11
	v_mul_f32_e32 v1, 0x4f7ffffe, v1
	v_cvt_u32_f32_e32 v1, v1
	s_barrier
	v_readfirstlane_b32 s46, v1
	s_mul_i32 s6, s6, s46
	s_mul_hi_u32 s6, s46, s6
	s_add_i32 s46, s46, s6
	s_cmp_lt_i32 s8, 0
	s_mul_hi_u32 s16, s9, s46
	s_cbranch_scc0 .LBB237_6
; %bb.5:
	s_mul_i32 s6, s20, s36
	s_add_i32 s6, s3, s6
	s_mul_i32 s6, s6, s8
	s_sub_i32 s36, 1, s6
	s_mov_b64 s[6:7], 0
	s_branch .LBB237_7
.LBB237_6:
	s_mov_b64 s[6:7], -1
                                        ; implicit-def: $sgpr36
.LBB237_7:
	s_load_dwordx2 s[28:29], s[0:1], 0x28
	s_ashr_i32 s19, s11, 31
	s_andn2_b64 vcc, exec, s[6:7]
	s_ashr_i32 s23, s23, 31
	s_cbranch_vccnz .LBB237_9
; %bb.8:
	s_mul_i32 s6, s5, s20
	s_add_i32 s2, s6, s2
	s_mul_i32 s2, s2, s8
	s_add_i32 s36, s2, 1
.LBB237_9:
	s_load_dword s2, s[0:1], 0x38
	s_load_dwordx2 s[26:27], s[0:1], 0x0
	s_load_dwordx2 s[34:35], s[0:1], 0x18
	s_load_dword s11, s[0:1], 0x88
	s_load_dwordx4 s[12:15], s[0:1], 0x58
	s_mul_i32 s6, s16, s25
	s_waitcnt lgkmcnt(0)
	s_mul_i32 s30, s2, s10
	s_sub_i32 s6, s9, s6
	s_ashr_i32 s31, s30, 31
	s_xor_b32 s2, s19, s23
	s_add_i32 s7, s16, 1
	s_sub_i32 s8, s6, s25
	s_cmp_ge_u32 s6, s25
	s_cselect_b32 s7, s7, s16
	s_cselect_b32 s6, s8, s6
	s_add_i32 s8, s7, 1
	s_cmp_ge_u32 s6, s25
	s_cselect_b32 s6, s8, s7
	s_xor_b32 s6, s6, s2
	s_sub_i32 s16, s6, s2
	s_add_i32 s2, s33, 15
	s_ashr_i32 s6, s2, 31
	s_lshr_b32 s6, s6, 28
	s_add_i32 s2, s2, s6
	s_ashr_i32 s47, s2, 4
	v_lshrrev_b32_e32 v22, 6, v0
	v_cmp_gt_i32_e64 s[6:7], s47, v22
	v_mov_b32_e32 v13, 0xff7fffff
	s_mul_i32 s20, s3, s18
	v_lshrrev_b32_e32 v1, 4, v0
	v_lshlrev_b32_e32 v23, 4, v22
	v_mbcnt_lo_u32_b32 v10, -1, 0
	s_and_saveexec_b64 s[18:19], s[6:7]
	s_cbranch_execz .LBB237_165
; %bb.10:
	s_load_dwordx2 s[0:1], s[0:1], 0x10
	s_sub_i32 s49, s16, s21
	s_ashr_i32 s2, s20, 31
	v_bfe_u32 v11, v0, 2, 4
	v_mov_b32_e32 v3, 0
	s_waitcnt lgkmcnt(0)
	s_add_u32 s0, s0, s20
	s_addc_u32 s1, s1, s2
	s_abs_i32 s50, s22
	v_cvt_f32_u32_e32 v2, s50
	v_cmp_eq_u32_e32 vcc, 0, v4
	v_mul_u32_u24_e32 v12, 48, v4
	s_mov_b32 s51, s17
	v_rcp_iflag_f32_e32 v5, v2
	v_lshlrev_b32_e32 v2, 4, v11
	v_lshl_add_u64 v[6:7], s[0:1], 0, v[2:3]
	s_sub_i32 s0, 0, s50
	v_mul_f32_e32 v5, 0x4f7ffffe, v5
	v_cvt_u32_f32_e32 v5, v5
	v_lshlrev_b32_e32 v2, 1, v4
	v_cmp_neq_f32_e64 s[2:3], s48, 0
	v_lshlrev_b32_e32 v15, 4, v22
	v_mul_lo_u32 v4, s0, v5
	s_lshl_b64 s[0:1], s[30:31], 2
	v_mul_hi_u32 v4, v5, v4
	s_add_u32 s0, s28, s0
	v_add_u32_e32 v14, v5, v4
	v_lshl_add_u64 v[4:5], v[6:7], 0, v[2:3]
	v_and_b32_e32 v2, 60, v1
	s_addc_u32 s1, s29, s1
	v_lshl_add_u64 v[6:7], s[0:1], 0, v[2:3]
	v_subrev_u32_e32 v2, s33, v11
	v_add_u32_e32 v16, 1, v2
	v_lshlrev_b32_e32 v2, 2, v11
	v_lshl_or_b32 v2, v22, 6, v2
	v_add_u32_e32 v17, 0xd0, v2
	v_mov_b32_e32 v18, 0xff7fffff
	s_mov_b64 s[38:39], 0
	s_movk_i32 s52, 0x80
	s_movk_i32 s53, 0x7f
	s_mov_b32 s54, 0x8000
	v_mov_b32_e32 v19, 0x2000
	v_mbcnt_hi_u32_b32 v20, -1, v10
	v_mov_b32_e32 v13, 0xff7fffff
	v_mov_b32_e32 v21, v22
	s_branch .LBB237_13
.LBB237_11:                             ;   in Loop: Header=BB237_13 Depth=1
	s_or_b64 exec, exec, s[40:41]
.LBB237_12:                             ;   in Loop: Header=BB237_13 Depth=1
	s_or_b64 exec, exec, s[8:9]
	v_add_u32_e32 v21, 2, v21
	v_cmp_le_i32_e64 s[0:1], s47, v21
	v_lshl_add_u64 v[6:7], v[6:7], 0, 8
	v_add_u32_e32 v15, 32, v15
	s_or_b64 s[38:39], s[0:1], s[38:39]
	v_add_u32_e32 v17, 0x80, v17
	s_andn2_b64 exec, exec, s[38:39]
	s_cbranch_execz .LBB237_164
.LBB237_13:                             ; =>This Inner Loop Header: Depth=1
	v_mul_hi_u32 v2, v15, s46
	s_waitcnt lgkmcnt(0)
	v_mul_lo_u32 v8, v2, s25
	v_sub_u32_e32 v8, v15, v8
	v_add_u32_e32 v9, 1, v2
	v_cmp_le_u32_e64 s[0:1], s25, v8
	s_nop 1
	v_cndmask_b32_e64 v2, v2, v9, s[0:1]
	v_subrev_u32_e32 v9, s25, v8
	v_cndmask_b32_e64 v8, v8, v9, s[0:1]
	v_add_u32_e32 v9, 1, v2
	v_cmp_le_u32_e64 s[0:1], s25, v8
	s_nop 1
	v_cndmask_b32_e64 v2, v2, v9, s[0:1]
	v_xor_b32_e32 v2, s23, v2
	v_subrev_u32_e32 v2, s23, v2
	v_add_u32_e32 v8, s36, v2
	v_sub_u32_e32 v24, 0, v8
	v_ashrrev_i32_e32 v9, 31, v8
	v_max_i32_e32 v8, v8, v24
	v_mul_hi_u32 v24, v8, v14
	v_mul_lo_u32 v24, v24, s50
	v_sub_u32_e32 v8, v8, v24
	v_subrev_u32_e32 v24, s50, v8
	v_cmp_le_u32_e64 s[0:1], s50, v8
	v_cmp_ge_i32_e64 s[8:9], s49, v2
	s_nop 0
	v_cndmask_b32_e64 v8, v8, v24, s[0:1]
	v_subrev_u32_e32 v24, s50, v8
	v_cmp_le_u32_e64 s[0:1], s50, v8
	s_nop 1
	v_cndmask_b32_e64 v8, v8, v24, s[0:1]
	v_xor_b32_e32 v8, v8, v9
	v_sub_u32_e32 v8, v8, v9
	v_cmp_ne_u32_e64 s[0:1], 0, v8
	s_and_b64 s[0:1], s[0:1], s[8:9]
	s_and_saveexec_b64 s[8:9], s[0:1]
	s_xor_b64 s[0:1], exec, s[8:9]
	s_cbranch_execz .LBB237_17
; %bb.14:                               ;   in Loop: Header=BB237_13 Depth=1
	s_and_saveexec_b64 s[8:9], vcc
; %bb.15:                               ;   in Loop: Header=BB237_13 Depth=1
	ds_write_b32 v17, v18
; %bb.16:                               ;   in Loop: Header=BB237_13 Depth=1
	s_or_b64 exec, exec, s[8:9]
.LBB237_17:                             ;   in Loop: Header=BB237_13 Depth=1
	s_andn2_saveexec_b64 s[8:9], s[0:1]
	s_cbranch_execz .LBB237_12
; %bb.18:                               ;   in Loop: Header=BB237_13 Depth=1
	global_load_dword v2, v[6:7], off
	v_mov_b32_e32 v25, 0
	global_load_dword v24, v25, s[12:13]
	s_waitcnt vmcnt(1)
	v_mad_i64_i32 v[8:9], s[0:1], v2, s51, v[4:5]
	global_load_ushort v26, v[8:9], off
	s_waitcnt vmcnt(0)
	v_and_b32_e32 v2, 0xffff, v26
	v_cmp_ne_u16_sdwa s[0:1], v26, v3 src0_sel:BYTE_0 src1_sel:DWORD
	v_mov_b32_e32 v26, 0
	s_and_saveexec_b64 s[40:41], s[0:1]
	s_cbranch_execz .LBB237_24
; %bb.19:                               ;   in Loop: Header=BB237_13 Depth=1
	v_cmp_ne_u16_sdwa s[0:1], v2, s52 src0_sel:BYTE_0 src1_sel:DWORD
	v_mov_b32_e32 v26, 0x8000
	s_and_saveexec_b64 s[42:43], s[0:1]
	s_cbranch_execz .LBB237_23
; %bb.20:                               ;   in Loop: Header=BB237_13 Depth=1
	v_and_b32_e32 v27, 0x7f, v2
	v_cmp_ne_u32_e64 s[0:1], s53, v27
	v_mov_b32_e32 v26, 0x7c01
	s_and_saveexec_b64 s[44:45], s[0:1]
	s_cbranch_execz .LBB237_22
; %bb.21:                               ;   in Loop: Header=BB237_13 Depth=1
	v_and_b32_e32 v26, 7, v2
	v_ffbh_u32_e32 v28, v26
	v_min_u32_e32 v31, 32, v28
	v_subrev_u32_e32 v28, 28, v31
	v_lshlrev_b64 v[28:29], v28, v[2:3]
	v_lshrrev_b32_e32 v30, 3, v27
	v_sub_u32_e32 v29, 29, v31
	v_cmp_gt_u32_e64 s[0:1], 8, v27
	v_and_b32_e32 v28, 7, v28
	s_nop 0
	v_cndmask_b32_e64 v27, v30, v29, s[0:1]
	v_lshl_add_u32 v27, v27, 10, v19
	v_lshlrev_b32_e32 v29, 8, v2
	v_and_b32_e32 v27, 0xfc00, v27
	v_cndmask_b32_e64 v26, v26, v28, s[0:1]
	v_and_or_b32 v27, v29, s54, v27
	v_lshl_or_b32 v26, v26, 7, v27
.LBB237_22:                             ;   in Loop: Header=BB237_13 Depth=1
	s_or_b64 exec, exec, s[44:45]
.LBB237_23:                             ;   in Loop: Header=BB237_13 Depth=1
	s_or_b64 exec, exec, s[42:43]
.LBB237_24:                             ;   in Loop: Header=BB237_13 Depth=1
	s_or_b64 exec, exec, s[40:41]
	v_lshrrev_b16_e32 v2, 8, v2
	v_cmp_ne_u16_e64 s[0:1], 0, v2
	s_and_saveexec_b64 s[40:41], s[0:1]
	s_cbranch_execz .LBB237_30
; %bb.25:                               ;   in Loop: Header=BB237_13 Depth=1
	v_cmp_ne_u16_e64 s[0:1], s52, v2
	v_bfrev_b32_e32 v25, 1
	s_and_saveexec_b64 s[42:43], s[0:1]
	s_cbranch_execz .LBB237_29
; %bb.26:                               ;   in Loop: Header=BB237_13 Depth=1
	v_and_b32_e32 v27, 0x7f, v2
	v_cmp_ne_u32_e64 s[0:1], s53, v27
	v_mov_b32_e32 v25, 0x7c010000
	s_and_saveexec_b64 s[44:45], s[0:1]
	s_cbranch_execz .LBB237_28
; %bb.27:                               ;   in Loop: Header=BB237_13 Depth=1
	v_and_b32_e32 v25, 7, v2
	v_ffbh_u32_e32 v28, v25
	v_min_u32_e32 v31, 32, v28
	v_subrev_u32_e32 v28, 28, v31
	v_lshlrev_b64 v[28:29], v28, v[2:3]
	v_lshrrev_b32_e32 v30, 3, v27
	v_sub_u32_e32 v29, 29, v31
	v_cmp_gt_u32_e64 s[0:1], 8, v27
	v_lshlrev_b32_e32 v2, 8, v2
	v_and_b32_e32 v28, 7, v28
	v_cndmask_b32_e64 v27, v30, v29, s[0:1]
	v_lshl_add_u32 v27, v27, 10, v19
	v_and_or_b32 v2, v2, s54, v27
	v_cndmask_b32_e64 v25, v25, v28, s[0:1]
	v_lshlrev_b32_e32 v2, 16, v2
	v_lshl_or_b32 v25, v25, 23, v2
.LBB237_28:                             ;   in Loop: Header=BB237_13 Depth=1
	s_or_b64 exec, exec, s[44:45]
.LBB237_29:                             ;   in Loop: Header=BB237_13 Depth=1
	s_or_b64 exec, exec, s[42:43]
.LBB237_30:                             ;   in Loop: Header=BB237_13 Depth=1
	s_or_b64 exec, exec, s[40:41]
	global_load_ushort v28, v[8:9], off offset:8
	v_mov_b32_e32 v27, 0
	s_waitcnt vmcnt(0)
	v_and_b32_e32 v2, 0xffff, v28
	v_cmp_ne_u16_sdwa s[0:1], v28, v3 src0_sel:BYTE_0 src1_sel:DWORD
	v_mov_b32_e32 v28, 0
	s_and_saveexec_b64 s[40:41], s[0:1]
	s_cbranch_execz .LBB237_36
; %bb.31:                               ;   in Loop: Header=BB237_13 Depth=1
	v_cmp_ne_u16_sdwa s[0:1], v2, s52 src0_sel:BYTE_0 src1_sel:DWORD
	v_mov_b32_e32 v28, 0x8000
	s_and_saveexec_b64 s[42:43], s[0:1]
	s_cbranch_execz .LBB237_35
; %bb.32:                               ;   in Loop: Header=BB237_13 Depth=1
	v_and_b32_e32 v29, 0x7f, v2
	v_cmp_ne_u32_e64 s[0:1], s53, v29
	v_mov_b32_e32 v28, 0x7c01
	s_and_saveexec_b64 s[44:45], s[0:1]
	s_cbranch_execz .LBB237_34
; %bb.33:                               ;   in Loop: Header=BB237_13 Depth=1
	v_and_b32_e32 v28, 7, v2
	v_ffbh_u32_e32 v30, v28
	v_min_u32_e32 v33, 32, v30
	v_subrev_u32_e32 v30, 28, v33
	v_lshlrev_b64 v[30:31], v30, v[2:3]
	v_lshrrev_b32_e32 v32, 3, v29
	v_sub_u32_e32 v31, 29, v33
	v_cmp_gt_u32_e64 s[0:1], 8, v29
	v_and_b32_e32 v30, 7, v30
	s_nop 0
	v_cndmask_b32_e64 v29, v32, v31, s[0:1]
	v_lshl_add_u32 v29, v29, 10, v19
	v_lshlrev_b32_e32 v31, 8, v2
	v_and_b32_e32 v29, 0xfc00, v29
	v_cndmask_b32_e64 v28, v28, v30, s[0:1]
	v_and_or_b32 v29, v31, s54, v29
	v_lshl_or_b32 v28, v28, 7, v29
.LBB237_34:                             ;   in Loop: Header=BB237_13 Depth=1
	s_or_b64 exec, exec, s[44:45]
.LBB237_35:                             ;   in Loop: Header=BB237_13 Depth=1
	s_or_b64 exec, exec, s[42:43]
.LBB237_36:                             ;   in Loop: Header=BB237_13 Depth=1
	s_or_b64 exec, exec, s[40:41]
	v_lshrrev_b16_e32 v2, 8, v2
	v_cmp_ne_u16_e64 s[0:1], 0, v2
	s_and_saveexec_b64 s[40:41], s[0:1]
	s_cbranch_execz .LBB237_42
; %bb.37:                               ;   in Loop: Header=BB237_13 Depth=1
	v_cmp_ne_u16_e64 s[0:1], s52, v2
	v_bfrev_b32_e32 v27, 1
	s_and_saveexec_b64 s[42:43], s[0:1]
	s_cbranch_execz .LBB237_41
; %bb.38:                               ;   in Loop: Header=BB237_13 Depth=1
	v_and_b32_e32 v29, 0x7f, v2
	v_cmp_ne_u32_e64 s[0:1], s53, v29
	v_mov_b32_e32 v27, 0x7c010000
	s_and_saveexec_b64 s[44:45], s[0:1]
	s_cbranch_execz .LBB237_40
; %bb.39:                               ;   in Loop: Header=BB237_13 Depth=1
	v_and_b32_e32 v27, 7, v2
	v_ffbh_u32_e32 v30, v27
	v_min_u32_e32 v33, 32, v30
	v_subrev_u32_e32 v30, 28, v33
	v_lshlrev_b64 v[30:31], v30, v[2:3]
	v_lshrrev_b32_e32 v32, 3, v29
	v_sub_u32_e32 v31, 29, v33
	v_cmp_gt_u32_e64 s[0:1], 8, v29
	v_lshlrev_b32_e32 v2, 8, v2
	v_and_b32_e32 v30, 7, v30
	v_cndmask_b32_e64 v29, v32, v31, s[0:1]
	v_lshl_add_u32 v29, v29, 10, v19
	v_and_or_b32 v2, v2, s54, v29
	v_cndmask_b32_e64 v27, v27, v30, s[0:1]
	v_lshlrev_b32_e32 v2, 16, v2
	v_lshl_or_b32 v27, v27, 23, v2
.LBB237_40:                             ;   in Loop: Header=BB237_13 Depth=1
	s_or_b64 exec, exec, s[44:45]
.LBB237_41:                             ;   in Loop: Header=BB237_13 Depth=1
	s_or_b64 exec, exec, s[42:43]
.LBB237_42:                             ;   in Loop: Header=BB237_13 Depth=1
	s_or_b64 exec, exec, s[40:41]
	global_load_ushort v30, v[8:9], off offset:256
	v_mov_b32_e32 v29, 0
	s_waitcnt vmcnt(0)
	v_and_b32_e32 v2, 0xffff, v30
	v_cmp_ne_u16_sdwa s[0:1], v30, v3 src0_sel:BYTE_0 src1_sel:DWORD
	v_mov_b32_e32 v30, 0
	s_and_saveexec_b64 s[40:41], s[0:1]
	s_cbranch_execz .LBB237_48
; %bb.43:                               ;   in Loop: Header=BB237_13 Depth=1
	v_cmp_ne_u16_sdwa s[0:1], v2, s52 src0_sel:BYTE_0 src1_sel:DWORD
	v_mov_b32_e32 v30, 0x8000
	s_and_saveexec_b64 s[42:43], s[0:1]
	s_cbranch_execz .LBB237_47
; %bb.44:                               ;   in Loop: Header=BB237_13 Depth=1
	v_and_b32_e32 v31, 0x7f, v2
	v_cmp_ne_u32_e64 s[0:1], s53, v31
	v_mov_b32_e32 v30, 0x7c01
	s_and_saveexec_b64 s[44:45], s[0:1]
	s_cbranch_execz .LBB237_46
; %bb.45:                               ;   in Loop: Header=BB237_13 Depth=1
	v_and_b32_e32 v30, 7, v2
	v_ffbh_u32_e32 v32, v30
	v_min_u32_e32 v35, 32, v32
	v_subrev_u32_e32 v32, 28, v35
	v_lshlrev_b64 v[32:33], v32, v[2:3]
	v_lshrrev_b32_e32 v34, 3, v31
	v_sub_u32_e32 v33, 29, v35
	v_cmp_gt_u32_e64 s[0:1], 8, v31
	v_and_b32_e32 v32, 7, v32
	s_nop 0
	v_cndmask_b32_e64 v31, v34, v33, s[0:1]
	v_lshl_add_u32 v31, v31, 10, v19
	v_lshlrev_b32_e32 v33, 8, v2
	v_and_b32_e32 v31, 0xfc00, v31
	v_cndmask_b32_e64 v30, v30, v32, s[0:1]
	v_and_or_b32 v31, v33, s54, v31
	v_lshl_or_b32 v30, v30, 7, v31
.LBB237_46:                             ;   in Loop: Header=BB237_13 Depth=1
	s_or_b64 exec, exec, s[44:45]
.LBB237_47:                             ;   in Loop: Header=BB237_13 Depth=1
	s_or_b64 exec, exec, s[42:43]
.LBB237_48:                             ;   in Loop: Header=BB237_13 Depth=1
	s_or_b64 exec, exec, s[40:41]
	v_lshrrev_b16_e32 v2, 8, v2
	v_cmp_ne_u16_e64 s[0:1], 0, v2
	s_and_saveexec_b64 s[40:41], s[0:1]
	s_cbranch_execz .LBB237_54
; %bb.49:                               ;   in Loop: Header=BB237_13 Depth=1
	v_cmp_ne_u16_e64 s[0:1], s52, v2
	v_bfrev_b32_e32 v29, 1
	s_and_saveexec_b64 s[42:43], s[0:1]
	s_cbranch_execz .LBB237_53
; %bb.50:                               ;   in Loop: Header=BB237_13 Depth=1
	v_and_b32_e32 v31, 0x7f, v2
	v_cmp_ne_u32_e64 s[0:1], s53, v31
	v_mov_b32_e32 v29, 0x7c010000
	s_and_saveexec_b64 s[44:45], s[0:1]
	s_cbranch_execz .LBB237_52
; %bb.51:                               ;   in Loop: Header=BB237_13 Depth=1
	v_and_b32_e32 v29, 7, v2
	v_ffbh_u32_e32 v32, v29
	v_min_u32_e32 v35, 32, v32
	v_subrev_u32_e32 v32, 28, v35
	v_lshlrev_b64 v[32:33], v32, v[2:3]
	v_lshrrev_b32_e32 v34, 3, v31
	v_sub_u32_e32 v33, 29, v35
	v_cmp_gt_u32_e64 s[0:1], 8, v31
	v_lshlrev_b32_e32 v2, 8, v2
	v_and_b32_e32 v32, 7, v32
	v_cndmask_b32_e64 v31, v34, v33, s[0:1]
	v_lshl_add_u32 v31, v31, 10, v19
	v_and_or_b32 v2, v2, s54, v31
	v_cndmask_b32_e64 v29, v29, v32, s[0:1]
	v_lshlrev_b32_e32 v2, 16, v2
	v_lshl_or_b32 v29, v29, 23, v2
.LBB237_52:                             ;   in Loop: Header=BB237_13 Depth=1
	s_or_b64 exec, exec, s[44:45]
.LBB237_53:                             ;   in Loop: Header=BB237_13 Depth=1
	s_or_b64 exec, exec, s[42:43]
.LBB237_54:                             ;   in Loop: Header=BB237_13 Depth=1
	s_or_b64 exec, exec, s[40:41]
	global_load_ushort v32, v[8:9], off offset:264
	v_mov_b32_e32 v31, 0
	s_waitcnt vmcnt(0)
	v_and_b32_e32 v2, 0xffff, v32
	v_cmp_ne_u16_sdwa s[0:1], v32, v3 src0_sel:BYTE_0 src1_sel:DWORD
	v_mov_b32_e32 v32, 0
	s_and_saveexec_b64 s[40:41], s[0:1]
	s_cbranch_execz .LBB237_60
; %bb.55:                               ;   in Loop: Header=BB237_13 Depth=1
	v_cmp_ne_u16_sdwa s[0:1], v2, s52 src0_sel:BYTE_0 src1_sel:DWORD
	v_mov_b32_e32 v32, 0x8000
	s_and_saveexec_b64 s[42:43], s[0:1]
	s_cbranch_execz .LBB237_59
; %bb.56:                               ;   in Loop: Header=BB237_13 Depth=1
	v_and_b32_e32 v33, 0x7f, v2
	v_cmp_ne_u32_e64 s[0:1], s53, v33
	v_mov_b32_e32 v32, 0x7c01
	s_and_saveexec_b64 s[44:45], s[0:1]
	s_cbranch_execz .LBB237_58
; %bb.57:                               ;   in Loop: Header=BB237_13 Depth=1
	v_and_b32_e32 v32, 7, v2
	v_ffbh_u32_e32 v34, v32
	v_min_u32_e32 v37, 32, v34
	v_subrev_u32_e32 v34, 28, v37
	v_lshlrev_b64 v[34:35], v34, v[2:3]
	v_lshrrev_b32_e32 v36, 3, v33
	v_sub_u32_e32 v35, 29, v37
	v_cmp_gt_u32_e64 s[0:1], 8, v33
	v_and_b32_e32 v34, 7, v34
	s_nop 0
	v_cndmask_b32_e64 v33, v36, v35, s[0:1]
	v_lshl_add_u32 v33, v33, 10, v19
	v_lshlrev_b32_e32 v35, 8, v2
	v_and_b32_e32 v33, 0xfc00, v33
	v_cndmask_b32_e64 v32, v32, v34, s[0:1]
	v_and_or_b32 v33, v35, s54, v33
	v_lshl_or_b32 v32, v32, 7, v33
.LBB237_58:                             ;   in Loop: Header=BB237_13 Depth=1
	s_or_b64 exec, exec, s[44:45]
.LBB237_59:                             ;   in Loop: Header=BB237_13 Depth=1
	s_or_b64 exec, exec, s[42:43]
.LBB237_60:                             ;   in Loop: Header=BB237_13 Depth=1
	s_or_b64 exec, exec, s[40:41]
	v_lshrrev_b16_e32 v2, 8, v2
	v_cmp_ne_u16_e64 s[0:1], 0, v2
	s_and_saveexec_b64 s[40:41], s[0:1]
	s_cbranch_execz .LBB237_66
; %bb.61:                               ;   in Loop: Header=BB237_13 Depth=1
	v_cmp_ne_u16_e64 s[0:1], s52, v2
	v_bfrev_b32_e32 v31, 1
	s_and_saveexec_b64 s[42:43], s[0:1]
	s_cbranch_execz .LBB237_65
; %bb.62:                               ;   in Loop: Header=BB237_13 Depth=1
	v_and_b32_e32 v33, 0x7f, v2
	v_cmp_ne_u32_e64 s[0:1], s53, v33
	v_mov_b32_e32 v31, 0x7c010000
	s_and_saveexec_b64 s[44:45], s[0:1]
	s_cbranch_execz .LBB237_64
; %bb.63:                               ;   in Loop: Header=BB237_13 Depth=1
	v_and_b32_e32 v31, 7, v2
	v_ffbh_u32_e32 v34, v31
	v_min_u32_e32 v37, 32, v34
	v_subrev_u32_e32 v34, 28, v37
	v_lshlrev_b64 v[34:35], v34, v[2:3]
	v_lshrrev_b32_e32 v36, 3, v33
	v_sub_u32_e32 v35, 29, v37
	v_cmp_gt_u32_e64 s[0:1], 8, v33
	v_lshlrev_b32_e32 v2, 8, v2
	v_and_b32_e32 v34, 7, v34
	v_cndmask_b32_e64 v33, v36, v35, s[0:1]
	v_lshl_add_u32 v33, v33, 10, v19
	v_and_or_b32 v2, v2, s54, v33
	v_cndmask_b32_e64 v31, v31, v34, s[0:1]
	v_lshlrev_b32_e32 v2, 16, v2
	v_lshl_or_b32 v31, v31, 23, v2
.LBB237_64:                             ;   in Loop: Header=BB237_13 Depth=1
	s_or_b64 exec, exec, s[44:45]
.LBB237_65:                             ;   in Loop: Header=BB237_13 Depth=1
	s_or_b64 exec, exec, s[42:43]
.LBB237_66:                             ;   in Loop: Header=BB237_13 Depth=1
	s_or_b64 exec, exec, s[40:41]
	global_load_ushort v34, v[8:9], off offset:512
	v_mov_b32_e32 v33, 0
	s_waitcnt vmcnt(0)
	v_and_b32_e32 v2, 0xffff, v34
	v_cmp_ne_u16_sdwa s[0:1], v34, v3 src0_sel:BYTE_0 src1_sel:DWORD
	v_mov_b32_e32 v34, 0
	s_and_saveexec_b64 s[40:41], s[0:1]
	s_cbranch_execz .LBB237_72
; %bb.67:                               ;   in Loop: Header=BB237_13 Depth=1
	v_cmp_ne_u16_sdwa s[0:1], v2, s52 src0_sel:BYTE_0 src1_sel:DWORD
	v_mov_b32_e32 v34, 0x8000
	s_and_saveexec_b64 s[42:43], s[0:1]
	s_cbranch_execz .LBB237_71
; %bb.68:                               ;   in Loop: Header=BB237_13 Depth=1
	v_and_b32_e32 v35, 0x7f, v2
	v_cmp_ne_u32_e64 s[0:1], s53, v35
	v_mov_b32_e32 v34, 0x7c01
	s_and_saveexec_b64 s[44:45], s[0:1]
	s_cbranch_execz .LBB237_70
; %bb.69:                               ;   in Loop: Header=BB237_13 Depth=1
	v_and_b32_e32 v34, 7, v2
	v_ffbh_u32_e32 v36, v34
	v_min_u32_e32 v39, 32, v36
	v_subrev_u32_e32 v36, 28, v39
	v_lshlrev_b64 v[36:37], v36, v[2:3]
	v_lshrrev_b32_e32 v38, 3, v35
	v_sub_u32_e32 v37, 29, v39
	v_cmp_gt_u32_e64 s[0:1], 8, v35
	v_and_b32_e32 v36, 7, v36
	s_nop 0
	v_cndmask_b32_e64 v35, v38, v37, s[0:1]
	v_lshl_add_u32 v35, v35, 10, v19
	v_lshlrev_b32_e32 v37, 8, v2
	v_and_b32_e32 v35, 0xfc00, v35
	v_cndmask_b32_e64 v34, v34, v36, s[0:1]
	v_and_or_b32 v35, v37, s54, v35
	v_lshl_or_b32 v34, v34, 7, v35
.LBB237_70:                             ;   in Loop: Header=BB237_13 Depth=1
	s_or_b64 exec, exec, s[44:45]
.LBB237_71:                             ;   in Loop: Header=BB237_13 Depth=1
	s_or_b64 exec, exec, s[42:43]
.LBB237_72:                             ;   in Loop: Header=BB237_13 Depth=1
	s_or_b64 exec, exec, s[40:41]
	v_lshrrev_b16_e32 v2, 8, v2
	v_cmp_ne_u16_e64 s[0:1], 0, v2
	s_and_saveexec_b64 s[40:41], s[0:1]
	s_cbranch_execz .LBB237_78
; %bb.73:                               ;   in Loop: Header=BB237_13 Depth=1
	v_cmp_ne_u16_e64 s[0:1], s52, v2
	v_bfrev_b32_e32 v33, 1
	s_and_saveexec_b64 s[42:43], s[0:1]
	s_cbranch_execz .LBB237_77
; %bb.74:                               ;   in Loop: Header=BB237_13 Depth=1
	v_and_b32_e32 v35, 0x7f, v2
	v_cmp_ne_u32_e64 s[0:1], s53, v35
	v_mov_b32_e32 v33, 0x7c010000
	s_and_saveexec_b64 s[44:45], s[0:1]
	s_cbranch_execz .LBB237_76
; %bb.75:                               ;   in Loop: Header=BB237_13 Depth=1
	v_and_b32_e32 v33, 7, v2
	v_ffbh_u32_e32 v36, v33
	v_min_u32_e32 v39, 32, v36
	v_subrev_u32_e32 v36, 28, v39
	v_lshlrev_b64 v[36:37], v36, v[2:3]
	v_lshrrev_b32_e32 v38, 3, v35
	v_sub_u32_e32 v37, 29, v39
	v_cmp_gt_u32_e64 s[0:1], 8, v35
	v_lshlrev_b32_e32 v2, 8, v2
	v_and_b32_e32 v36, 7, v36
	v_cndmask_b32_e64 v35, v38, v37, s[0:1]
	v_lshl_add_u32 v35, v35, 10, v19
	v_and_or_b32 v2, v2, s54, v35
	v_cndmask_b32_e64 v33, v33, v36, s[0:1]
	v_lshlrev_b32_e32 v2, 16, v2
	v_lshl_or_b32 v33, v33, 23, v2
.LBB237_76:                             ;   in Loop: Header=BB237_13 Depth=1
	s_or_b64 exec, exec, s[44:45]
.LBB237_77:                             ;   in Loop: Header=BB237_13 Depth=1
	s_or_b64 exec, exec, s[42:43]
.LBB237_78:                             ;   in Loop: Header=BB237_13 Depth=1
	s_or_b64 exec, exec, s[40:41]
	global_load_ushort v36, v[8:9], off offset:520
	v_mov_b32_e32 v35, 0
	s_waitcnt vmcnt(0)
	v_and_b32_e32 v2, 0xffff, v36
	v_cmp_ne_u16_sdwa s[0:1], v36, v3 src0_sel:BYTE_0 src1_sel:DWORD
	v_mov_b32_e32 v36, 0
	s_and_saveexec_b64 s[40:41], s[0:1]
	s_cbranch_execz .LBB237_84
; %bb.79:                               ;   in Loop: Header=BB237_13 Depth=1
	v_cmp_ne_u16_sdwa s[0:1], v2, s52 src0_sel:BYTE_0 src1_sel:DWORD
	v_mov_b32_e32 v36, 0x8000
	s_and_saveexec_b64 s[42:43], s[0:1]
	s_cbranch_execz .LBB237_83
; %bb.80:                               ;   in Loop: Header=BB237_13 Depth=1
	v_and_b32_e32 v37, 0x7f, v2
	v_cmp_ne_u32_e64 s[0:1], s53, v37
	v_mov_b32_e32 v36, 0x7c01
	s_and_saveexec_b64 s[44:45], s[0:1]
	s_cbranch_execz .LBB237_82
; %bb.81:                               ;   in Loop: Header=BB237_13 Depth=1
	v_and_b32_e32 v36, 7, v2
	v_ffbh_u32_e32 v38, v36
	v_min_u32_e32 v41, 32, v38
	v_subrev_u32_e32 v38, 28, v41
	v_lshlrev_b64 v[38:39], v38, v[2:3]
	v_lshrrev_b32_e32 v40, 3, v37
	v_sub_u32_e32 v39, 29, v41
	v_cmp_gt_u32_e64 s[0:1], 8, v37
	v_and_b32_e32 v38, 7, v38
	s_nop 0
	v_cndmask_b32_e64 v37, v40, v39, s[0:1]
	v_lshl_add_u32 v37, v37, 10, v19
	v_lshlrev_b32_e32 v39, 8, v2
	v_and_b32_e32 v37, 0xfc00, v37
	v_cndmask_b32_e64 v36, v36, v38, s[0:1]
	v_and_or_b32 v37, v39, s54, v37
	v_lshl_or_b32 v36, v36, 7, v37
.LBB237_82:                             ;   in Loop: Header=BB237_13 Depth=1
	s_or_b64 exec, exec, s[44:45]
.LBB237_83:                             ;   in Loop: Header=BB237_13 Depth=1
	s_or_b64 exec, exec, s[42:43]
.LBB237_84:                             ;   in Loop: Header=BB237_13 Depth=1
	s_or_b64 exec, exec, s[40:41]
	v_lshrrev_b16_e32 v2, 8, v2
	v_cmp_ne_u16_e64 s[0:1], 0, v2
	s_and_saveexec_b64 s[40:41], s[0:1]
	s_cbranch_execz .LBB237_90
; %bb.85:                               ;   in Loop: Header=BB237_13 Depth=1
	v_cmp_ne_u16_e64 s[0:1], s52, v2
	v_bfrev_b32_e32 v35, 1
	s_and_saveexec_b64 s[42:43], s[0:1]
	s_cbranch_execz .LBB237_89
; %bb.86:                               ;   in Loop: Header=BB237_13 Depth=1
	v_and_b32_e32 v37, 0x7f, v2
	v_cmp_ne_u32_e64 s[0:1], s53, v37
	v_mov_b32_e32 v35, 0x7c010000
	s_and_saveexec_b64 s[44:45], s[0:1]
	s_cbranch_execz .LBB237_88
; %bb.87:                               ;   in Loop: Header=BB237_13 Depth=1
	v_and_b32_e32 v35, 7, v2
	v_ffbh_u32_e32 v38, v35
	v_min_u32_e32 v41, 32, v38
	v_subrev_u32_e32 v38, 28, v41
	v_lshlrev_b64 v[38:39], v38, v[2:3]
	v_lshrrev_b32_e32 v40, 3, v37
	v_sub_u32_e32 v39, 29, v41
	v_cmp_gt_u32_e64 s[0:1], 8, v37
	v_lshlrev_b32_e32 v2, 8, v2
	v_and_b32_e32 v38, 7, v38
	v_cndmask_b32_e64 v37, v40, v39, s[0:1]
	v_lshl_add_u32 v37, v37, 10, v19
	v_and_or_b32 v2, v2, s54, v37
	v_cndmask_b32_e64 v35, v35, v38, s[0:1]
	v_lshlrev_b32_e32 v2, 16, v2
	v_lshl_or_b32 v35, v35, 23, v2
.LBB237_88:                             ;   in Loop: Header=BB237_13 Depth=1
	s_or_b64 exec, exec, s[44:45]
.LBB237_89:                             ;   in Loop: Header=BB237_13 Depth=1
	s_or_b64 exec, exec, s[42:43]
.LBB237_90:                             ;   in Loop: Header=BB237_13 Depth=1
	s_or_b64 exec, exec, s[40:41]
	global_load_ushort v38, v[8:9], off offset:768
	v_mov_b32_e32 v37, 0
	s_waitcnt vmcnt(0)
	v_and_b32_e32 v2, 0xffff, v38
	v_cmp_ne_u16_sdwa s[0:1], v38, v3 src0_sel:BYTE_0 src1_sel:DWORD
	v_mov_b32_e32 v38, 0
	s_and_saveexec_b64 s[40:41], s[0:1]
	s_cbranch_execz .LBB237_96
; %bb.91:                               ;   in Loop: Header=BB237_13 Depth=1
	v_cmp_ne_u16_sdwa s[0:1], v2, s52 src0_sel:BYTE_0 src1_sel:DWORD
	v_mov_b32_e32 v38, 0x8000
	s_and_saveexec_b64 s[42:43], s[0:1]
	s_cbranch_execz .LBB237_95
; %bb.92:                               ;   in Loop: Header=BB237_13 Depth=1
	v_and_b32_e32 v39, 0x7f, v2
	v_cmp_ne_u32_e64 s[0:1], s53, v39
	v_mov_b32_e32 v38, 0x7c01
	s_and_saveexec_b64 s[44:45], s[0:1]
	s_cbranch_execz .LBB237_94
; %bb.93:                               ;   in Loop: Header=BB237_13 Depth=1
	v_and_b32_e32 v38, 7, v2
	v_ffbh_u32_e32 v40, v38
	v_min_u32_e32 v43, 32, v40
	v_subrev_u32_e32 v40, 28, v43
	v_lshlrev_b64 v[40:41], v40, v[2:3]
	v_lshrrev_b32_e32 v42, 3, v39
	v_sub_u32_e32 v41, 29, v43
	v_cmp_gt_u32_e64 s[0:1], 8, v39
	v_and_b32_e32 v40, 7, v40
	s_nop 0
	v_cndmask_b32_e64 v39, v42, v41, s[0:1]
	v_lshl_add_u32 v39, v39, 10, v19
	v_lshlrev_b32_e32 v41, 8, v2
	v_and_b32_e32 v39, 0xfc00, v39
	v_cndmask_b32_e64 v38, v38, v40, s[0:1]
	v_and_or_b32 v39, v41, s54, v39
	v_lshl_or_b32 v38, v38, 7, v39
.LBB237_94:                             ;   in Loop: Header=BB237_13 Depth=1
	s_or_b64 exec, exec, s[44:45]
.LBB237_95:                             ;   in Loop: Header=BB237_13 Depth=1
	s_or_b64 exec, exec, s[42:43]
.LBB237_96:                             ;   in Loop: Header=BB237_13 Depth=1
	s_or_b64 exec, exec, s[40:41]
	v_lshrrev_b16_e32 v2, 8, v2
	v_cmp_ne_u16_e64 s[0:1], 0, v2
	s_and_saveexec_b64 s[40:41], s[0:1]
	s_cbranch_execz .LBB237_102
; %bb.97:                               ;   in Loop: Header=BB237_13 Depth=1
	v_cmp_ne_u16_e64 s[0:1], s52, v2
	v_bfrev_b32_e32 v37, 1
	s_and_saveexec_b64 s[42:43], s[0:1]
	s_cbranch_execz .LBB237_101
; %bb.98:                               ;   in Loop: Header=BB237_13 Depth=1
	v_and_b32_e32 v39, 0x7f, v2
	v_cmp_ne_u32_e64 s[0:1], s53, v39
	v_mov_b32_e32 v37, 0x7c010000
	s_and_saveexec_b64 s[44:45], s[0:1]
	s_cbranch_execz .LBB237_100
; %bb.99:                               ;   in Loop: Header=BB237_13 Depth=1
	v_and_b32_e32 v37, 7, v2
	v_ffbh_u32_e32 v40, v37
	v_min_u32_e32 v43, 32, v40
	v_subrev_u32_e32 v40, 28, v43
	v_lshlrev_b64 v[40:41], v40, v[2:3]
	v_lshrrev_b32_e32 v42, 3, v39
	v_sub_u32_e32 v41, 29, v43
	v_cmp_gt_u32_e64 s[0:1], 8, v39
	v_lshlrev_b32_e32 v2, 8, v2
	v_and_b32_e32 v40, 7, v40
	v_cndmask_b32_e64 v39, v42, v41, s[0:1]
	v_lshl_add_u32 v39, v39, 10, v19
	v_and_or_b32 v2, v2, s54, v39
	v_cndmask_b32_e64 v37, v37, v40, s[0:1]
	v_lshlrev_b32_e32 v2, 16, v2
	v_lshl_or_b32 v37, v37, 23, v2
.LBB237_100:                            ;   in Loop: Header=BB237_13 Depth=1
	s_or_b64 exec, exec, s[44:45]
.LBB237_101:                            ;   in Loop: Header=BB237_13 Depth=1
	s_or_b64 exec, exec, s[42:43]
.LBB237_102:                            ;   in Loop: Header=BB237_13 Depth=1
	s_or_b64 exec, exec, s[40:41]
	global_load_ushort v40, v[8:9], off offset:776
	v_mov_b32_e32 v39, 0
	s_waitcnt vmcnt(0)
	v_and_b32_e32 v2, 0xffff, v40
	v_cmp_ne_u16_sdwa s[0:1], v40, v3 src0_sel:BYTE_0 src1_sel:DWORD
	v_mov_b32_e32 v40, 0
	s_and_saveexec_b64 s[40:41], s[0:1]
	s_cbranch_execz .LBB237_108
; %bb.103:                              ;   in Loop: Header=BB237_13 Depth=1
	v_cmp_ne_u16_sdwa s[0:1], v2, s52 src0_sel:BYTE_0 src1_sel:DWORD
	v_mov_b32_e32 v40, 0x8000
	s_and_saveexec_b64 s[42:43], s[0:1]
	s_cbranch_execz .LBB237_107
; %bb.104:                              ;   in Loop: Header=BB237_13 Depth=1
	v_and_b32_e32 v41, 0x7f, v2
	v_cmp_ne_u32_e64 s[0:1], s53, v41
	v_mov_b32_e32 v40, 0x7c01
	s_and_saveexec_b64 s[44:45], s[0:1]
	s_cbranch_execz .LBB237_106
; %bb.105:                              ;   in Loop: Header=BB237_13 Depth=1
	v_and_b32_e32 v40, 7, v2
	v_ffbh_u32_e32 v42, v40
	v_min_u32_e32 v45, 32, v42
	v_subrev_u32_e32 v42, 28, v45
	v_lshlrev_b64 v[42:43], v42, v[2:3]
	v_lshrrev_b32_e32 v44, 3, v41
	v_sub_u32_e32 v43, 29, v45
	v_cmp_gt_u32_e64 s[0:1], 8, v41
	v_and_b32_e32 v42, 7, v42
	s_nop 0
	v_cndmask_b32_e64 v41, v44, v43, s[0:1]
	v_lshl_add_u32 v41, v41, 10, v19
	v_lshlrev_b32_e32 v43, 8, v2
	v_and_b32_e32 v41, 0xfc00, v41
	v_cndmask_b32_e64 v40, v40, v42, s[0:1]
	v_and_or_b32 v41, v43, s54, v41
	v_lshl_or_b32 v40, v40, 7, v41
.LBB237_106:                            ;   in Loop: Header=BB237_13 Depth=1
	s_or_b64 exec, exec, s[44:45]
.LBB237_107:                            ;   in Loop: Header=BB237_13 Depth=1
	s_or_b64 exec, exec, s[42:43]
.LBB237_108:                            ;   in Loop: Header=BB237_13 Depth=1
	s_or_b64 exec, exec, s[40:41]
	v_lshrrev_b16_e32 v2, 8, v2
	v_cmp_ne_u16_e64 s[0:1], 0, v2
	s_and_saveexec_b64 s[40:41], s[0:1]
	s_cbranch_execz .LBB237_114
; %bb.109:                              ;   in Loop: Header=BB237_13 Depth=1
	v_cmp_ne_u16_e64 s[0:1], s52, v2
	v_bfrev_b32_e32 v39, 1
	s_and_saveexec_b64 s[42:43], s[0:1]
	s_cbranch_execz .LBB237_113
; %bb.110:                              ;   in Loop: Header=BB237_13 Depth=1
	v_and_b32_e32 v41, 0x7f, v2
	v_cmp_ne_u32_e64 s[0:1], s53, v41
	v_mov_b32_e32 v39, 0x7c010000
	s_and_saveexec_b64 s[44:45], s[0:1]
	s_cbranch_execz .LBB237_112
; %bb.111:                              ;   in Loop: Header=BB237_13 Depth=1
	v_and_b32_e32 v39, 7, v2
	v_ffbh_u32_e32 v42, v39
	v_min_u32_e32 v45, 32, v42
	v_subrev_u32_e32 v42, 28, v45
	v_lshlrev_b64 v[42:43], v42, v[2:3]
	v_lshrrev_b32_e32 v44, 3, v41
	v_sub_u32_e32 v43, 29, v45
	v_cmp_gt_u32_e64 s[0:1], 8, v41
	v_lshlrev_b32_e32 v2, 8, v2
	v_and_b32_e32 v42, 7, v42
	v_cndmask_b32_e64 v41, v44, v43, s[0:1]
	v_lshl_add_u32 v41, v41, 10, v19
	v_and_or_b32 v2, v2, s54, v41
	v_cndmask_b32_e64 v39, v39, v42, s[0:1]
	v_lshlrev_b32_e32 v2, 16, v2
	v_lshl_or_b32 v39, v39, 23, v2
.LBB237_112:                            ;   in Loop: Header=BB237_13 Depth=1
	s_or_b64 exec, exec, s[44:45]
.LBB237_113:                            ;   in Loop: Header=BB237_13 Depth=1
	s_or_b64 exec, exec, s[42:43]
.LBB237_114:                            ;   in Loop: Header=BB237_13 Depth=1
	s_or_b64 exec, exec, s[40:41]
	global_load_ushort v42, v[8:9], off offset:1024
	v_mov_b32_e32 v41, 0
	s_waitcnt vmcnt(0)
	v_and_b32_e32 v2, 0xffff, v42
	v_cmp_ne_u16_sdwa s[0:1], v42, v3 src0_sel:BYTE_0 src1_sel:DWORD
	v_mov_b32_e32 v42, 0
	s_and_saveexec_b64 s[40:41], s[0:1]
	s_cbranch_execz .LBB237_120
; %bb.115:                              ;   in Loop: Header=BB237_13 Depth=1
	v_cmp_ne_u16_sdwa s[0:1], v2, s52 src0_sel:BYTE_0 src1_sel:DWORD
	v_mov_b32_e32 v42, 0x8000
	s_and_saveexec_b64 s[42:43], s[0:1]
	s_cbranch_execz .LBB237_119
; %bb.116:                              ;   in Loop: Header=BB237_13 Depth=1
	v_and_b32_e32 v43, 0x7f, v2
	v_cmp_ne_u32_e64 s[0:1], s53, v43
	v_mov_b32_e32 v42, 0x7c01
	s_and_saveexec_b64 s[44:45], s[0:1]
	s_cbranch_execz .LBB237_118
; %bb.117:                              ;   in Loop: Header=BB237_13 Depth=1
	v_and_b32_e32 v42, 7, v2
	v_ffbh_u32_e32 v44, v42
	v_min_u32_e32 v47, 32, v44
	v_subrev_u32_e32 v44, 28, v47
	v_lshlrev_b64 v[44:45], v44, v[2:3]
	v_lshrrev_b32_e32 v46, 3, v43
	v_sub_u32_e32 v45, 29, v47
	v_cmp_gt_u32_e64 s[0:1], 8, v43
	v_and_b32_e32 v44, 7, v44
	s_nop 0
	v_cndmask_b32_e64 v43, v46, v45, s[0:1]
	v_lshl_add_u32 v43, v43, 10, v19
	v_lshlrev_b32_e32 v45, 8, v2
	v_and_b32_e32 v43, 0xfc00, v43
	v_cndmask_b32_e64 v42, v42, v44, s[0:1]
	v_and_or_b32 v43, v45, s54, v43
	v_lshl_or_b32 v42, v42, 7, v43
.LBB237_118:                            ;   in Loop: Header=BB237_13 Depth=1
	s_or_b64 exec, exec, s[44:45]
.LBB237_119:                            ;   in Loop: Header=BB237_13 Depth=1
	s_or_b64 exec, exec, s[42:43]
.LBB237_120:                            ;   in Loop: Header=BB237_13 Depth=1
	s_or_b64 exec, exec, s[40:41]
	v_lshrrev_b16_e32 v2, 8, v2
	v_cmp_ne_u16_e64 s[0:1], 0, v2
	s_and_saveexec_b64 s[40:41], s[0:1]
	s_cbranch_execz .LBB237_126
; %bb.121:                              ;   in Loop: Header=BB237_13 Depth=1
	v_cmp_ne_u16_e64 s[0:1], s52, v2
	v_bfrev_b32_e32 v41, 1
	s_and_saveexec_b64 s[42:43], s[0:1]
	s_cbranch_execz .LBB237_125
; %bb.122:                              ;   in Loop: Header=BB237_13 Depth=1
	v_and_b32_e32 v43, 0x7f, v2
	v_cmp_ne_u32_e64 s[0:1], s53, v43
	v_mov_b32_e32 v41, 0x7c010000
	s_and_saveexec_b64 s[44:45], s[0:1]
	s_cbranch_execz .LBB237_124
; %bb.123:                              ;   in Loop: Header=BB237_13 Depth=1
	v_and_b32_e32 v41, 7, v2
	v_ffbh_u32_e32 v44, v41
	v_min_u32_e32 v47, 32, v44
	v_subrev_u32_e32 v44, 28, v47
	v_lshlrev_b64 v[44:45], v44, v[2:3]
	v_lshrrev_b32_e32 v46, 3, v43
	v_sub_u32_e32 v45, 29, v47
	v_cmp_gt_u32_e64 s[0:1], 8, v43
	v_lshlrev_b32_e32 v2, 8, v2
	v_and_b32_e32 v44, 7, v44
	v_cndmask_b32_e64 v43, v46, v45, s[0:1]
	v_lshl_add_u32 v43, v43, 10, v19
	v_and_or_b32 v2, v2, s54, v43
	v_cndmask_b32_e64 v41, v41, v44, s[0:1]
	v_lshlrev_b32_e32 v2, 16, v2
	v_lshl_or_b32 v41, v41, 23, v2
.LBB237_124:                            ;   in Loop: Header=BB237_13 Depth=1
	s_or_b64 exec, exec, s[44:45]
.LBB237_125:                            ;   in Loop: Header=BB237_13 Depth=1
	s_or_b64 exec, exec, s[42:43]
.LBB237_126:                            ;   in Loop: Header=BB237_13 Depth=1
	s_or_b64 exec, exec, s[40:41]
	global_load_ushort v44, v[8:9], off offset:1032
	v_mov_b32_e32 v43, 0
	s_waitcnt vmcnt(0)
	v_and_b32_e32 v2, 0xffff, v44
	v_cmp_ne_u16_sdwa s[0:1], v44, v3 src0_sel:BYTE_0 src1_sel:DWORD
	v_mov_b32_e32 v44, 0
	s_and_saveexec_b64 s[40:41], s[0:1]
	s_cbranch_execz .LBB237_132
; %bb.127:                              ;   in Loop: Header=BB237_13 Depth=1
	v_cmp_ne_u16_sdwa s[0:1], v2, s52 src0_sel:BYTE_0 src1_sel:DWORD
	v_mov_b32_e32 v44, 0x8000
	s_and_saveexec_b64 s[42:43], s[0:1]
	s_cbranch_execz .LBB237_131
; %bb.128:                              ;   in Loop: Header=BB237_13 Depth=1
	v_and_b32_e32 v45, 0x7f, v2
	v_cmp_ne_u32_e64 s[0:1], s53, v45
	v_mov_b32_e32 v44, 0x7c01
	s_and_saveexec_b64 s[44:45], s[0:1]
	s_cbranch_execz .LBB237_130
; %bb.129:                              ;   in Loop: Header=BB237_13 Depth=1
	v_and_b32_e32 v44, 7, v2
	v_ffbh_u32_e32 v46, v44
	v_min_u32_e32 v49, 32, v46
	v_subrev_u32_e32 v46, 28, v49
	v_lshlrev_b64 v[46:47], v46, v[2:3]
	v_lshrrev_b32_e32 v48, 3, v45
	v_sub_u32_e32 v47, 29, v49
	v_cmp_gt_u32_e64 s[0:1], 8, v45
	v_and_b32_e32 v46, 7, v46
	s_nop 0
	v_cndmask_b32_e64 v45, v48, v47, s[0:1]
	v_lshl_add_u32 v45, v45, 10, v19
	v_lshlrev_b32_e32 v47, 8, v2
	v_and_b32_e32 v45, 0xfc00, v45
	v_cndmask_b32_e64 v44, v44, v46, s[0:1]
	v_and_or_b32 v45, v47, s54, v45
	v_lshl_or_b32 v44, v44, 7, v45
.LBB237_130:                            ;   in Loop: Header=BB237_13 Depth=1
	s_or_b64 exec, exec, s[44:45]
.LBB237_131:                            ;   in Loop: Header=BB237_13 Depth=1
	s_or_b64 exec, exec, s[42:43]
.LBB237_132:                            ;   in Loop: Header=BB237_13 Depth=1
	s_or_b64 exec, exec, s[40:41]
	v_lshrrev_b16_e32 v2, 8, v2
	v_cmp_ne_u16_e64 s[0:1], 0, v2
	s_and_saveexec_b64 s[40:41], s[0:1]
	s_cbranch_execz .LBB237_138
; %bb.133:                              ;   in Loop: Header=BB237_13 Depth=1
	v_cmp_ne_u16_e64 s[0:1], s52, v2
	v_bfrev_b32_e32 v43, 1
	s_and_saveexec_b64 s[42:43], s[0:1]
	s_cbranch_execz .LBB237_137
; %bb.134:                              ;   in Loop: Header=BB237_13 Depth=1
	v_and_b32_e32 v45, 0x7f, v2
	v_cmp_ne_u32_e64 s[0:1], s53, v45
	v_mov_b32_e32 v43, 0x7c010000
	s_and_saveexec_b64 s[44:45], s[0:1]
	s_cbranch_execz .LBB237_136
; %bb.135:                              ;   in Loop: Header=BB237_13 Depth=1
	v_and_b32_e32 v43, 7, v2
	v_ffbh_u32_e32 v46, v43
	v_min_u32_e32 v49, 32, v46
	v_subrev_u32_e32 v46, 28, v49
	v_lshlrev_b64 v[46:47], v46, v[2:3]
	v_lshrrev_b32_e32 v48, 3, v45
	v_sub_u32_e32 v47, 29, v49
	v_cmp_gt_u32_e64 s[0:1], 8, v45
	v_lshlrev_b32_e32 v2, 8, v2
	v_and_b32_e32 v46, 7, v46
	v_cndmask_b32_e64 v45, v48, v47, s[0:1]
	v_lshl_add_u32 v45, v45, 10, v19
	v_and_or_b32 v2, v2, s54, v45
	v_cndmask_b32_e64 v43, v43, v46, s[0:1]
	v_lshlrev_b32_e32 v2, 16, v2
	v_lshl_or_b32 v43, v43, 23, v2
.LBB237_136:                            ;   in Loop: Header=BB237_13 Depth=1
	s_or_b64 exec, exec, s[44:45]
.LBB237_137:                            ;   in Loop: Header=BB237_13 Depth=1
	s_or_b64 exec, exec, s[42:43]
.LBB237_138:                            ;   in Loop: Header=BB237_13 Depth=1
	s_or_b64 exec, exec, s[40:41]
	global_load_ushort v46, v[8:9], off offset:1280
	v_mov_b32_e32 v45, 0
	s_waitcnt vmcnt(0)
	v_and_b32_e32 v2, 0xffff, v46
	v_cmp_ne_u16_sdwa s[0:1], v46, v3 src0_sel:BYTE_0 src1_sel:DWORD
	v_mov_b32_e32 v46, 0
	s_and_saveexec_b64 s[40:41], s[0:1]
	s_cbranch_execz .LBB237_144
; %bb.139:                              ;   in Loop: Header=BB237_13 Depth=1
	v_cmp_ne_u16_sdwa s[0:1], v2, s52 src0_sel:BYTE_0 src1_sel:DWORD
	v_mov_b32_e32 v46, 0x8000
	s_and_saveexec_b64 s[42:43], s[0:1]
	s_cbranch_execz .LBB237_143
; %bb.140:                              ;   in Loop: Header=BB237_13 Depth=1
	v_and_b32_e32 v47, 0x7f, v2
	v_cmp_ne_u32_e64 s[0:1], s53, v47
	v_mov_b32_e32 v46, 0x7c01
	s_and_saveexec_b64 s[44:45], s[0:1]
	s_cbranch_execz .LBB237_142
; %bb.141:                              ;   in Loop: Header=BB237_13 Depth=1
	v_and_b32_e32 v46, 7, v2
	v_ffbh_u32_e32 v48, v46
	v_min_u32_e32 v51, 32, v48
	v_subrev_u32_e32 v48, 28, v51
	v_lshlrev_b64 v[48:49], v48, v[2:3]
	v_lshrrev_b32_e32 v50, 3, v47
	v_sub_u32_e32 v49, 29, v51
	v_cmp_gt_u32_e64 s[0:1], 8, v47
	v_and_b32_e32 v48, 7, v48
	s_nop 0
	v_cndmask_b32_e64 v47, v50, v49, s[0:1]
	v_lshl_add_u32 v47, v47, 10, v19
	v_lshlrev_b32_e32 v49, 8, v2
	v_and_b32_e32 v47, 0xfc00, v47
	v_cndmask_b32_e64 v46, v46, v48, s[0:1]
	v_and_or_b32 v47, v49, s54, v47
	v_lshl_or_b32 v46, v46, 7, v47
.LBB237_142:                            ;   in Loop: Header=BB237_13 Depth=1
	s_or_b64 exec, exec, s[44:45]
.LBB237_143:                            ;   in Loop: Header=BB237_13 Depth=1
	s_or_b64 exec, exec, s[42:43]
.LBB237_144:                            ;   in Loop: Header=BB237_13 Depth=1
	s_or_b64 exec, exec, s[40:41]
	v_lshrrev_b16_e32 v2, 8, v2
	v_cmp_ne_u16_e64 s[0:1], 0, v2
	s_and_saveexec_b64 s[40:41], s[0:1]
	s_cbranch_execz .LBB237_150
; %bb.145:                              ;   in Loop: Header=BB237_13 Depth=1
	v_cmp_ne_u16_e64 s[0:1], s52, v2
	v_bfrev_b32_e32 v45, 1
	s_and_saveexec_b64 s[42:43], s[0:1]
	s_cbranch_execz .LBB237_149
; %bb.146:                              ;   in Loop: Header=BB237_13 Depth=1
	v_and_b32_e32 v47, 0x7f, v2
	v_cmp_ne_u32_e64 s[0:1], s53, v47
	v_mov_b32_e32 v45, 0x7c010000
	s_and_saveexec_b64 s[44:45], s[0:1]
	s_cbranch_execz .LBB237_148
; %bb.147:                              ;   in Loop: Header=BB237_13 Depth=1
	v_and_b32_e32 v45, 7, v2
	v_ffbh_u32_e32 v48, v45
	v_min_u32_e32 v51, 32, v48
	v_subrev_u32_e32 v48, 28, v51
	v_lshlrev_b64 v[48:49], v48, v[2:3]
	v_lshrrev_b32_e32 v50, 3, v47
	v_sub_u32_e32 v49, 29, v51
	v_cmp_gt_u32_e64 s[0:1], 8, v47
	v_lshlrev_b32_e32 v2, 8, v2
	v_and_b32_e32 v48, 7, v48
	v_cndmask_b32_e64 v47, v50, v49, s[0:1]
	v_lshl_add_u32 v47, v47, 10, v19
	v_and_or_b32 v2, v2, s54, v47
	v_cndmask_b32_e64 v45, v45, v48, s[0:1]
	v_lshlrev_b32_e32 v2, 16, v2
	v_lshl_or_b32 v45, v45, 23, v2
.LBB237_148:                            ;   in Loop: Header=BB237_13 Depth=1
	s_or_b64 exec, exec, s[44:45]
.LBB237_149:                            ;   in Loop: Header=BB237_13 Depth=1
	s_or_b64 exec, exec, s[42:43]
.LBB237_150:                            ;   in Loop: Header=BB237_13 Depth=1
	s_or_b64 exec, exec, s[40:41]
	global_load_ushort v9, v[8:9], off offset:1288
	v_mov_b32_e32 v8, 0
	s_waitcnt vmcnt(0)
	v_and_b32_e32 v2, 0xffff, v9
	v_cmp_ne_u16_sdwa s[0:1], v9, v3 src0_sel:BYTE_0 src1_sel:DWORD
	v_mov_b32_e32 v9, 0
	s_and_saveexec_b64 s[40:41], s[0:1]
	s_cbranch_execz .LBB237_156
; %bb.151:                              ;   in Loop: Header=BB237_13 Depth=1
	v_cmp_ne_u16_sdwa s[0:1], v2, s52 src0_sel:BYTE_0 src1_sel:DWORD
	v_mov_b32_e32 v9, 0x8000
	s_and_saveexec_b64 s[42:43], s[0:1]
	s_cbranch_execz .LBB237_155
; %bb.152:                              ;   in Loop: Header=BB237_13 Depth=1
	v_and_b32_e32 v47, 0x7f, v2
	v_cmp_ne_u32_e64 s[0:1], s53, v47
	v_mov_b32_e32 v9, 0x7c01
	s_and_saveexec_b64 s[44:45], s[0:1]
	s_cbranch_execz .LBB237_154
; %bb.153:                              ;   in Loop: Header=BB237_13 Depth=1
	v_and_b32_e32 v9, 7, v2
	v_ffbh_u32_e32 v48, v9
	v_min_u32_e32 v51, 32, v48
	v_subrev_u32_e32 v48, 28, v51
	v_lshlrev_b64 v[48:49], v48, v[2:3]
	v_lshrrev_b32_e32 v50, 3, v47
	v_sub_u32_e32 v49, 29, v51
	v_cmp_gt_u32_e64 s[0:1], 8, v47
	v_and_b32_e32 v48, 7, v48
	s_nop 0
	v_cndmask_b32_e64 v47, v50, v49, s[0:1]
	v_lshl_add_u32 v47, v47, 10, v19
	v_lshlrev_b32_e32 v49, 8, v2
	v_and_b32_e32 v47, 0xfc00, v47
	v_cndmask_b32_e64 v9, v9, v48, s[0:1]
	v_and_or_b32 v47, v49, s54, v47
	v_lshl_or_b32 v9, v9, 7, v47
.LBB237_154:                            ;   in Loop: Header=BB237_13 Depth=1
	s_or_b64 exec, exec, s[44:45]
.LBB237_155:                            ;   in Loop: Header=BB237_13 Depth=1
	s_or_b64 exec, exec, s[42:43]
.LBB237_156:                            ;   in Loop: Header=BB237_13 Depth=1
	s_or_b64 exec, exec, s[40:41]
	v_lshrrev_b16_e32 v2, 8, v2
	v_cmp_ne_u16_e64 s[0:1], 0, v2
	s_and_saveexec_b64 s[40:41], s[0:1]
	s_cbranch_execz .LBB237_162
; %bb.157:                              ;   in Loop: Header=BB237_13 Depth=1
	v_cmp_ne_u16_e64 s[0:1], s52, v2
	v_bfrev_b32_e32 v8, 1
	s_and_saveexec_b64 s[42:43], s[0:1]
	s_cbranch_execz .LBB237_161
; %bb.158:                              ;   in Loop: Header=BB237_13 Depth=1
	v_and_b32_e32 v47, 0x7f, v2
	v_cmp_ne_u32_e64 s[0:1], s53, v47
	v_mov_b32_e32 v8, 0x7c010000
	s_and_saveexec_b64 s[44:45], s[0:1]
	s_cbranch_execz .LBB237_160
; %bb.159:                              ;   in Loop: Header=BB237_13 Depth=1
	v_and_b32_e32 v8, 7, v2
	v_ffbh_u32_e32 v48, v8
	v_min_u32_e32 v51, 32, v48
	v_subrev_u32_e32 v48, 28, v51
	v_lshlrev_b64 v[48:49], v48, v[2:3]
	v_lshrrev_b32_e32 v50, 3, v47
	v_sub_u32_e32 v49, 29, v51
	v_cmp_gt_u32_e64 s[0:1], 8, v47
	v_lshlrev_b32_e32 v2, 8, v2
	v_and_b32_e32 v48, 7, v48
	v_cndmask_b32_e64 v47, v50, v49, s[0:1]
	v_lshl_add_u32 v47, v47, 10, v19
	v_and_or_b32 v2, v2, s54, v47
	v_cndmask_b32_e64 v8, v8, v48, s[0:1]
	v_lshlrev_b32_e32 v2, 16, v2
	v_lshl_or_b32 v8, v8, 23, v2
.LBB237_160:                            ;   in Loop: Header=BB237_13 Depth=1
	s_or_b64 exec, exec, s[44:45]
.LBB237_161:                            ;   in Loop: Header=BB237_13 Depth=1
	s_or_b64 exec, exec, s[42:43]
.LBB237_162:                            ;   in Loop: Header=BB237_13 Depth=1
	s_or_b64 exec, exec, s[40:41]
	v_or_b32_e32 v2, v45, v46
	ds_read_b32 v46, v12
	v_or_b32_e32 v26, v25, v26
	v_fma_mixlo_f16 v26, v24, v26, 0 op_sel_hi:[0,1,0]
	v_fma_mixlo_f16 v25, v24, v25, 0 op_sel:[0,1,0] op_sel_hi:[0,1,0]
	v_and_b32_e32 v26, 0xffff, v26
	s_waitcnt lgkmcnt(0)
	v_lshrrev_b32_e32 v47, 16, v46
	v_and_b32_e32 v46, 0xffff, v46
	v_and_b32_e32 v25, 0xffff, v25
	;;#ASMSTART
	v_cvt_f32_f16 v46, v46;
	;;#ASMEND
	;;#ASMSTART
	v_cvt_f32_f16 v47, v47;
	;;#ASMEND
	;;#ASMSTART
	v_cvt_f32_f16 v26, v26;
	;;#ASMEND
	;;#ASMSTART
	v_cvt_f32_f16 v25, v25;
	;;#ASMEND
	ds_read_b32 v48, v12 offset:4
	v_or_b32_e32 v28, v27, v28
	v_fma_mixlo_f16 v28, v24, v28, 0 op_sel_hi:[0,1,0]
	v_fma_mixlo_f16 v27, v24, v27, 0 op_sel:[0,1,0] op_sel_hi:[0,1,0]
	v_and_b32_e32 v28, 0xffff, v28
	s_waitcnt lgkmcnt(0)
	v_lshrrev_b32_e32 v49, 16, v48
	v_and_b32_e32 v48, 0xffff, v48
	v_and_b32_e32 v27, 0xffff, v27
	;;#ASMSTART
	v_cvt_f32_f16 v48, v48;
	;;#ASMEND
	;;#ASMSTART
	v_cvt_f32_f16 v49, v49;
	;;#ASMEND
	;;#ASMSTART
	v_cvt_f32_f16 v28, v28;
	;;#ASMEND
	;;#ASMSTART
	v_cvt_f32_f16 v27, v27;
	;;#ASMEND
	ds_read_b32 v50, v12 offset:8
	;; [unrolled: 21-line block ×6, first 2 shown]
	v_or_b32_e32 v44, v43, v44
	v_or_b32_e32 v42, v41, v42
	;; [unrolled: 1-line block ×5, first 2 shown]
	v_fma_mixlo_f16 v2, v24, v2, 0 op_sel_hi:[0,1,0]
	v_fma_mixlo_f16 v45, v24, v45, 0 op_sel:[0,1,0] op_sel_hi:[0,1,0]
	v_fma_mixlo_f16 v44, v24, v44, 0 op_sel_hi:[0,1,0]
	v_fma_mixlo_f16 v43, v24, v43, 0 op_sel:[0,1,0] op_sel_hi:[0,1,0]
	;; [unrolled: 2-line block ×6, first 2 shown]
	v_mul_f32_e32 v24, v48, v28
	v_fmac_f32_e32 v24, v46, v26
	s_waitcnt lgkmcnt(0)
	v_lshrrev_b32_e32 v28, 16, v58
	v_and_b32_e32 v26, 0xffff, v58
	v_and_b32_e32 v38, 0xffff, v38
	;; [unrolled: 1-line block ×3, first 2 shown]
	;;#ASMSTART
	v_cvt_f32_f16 v26, v26;
	;;#ASMEND
	;;#ASMSTART
	v_cvt_f32_f16 v28, v28;
	;;#ASMEND
	;; [unrolled: 3-line block ×4, first 2 shown]
	ds_read_b32 v46, v12 offset:28
	v_mul_f32_e32 v27, v49, v27
	v_fmac_f32_e32 v27, v47, v25
	v_fmac_f32_e32 v24, v50, v30
	v_fmac_f32_e32 v27, v51, v29
	s_waitcnt lgkmcnt(0)
	v_lshrrev_b32_e32 v29, 16, v46
	v_and_b32_e32 v25, 0xffff, v46
	v_and_b32_e32 v30, 0xffff, v40
	v_and_b32_e32 v39, 0xffff, v39
	;;#ASMSTART
	v_cvt_f32_f16 v25, v25;
	;;#ASMEND
	;;#ASMSTART
	v_cvt_f32_f16 v29, v29;
	;;#ASMEND
	;;#ASMSTART
	v_cvt_f32_f16 v30, v30;
	;;#ASMEND
	;;#ASMSTART
	v_cvt_f32_f16 v39, v39;
	;;#ASMEND
	ds_read_b32 v40, v12 offset:32
	v_fmac_f32_e32 v24, v52, v32
	v_fmac_f32_e32 v27, v53, v31
	v_fmac_f32_e32 v24, v54, v34
	v_fmac_f32_e32 v27, v55, v33
	s_waitcnt lgkmcnt(0)
	v_lshrrev_b32_e32 v32, 16, v40
	v_and_b32_e32 v31, 0xffff, v40
	v_and_b32_e32 v33, 0xffff, v42
	v_and_b32_e32 v34, 0xffff, v41
	;;#ASMSTART
	v_cvt_f32_f16 v31, v31;
	;;#ASMEND
	;;#ASMSTART
	v_cvt_f32_f16 v32, v32;
	;;#ASMEND
	;;#ASMSTART
	v_cvt_f32_f16 v33, v33;
	;;#ASMEND
	;;#ASMSTART
	v_cvt_f32_f16 v34, v34;
	;;#ASMEND
	ds_read_b32 v40, v12 offset:36
	v_fmac_f32_e32 v24, v56, v36
	;; [unrolled: 22-line block ×3, first 2 shown]
	v_fmac_f32_e32 v27, v29, v39
	v_and_b32_e32 v2, 0xffff, v2
	v_and_b32_e32 v30, 0xffff, v45
	s_waitcnt lgkmcnt(0)
	v_lshrrev_b32_e32 v29, 16, v37
	v_and_b32_e32 v25, 0xffff, v37
	v_fmac_f32_e32 v24, v31, v33
	;;#ASMSTART
	v_cvt_f32_f16 v25, v25;
	;;#ASMEND
	;;#ASMSTART
	v_cvt_f32_f16 v29, v29;
	;;#ASMEND
	;; [unrolled: 3-line block ×4, first 2 shown]
	ds_read_b32 v31, v12 offset:44
	v_fmac_f32_e32 v27, v32, v34
	v_fmac_f32_e32 v24, v26, v35
	;; [unrolled: 1-line block ×4, first 2 shown]
	s_waitcnt lgkmcnt(0)
	v_lshrrev_b32_e32 v25, 16, v31
	v_and_b32_e32 v2, 0xffff, v31
	v_and_b32_e32 v9, 0xffff, v9
	;; [unrolled: 1-line block ×3, first 2 shown]
	v_fmac_f32_e32 v27, v29, v30
	;;#ASMSTART
	v_cvt_f32_f16 v2, v2;
	;;#ASMEND
	;;#ASMSTART
	v_cvt_f32_f16 v25, v25;
	;;#ASMEND
	;; [unrolled: 3-line block ×4, first 2 shown]
	s_nop 0
	v_fmac_f32_e32 v27, v25, v8
	v_and_b32_e32 v8, 64, v20
	v_fmac_f32_e32 v24, v2, v9
	v_add_u32_e32 v8, 64, v8
	v_xor_b32_e32 v9, 2, v20
	v_cmp_lt_i32_e64 s[0:1], v9, v8
	v_add_f32_e32 v2, v24, v27
	s_nop 0
	v_cndmask_b32_e64 v9, v20, v9, s[0:1]
	v_lshlrev_b32_e32 v9, 2, v9
	ds_bpermute_b32 v9, v9, v2
	s_waitcnt lgkmcnt(0)
	v_add_f32_e32 v2, v2, v9
	v_xor_b32_e32 v9, 1, v20
	v_cmp_lt_i32_e64 s[0:1], v9, v8
	s_nop 1
	v_cndmask_b32_e64 v8, v20, v9, s[0:1]
	v_lshlrev_b32_e32 v8, 2, v8
	ds_bpermute_b32 v8, v8, v2
	s_and_saveexec_b64 s[40:41], vcc
	s_cbranch_execz .LBB237_11
; %bb.163:                              ;   in Loop: Header=BB237_13 Depth=1
	v_add_u32_e32 v9, v16, v15
	v_cvt_f32_i32_e32 v9, v9
	s_waitcnt lgkmcnt(0)
	v_add_f32_e32 v2, v2, v8
	v_add_u32_e32 v24, v11, v15
	v_cmp_gt_i32_e64 s[0:1], s33, v24
	v_mul_f32_e32 v8, s48, v9
	v_cndmask_b32_e64 v8, 0, v8, s[2:3]
	v_fmac_f32_e32 v8, s37, v2
	v_cndmask_b32_e64 v2, 0, v8, s[0:1]
	ds_write_b32 v17, v2
	v_max_f32_e32 v2, v13, v13
	v_max_f32_e32 v2, v2, v8
	v_cndmask_b32_e64 v13, v13, v2, s[0:1]
	s_branch .LBB237_11
.LBB237_164:
	s_or_b64 exec, exec, s[38:39]
.LBB237_165:
	s_or_b64 exec, exec, s[18:19]
	v_mbcnt_hi_u32_b32 v2, -1, v10
	v_and_b32_e32 v10, 64, v2
	v_add_u32_e32 v3, 64, v10
	v_xor_b32_e32 v4, 32, v2
	v_cmp_lt_i32_e32 vcc, v4, v3
	v_xor_b32_e32 v7, 16, v2
	v_max_f32_e32 v6, v13, v13
	v_cndmask_b32_e32 v4, v2, v4, vcc
	v_lshlrev_b32_e32 v4, 2, v4
	ds_bpermute_b32 v5, v4, v13
	v_cmp_lt_i32_e32 vcc, v7, v3
	s_waitcnt lgkmcnt(1)
	v_xor_b32_e32 v8, 8, v2
	v_xor_b32_e32 v9, 4, v2
	v_and_b32_e32 v24, 63, v0
	s_waitcnt lgkmcnt(0)
	v_max_f32_e32 v5, v5, v5
	v_max_f32_e32 v6, v6, v5
	v_cndmask_b32_e32 v5, v2, v7, vcc
	v_lshlrev_b32_e32 v5, 2, v5
	ds_bpermute_b32 v7, v5, v6
	v_cmp_lt_i32_e32 vcc, v8, v3
	s_waitcnt lgkmcnt(0)
	v_max_f32_e32 v7, v7, v7
	v_max_f32_e32 v6, v6, v7
	v_cndmask_b32_e32 v7, v2, v8, vcc
	v_lshlrev_b32_e32 v8, 2, v7
	ds_bpermute_b32 v7, v8, v6
	v_cmp_lt_i32_e32 vcc, v9, v3
	s_waitcnt lgkmcnt(0)
	v_max_f32_e32 v7, v7, v7
	v_max_f32_e32 v7, v6, v7
	v_cndmask_b32_e32 v6, v2, v9, vcc
	v_lshlrev_b32_e32 v9, 2, v6
	ds_bpermute_b32 v11, v9, v7
	v_cmp_eq_u32_e32 vcc, 0, v24
	v_lshlrev_b32_e32 v6, 2, v22
	s_and_saveexec_b64 s[0:1], vcc
	s_cbranch_execz .LBB237_167
; %bb.166:
	s_waitcnt lgkmcnt(0)
	v_max_f32_e32 v11, v11, v11
	v_max_f32_e32 v7, v7, v7
	;; [unrolled: 1-line block ×3, first 2 shown]
	ds_write_b32 v6, v7 offset:192
.LBB237_167:
	s_or_b64 exec, exec, s[0:1]
	v_cmp_gt_u32_e64 s[0:1], 2, v24
	s_waitcnt lgkmcnt(0)
	v_mov_b32_e32 v11, 0xff7fffff
	v_lshlrev_b32_e32 v7, 2, v24
	s_barrier
	s_and_saveexec_b64 s[2:3], s[0:1]
; %bb.168:
	ds_read_b32 v11, v7 offset:192
; %bb.169:
	s_or_b64 exec, exec, s[2:3]
	v_xor_b32_e32 v12, 1, v2
	v_cmp_lt_i32_e64 s[2:3], v12, v3
	v_lshlrev_b32_e32 v10, 2, v10
	s_nop 0
	v_cndmask_b32_e64 v12, v2, v12, s[2:3]
	v_lshlrev_b32_e32 v25, 2, v12
	s_waitcnt lgkmcnt(0)
	ds_bpermute_b32 v12, v25, v11
	v_max_f32_e32 v11, v11, v11
	s_lshl_b32 s2, s47, 4
	s_min_i32 s37, s2, s33
	v_cmp_gt_i32_e64 s[2:3], s37, v0
	s_waitcnt lgkmcnt(0)
	v_max_f32_e32 v12, v12, v12
	v_max_f32_e32 v11, v11, v12
	ds_bpermute_b32 v11, v10, v11
	v_mov_b32_e32 v10, 0
	s_and_saveexec_b64 s[12:13], s[2:3]
	s_cbranch_execz .LBB237_173
; %bb.170:
	v_mov_b32_e32 v10, 0xd0
	v_lshl_add_u32 v12, v0, 2, v10
	v_mov_b32_e32 v10, 0
	s_mov_b64 s[18:19], 0
	v_mov_b32_e32 v13, v0
.LBB237_171:                            ; =>This Inner Loop Header: Depth=1
	ds_read_b32 v14, v12
	v_add_u32_e32 v13, 0x80, v13
	v_cmp_le_i32_e64 s[8:9], s37, v13
	s_or_b64 s[18:19], s[8:9], s[18:19]
	s_waitcnt lgkmcnt(0)
	v_sub_f32_e32 v14, v14, v11
	v_mul_f32_e32 v14, 0x3fb8aa3b, v14
	v_exp_f32_e32 v14, v14
	ds_write_b32 v12, v14
	v_add_f32_e32 v10, v10, v14
	v_add_u32_e32 v12, 0x200, v12
	s_andn2_b64 exec, exec, s[18:19]
	s_cbranch_execnz .LBB237_171
; %bb.172:
	s_or_b64 exec, exec, s[18:19]
.LBB237_173:
	s_or_b64 exec, exec, s[12:13]
	ds_bpermute_b32 v4, v4, v10
	s_waitcnt lgkmcnt(0)
	v_add_f32_e32 v4, v10, v4
	ds_bpermute_b32 v5, v5, v4
	s_waitcnt lgkmcnt(0)
	v_add_f32_e32 v4, v4, v5
	ds_bpermute_b32 v5, v8, v4
	v_xor_b32_e32 v8, 2, v2
	v_cmp_lt_i32_e64 s[8:9], v8, v3
	s_waitcnt lgkmcnt(0)
	v_add_f32_e32 v4, v4, v5
	ds_bpermute_b32 v5, v9, v4
	v_cndmask_b32_e64 v3, v2, v8, s[8:9]
	v_lshlrev_b32_e32 v3, 2, v3
	s_waitcnt lgkmcnt(0)
	v_add_f32_e32 v4, v4, v5
	ds_bpermute_b32 v3, v3, v4
	s_waitcnt lgkmcnt(0)
	v_add_f32_e32 v3, v4, v3
	ds_bpermute_b32 v4, v25, v3
	s_waitcnt lgkmcnt(0)
	v_add_f32_e32 v3, v3, v4
	s_and_saveexec_b64 s[8:9], vcc
; %bb.174:
	ds_write_b32 v6, v3 offset:200
; %bb.175:
	s_or_b64 exec, exec, s[8:9]
	s_waitcnt lgkmcnt(0)
	s_barrier
	s_and_saveexec_b64 s[8:9], s[0:1]
; %bb.176:
	ds_read_b32 v3, v7 offset:200
; %bb.177:
	s_or_b64 exec, exec, s[8:9]
	s_waitcnt lgkmcnt(0)
	ds_bpermute_b32 v4, v25, v3
	v_lshlrev_b32_e32 v2, 2, v2
	v_and_b32_e32 v2, 0x100, v2
	s_waitcnt lgkmcnt(0)
	v_add_f32_e32 v3, v3, v4
	ds_bpermute_b32 v2, v2, v3
	s_and_saveexec_b64 s[0:1], s[2:3]
	s_cbranch_execz .LBB237_190
; %bb.178:
	s_waitcnt lgkmcnt(0)
	v_add_f32_e32 v2, 0x358637bd, v2
	v_div_scale_f32 v3, s[2:3], v2, v2, 1.0
	v_rcp_f32_e32 v4, v3
	v_div_scale_f32 v5, vcc, 1.0, v2, 1.0
	s_movk_i32 s2, 0x7f
	v_fma_f32 v6, -v3, v4, 1.0
	v_fmac_f32_e32 v4, v6, v4
	v_mul_f32_e32 v6, v5, v4
	v_fma_f32 v7, -v3, v6, v5
	v_fmac_f32_e32 v6, v7, v4
	v_fma_f32 v3, -v3, v6, v5
	v_div_fmas_f32 v3, v3, v4, v6
	v_xad_u32 v4, v0, -1, s37
	v_div_fixup_f32 v2, v3, v2, 1.0
	v_cmp_lt_u32_e32 vcc, s2, v4
	s_mov_b64 s[8:9], -1
	v_mov_b32_e32 v3, v0
	s_and_saveexec_b64 s[2:3], vcc
	s_cbranch_execz .LBB237_187
; %bb.179:
	v_lshrrev_b32_e32 v4, 7, v4
	v_add_u32_e32 v6, -1, v4
	v_lshrrev_b32_e32 v5, 1, v6
	v_mov_b32_e32 v3, v2
	v_add_u32_e32 v5, 1, v5
	v_cmp_lt_u32_e32 vcc, 13, v6
	v_mov_b32_e32 v8, 0
	s_and_saveexec_b64 s[8:9], vcc
	s_cbranch_execz .LBB237_183
; %bb.180:
	v_mov_b32_e32 v7, 0xd0
	v_and_b32_e32 v6, -8, v5
	v_lshl_add_u32 v7, v0, 2, v7
	s_mov_b32 s18, 0
	s_mov_b64 s[12:13], 0
.LBB237_181:                            ; =>This Inner Loop Header: Depth=1
	ds_read2st64_b32 v[8:9], v7 offset1:2
	ds_read2st64_b32 v[10:11], v7 offset0:4 offset1:6
	ds_read2st64_b32 v[12:13], v7 offset0:8 offset1:10
	;; [unrolled: 1-line block ×3, first 2 shown]
	v_add_u32_e32 v6, -8, v6
	s_waitcnt lgkmcnt(3)
	v_pk_mul_f32 v[8:9], v[2:3], v[8:9]
	s_waitcnt lgkmcnt(2)
	v_pk_mul_f32 v[10:11], v[2:3], v[10:11]
	ds_write2st64_b32 v7, v8, v9 offset1:2
	ds_write2st64_b32 v7, v10, v11 offset0:4 offset1:6
	ds_read2st64_b32 v[10:11], v7 offset0:16 offset1:18
	s_waitcnt lgkmcnt(4)
	v_pk_mul_f32 v[8:9], v[2:3], v[12:13]
	ds_write2st64_b32 v7, v8, v9 offset0:8 offset1:10
	s_waitcnt lgkmcnt(4)
	v_pk_mul_f32 v[8:9], v[2:3], v[14:15]
	ds_write2st64_b32 v7, v8, v9 offset0:12 offset1:14
	ds_read2st64_b32 v[8:9], v7 offset0:20 offset1:22
	s_waitcnt lgkmcnt(3)
	v_pk_mul_f32 v[10:11], v[2:3], v[10:11]
	ds_read2st64_b32 v[12:13], v7 offset0:24 offset1:26
	ds_write2st64_b32 v7, v10, v11 offset0:16 offset1:18
	ds_read2st64_b32 v[10:11], v7 offset0:28 offset1:30
	s_waitcnt lgkmcnt(3)
	v_pk_mul_f32 v[8:9], v[2:3], v[8:9]
	ds_write2st64_b32 v7, v8, v9 offset0:20 offset1:22
	s_waitcnt lgkmcnt(3)
	v_pk_mul_f32 v[8:9], v[2:3], v[12:13]
	ds_write2st64_b32 v7, v8, v9 offset0:24 offset1:26
	s_waitcnt lgkmcnt(2)
	v_pk_mul_f32 v[8:9], v[2:3], v[10:11]
	s_add_i32 s18, s18, 16
	v_cmp_eq_u32_e32 vcc, 0, v6
	ds_write2st64_b32 v7, v8, v9 offset0:28 offset1:30
	v_add_u32_e32 v7, 0x2000, v7
	s_or_b64 s[12:13], vcc, s[12:13]
	v_mov_b32_e32 v8, s18
	s_andn2_b64 exec, exec, s[12:13]
	s_cbranch_execnz .LBB237_181
; %bb.182:
	s_or_b64 exec, exec, s[12:13]
.LBB237_183:
	s_or_b64 exec, exec, s[8:9]
	v_and_b32_e32 v5, 7, v5
	v_cmp_ne_u32_e32 vcc, 0, v5
	s_and_saveexec_b64 s[8:9], vcc
	s_cbranch_execz .LBB237_186
; %bb.184:
	v_lshlrev_b32_e32 v6, 9, v8
	v_lshlrev_b32_e32 v7, 2, v0
	s_movk_i32 s12, 0xd0
	v_add3_u32 v6, v6, v7, s12
	s_mov_b64 s[12:13], 0
.LBB237_185:                            ; =>This Inner Loop Header: Depth=1
	ds_read2st64_b32 v[8:9], v6 offset1:2
	v_add_u32_e32 v5, -1, v5
	v_cmp_eq_u32_e32 vcc, 0, v5
	s_or_b64 s[12:13], vcc, s[12:13]
	s_waitcnt lgkmcnt(0)
	v_pk_mul_f32 v[8:9], v[2:3], v[8:9]
	ds_write2st64_b32 v6, v8, v9 offset1:2
	v_add_u32_e32 v6, 0x400, v6
	s_andn2_b64 exec, exec, s[12:13]
	s_cbranch_execnz .LBB237_185
.LBB237_186:
	s_or_b64 exec, exec, s[8:9]
	v_add_u32_e32 v4, 1, v4
	v_and_b32_e32 v5, 0x3fffffe, v4
	v_cmp_ne_u32_e32 vcc, v4, v5
	v_lshl_add_u32 v3, v5, 7, v0
	s_orn2_b64 s[8:9], vcc, exec
.LBB237_187:
	s_or_b64 exec, exec, s[2:3]
	s_and_b64 exec, exec, s[8:9]
	s_cbranch_execz .LBB237_190
; %bb.188:
	v_mov_b32_e32 v4, 0xd0
	v_lshl_add_u32 v4, v3, 2, v4
	s_mov_b64 s[2:3], 0
.LBB237_189:                            ; =>This Inner Loop Header: Depth=1
	ds_read_b32 v5, v4
	v_add_u32_e32 v3, 0x80, v3
	v_cmp_le_i32_e32 vcc, s37, v3
	s_or_b64 s[2:3], vcc, s[2:3]
	s_waitcnt lgkmcnt(0)
	v_mul_f32_e32 v5, v2, v5
	ds_write_b32 v4, v5
	v_add_u32_e32 v4, 0x200, v4
	s_andn2_b64 exec, exec, s[2:3]
	s_cbranch_execnz .LBB237_189
.LBB237_190:
	s_or_b64 exec, exec, s[0:1]
	v_mov_b32_e32 v5, 0
	v_and_b32_e32 v26, 1, v0
	v_mov_b32_e32 v4, 0
	v_mov_b32_e32 v27, 0
	s_waitcnt lgkmcnt(0)
	s_barrier
	s_and_saveexec_b64 s[2:3], s[6:7]
	s_cbranch_execz .LBB237_346
; %bb.191:
	s_sub_i32 s37, s16, s21
	s_ashr_i32 s1, s20, 31
	s_add_u32 s0, s34, s20
	s_addc_u32 s1, s35, s1
	s_abs_i32 s22, s22
	v_cvt_f32_u32_e32 v3, s22
	v_lshlrev_b32_e32 v2, 3, v0
	v_and_b32_e32 v28, 8, v2
	v_and_b32_e32 v2, 0x1f8, v2
	v_rcp_iflag_f32_e32 v4, v3
	v_mov_b32_e32 v3, 0
	v_lshl_add_u64 v[6:7], s[0:1], 0, v[2:3]
	s_sub_i32 s0, 0, s22
	v_mul_f32_e32 v4, 0x4f7ffffe, v4
	v_cvt_u32_f32_e32 v4, v4
	s_add_i32 s35, s47, -1
	s_mov_b32 s6, -1
	s_mov_b32 s34, s17
	v_mul_lo_u32 v2, s0, v4
	v_mul_hi_u32 v2, v4, v2
	s_lshl_b64 s[0:1], s[30:31], 2
	v_add_u32_e32 v29, v4, v2
	v_and_b32_e32 v2, 60, v1
	s_add_u32 s0, s28, s0
	v_lshlrev_b32_e32 v1, 5, v26
	s_addc_u32 s1, s29, s1
	v_lshl_or_b32 v1, v22, 6, v1
	s_mov_b32 s7, 0xffffff
	s_mov_b32 s38, s33
	v_lshl_add_u64 v[8:9], s[0:1], 0, v[2:3]
	v_add_u32_e32 v30, 0xd0, v1
	s_mov_b64 s[8:9], 0
	s_movk_i32 s28, 0x80
	s_movk_i32 s29, 0x7f
	s_mov_b32 s30, 0x8000
	v_mov_b32_e32 v31, 0x2000
	v_mov_b32_e32 v27, 0
	;; [unrolled: 1-line block ×4, first 2 shown]
	s_branch .LBB237_194
.LBB237_192:                            ;   in Loop: Header=BB237_194 Depth=1
	s_or_b64 exec, exec, s[0:1]
	v_add_f32_e32 v10, v20, v21
	v_add_f32_e32 v5, v5, v10
	;; [unrolled: 1-line block ×3, first 2 shown]
	;;#ASMSTART
	v_pk_mul_f16 v1, v43, v1;

	;;#ASMEND
	v_add_f32_e32 v4, v4, v10
	;;#ASMSTART
	v_pk_mul_f16 v2, v42, v2;

	;;#ASMEND
	;;#ASMSTART
	v_pk_mul_f16 v10, v41, v17;

	;;#ASMEND
	;; [unrolled: 4-line block ×3, first 2 shown]
	s_nop 0
	;;#ASMSTART
	v_pk_add_f16 v1, v1, v2;

	;;#ASMEND
	s_nop 0
	;;#ASMSTART
	v_pk_add_f16 v1, v1, v10;

	;;#ASMEND
	;; [unrolled: 5-line block ×3, first 2 shown]
	s_nop 0
	v_lshrrev_b32_e32 v2, 16, v1
	v_and_b32_e32 v1, 0xffff, v1
	;;#ASMSTART
	v_cvt_f32_f16 v1, v1;
	;;#ASMEND
	;;#ASMSTART
	v_cvt_f32_f16 v2, v2;
	;;#ASMEND
	s_nop 0
	v_add_f32_e32 v1, v1, v2
	v_add_f32_e32 v27, v27, v1
.LBB237_193:                            ;   in Loop: Header=BB237_194 Depth=1
	s_or_b64 exec, exec, s[12:13]
	v_add_u32_e32 v22, 2, v22
	v_cmp_le_i32_e32 vcc, s47, v22
	v_lshl_add_u64 v[8:9], v[8:9], 0, 8
	v_add_u32_e32 v23, 32, v23
	s_or_b64 s[8:9], vcc, s[8:9]
	v_add_u32_e32 v30, 0x80, v30
	s_andn2_b64 exec, exec, s[8:9]
	s_cbranch_execz .LBB237_345
.LBB237_194:                            ; =>This Inner Loop Header: Depth=1
	v_mul_hi_u32 v1, v23, s46
	v_mul_lo_u32 v2, v1, s25
	v_sub_u32_e32 v2, v23, v2
	v_add_u32_e32 v10, 1, v1
	v_cmp_le_u32_e32 vcc, s25, v2
	s_nop 1
	v_cndmask_b32_e32 v1, v1, v10, vcc
	v_subrev_u32_e32 v10, s25, v2
	v_cndmask_b32_e32 v2, v2, v10, vcc
	v_add_u32_e32 v10, 1, v1
	v_cmp_le_u32_e32 vcc, s25, v2
	s_nop 1
	v_cndmask_b32_e32 v1, v1, v10, vcc
	v_xor_b32_e32 v1, s23, v1
	v_subrev_u32_e32 v1, s23, v1
	v_add_u32_e32 v2, s36, v1
	v_sub_u32_e32 v11, 0, v2
	v_ashrrev_i32_e32 v10, 31, v2
	v_max_i32_e32 v2, v2, v11
	v_mul_hi_u32 v11, v2, v29
	v_mul_lo_u32 v11, v11, s22
	v_sub_u32_e32 v2, v2, v11
	v_subrev_u32_e32 v11, s22, v2
	v_cmp_le_u32_e32 vcc, s22, v2
	v_cmp_lt_i32_e64 s[0:1], s37, v1
	s_nop 0
	v_cndmask_b32_e32 v2, v2, v11, vcc
	v_subrev_u32_e32 v11, s22, v2
	v_cmp_le_u32_e32 vcc, s22, v2
	s_nop 1
	v_cndmask_b32_e32 v2, v2, v11, vcc
	v_xor_b32_e32 v2, v2, v10
	v_sub_u32_e32 v2, v2, v10
	v_cmp_eq_u32_e32 vcc, 0, v2
	s_or_b64 s[0:1], vcc, s[0:1]
	s_and_saveexec_b64 s[12:13], s[0:1]
	s_cbranch_execz .LBB237_193
; %bb.195:                              ;   in Loop: Header=BB237_194 Depth=1
	global_load_dword v1, v[8:9], off
	ds_read2_b64 v[10:13], v30 offset1:1
	ds_read2_b64 v[14:17], v30 offset0:2 offset1:3
	s_waitcnt lgkmcnt(1)
	;;#ASMSTART
	v_cvt_f16_f32 v40, v10;

	;;#ASMEND
	;;#ASMSTART
	v_cvt_f16_f32 v41, v11;

	;;#ASMEND
	;; [unrolled: 4-line block ×4, first 2 shown]
	s_waitcnt lgkmcnt(0)
	;;#ASMSTART
	v_cvt_f16_f32 v45, v14;

	;;#ASMEND
	;;#ASMSTART
	v_cvt_f16_f32 v46, v15;

	;;#ASMEND
	;; [unrolled: 4-line block ×4, first 2 shown]
	v_mov_b32_e32 v13, 0
	s_waitcnt vmcnt(0)
	v_mad_i64_i32 v[10:11], s[0:1], v1, s34, v[6:7]
	global_load_dwordx2 v[14:15], v[10:11], off
	v_mov_b32_e32 v1, 0
	global_load_dword v12, v1, s[14:15]
	s_waitcnt vmcnt(1)
	v_cmp_ne_u16_sdwa s[16:17], v14, v3 src0_sel:BYTE_0 src1_sel:DWORD
	s_and_saveexec_b64 s[0:1], s[16:17]
	s_cbranch_execz .LBB237_201
; %bb.196:                              ;   in Loop: Header=BB237_194 Depth=1
	v_cmp_ne_u16_sdwa s[18:19], v14, s28 src0_sel:BYTE_0 src1_sel:DWORD
	v_mov_b32_e32 v13, 0x8000
	s_and_saveexec_b64 s[16:17], s[18:19]
	s_cbranch_execz .LBB237_200
; %bb.197:                              ;   in Loop: Header=BB237_194 Depth=1
	v_and_b32_e32 v2, 0x7f, v14
	v_cmp_ne_u32_e32 vcc, s29, v2
	v_mov_b32_e32 v13, 0x7c01
	s_and_saveexec_b64 s[18:19], vcc
	s_cbranch_execz .LBB237_199
; %bb.198:                              ;   in Loop: Header=BB237_194 Depth=1
	v_and_b32_e32 v13, 7, v14
	v_ffbh_u32_e32 v16, v13
	v_min_u32_e32 v19, 32, v16
	v_subrev_u32_e32 v16, 28, v19
	v_lshlrev_b64 v[16:17], v16, v[14:15]
	v_lshrrev_b32_e32 v18, 3, v2
	v_sub_u32_e32 v17, 29, v19
	v_cmp_gt_u32_e32 vcc, 8, v2
	v_and_b32_e32 v16, 7, v16
	s_nop 0
	v_cndmask_b32_e32 v2, v18, v17, vcc
	v_lshl_add_u32 v2, v2, 10, v31
	v_lshlrev_b32_e32 v17, 8, v14
	v_and_b32_e32 v2, 0xfc00, v2
	v_cndmask_b32_e32 v13, v13, v16, vcc
	v_and_or_b32 v2, v17, s30, v2
	v_lshl_or_b32 v13, v13, 7, v2
.LBB237_199:                            ;   in Loop: Header=BB237_194 Depth=1
	s_or_b64 exec, exec, s[18:19]
.LBB237_200:                            ;   in Loop: Header=BB237_194 Depth=1
	s_or_b64 exec, exec, s[16:17]
.LBB237_201:                            ;   in Loop: Header=BB237_194 Depth=1
	s_or_b64 exec, exec, s[0:1]
	v_lshrrev_b16_e32 v2, 8, v14
	v_cmp_ne_u16_e32 vcc, 0, v2
	s_and_saveexec_b64 s[0:1], vcc
	s_cbranch_execz .LBB237_207
; %bb.202:                              ;   in Loop: Header=BB237_194 Depth=1
	v_cmp_ne_u16_e32 vcc, s28, v2
	v_bfrev_b32_e32 v1, 1
	s_and_saveexec_b64 s[16:17], vcc
	s_cbranch_execz .LBB237_206
; %bb.203:                              ;   in Loop: Header=BB237_194 Depth=1
	v_and_b32_e32 v16, 0x7f, v2
	v_cmp_ne_u32_e32 vcc, s29, v16
	v_mov_b32_e32 v1, 0x7c010000
	s_and_saveexec_b64 s[18:19], vcc
	s_cbranch_execz .LBB237_205
; %bb.204:                              ;   in Loop: Header=BB237_194 Depth=1
	v_and_b32_e32 v1, 7, v2
	v_ffbh_u32_e32 v18, v1
	v_min_u32_e32 v20, 32, v18
	v_subrev_u32_e32 v18, 28, v20
	v_lshlrev_b64 v[18:19], v18, v[2:3]
	v_lshrrev_b32_e32 v17, 3, v16
	v_sub_u32_e32 v19, 29, v20
	v_cmp_gt_u32_e32 vcc, 8, v16
	v_lshlrev_b32_e32 v2, 8, v2
	s_nop 0
	v_cndmask_b32_e32 v16, v17, v19, vcc
	v_lshl_add_u32 v16, v16, 10, v31
	v_and_b32_e32 v17, 7, v18
	v_and_or_b32 v2, v2, s30, v16
	v_cndmask_b32_e32 v1, v1, v17, vcc
	v_lshlrev_b32_e32 v2, 16, v2
	v_lshl_or_b32 v1, v1, 23, v2
.LBB237_205:                            ;   in Loop: Header=BB237_194 Depth=1
	s_or_b64 exec, exec, s[18:19]
.LBB237_206:                            ;   in Loop: Header=BB237_194 Depth=1
	s_or_b64 exec, exec, s[16:17]
.LBB237_207:                            ;   in Loop: Header=BB237_194 Depth=1
	s_or_b64 exec, exec, s[0:1]
	v_lshrrev_b32_e32 v2, 16, v14
	v_cmp_ne_u16_sdwa s[16:17], v2, v3 src0_sel:BYTE_0 src1_sel:DWORD
	v_mov_b32_e32 v17, 0
	v_mov_b32_e32 v16, 0
	s_and_saveexec_b64 s[0:1], s[16:17]
	s_cbranch_execz .LBB237_213
; %bb.208:                              ;   in Loop: Header=BB237_194 Depth=1
	v_cmp_ne_u16_sdwa s[18:19], v2, s28 src0_sel:BYTE_0 src1_sel:DWORD
	v_mov_b32_e32 v16, 0x8000
	s_and_saveexec_b64 s[16:17], s[18:19]
	s_cbranch_execz .LBB237_212
; %bb.209:                              ;   in Loop: Header=BB237_194 Depth=1
	v_bfe_u32 v18, v14, 16, 7
	v_cmp_ne_u32_e32 vcc, s29, v18
	v_mov_b32_e32 v16, 0x7c01
	s_and_saveexec_b64 s[18:19], vcc
	s_cbranch_execz .LBB237_211
; %bb.210:                              ;   in Loop: Header=BB237_194 Depth=1
	v_and_b32_e32 v16, 7, v2
	v_ffbh_u32_e32 v20, v16
	v_min_u32_e32 v32, 32, v20
	v_subrev_u32_e32 v20, 28, v32
	v_lshlrev_b64 v[20:21], v20, v[2:3]
	v_lshrrev_b32_e32 v19, 3, v18
	v_sub_u32_e32 v21, 29, v32
	v_cmp_gt_u32_e32 vcc, 8, v18
	v_lshlrev_b32_e32 v2, 8, v2
	s_nop 0
	v_cndmask_b32_e32 v18, v19, v21, vcc
	v_lshl_add_u32 v18, v18, 10, v31
	v_and_b32_e32 v19, 7, v20
	v_and_b32_e32 v18, 0xfc00, v18
	v_cndmask_b32_e32 v16, v16, v19, vcc
	v_and_or_b32 v2, v2, s30, v18
	v_lshl_or_b32 v16, v16, 7, v2
.LBB237_211:                            ;   in Loop: Header=BB237_194 Depth=1
	s_or_b64 exec, exec, s[18:19]
.LBB237_212:                            ;   in Loop: Header=BB237_194 Depth=1
	s_or_b64 exec, exec, s[16:17]
.LBB237_213:                            ;   in Loop: Header=BB237_194 Depth=1
	s_or_b64 exec, exec, s[0:1]
	v_cmp_lt_u32_e32 vcc, s7, v14
	s_and_saveexec_b64 s[0:1], vcc
	s_cbranch_execz .LBB237_219
; %bb.214:                              ;   in Loop: Header=BB237_194 Depth=1
	v_lshrrev_b32_e32 v2, 24, v14
	v_cmp_ne_u32_e32 vcc, s28, v2
	v_bfrev_b32_e32 v17, 1
	s_and_saveexec_b64 s[16:17], vcc
	s_cbranch_execz .LBB237_218
; %bb.215:                              ;   in Loop: Header=BB237_194 Depth=1
	v_and_b32_e32 v18, 0x7f, v2
	v_cmp_ne_u32_e32 vcc, s29, v18
	v_mov_b32_e32 v17, 0x7c010000
	s_and_saveexec_b64 s[18:19], vcc
	s_cbranch_execz .LBB237_217
; %bb.216:                              ;   in Loop: Header=BB237_194 Depth=1
	v_and_b32_e32 v17, 7, v2
	v_ffbh_u32_e32 v20, v17
	v_min_u32_e32 v32, 32, v20
	v_subrev_u32_e32 v20, 28, v32
	v_lshlrev_b64 v[20:21], v20, v[2:3]
	v_lshrrev_b32_e32 v19, 3, v18
	v_sub_u32_e32 v21, 29, v32
	v_cmp_gt_u32_e32 vcc, 8, v18
	v_lshlrev_b32_e32 v2, 8, v2
	s_nop 0
	v_cndmask_b32_e32 v18, v19, v21, vcc
	v_lshl_add_u32 v18, v18, 10, v31
	v_and_b32_e32 v19, 7, v20
	v_and_or_b32 v2, v2, s30, v18
	v_cndmask_b32_e32 v17, v17, v19, vcc
	v_lshlrev_b32_e32 v2, 16, v2
	v_lshl_or_b32 v17, v17, 23, v2
.LBB237_217:                            ;   in Loop: Header=BB237_194 Depth=1
	s_or_b64 exec, exec, s[18:19]
.LBB237_218:                            ;   in Loop: Header=BB237_194 Depth=1
	s_or_b64 exec, exec, s[16:17]
.LBB237_219:                            ;   in Loop: Header=BB237_194 Depth=1
	s_or_b64 exec, exec, s[0:1]
	v_mov_b32_e32 v2, v15
	v_cmp_ne_u16_sdwa s[16:17], v15, v3 src0_sel:BYTE_0 src1_sel:DWORD
	v_mov_b32_e32 v18, 0
	v_mov_b32_e32 v19, 0
	s_and_saveexec_b64 s[0:1], s[16:17]
	s_cbranch_execz .LBB237_225
; %bb.220:                              ;   in Loop: Header=BB237_194 Depth=1
	v_cmp_ne_u16_sdwa s[18:19], v15, s28 src0_sel:BYTE_0 src1_sel:DWORD
	v_mov_b32_e32 v19, 0x8000
	s_and_saveexec_b64 s[16:17], s[18:19]
	s_cbranch_execz .LBB237_224
; %bb.221:                              ;   in Loop: Header=BB237_194 Depth=1
	v_and_b32_e32 v20, 0x7f, v15
	v_cmp_ne_u32_e32 vcc, s29, v20
	v_mov_b32_e32 v19, 0x7c01
	s_and_saveexec_b64 s[18:19], vcc
	s_cbranch_execz .LBB237_223
; %bb.222:                              ;   in Loop: Header=BB237_194 Depth=1
	v_and_b32_e32 v19, 7, v15
	v_ffbh_u32_e32 v32, v19
	v_min_u32_e32 v34, 32, v32
	v_subrev_u32_e32 v32, 28, v34
	v_lshlrev_b64 v[32:33], v32, v[2:3]
	v_lshrrev_b32_e32 v21, 3, v20
	v_sub_u32_e32 v33, 29, v34
	v_cmp_gt_u32_e32 vcc, 8, v20
	v_and_b32_e32 v32, 7, v32
	s_nop 0
	v_cndmask_b32_e32 v20, v21, v33, vcc
	v_lshl_add_u32 v20, v20, 10, v31
	v_lshlrev_b32_e32 v21, 8, v15
	v_and_b32_e32 v20, 0xfc00, v20
	v_cndmask_b32_e32 v19, v19, v32, vcc
	v_and_or_b32 v20, v21, s30, v20
	v_lshl_or_b32 v19, v19, 7, v20
.LBB237_223:                            ;   in Loop: Header=BB237_194 Depth=1
	s_or_b64 exec, exec, s[18:19]
.LBB237_224:                            ;   in Loop: Header=BB237_194 Depth=1
	s_or_b64 exec, exec, s[16:17]
.LBB237_225:                            ;   in Loop: Header=BB237_194 Depth=1
	s_or_b64 exec, exec, s[0:1]
	v_lshrrev_b16_e32 v2, 8, v2
	v_cmp_ne_u16_e32 vcc, 0, v2
	v_mov_b32_e32 v20, 0
	s_and_saveexec_b64 s[0:1], vcc
	s_cbranch_execz .LBB237_231
; %bb.226:                              ;   in Loop: Header=BB237_194 Depth=1
	v_cmp_ne_u16_e32 vcc, s28, v2
	v_bfrev_b32_e32 v20, 1
	s_and_saveexec_b64 s[16:17], vcc
	s_cbranch_execz .LBB237_230
; %bb.227:                              ;   in Loop: Header=BB237_194 Depth=1
	v_and_b32_e32 v21, 0x7f, v2
	v_cmp_ne_u32_e32 vcc, s29, v21
	v_mov_b32_e32 v20, 0x7c010000
	s_and_saveexec_b64 s[18:19], vcc
	s_cbranch_execz .LBB237_229
; %bb.228:                              ;   in Loop: Header=BB237_194 Depth=1
	v_and_b32_e32 v20, 7, v2
	v_ffbh_u32_e32 v32, v20
	v_min_u32_e32 v35, 32, v32
	v_subrev_u32_e32 v32, 28, v35
	v_lshlrev_b64 v[32:33], v32, v[2:3]
	v_lshrrev_b32_e32 v34, 3, v21
	v_sub_u32_e32 v33, 29, v35
	v_cmp_gt_u32_e32 vcc, 8, v21
	v_lshlrev_b32_e32 v2, 8, v2
	v_and_b32_e32 v32, 7, v32
	v_cndmask_b32_e32 v21, v34, v33, vcc
	v_lshl_add_u32 v21, v21, 10, v31
	v_and_or_b32 v2, v2, s30, v21
	v_cndmask_b32_e32 v20, v20, v32, vcc
	v_lshlrev_b32_e32 v2, 16, v2
	v_lshl_or_b32 v20, v20, 23, v2
.LBB237_229:                            ;   in Loop: Header=BB237_194 Depth=1
	s_or_b64 exec, exec, s[18:19]
.LBB237_230:                            ;   in Loop: Header=BB237_194 Depth=1
	s_or_b64 exec, exec, s[16:17]
.LBB237_231:                            ;   in Loop: Header=BB237_194 Depth=1
	s_or_b64 exec, exec, s[0:1]
	v_lshrrev_b32_e32 v2, 16, v15
	v_cmp_ne_u16_sdwa s[16:17], v2, v3 src0_sel:BYTE_0 src1_sel:DWORD
	s_and_saveexec_b64 s[0:1], s[16:17]
	s_cbranch_execz .LBB237_237
; %bb.232:                              ;   in Loop: Header=BB237_194 Depth=1
	v_cmp_ne_u16_sdwa s[18:19], v2, s28 src0_sel:BYTE_0 src1_sel:DWORD
	v_mov_b32_e32 v18, 0x8000
	s_and_saveexec_b64 s[16:17], s[18:19]
	s_cbranch_execz .LBB237_236
; %bb.233:                              ;   in Loop: Header=BB237_194 Depth=1
	v_bfe_u32 v21, v15, 16, 7
	v_cmp_ne_u32_e32 vcc, s29, v21
	v_mov_b32_e32 v18, 0x7c01
	s_and_saveexec_b64 s[18:19], vcc
	s_cbranch_execz .LBB237_235
; %bb.234:                              ;   in Loop: Header=BB237_194 Depth=1
	v_and_b32_e32 v18, 7, v2
	v_ffbh_u32_e32 v32, v18
	v_min_u32_e32 v35, 32, v32
	v_subrev_u32_e32 v32, 28, v35
	v_lshlrev_b64 v[32:33], v32, v[2:3]
	v_lshrrev_b32_e32 v34, 3, v21
	v_sub_u32_e32 v33, 29, v35
	v_cmp_gt_u32_e32 vcc, 8, v21
	v_lshlrev_b32_e32 v2, 8, v2
	v_and_b32_e32 v32, 7, v32
	v_cndmask_b32_e32 v21, v34, v33, vcc
	v_lshl_add_u32 v21, v21, 10, v31
	v_and_b32_e32 v21, 0xfc00, v21
	v_cndmask_b32_e32 v18, v18, v32, vcc
	v_and_or_b32 v2, v2, s30, v21
	v_lshl_or_b32 v18, v18, 7, v2
.LBB237_235:                            ;   in Loop: Header=BB237_194 Depth=1
	s_or_b64 exec, exec, s[18:19]
.LBB237_236:                            ;   in Loop: Header=BB237_194 Depth=1
	s_or_b64 exec, exec, s[16:17]
.LBB237_237:                            ;   in Loop: Header=BB237_194 Depth=1
	s_or_b64 exec, exec, s[0:1]
	v_cmp_lt_u64_e32 vcc, s[6:7], v[14:15]
	v_mov_b32_e32 v21, 0
	s_and_saveexec_b64 s[0:1], vcc
	s_cbranch_execz .LBB237_243
; %bb.238:                              ;   in Loop: Header=BB237_194 Depth=1
	v_lshrrev_b32_e32 v2, 24, v15
	v_cmp_ne_u32_e32 vcc, s28, v2
	v_bfrev_b32_e32 v21, 1
	s_and_saveexec_b64 s[16:17], vcc
	s_cbranch_execz .LBB237_242
; %bb.239:                              ;   in Loop: Header=BB237_194 Depth=1
	v_and_b32_e32 v14, 0x7f, v2
	v_cmp_ne_u32_e32 vcc, s29, v14
	v_mov_b32_e32 v21, 0x7c010000
	s_and_saveexec_b64 s[18:19], vcc
	s_cbranch_execz .LBB237_241
; %bb.240:                              ;   in Loop: Header=BB237_194 Depth=1
	v_and_b32_e32 v15, 7, v2
	v_ffbh_u32_e32 v32, v15
	v_min_u32_e32 v34, 32, v32
	v_subrev_u32_e32 v32, 28, v34
	v_lshlrev_b64 v[32:33], v32, v[2:3]
	v_lshrrev_b32_e32 v21, 3, v14
	v_sub_u32_e32 v33, 29, v34
	v_cmp_gt_u32_e32 vcc, 8, v14
	v_lshlrev_b32_e32 v2, 8, v2
	s_nop 0
	v_cndmask_b32_e32 v14, v21, v33, vcc
	v_lshl_add_u32 v14, v14, 10, v31
	v_and_b32_e32 v21, 7, v32
	v_and_or_b32 v2, v2, s30, v14
	v_cndmask_b32_e32 v15, v15, v21, vcc
	v_lshlrev_b32_e32 v2, 16, v2
	v_lshl_or_b32 v21, v15, 23, v2
.LBB237_241:                            ;   in Loop: Header=BB237_194 Depth=1
	s_or_b64 exec, exec, s[18:19]
.LBB237_242:                            ;   in Loop: Header=BB237_194 Depth=1
	s_or_b64 exec, exec, s[16:17]
.LBB237_243:                            ;   in Loop: Header=BB237_194 Depth=1
	s_or_b64 exec, exec, s[0:1]
	v_cvt_f32_f16_sdwa v15, v1 dst_sel:DWORD dst_unused:UNUSED_PAD src0_sel:WORD_1
	v_cvt_f32_f16_sdwa v14, v17 dst_sel:DWORD dst_unused:UNUSED_PAD src0_sel:WORD_1
	v_or_b32_e32 v1, v1, v13
	v_or_b32_e32 v2, v17, v16
	v_cvt_f32_f16_e32 v16, v2
	v_cvt_f32_f16_e32 v17, v1
	s_waitcnt vmcnt(0)
	v_pk_mul_f32 v[14:15], v[12:13], v[14:15] op_sel_hi:[0,1]
	v_cvt_pk_f16_f32 v1, v14, v15
	v_and_b32_e32 v13, 0xffff0000, v1
	v_pk_mul_f32 v[16:17], v[12:13], v[16:17] op_sel_hi:[0,1]
	v_lshlrev_b32_e32 v14, 16, v1
	v_cvt_pk_f16_f32 v1, v16, v17
	v_or_b32_e32 v2, v20, v19
	v_or_b32_e32 v17, v21, v18
	v_cvt_f32_f16_e32 v18, v17
	v_cvt_f32_f16_e32 v19, v2
	v_cvt_f32_f16_sdwa v35, v20 dst_sel:DWORD dst_unused:UNUSED_PAD src0_sel:WORD_1
	v_cvt_f32_f16_sdwa v34, v21 dst_sel:DWORD dst_unused:UNUSED_PAD src0_sel:WORD_1
	v_add_u32_e32 v32, v28, v23
	v_pk_mul_f32 v[18:19], v[12:13], v[18:19] op_sel_hi:[0,1]
	v_cvt_pk_f16_f32 v20, v18, v19
	v_pk_mul_f32 v[18:19], v[12:13], v[34:35] op_sel_hi:[0,1]
	v_cvt_pk_f16_f32 v12, v18, v19
	v_lshrrev_b32_e32 v15, 16, v1
	v_and_b32_e32 v16, 0xffff, v1
	v_and_b32_e32 v17, 0xffff0000, v12
	v_lshlrev_b32_e32 v12, 16, v12
	v_lshrrev_b32_e32 v21, 16, v20
	v_and_b32_e32 v20, 0xffff, v20
	v_cmp_eq_u32_e32 vcc, s35, v22
	v_or_b32_e32 v1, v13, v15
	v_or_b32_e32 v2, v14, v16
	;; [unrolled: 1-line block ×4, first 2 shown]
	v_add_u32_e32 v39, 2, v32
	v_or_b32_e32 v38, 1, v32
	v_or_b32_e32 v37, 3, v32
	;; [unrolled: 1-line block ×6, first 2 shown]
	s_and_saveexec_b64 s[16:17], vcc
	s_cbranch_execz .LBB237_245
; %bb.244:                              ;   in Loop: Header=BB237_194 Depth=1
	v_cmp_gt_i32_e64 s[0:1], s38, v32
	s_nop 1
	v_cndmask_b32_e64 v1, 0, v15, s[0:1]
	v_cmp_gt_i32_e64 s[0:1], s33, v39
	s_nop 1
	v_cndmask_b32_e64 v2, 0, v16, s[0:1]
	;; [unrolled: 3-line block ×3, first 2 shown]
	v_cmp_gt_i32_e64 s[0:1], s33, v37
	v_or_b32_e32 v1, v13, v1
	s_nop 0
	v_cndmask_b32_e64 v14, 0, v14, s[0:1]
	v_cmp_gt_i32_e64 s[0:1], s38, v36
	v_or_b32_e32 v2, v14, v2
	s_nop 0
	v_cndmask_b32_e64 v13, 0, v21, s[0:1]
	v_cmp_gt_i32_e64 s[0:1], s33, v35
	s_nop 1
	v_cndmask_b32_e64 v14, 0, v20, s[0:1]
	v_cmp_gt_i32_e64 s[0:1], s38, v34
	;; [unrolled: 3-line block ×3, first 2 shown]
	v_or_b32_e32 v19, v15, v13
	s_nop 0
	v_cndmask_b32_e64 v12, 0, v12, s[0:1]
	v_or_b32_e32 v18, v12, v14
.LBB237_245:                            ;   in Loop: Header=BB237_194 Depth=1
	s_or_b64 exec, exec, s[16:17]
	v_and_b32_e32 v12, 0xffff, v40
	v_lshl_or_b32 v43, v41, 16, v12
	v_and_b32_e32 v12, 0xffff, v42
	v_lshl_or_b32 v42, v44, 16, v12
	;; [unrolled: 2-line block ×3, first 2 shown]
	v_and_b32_e32 v12, 0xffff, v47
	;;#ASMSTART
	v_pk_mul_f16 v1, v43, v1;

	;;#ASMEND
	v_lshl_or_b32 v40, v48, 16, v12
	;;#ASMSTART
	v_pk_mul_f16 v2, v42, v2;

	;;#ASMEND
	;;#ASMSTART
	v_pk_mul_f16 v12, v41, v19;

	;;#ASMEND
	;; [unrolled: 4-line block ×3, first 2 shown]
	s_nop 0
	;;#ASMSTART
	v_pk_add_f16 v1, v1, v2;

	;;#ASMEND
	s_nop 0
	;;#ASMSTART
	v_pk_add_f16 v1, v1, v12;

	;;#ASMEND
	;; [unrolled: 5-line block ×3, first 2 shown]
	v_mov_b32_e32 v13, 0
	v_lshrrev_b32_e32 v2, 16, v1
	v_and_b32_e32 v1, 0xffff, v1
	;;#ASMSTART
	v_cvt_f32_f16 v44, v1;
	;;#ASMEND
	;;#ASMSTART
	v_cvt_f32_f16 v45, v2;
	;;#ASMEND
	global_load_dwordx2 v[14:15], v[10:11], off offset:512
	v_mov_b32_e32 v1, 0
	global_load_dword v12, v1, s[14:15]
	s_waitcnt vmcnt(1)
	v_cmp_ne_u16_sdwa s[0:1], v14, v3 src0_sel:BYTE_0 src1_sel:DWORD
	s_and_saveexec_b64 s[16:17], s[0:1]
	s_cbranch_execz .LBB237_251
; %bb.246:                              ;   in Loop: Header=BB237_194 Depth=1
	v_cmp_ne_u16_sdwa s[0:1], v14, s28 src0_sel:BYTE_0 src1_sel:DWORD
	v_mov_b32_e32 v13, 0x8000
	s_and_saveexec_b64 s[18:19], s[0:1]
	s_cbranch_execz .LBB237_250
; %bb.247:                              ;   in Loop: Header=BB237_194 Depth=1
	v_and_b32_e32 v2, 0x7f, v14
	v_cmp_ne_u32_e64 s[0:1], s29, v2
	v_mov_b32_e32 v13, 0x7c01
	s_and_saveexec_b64 s[20:21], s[0:1]
	s_cbranch_execz .LBB237_249
; %bb.248:                              ;   in Loop: Header=BB237_194 Depth=1
	v_and_b32_e32 v13, 7, v14
	v_ffbh_u32_e32 v16, v13
	v_min_u32_e32 v19, 32, v16
	v_subrev_u32_e32 v16, 28, v19
	v_lshlrev_b64 v[16:17], v16, v[14:15]
	v_lshrrev_b32_e32 v18, 3, v2
	v_sub_u32_e32 v17, 29, v19
	v_cmp_gt_u32_e64 s[0:1], 8, v2
	v_and_b32_e32 v16, 7, v16
	s_nop 0
	v_cndmask_b32_e64 v2, v18, v17, s[0:1]
	v_lshl_add_u32 v2, v2, 10, v31
	v_lshlrev_b32_e32 v17, 8, v14
	v_and_b32_e32 v2, 0xfc00, v2
	v_cndmask_b32_e64 v13, v13, v16, s[0:1]
	v_and_or_b32 v2, v17, s30, v2
	v_lshl_or_b32 v13, v13, 7, v2
.LBB237_249:                            ;   in Loop: Header=BB237_194 Depth=1
	s_or_b64 exec, exec, s[20:21]
.LBB237_250:                            ;   in Loop: Header=BB237_194 Depth=1
	s_or_b64 exec, exec, s[18:19]
.LBB237_251:                            ;   in Loop: Header=BB237_194 Depth=1
	s_or_b64 exec, exec, s[16:17]
	v_lshrrev_b16_e32 v2, 8, v14
	v_cmp_ne_u16_e64 s[0:1], 0, v2
	s_and_saveexec_b64 s[16:17], s[0:1]
	s_cbranch_execz .LBB237_257
; %bb.252:                              ;   in Loop: Header=BB237_194 Depth=1
	v_cmp_ne_u16_e64 s[0:1], s28, v2
	v_bfrev_b32_e32 v1, 1
	s_and_saveexec_b64 s[18:19], s[0:1]
	s_cbranch_execz .LBB237_256
; %bb.253:                              ;   in Loop: Header=BB237_194 Depth=1
	v_and_b32_e32 v16, 0x7f, v2
	v_cmp_ne_u32_e64 s[0:1], s29, v16
	v_mov_b32_e32 v1, 0x7c010000
	s_and_saveexec_b64 s[20:21], s[0:1]
	s_cbranch_execz .LBB237_255
; %bb.254:                              ;   in Loop: Header=BB237_194 Depth=1
	v_and_b32_e32 v1, 7, v2
	v_ffbh_u32_e32 v18, v1
	v_min_u32_e32 v20, 32, v18
	v_subrev_u32_e32 v18, 28, v20
	v_lshlrev_b64 v[18:19], v18, v[2:3]
	v_lshrrev_b32_e32 v17, 3, v16
	v_sub_u32_e32 v19, 29, v20
	v_cmp_gt_u32_e64 s[0:1], 8, v16
	v_lshlrev_b32_e32 v2, 8, v2
	s_nop 0
	v_cndmask_b32_e64 v16, v17, v19, s[0:1]
	v_lshl_add_u32 v16, v16, 10, v31
	v_and_b32_e32 v17, 7, v18
	v_and_or_b32 v2, v2, s30, v16
	v_cndmask_b32_e64 v1, v1, v17, s[0:1]
	v_lshlrev_b32_e32 v2, 16, v2
	v_lshl_or_b32 v1, v1, 23, v2
.LBB237_255:                            ;   in Loop: Header=BB237_194 Depth=1
	s_or_b64 exec, exec, s[20:21]
.LBB237_256:                            ;   in Loop: Header=BB237_194 Depth=1
	s_or_b64 exec, exec, s[18:19]
.LBB237_257:                            ;   in Loop: Header=BB237_194 Depth=1
	s_or_b64 exec, exec, s[16:17]
	v_lshrrev_b32_e32 v2, 16, v14
	v_cmp_ne_u16_sdwa s[0:1], v2, v3 src0_sel:BYTE_0 src1_sel:DWORD
	v_mov_b32_e32 v17, 0
	v_mov_b32_e32 v16, 0
	s_and_saveexec_b64 s[16:17], s[0:1]
	s_cbranch_execz .LBB237_263
; %bb.258:                              ;   in Loop: Header=BB237_194 Depth=1
	v_cmp_ne_u16_sdwa s[0:1], v2, s28 src0_sel:BYTE_0 src1_sel:DWORD
	v_mov_b32_e32 v16, 0x8000
	s_and_saveexec_b64 s[18:19], s[0:1]
	s_cbranch_execz .LBB237_262
; %bb.259:                              ;   in Loop: Header=BB237_194 Depth=1
	v_bfe_u32 v18, v14, 16, 7
	v_cmp_ne_u32_e64 s[0:1], s29, v18
	v_mov_b32_e32 v16, 0x7c01
	s_and_saveexec_b64 s[20:21], s[0:1]
	s_cbranch_execz .LBB237_261
; %bb.260:                              ;   in Loop: Header=BB237_194 Depth=1
	v_and_b32_e32 v16, 7, v2
	v_ffbh_u32_e32 v20, v16
	v_min_u32_e32 v46, 32, v20
	v_subrev_u32_e32 v20, 28, v46
	v_lshlrev_b64 v[20:21], v20, v[2:3]
	v_lshrrev_b32_e32 v19, 3, v18
	v_sub_u32_e32 v21, 29, v46
	v_cmp_gt_u32_e64 s[0:1], 8, v18
	v_lshlrev_b32_e32 v2, 8, v2
	s_nop 0
	v_cndmask_b32_e64 v18, v19, v21, s[0:1]
	v_lshl_add_u32 v18, v18, 10, v31
	v_and_b32_e32 v19, 7, v20
	v_and_b32_e32 v18, 0xfc00, v18
	v_cndmask_b32_e64 v16, v16, v19, s[0:1]
	v_and_or_b32 v2, v2, s30, v18
	v_lshl_or_b32 v16, v16, 7, v2
.LBB237_261:                            ;   in Loop: Header=BB237_194 Depth=1
	s_or_b64 exec, exec, s[20:21]
.LBB237_262:                            ;   in Loop: Header=BB237_194 Depth=1
	s_or_b64 exec, exec, s[18:19]
.LBB237_263:                            ;   in Loop: Header=BB237_194 Depth=1
	s_or_b64 exec, exec, s[16:17]
	v_cmp_lt_u32_e64 s[0:1], s7, v14
	s_and_saveexec_b64 s[16:17], s[0:1]
	s_cbranch_execz .LBB237_269
; %bb.264:                              ;   in Loop: Header=BB237_194 Depth=1
	v_lshrrev_b32_e32 v2, 24, v14
	v_cmp_ne_u32_e64 s[0:1], s28, v2
	v_bfrev_b32_e32 v17, 1
	s_and_saveexec_b64 s[18:19], s[0:1]
	s_cbranch_execz .LBB237_268
; %bb.265:                              ;   in Loop: Header=BB237_194 Depth=1
	v_and_b32_e32 v18, 0x7f, v2
	v_cmp_ne_u32_e64 s[0:1], s29, v18
	v_mov_b32_e32 v17, 0x7c010000
	s_and_saveexec_b64 s[20:21], s[0:1]
	s_cbranch_execz .LBB237_267
; %bb.266:                              ;   in Loop: Header=BB237_194 Depth=1
	v_and_b32_e32 v17, 7, v2
	v_ffbh_u32_e32 v20, v17
	v_min_u32_e32 v46, 32, v20
	v_subrev_u32_e32 v20, 28, v46
	v_lshlrev_b64 v[20:21], v20, v[2:3]
	v_lshrrev_b32_e32 v19, 3, v18
	v_sub_u32_e32 v21, 29, v46
	v_cmp_gt_u32_e64 s[0:1], 8, v18
	v_lshlrev_b32_e32 v2, 8, v2
	s_nop 0
	v_cndmask_b32_e64 v18, v19, v21, s[0:1]
	v_lshl_add_u32 v18, v18, 10, v31
	v_and_b32_e32 v19, 7, v20
	v_and_or_b32 v2, v2, s30, v18
	v_cndmask_b32_e64 v17, v17, v19, s[0:1]
	v_lshlrev_b32_e32 v2, 16, v2
	v_lshl_or_b32 v17, v17, 23, v2
.LBB237_267:                            ;   in Loop: Header=BB237_194 Depth=1
	s_or_b64 exec, exec, s[20:21]
.LBB237_268:                            ;   in Loop: Header=BB237_194 Depth=1
	s_or_b64 exec, exec, s[18:19]
.LBB237_269:                            ;   in Loop: Header=BB237_194 Depth=1
	s_or_b64 exec, exec, s[16:17]
	v_mov_b32_e32 v2, v15
	v_cmp_ne_u16_sdwa s[0:1], v15, v3 src0_sel:BYTE_0 src1_sel:DWORD
	v_mov_b32_e32 v18, 0
	v_mov_b32_e32 v19, 0
	s_and_saveexec_b64 s[16:17], s[0:1]
	s_cbranch_execz .LBB237_275
; %bb.270:                              ;   in Loop: Header=BB237_194 Depth=1
	v_cmp_ne_u16_sdwa s[0:1], v15, s28 src0_sel:BYTE_0 src1_sel:DWORD
	v_mov_b32_e32 v19, 0x8000
	s_and_saveexec_b64 s[18:19], s[0:1]
	s_cbranch_execz .LBB237_274
; %bb.271:                              ;   in Loop: Header=BB237_194 Depth=1
	v_and_b32_e32 v20, 0x7f, v15
	v_cmp_ne_u32_e64 s[0:1], s29, v20
	v_mov_b32_e32 v19, 0x7c01
	s_and_saveexec_b64 s[20:21], s[0:1]
	s_cbranch_execz .LBB237_273
; %bb.272:                              ;   in Loop: Header=BB237_194 Depth=1
	v_and_b32_e32 v19, 7, v15
	v_ffbh_u32_e32 v46, v19
	v_min_u32_e32 v48, 32, v46
	v_subrev_u32_e32 v46, 28, v48
	v_lshlrev_b64 v[46:47], v46, v[2:3]
	v_lshrrev_b32_e32 v21, 3, v20
	v_sub_u32_e32 v47, 29, v48
	v_cmp_gt_u32_e64 s[0:1], 8, v20
	v_and_b32_e32 v46, 7, v46
	s_nop 0
	v_cndmask_b32_e64 v20, v21, v47, s[0:1]
	v_lshl_add_u32 v20, v20, 10, v31
	v_lshlrev_b32_e32 v21, 8, v15
	v_and_b32_e32 v20, 0xfc00, v20
	v_cndmask_b32_e64 v19, v19, v46, s[0:1]
	v_and_or_b32 v20, v21, s30, v20
	v_lshl_or_b32 v19, v19, 7, v20
.LBB237_273:                            ;   in Loop: Header=BB237_194 Depth=1
	s_or_b64 exec, exec, s[20:21]
.LBB237_274:                            ;   in Loop: Header=BB237_194 Depth=1
	s_or_b64 exec, exec, s[18:19]
.LBB237_275:                            ;   in Loop: Header=BB237_194 Depth=1
	s_or_b64 exec, exec, s[16:17]
	v_lshrrev_b16_e32 v2, 8, v2
	v_cmp_ne_u16_e64 s[0:1], 0, v2
	v_mov_b32_e32 v20, 0
	s_and_saveexec_b64 s[16:17], s[0:1]
	s_cbranch_execz .LBB237_281
; %bb.276:                              ;   in Loop: Header=BB237_194 Depth=1
	v_cmp_ne_u16_e64 s[0:1], s28, v2
	v_bfrev_b32_e32 v20, 1
	s_and_saveexec_b64 s[18:19], s[0:1]
	s_cbranch_execz .LBB237_280
; %bb.277:                              ;   in Loop: Header=BB237_194 Depth=1
	v_and_b32_e32 v21, 0x7f, v2
	v_cmp_ne_u32_e64 s[0:1], s29, v21
	v_mov_b32_e32 v20, 0x7c010000
	s_and_saveexec_b64 s[20:21], s[0:1]
	s_cbranch_execz .LBB237_279
; %bb.278:                              ;   in Loop: Header=BB237_194 Depth=1
	v_and_b32_e32 v20, 7, v2
	v_ffbh_u32_e32 v46, v20
	v_min_u32_e32 v49, 32, v46
	v_subrev_u32_e32 v46, 28, v49
	v_lshlrev_b64 v[46:47], v46, v[2:3]
	v_lshrrev_b32_e32 v48, 3, v21
	v_sub_u32_e32 v47, 29, v49
	v_cmp_gt_u32_e64 s[0:1], 8, v21
	v_lshlrev_b32_e32 v2, 8, v2
	v_and_b32_e32 v46, 7, v46
	v_cndmask_b32_e64 v21, v48, v47, s[0:1]
	v_lshl_add_u32 v21, v21, 10, v31
	v_and_or_b32 v2, v2, s30, v21
	v_cndmask_b32_e64 v20, v20, v46, s[0:1]
	v_lshlrev_b32_e32 v2, 16, v2
	v_lshl_or_b32 v20, v20, 23, v2
.LBB237_279:                            ;   in Loop: Header=BB237_194 Depth=1
	s_or_b64 exec, exec, s[20:21]
.LBB237_280:                            ;   in Loop: Header=BB237_194 Depth=1
	s_or_b64 exec, exec, s[18:19]
.LBB237_281:                            ;   in Loop: Header=BB237_194 Depth=1
	s_or_b64 exec, exec, s[16:17]
	v_lshrrev_b32_e32 v2, 16, v15
	v_cmp_ne_u16_sdwa s[0:1], v2, v3 src0_sel:BYTE_0 src1_sel:DWORD
	s_and_saveexec_b64 s[16:17], s[0:1]
	s_cbranch_execz .LBB237_287
; %bb.282:                              ;   in Loop: Header=BB237_194 Depth=1
	v_cmp_ne_u16_sdwa s[0:1], v2, s28 src0_sel:BYTE_0 src1_sel:DWORD
	v_mov_b32_e32 v18, 0x8000
	s_and_saveexec_b64 s[18:19], s[0:1]
	s_cbranch_execz .LBB237_286
; %bb.283:                              ;   in Loop: Header=BB237_194 Depth=1
	v_bfe_u32 v21, v15, 16, 7
	v_cmp_ne_u32_e64 s[0:1], s29, v21
	v_mov_b32_e32 v18, 0x7c01
	s_and_saveexec_b64 s[20:21], s[0:1]
	s_cbranch_execz .LBB237_285
; %bb.284:                              ;   in Loop: Header=BB237_194 Depth=1
	v_and_b32_e32 v18, 7, v2
	v_ffbh_u32_e32 v46, v18
	v_min_u32_e32 v49, 32, v46
	v_subrev_u32_e32 v46, 28, v49
	v_lshlrev_b64 v[46:47], v46, v[2:3]
	v_lshrrev_b32_e32 v48, 3, v21
	v_sub_u32_e32 v47, 29, v49
	v_cmp_gt_u32_e64 s[0:1], 8, v21
	v_lshlrev_b32_e32 v2, 8, v2
	v_and_b32_e32 v46, 7, v46
	v_cndmask_b32_e64 v21, v48, v47, s[0:1]
	v_lshl_add_u32 v21, v21, 10, v31
	v_and_b32_e32 v21, 0xfc00, v21
	v_cndmask_b32_e64 v18, v18, v46, s[0:1]
	v_and_or_b32 v2, v2, s30, v21
	v_lshl_or_b32 v18, v18, 7, v2
.LBB237_285:                            ;   in Loop: Header=BB237_194 Depth=1
	s_or_b64 exec, exec, s[20:21]
.LBB237_286:                            ;   in Loop: Header=BB237_194 Depth=1
	s_or_b64 exec, exec, s[18:19]
.LBB237_287:                            ;   in Loop: Header=BB237_194 Depth=1
	s_or_b64 exec, exec, s[16:17]
	v_cmp_lt_u64_e64 s[0:1], s[6:7], v[14:15]
	v_mov_b32_e32 v14, 0
	s_and_saveexec_b64 s[16:17], s[0:1]
	s_cbranch_execz .LBB237_293
; %bb.288:                              ;   in Loop: Header=BB237_194 Depth=1
	v_lshrrev_b32_e32 v2, 24, v15
	v_cmp_ne_u32_e64 s[0:1], s28, v2
	v_bfrev_b32_e32 v14, 1
	s_and_saveexec_b64 s[18:19], s[0:1]
	s_cbranch_execz .LBB237_292
; %bb.289:                              ;   in Loop: Header=BB237_194 Depth=1
	v_and_b32_e32 v15, 0x7f, v2
	v_cmp_ne_u32_e64 s[0:1], s29, v15
	v_mov_b32_e32 v14, 0x7c010000
	s_and_saveexec_b64 s[20:21], s[0:1]
	s_cbranch_execz .LBB237_291
; %bb.290:                              ;   in Loop: Header=BB237_194 Depth=1
	v_and_b32_e32 v14, 7, v2
	v_ffbh_u32_e32 v46, v14
	v_min_u32_e32 v48, 32, v46
	v_subrev_u32_e32 v46, 28, v48
	v_lshlrev_b64 v[46:47], v46, v[2:3]
	v_lshrrev_b32_e32 v21, 3, v15
	v_sub_u32_e32 v47, 29, v48
	v_cmp_gt_u32_e64 s[0:1], 8, v15
	v_lshlrev_b32_e32 v2, 8, v2
	s_nop 0
	v_cndmask_b32_e64 v15, v21, v47, s[0:1]
	v_lshl_add_u32 v15, v15, 10, v31
	v_and_b32_e32 v21, 7, v46
	v_and_or_b32 v2, v2, s30, v15
	v_cndmask_b32_e64 v14, v14, v21, s[0:1]
	v_lshlrev_b32_e32 v2, 16, v2
	v_lshl_or_b32 v14, v14, 23, v2
.LBB237_291:                            ;   in Loop: Header=BB237_194 Depth=1
	s_or_b64 exec, exec, s[20:21]
.LBB237_292:                            ;   in Loop: Header=BB237_194 Depth=1
	s_or_b64 exec, exec, s[18:19]
.LBB237_293:                            ;   in Loop: Header=BB237_194 Depth=1
	s_or_b64 exec, exec, s[16:17]
	v_cvt_f32_f16_sdwa v47, v1 dst_sel:DWORD dst_unused:UNUSED_PAD src0_sel:WORD_1
	v_cvt_f32_f16_sdwa v46, v17 dst_sel:DWORD dst_unused:UNUSED_PAD src0_sel:WORD_1
	v_or_b32_e32 v1, v1, v13
	v_or_b32_e32 v2, v17, v16
	;; [unrolled: 1-line block ×3, first 2 shown]
	s_waitcnt vmcnt(0)
	v_pk_mul_f32 v[16:17], v[12:13], v[46:47] op_sel_hi:[0,1]
	v_cvt_f32_f16_e32 v46, v2
	v_cvt_f32_f16_e32 v47, v1
	v_cvt_pk_f16_f32 v1, v16, v17
	v_and_b32_e32 v13, 0xffff0000, v1
	v_lshlrev_b32_e32 v2, 16, v1
	v_pk_mul_f32 v[16:17], v[12:13], v[46:47] op_sel_hi:[0,1]
	v_cvt_pk_f16_f32 v1, v16, v17
	v_or_b32_e32 v17, v20, v19
	v_cvt_f32_f16_e32 v18, v18
	v_cvt_f32_f16_e32 v19, v17
	v_cvt_f32_f16_sdwa v21, v20 dst_sel:DWORD dst_unused:UNUSED_PAD src0_sel:WORD_1
	v_cvt_f32_f16_sdwa v20, v14 dst_sel:DWORD dst_unused:UNUSED_PAD src0_sel:WORD_1
	v_lshrrev_b32_e32 v15, 16, v1
	v_pk_mul_f32 v[18:19], v[12:13], v[18:19] op_sel_hi:[0,1]
	v_cvt_pk_f16_f32 v46, v18, v19
	v_pk_mul_f32 v[18:19], v[12:13], v[20:21] op_sel_hi:[0,1]
	v_cvt_pk_f16_f32 v12, v18, v19
	v_and_b32_e32 v16, 0xffff, v1
	v_and_b32_e32 v17, 0xffff0000, v12
	v_lshlrev_b32_e32 v12, 16, v12
	v_lshrrev_b32_e32 v19, 16, v46
	v_and_b32_e32 v18, 0xffff, v46
	v_or_b32_e32 v1, v13, v15
	v_or_b32_e32 v14, v2, v16
	v_or_b32_e32 v21, v17, v19
	v_or_b32_e32 v20, v12, v18
	s_and_saveexec_b64 s[16:17], vcc
	s_cbranch_execz .LBB237_295
; %bb.294:                              ;   in Loop: Header=BB237_194 Depth=1
	v_cmp_gt_i32_e64 s[0:1], s38, v32
	s_nop 1
	v_cndmask_b32_e64 v1, 0, v15, s[0:1]
	v_cmp_gt_i32_e64 s[0:1], s33, v39
	s_nop 1
	v_cndmask_b32_e64 v14, 0, v16, s[0:1]
	;; [unrolled: 3-line block ×3, first 2 shown]
	v_cmp_gt_i32_e64 s[0:1], s33, v37
	v_or_b32_e32 v1, v13, v1
	s_nop 0
	v_cndmask_b32_e64 v2, 0, v2, s[0:1]
	v_cmp_gt_i32_e64 s[0:1], s38, v36
	v_or_b32_e32 v14, v2, v14
	s_nop 0
	v_cndmask_b32_e64 v2, 0, v19, s[0:1]
	v_cmp_gt_i32_e64 s[0:1], s33, v35
	s_nop 1
	v_cndmask_b32_e64 v13, 0, v18, s[0:1]
	v_cmp_gt_i32_e64 s[0:1], s38, v34
	;; [unrolled: 3-line block ×3, first 2 shown]
	v_or_b32_e32 v21, v15, v2
	s_nop 0
	v_cndmask_b32_e64 v12, 0, v12, s[0:1]
	v_or_b32_e32 v20, v12, v13
.LBB237_295:                            ;   in Loop: Header=BB237_194 Depth=1
	s_or_b64 exec, exec, s[16:17]
	;;#ASMSTART
	v_pk_mul_f16 v1, v43, v1;

	;;#ASMEND
	;;#ASMSTART
	v_pk_mul_f16 v2, v42, v14;

	;;#ASMEND
	;; [unrolled: 4-line block ×4, first 2 shown]
	s_nop 0
	;;#ASMSTART
	v_pk_add_f16 v1, v1, v2;

	;;#ASMEND
	s_nop 0
	;;#ASMSTART
	v_pk_add_f16 v1, v1, v12;

	;;#ASMEND
	;; [unrolled: 5-line block ×3, first 2 shown]
	s_nop 0
	v_lshrrev_b32_e32 v2, 16, v1
	v_and_b32_e32 v1, 0xffff, v1
	;;#ASMSTART
	v_cvt_f32_f16 v20, v1;
	;;#ASMEND
	;;#ASMSTART
	v_cvt_f32_f16 v21, v2;
	;;#ASMEND
	global_load_dwordx2 v[12:13], v[10:11], off offset:1024
	v_mov_b32_e32 v1, 0
	global_load_dword v10, v1, s[14:15]
	v_mov_b32_e32 v11, 0
	s_waitcnt vmcnt(1)
	v_cmp_ne_u16_sdwa s[0:1], v12, v3 src0_sel:BYTE_0 src1_sel:DWORD
	s_and_saveexec_b64 s[16:17], s[0:1]
	s_cbranch_execz .LBB237_301
; %bb.296:                              ;   in Loop: Header=BB237_194 Depth=1
	v_cmp_ne_u16_sdwa s[0:1], v12, s28 src0_sel:BYTE_0 src1_sel:DWORD
	v_mov_b32_e32 v11, 0x8000
	s_and_saveexec_b64 s[18:19], s[0:1]
	s_cbranch_execz .LBB237_300
; %bb.297:                              ;   in Loop: Header=BB237_194 Depth=1
	v_and_b32_e32 v2, 0x7f, v12
	v_cmp_ne_u32_e64 s[0:1], s29, v2
	v_mov_b32_e32 v11, 0x7c01
	s_and_saveexec_b64 s[20:21], s[0:1]
	s_cbranch_execz .LBB237_299
; %bb.298:                              ;   in Loop: Header=BB237_194 Depth=1
	v_and_b32_e32 v11, 7, v12
	v_ffbh_u32_e32 v14, v11
	v_min_u32_e32 v17, 32, v14
	v_subrev_u32_e32 v14, 28, v17
	v_lshlrev_b64 v[14:15], v14, v[12:13]
	v_lshrrev_b32_e32 v16, 3, v2
	v_sub_u32_e32 v15, 29, v17
	v_cmp_gt_u32_e64 s[0:1], 8, v2
	v_and_b32_e32 v14, 7, v14
	s_nop 0
	v_cndmask_b32_e64 v2, v16, v15, s[0:1]
	v_lshl_add_u32 v2, v2, 10, v31
	v_lshlrev_b32_e32 v15, 8, v12
	v_and_b32_e32 v2, 0xfc00, v2
	v_cndmask_b32_e64 v11, v11, v14, s[0:1]
	v_and_or_b32 v2, v15, s30, v2
	v_lshl_or_b32 v11, v11, 7, v2
.LBB237_299:                            ;   in Loop: Header=BB237_194 Depth=1
	s_or_b64 exec, exec, s[20:21]
.LBB237_300:                            ;   in Loop: Header=BB237_194 Depth=1
	s_or_b64 exec, exec, s[18:19]
.LBB237_301:                            ;   in Loop: Header=BB237_194 Depth=1
	s_or_b64 exec, exec, s[16:17]
	v_lshrrev_b16_e32 v2, 8, v12
	v_cmp_ne_u16_e64 s[0:1], 0, v2
	s_and_saveexec_b64 s[16:17], s[0:1]
	s_cbranch_execz .LBB237_307
; %bb.302:                              ;   in Loop: Header=BB237_194 Depth=1
	v_cmp_ne_u16_e64 s[0:1], s28, v2
	v_bfrev_b32_e32 v1, 1
	s_and_saveexec_b64 s[18:19], s[0:1]
	s_cbranch_execz .LBB237_306
; %bb.303:                              ;   in Loop: Header=BB237_194 Depth=1
	v_and_b32_e32 v14, 0x7f, v2
	v_cmp_ne_u32_e64 s[0:1], s29, v14
	v_mov_b32_e32 v1, 0x7c010000
	s_and_saveexec_b64 s[20:21], s[0:1]
	s_cbranch_execz .LBB237_305
; %bb.304:                              ;   in Loop: Header=BB237_194 Depth=1
	v_and_b32_e32 v1, 7, v2
	v_ffbh_u32_e32 v16, v1
	v_min_u32_e32 v18, 32, v16
	v_subrev_u32_e32 v16, 28, v18
	v_lshlrev_b64 v[16:17], v16, v[2:3]
	v_lshrrev_b32_e32 v15, 3, v14
	v_sub_u32_e32 v17, 29, v18
	v_cmp_gt_u32_e64 s[0:1], 8, v14
	v_lshlrev_b32_e32 v2, 8, v2
	s_nop 0
	v_cndmask_b32_e64 v14, v15, v17, s[0:1]
	v_lshl_add_u32 v14, v14, 10, v31
	v_and_b32_e32 v15, 7, v16
	v_and_or_b32 v2, v2, s30, v14
	v_cndmask_b32_e64 v1, v1, v15, s[0:1]
	v_lshlrev_b32_e32 v2, 16, v2
	v_lshl_or_b32 v1, v1, 23, v2
.LBB237_305:                            ;   in Loop: Header=BB237_194 Depth=1
	s_or_b64 exec, exec, s[20:21]
.LBB237_306:                            ;   in Loop: Header=BB237_194 Depth=1
	s_or_b64 exec, exec, s[18:19]
.LBB237_307:                            ;   in Loop: Header=BB237_194 Depth=1
	s_or_b64 exec, exec, s[16:17]
	v_lshrrev_b32_e32 v2, 16, v12
	v_cmp_ne_u16_sdwa s[0:1], v2, v3 src0_sel:BYTE_0 src1_sel:DWORD
	v_mov_b32_e32 v15, 0
	v_mov_b32_e32 v14, 0
	s_and_saveexec_b64 s[16:17], s[0:1]
	s_cbranch_execz .LBB237_313
; %bb.308:                              ;   in Loop: Header=BB237_194 Depth=1
	v_cmp_ne_u16_sdwa s[0:1], v2, s28 src0_sel:BYTE_0 src1_sel:DWORD
	v_mov_b32_e32 v14, 0x8000
	s_and_saveexec_b64 s[18:19], s[0:1]
	s_cbranch_execz .LBB237_312
; %bb.309:                              ;   in Loop: Header=BB237_194 Depth=1
	v_bfe_u32 v16, v12, 16, 7
	v_cmp_ne_u32_e64 s[0:1], s29, v16
	v_mov_b32_e32 v14, 0x7c01
	s_and_saveexec_b64 s[20:21], s[0:1]
	s_cbranch_execz .LBB237_311
; %bb.310:                              ;   in Loop: Header=BB237_194 Depth=1
	v_and_b32_e32 v14, 7, v2
	v_ffbh_u32_e32 v18, v14
	v_min_u32_e32 v46, 32, v18
	v_subrev_u32_e32 v18, 28, v46
	v_lshlrev_b64 v[18:19], v18, v[2:3]
	v_lshrrev_b32_e32 v17, 3, v16
	v_sub_u32_e32 v19, 29, v46
	v_cmp_gt_u32_e64 s[0:1], 8, v16
	v_lshlrev_b32_e32 v2, 8, v2
	s_nop 0
	v_cndmask_b32_e64 v16, v17, v19, s[0:1]
	v_lshl_add_u32 v16, v16, 10, v31
	v_and_b32_e32 v17, 7, v18
	v_and_b32_e32 v16, 0xfc00, v16
	v_cndmask_b32_e64 v14, v14, v17, s[0:1]
	v_and_or_b32 v2, v2, s30, v16
	v_lshl_or_b32 v14, v14, 7, v2
.LBB237_311:                            ;   in Loop: Header=BB237_194 Depth=1
	s_or_b64 exec, exec, s[20:21]
.LBB237_312:                            ;   in Loop: Header=BB237_194 Depth=1
	s_or_b64 exec, exec, s[18:19]
.LBB237_313:                            ;   in Loop: Header=BB237_194 Depth=1
	s_or_b64 exec, exec, s[16:17]
	v_cmp_lt_u32_e64 s[0:1], s7, v12
	s_and_saveexec_b64 s[16:17], s[0:1]
	s_cbranch_execz .LBB237_319
; %bb.314:                              ;   in Loop: Header=BB237_194 Depth=1
	v_lshrrev_b32_e32 v2, 24, v12
	v_cmp_ne_u32_e64 s[0:1], s28, v2
	v_bfrev_b32_e32 v15, 1
	s_and_saveexec_b64 s[18:19], s[0:1]
	s_cbranch_execz .LBB237_318
; %bb.315:                              ;   in Loop: Header=BB237_194 Depth=1
	v_and_b32_e32 v16, 0x7f, v2
	v_cmp_ne_u32_e64 s[0:1], s29, v16
	v_mov_b32_e32 v15, 0x7c010000
	s_and_saveexec_b64 s[20:21], s[0:1]
	s_cbranch_execz .LBB237_317
; %bb.316:                              ;   in Loop: Header=BB237_194 Depth=1
	v_and_b32_e32 v15, 7, v2
	v_ffbh_u32_e32 v18, v15
	v_min_u32_e32 v46, 32, v18
	v_subrev_u32_e32 v18, 28, v46
	v_lshlrev_b64 v[18:19], v18, v[2:3]
	v_lshrrev_b32_e32 v17, 3, v16
	v_sub_u32_e32 v19, 29, v46
	v_cmp_gt_u32_e64 s[0:1], 8, v16
	v_lshlrev_b32_e32 v2, 8, v2
	s_nop 0
	v_cndmask_b32_e64 v16, v17, v19, s[0:1]
	v_lshl_add_u32 v16, v16, 10, v31
	v_and_b32_e32 v17, 7, v18
	v_and_or_b32 v2, v2, s30, v16
	v_cndmask_b32_e64 v15, v15, v17, s[0:1]
	v_lshlrev_b32_e32 v2, 16, v2
	v_lshl_or_b32 v15, v15, 23, v2
.LBB237_317:                            ;   in Loop: Header=BB237_194 Depth=1
	s_or_b64 exec, exec, s[20:21]
.LBB237_318:                            ;   in Loop: Header=BB237_194 Depth=1
	s_or_b64 exec, exec, s[18:19]
.LBB237_319:                            ;   in Loop: Header=BB237_194 Depth=1
	s_or_b64 exec, exec, s[16:17]
	v_mov_b32_e32 v2, v13
	v_cmp_ne_u16_sdwa s[0:1], v13, v3 src0_sel:BYTE_0 src1_sel:DWORD
	v_mov_b32_e32 v16, 0
	v_mov_b32_e32 v17, 0
	s_and_saveexec_b64 s[16:17], s[0:1]
	s_cbranch_execz .LBB237_325
; %bb.320:                              ;   in Loop: Header=BB237_194 Depth=1
	v_cmp_ne_u16_sdwa s[0:1], v13, s28 src0_sel:BYTE_0 src1_sel:DWORD
	v_mov_b32_e32 v17, 0x8000
	s_and_saveexec_b64 s[18:19], s[0:1]
	s_cbranch_execz .LBB237_324
; %bb.321:                              ;   in Loop: Header=BB237_194 Depth=1
	v_and_b32_e32 v18, 0x7f, v13
	v_cmp_ne_u32_e64 s[0:1], s29, v18
	v_mov_b32_e32 v17, 0x7c01
	s_and_saveexec_b64 s[20:21], s[0:1]
	s_cbranch_execz .LBB237_323
; %bb.322:                              ;   in Loop: Header=BB237_194 Depth=1
	v_and_b32_e32 v17, 7, v13
	v_ffbh_u32_e32 v46, v17
	v_min_u32_e32 v48, 32, v46
	v_subrev_u32_e32 v46, 28, v48
	v_lshlrev_b64 v[46:47], v46, v[2:3]
	v_lshrrev_b32_e32 v19, 3, v18
	v_sub_u32_e32 v47, 29, v48
	v_cmp_gt_u32_e64 s[0:1], 8, v18
	v_and_b32_e32 v46, 7, v46
	s_nop 0
	v_cndmask_b32_e64 v18, v19, v47, s[0:1]
	v_lshl_add_u32 v18, v18, 10, v31
	v_lshlrev_b32_e32 v19, 8, v13
	v_and_b32_e32 v18, 0xfc00, v18
	v_cndmask_b32_e64 v17, v17, v46, s[0:1]
	v_and_or_b32 v18, v19, s30, v18
	v_lshl_or_b32 v17, v17, 7, v18
.LBB237_323:                            ;   in Loop: Header=BB237_194 Depth=1
	s_or_b64 exec, exec, s[20:21]
.LBB237_324:                            ;   in Loop: Header=BB237_194 Depth=1
	s_or_b64 exec, exec, s[18:19]
.LBB237_325:                            ;   in Loop: Header=BB237_194 Depth=1
	s_or_b64 exec, exec, s[16:17]
	v_lshrrev_b16_e32 v2, 8, v2
	v_cmp_ne_u16_e64 s[0:1], 0, v2
	v_mov_b32_e32 v18, 0
	s_and_saveexec_b64 s[16:17], s[0:1]
	s_cbranch_execz .LBB237_331
; %bb.326:                              ;   in Loop: Header=BB237_194 Depth=1
	v_cmp_ne_u16_e64 s[0:1], s28, v2
	v_bfrev_b32_e32 v18, 1
	s_and_saveexec_b64 s[18:19], s[0:1]
	s_cbranch_execz .LBB237_330
; %bb.327:                              ;   in Loop: Header=BB237_194 Depth=1
	v_and_b32_e32 v19, 0x7f, v2
	v_cmp_ne_u32_e64 s[0:1], s29, v19
	v_mov_b32_e32 v18, 0x7c010000
	s_and_saveexec_b64 s[20:21], s[0:1]
	s_cbranch_execz .LBB237_329
; %bb.328:                              ;   in Loop: Header=BB237_194 Depth=1
	v_and_b32_e32 v18, 7, v2
	v_ffbh_u32_e32 v46, v18
	v_min_u32_e32 v49, 32, v46
	v_subrev_u32_e32 v46, 28, v49
	v_lshlrev_b64 v[46:47], v46, v[2:3]
	v_lshrrev_b32_e32 v48, 3, v19
	v_sub_u32_e32 v47, 29, v49
	v_cmp_gt_u32_e64 s[0:1], 8, v19
	v_lshlrev_b32_e32 v2, 8, v2
	v_and_b32_e32 v46, 7, v46
	v_cndmask_b32_e64 v19, v48, v47, s[0:1]
	v_lshl_add_u32 v19, v19, 10, v31
	v_and_or_b32 v2, v2, s30, v19
	v_cndmask_b32_e64 v18, v18, v46, s[0:1]
	v_lshlrev_b32_e32 v2, 16, v2
	v_lshl_or_b32 v18, v18, 23, v2
.LBB237_329:                            ;   in Loop: Header=BB237_194 Depth=1
	s_or_b64 exec, exec, s[20:21]
.LBB237_330:                            ;   in Loop: Header=BB237_194 Depth=1
	s_or_b64 exec, exec, s[18:19]
.LBB237_331:                            ;   in Loop: Header=BB237_194 Depth=1
	s_or_b64 exec, exec, s[16:17]
	v_lshrrev_b32_e32 v2, 16, v13
	v_cmp_ne_u16_sdwa s[0:1], v2, v3 src0_sel:BYTE_0 src1_sel:DWORD
	s_and_saveexec_b64 s[16:17], s[0:1]
	s_cbranch_execz .LBB237_337
; %bb.332:                              ;   in Loop: Header=BB237_194 Depth=1
	v_cmp_ne_u16_sdwa s[0:1], v2, s28 src0_sel:BYTE_0 src1_sel:DWORD
	v_mov_b32_e32 v16, 0x8000
	s_and_saveexec_b64 s[18:19], s[0:1]
	s_cbranch_execz .LBB237_336
; %bb.333:                              ;   in Loop: Header=BB237_194 Depth=1
	v_bfe_u32 v19, v13, 16, 7
	v_cmp_ne_u32_e64 s[0:1], s29, v19
	v_mov_b32_e32 v16, 0x7c01
	s_and_saveexec_b64 s[20:21], s[0:1]
	s_cbranch_execz .LBB237_335
; %bb.334:                              ;   in Loop: Header=BB237_194 Depth=1
	v_and_b32_e32 v16, 7, v2
	v_ffbh_u32_e32 v46, v16
	v_min_u32_e32 v49, 32, v46
	v_subrev_u32_e32 v46, 28, v49
	v_lshlrev_b64 v[46:47], v46, v[2:3]
	v_lshrrev_b32_e32 v48, 3, v19
	v_sub_u32_e32 v47, 29, v49
	v_cmp_gt_u32_e64 s[0:1], 8, v19
	v_lshlrev_b32_e32 v2, 8, v2
	v_and_b32_e32 v46, 7, v46
	v_cndmask_b32_e64 v19, v48, v47, s[0:1]
	v_lshl_add_u32 v19, v19, 10, v31
	v_and_b32_e32 v19, 0xfc00, v19
	v_cndmask_b32_e64 v16, v16, v46, s[0:1]
	v_and_or_b32 v2, v2, s30, v19
	v_lshl_or_b32 v16, v16, 7, v2
.LBB237_335:                            ;   in Loop: Header=BB237_194 Depth=1
	s_or_b64 exec, exec, s[20:21]
.LBB237_336:                            ;   in Loop: Header=BB237_194 Depth=1
	s_or_b64 exec, exec, s[18:19]
.LBB237_337:                            ;   in Loop: Header=BB237_194 Depth=1
	s_or_b64 exec, exec, s[16:17]
	v_cmp_lt_u64_e64 s[0:1], s[6:7], v[12:13]
	v_mov_b32_e32 v19, 0
	s_and_saveexec_b64 s[16:17], s[0:1]
	s_cbranch_execz .LBB237_343
; %bb.338:                              ;   in Loop: Header=BB237_194 Depth=1
	v_lshrrev_b32_e32 v2, 24, v13
	v_cmp_ne_u32_e64 s[0:1], s28, v2
	v_bfrev_b32_e32 v19, 1
	s_and_saveexec_b64 s[18:19], s[0:1]
	s_cbranch_execz .LBB237_342
; %bb.339:                              ;   in Loop: Header=BB237_194 Depth=1
	v_and_b32_e32 v12, 0x7f, v2
	v_cmp_ne_u32_e64 s[0:1], s29, v12
	v_mov_b32_e32 v19, 0x7c010000
	s_and_saveexec_b64 s[20:21], s[0:1]
	s_cbranch_execz .LBB237_341
; %bb.340:                              ;   in Loop: Header=BB237_194 Depth=1
	v_and_b32_e32 v13, 7, v2
	v_ffbh_u32_e32 v46, v13
	v_min_u32_e32 v48, 32, v46
	v_subrev_u32_e32 v46, 28, v48
	v_lshlrev_b64 v[46:47], v46, v[2:3]
	v_lshrrev_b32_e32 v19, 3, v12
	v_sub_u32_e32 v47, 29, v48
	v_cmp_gt_u32_e64 s[0:1], 8, v12
	v_lshlrev_b32_e32 v2, 8, v2
	s_nop 0
	v_cndmask_b32_e64 v12, v19, v47, s[0:1]
	v_lshl_add_u32 v12, v12, 10, v31
	v_and_b32_e32 v19, 7, v46
	v_and_or_b32 v2, v2, s30, v12
	v_cndmask_b32_e64 v13, v13, v19, s[0:1]
	v_lshlrev_b32_e32 v2, 16, v2
	v_lshl_or_b32 v19, v13, 23, v2
.LBB237_341:                            ;   in Loop: Header=BB237_194 Depth=1
	s_or_b64 exec, exec, s[20:21]
.LBB237_342:                            ;   in Loop: Header=BB237_194 Depth=1
	s_or_b64 exec, exec, s[18:19]
.LBB237_343:                            ;   in Loop: Header=BB237_194 Depth=1
	s_or_b64 exec, exec, s[16:17]
	v_cvt_f32_f16_sdwa v13, v1 dst_sel:DWORD dst_unused:UNUSED_PAD src0_sel:WORD_1
	v_cvt_f32_f16_sdwa v12, v15 dst_sel:DWORD dst_unused:UNUSED_PAD src0_sel:WORD_1
	v_or_b32_e32 v1, v1, v11
	v_or_b32_e32 v2, v15, v14
	v_cvt_f32_f16_e32 v14, v2
	v_cvt_f32_f16_e32 v15, v1
	s_waitcnt vmcnt(0)
	v_pk_mul_f32 v[12:13], v[10:11], v[12:13] op_sel_hi:[0,1]
	v_cvt_pk_f16_f32 v1, v12, v13
	v_and_b32_e32 v11, 0xffff0000, v1
	v_pk_mul_f32 v[14:15], v[10:11], v[14:15] op_sel_hi:[0,1]
	v_lshlrev_b32_e32 v12, 16, v1
	v_cvt_pk_f16_f32 v1, v14, v15
	v_or_b32_e32 v2, v18, v17
	v_or_b32_e32 v15, v19, v16
	v_cvt_f32_f16_e32 v16, v15
	v_cvt_f32_f16_e32 v17, v2
	v_cvt_f32_f16_sdwa v47, v18 dst_sel:DWORD dst_unused:UNUSED_PAD src0_sel:WORD_1
	v_cvt_f32_f16_sdwa v46, v19 dst_sel:DWORD dst_unused:UNUSED_PAD src0_sel:WORD_1
	v_lshrrev_b32_e32 v13, 16, v1
	v_pk_mul_f32 v[16:17], v[10:11], v[16:17] op_sel_hi:[0,1]
	v_cvt_pk_f16_f32 v18, v16, v17
	v_pk_mul_f32 v[16:17], v[10:11], v[46:47] op_sel_hi:[0,1]
	v_cvt_pk_f16_f32 v10, v16, v17
	v_and_b32_e32 v14, 0xffff, v1
	v_and_b32_e32 v15, 0xffff0000, v10
	v_lshlrev_b32_e32 v10, 16, v10
	v_lshrrev_b32_e32 v19, 16, v18
	v_and_b32_e32 v18, 0xffff, v18
	v_or_b32_e32 v1, v11, v13
	v_or_b32_e32 v2, v12, v14
	v_or_b32_e32 v17, v15, v19
	v_or_b32_e32 v16, v10, v18
	s_and_saveexec_b64 s[0:1], vcc
	s_cbranch_execz .LBB237_192
; %bb.344:                              ;   in Loop: Header=BB237_194 Depth=1
	v_cmp_gt_i32_e32 vcc, s38, v32
	s_nop 1
	v_cndmask_b32_e32 v1, 0, v13, vcc
	v_cmp_gt_i32_e32 vcc, s33, v39
	s_nop 1
	v_cndmask_b32_e32 v2, 0, v14, vcc
	;; [unrolled: 3-line block ×3, first 2 shown]
	v_cmp_gt_i32_e32 vcc, s33, v37
	v_or_b32_e32 v1, v11, v1
	s_nop 0
	v_cndmask_b32_e32 v12, 0, v12, vcc
	v_cmp_gt_i32_e32 vcc, s38, v36
	v_or_b32_e32 v2, v12, v2
	s_nop 0
	v_cndmask_b32_e32 v11, 0, v19, vcc
	v_cmp_gt_i32_e32 vcc, s33, v35
	s_nop 1
	v_cndmask_b32_e32 v12, 0, v18, vcc
	v_cmp_gt_i32_e32 vcc, s38, v34
	;; [unrolled: 3-line block ×3, first 2 shown]
	v_or_b32_e32 v17, v13, v11
	s_nop 0
	v_cndmask_b32_e32 v10, 0, v10, vcc
	v_or_b32_e32 v16, v10, v12
	s_branch .LBB237_192
.LBB237_345:
	s_or_b64 exec, exec, s[8:9]
.LBB237_346:
	s_or_b64 exec, exec, s[2:3]
	ds_bpermute_b32 v2, v25, v4
	ds_bpermute_b32 v3, v25, v5
	;; [unrolled: 1-line block ×3, first 2 shown]
	s_waitcnt lgkmcnt(0)
	s_barrier
	v_pk_add_f32 v[2:3], v[4:5], v[2:3]
	v_and_b32_e32 v4, 0x3c1, v0
	v_cmp_ne_u32_e32 vcc, 64, v4
	s_and_saveexec_b64 s[0:1], vcc
	s_xor_b64 s[0:1], exec, s[0:1]
; %bb.347:
                                        ; implicit-def: $vgpr24
; %bb.348:
	s_or_saveexec_b64 s[0:1], s[0:1]
	v_add_f32_e32 v1, v27, v1
	s_xor_b64 exec, exec, s[0:1]
	s_cbranch_execz .LBB237_350
; %bb.349:
	v_mov_b32_e32 v5, 0xd0
	v_lshl_add_u32 v5, v24, 1, v5
	ds_write2_b32 v5, v2, v3 offset1:32
	ds_write_b32 v5, v1 offset:256
.LBB237_350:
	s_or_b64 exec, exec, s[0:1]
	v_cmp_gt_u32_e32 vcc, 64, v0
	v_lshrrev_b32_e32 v0, 1, v0
	s_waitcnt lgkmcnt(0)
	s_barrier
	s_and_saveexec_b64 s[0:1], vcc
	s_cbranch_execz .LBB237_356
; %bb.351:
	v_mov_b32_e32 v5, 0xd0
	v_cmp_eq_u32_e32 vcc, 0, v26
	v_lshl_add_u32 v5, v0, 2, v5
	s_and_saveexec_b64 s[2:3], vcc
	s_cbranch_execnz .LBB237_359
; %bb.352:
	s_or_b64 exec, exec, s[2:3]
	s_and_saveexec_b64 s[2:3], vcc
	s_cbranch_execnz .LBB237_360
.LBB237_353:
	s_or_b64 exec, exec, s[2:3]
	s_and_saveexec_b64 s[2:3], vcc
	s_cbranch_execz .LBB237_355
.LBB237_354:
	ds_read_b32 v5, v5 offset:256
	s_waitcnt lgkmcnt(0)
	v_add_f32_e32 v1, v1, v5
.LBB237_355:
	s_or_b64 exec, exec, s[2:3]
.LBB237_356:
	s_or_b64 exec, exec, s[0:1]
	v_cmp_eq_u32_e32 vcc, 0, v4
	s_barrier
	s_and_saveexec_b64 s[0:1], vcc
	s_cbranch_execz .LBB237_358
; %bb.357:
	s_mul_i32 s0, s10, s11
	s_mul_i32 s0, s0, s5
	s_mulk_i32 s0, 0x60
	s_ashr_i32 s1, s0, 31
	s_lshl_b64 s[0:1], s[0:1], 1
	s_add_u32 s2, s26, s0
	s_mul_i32 s0, s11, s24
	s_addc_u32 s3, s27, s1
	s_ashr_i32 s1, s0, 31
	s_lshl_b64 s[0:1], s[0:1], 1
	s_add_u32 s2, s2, s0
	s_mul_i32 s0, s4, 0x60
	s_addc_u32 s3, s3, s1
	s_ashr_i32 s1, s0, 31
	s_lshl_b64 s[0:1], s[0:1], 1
	s_add_u32 s0, s2, s0
	s_addc_u32 s1, s3, s1
	v_lshlrev_b32_e32 v0, 1, v0
	;;#ASMSTART
	v_cvt_f16_f32 v2, v2;

	;;#ASMEND
	global_store_short v0, v2, s[0:1]
	;;#ASMSTART
	v_cvt_f16_f32 v2, v3;

	;;#ASMEND
	global_store_short v0, v2, s[0:1] offset:64
	;;#ASMSTART
	v_cvt_f16_f32 v1, v1;

	;;#ASMEND
	global_store_short v0, v1, s[0:1] offset:128
.LBB237_358:
	s_endpgm
.LBB237_359:
	ds_read_b32 v6, v5
	s_waitcnt lgkmcnt(0)
	v_add_f32_e32 v2, v2, v6
	s_or_b64 exec, exec, s[2:3]
	s_and_saveexec_b64 s[2:3], vcc
	s_cbranch_execz .LBB237_353
.LBB237_360:
	ds_read_b32 v6, v5 offset:128
	s_waitcnt lgkmcnt(0)
	v_add_f32_e32 v3, v3, v6
	s_or_b64 exec, exec, s[2:3]
	s_and_saveexec_b64 s[2:3], vcc
	s_cbranch_execnz .LBB237_354
	s_branch .LBB237_355
	.section	.rodata,"a",@progbits
	.p2align	6, 0x0
	.amdhsa_kernel _ZN4vllm25paged_attention_v1_kernelIthLi96ELi16ELi128ELNS_18Fp8KVCacheDataTypeE1ELb1EEEvPT_PKS2_PKT0_S8_ifPKiSA_iPKfiiiSC_SC_iiiii
		.amdhsa_group_segment_fixed_size 208
		.amdhsa_private_segment_fixed_size 0
		.amdhsa_kernarg_size 384
		.amdhsa_user_sgpr_count 2
		.amdhsa_user_sgpr_dispatch_ptr 0
		.amdhsa_user_sgpr_queue_ptr 0
		.amdhsa_user_sgpr_kernarg_segment_ptr 1
		.amdhsa_user_sgpr_dispatch_id 0
		.amdhsa_user_sgpr_kernarg_preload_length 0
		.amdhsa_user_sgpr_kernarg_preload_offset 0
		.amdhsa_user_sgpr_private_segment_size 0
		.amdhsa_uses_dynamic_stack 0
		.amdhsa_enable_private_segment 0
		.amdhsa_system_sgpr_workgroup_id_x 1
		.amdhsa_system_sgpr_workgroup_id_y 1
		.amdhsa_system_sgpr_workgroup_id_z 1
		.amdhsa_system_sgpr_workgroup_info 0
		.amdhsa_system_vgpr_workitem_id 0
		.amdhsa_next_free_vgpr 59
		.amdhsa_next_free_sgpr 55
		.amdhsa_accum_offset 60
		.amdhsa_reserve_vcc 1
		.amdhsa_float_round_mode_32 0
		.amdhsa_float_round_mode_16_64 0
		.amdhsa_float_denorm_mode_32 3
		.amdhsa_float_denorm_mode_16_64 3
		.amdhsa_dx10_clamp 1
		.amdhsa_ieee_mode 1
		.amdhsa_fp16_overflow 0
		.amdhsa_tg_split 0
		.amdhsa_exception_fp_ieee_invalid_op 0
		.amdhsa_exception_fp_denorm_src 0
		.amdhsa_exception_fp_ieee_div_zero 0
		.amdhsa_exception_fp_ieee_overflow 0
		.amdhsa_exception_fp_ieee_underflow 0
		.amdhsa_exception_fp_ieee_inexact 0
		.amdhsa_exception_int_div_zero 0
	.end_amdhsa_kernel
	.section	.text._ZN4vllm25paged_attention_v1_kernelIthLi96ELi16ELi128ELNS_18Fp8KVCacheDataTypeE1ELb1EEEvPT_PKS2_PKT0_S8_ifPKiSA_iPKfiiiSC_SC_iiiii,"axG",@progbits,_ZN4vllm25paged_attention_v1_kernelIthLi96ELi16ELi128ELNS_18Fp8KVCacheDataTypeE1ELb1EEEvPT_PKS2_PKT0_S8_ifPKiSA_iPKfiiiSC_SC_iiiii,comdat
.Lfunc_end237:
	.size	_ZN4vllm25paged_attention_v1_kernelIthLi96ELi16ELi128ELNS_18Fp8KVCacheDataTypeE1ELb1EEEvPT_PKS2_PKT0_S8_ifPKiSA_iPKfiiiSC_SC_iiiii, .Lfunc_end237-_ZN4vllm25paged_attention_v1_kernelIthLi96ELi16ELi128ELNS_18Fp8KVCacheDataTypeE1ELb1EEEvPT_PKS2_PKT0_S8_ifPKiSA_iPKfiiiSC_SC_iiiii
                                        ; -- End function
	.set _ZN4vllm25paged_attention_v1_kernelIthLi96ELi16ELi128ELNS_18Fp8KVCacheDataTypeE1ELb1EEEvPT_PKS2_PKT0_S8_ifPKiSA_iPKfiiiSC_SC_iiiii.num_vgpr, 59
	.set _ZN4vllm25paged_attention_v1_kernelIthLi96ELi16ELi128ELNS_18Fp8KVCacheDataTypeE1ELb1EEEvPT_PKS2_PKT0_S8_ifPKiSA_iPKfiiiSC_SC_iiiii.num_agpr, 0
	.set _ZN4vllm25paged_attention_v1_kernelIthLi96ELi16ELi128ELNS_18Fp8KVCacheDataTypeE1ELb1EEEvPT_PKS2_PKT0_S8_ifPKiSA_iPKfiiiSC_SC_iiiii.numbered_sgpr, 55
	.set _ZN4vllm25paged_attention_v1_kernelIthLi96ELi16ELi128ELNS_18Fp8KVCacheDataTypeE1ELb1EEEvPT_PKS2_PKT0_S8_ifPKiSA_iPKfiiiSC_SC_iiiii.num_named_barrier, 0
	.set _ZN4vllm25paged_attention_v1_kernelIthLi96ELi16ELi128ELNS_18Fp8KVCacheDataTypeE1ELb1EEEvPT_PKS2_PKT0_S8_ifPKiSA_iPKfiiiSC_SC_iiiii.private_seg_size, 0
	.set _ZN4vllm25paged_attention_v1_kernelIthLi96ELi16ELi128ELNS_18Fp8KVCacheDataTypeE1ELb1EEEvPT_PKS2_PKT0_S8_ifPKiSA_iPKfiiiSC_SC_iiiii.uses_vcc, 1
	.set _ZN4vllm25paged_attention_v1_kernelIthLi96ELi16ELi128ELNS_18Fp8KVCacheDataTypeE1ELb1EEEvPT_PKS2_PKT0_S8_ifPKiSA_iPKfiiiSC_SC_iiiii.uses_flat_scratch, 0
	.set _ZN4vllm25paged_attention_v1_kernelIthLi96ELi16ELi128ELNS_18Fp8KVCacheDataTypeE1ELb1EEEvPT_PKS2_PKT0_S8_ifPKiSA_iPKfiiiSC_SC_iiiii.has_dyn_sized_stack, 0
	.set _ZN4vllm25paged_attention_v1_kernelIthLi96ELi16ELi128ELNS_18Fp8KVCacheDataTypeE1ELb1EEEvPT_PKS2_PKT0_S8_ifPKiSA_iPKfiiiSC_SC_iiiii.has_recursion, 0
	.set _ZN4vllm25paged_attention_v1_kernelIthLi96ELi16ELi128ELNS_18Fp8KVCacheDataTypeE1ELb1EEEvPT_PKS2_PKT0_S8_ifPKiSA_iPKfiiiSC_SC_iiiii.has_indirect_call, 0
	.section	.AMDGPU.csdata,"",@progbits
; Kernel info:
; codeLenInByte = 16296
; TotalNumSgprs: 61
; NumVgprs: 59
; NumAgprs: 0
; TotalNumVgprs: 59
; ScratchSize: 0
; MemoryBound: 0
; FloatMode: 240
; IeeeMode: 1
; LDSByteSize: 208 bytes/workgroup (compile time only)
; SGPRBlocks: 7
; VGPRBlocks: 7
; NumSGPRsForWavesPerEU: 61
; NumVGPRsForWavesPerEU: 59
; AccumOffset: 60
; Occupancy: 8
; WaveLimiterHint : 1
; COMPUTE_PGM_RSRC2:SCRATCH_EN: 0
; COMPUTE_PGM_RSRC2:USER_SGPR: 2
; COMPUTE_PGM_RSRC2:TRAP_HANDLER: 0
; COMPUTE_PGM_RSRC2:TGID_X_EN: 1
; COMPUTE_PGM_RSRC2:TGID_Y_EN: 1
; COMPUTE_PGM_RSRC2:TGID_Z_EN: 1
; COMPUTE_PGM_RSRC2:TIDIG_COMP_CNT: 0
; COMPUTE_PGM_RSRC3_GFX90A:ACCUM_OFFSET: 14
; COMPUTE_PGM_RSRC3_GFX90A:TG_SPLIT: 0
	.section	.text._ZN4vllm25paged_attention_v1_kernelIthLi112ELi16ELi128ELNS_18Fp8KVCacheDataTypeE1ELb1EEEvPT_PKS2_PKT0_S8_ifPKiSA_iPKfiiiSC_SC_iiiii,"axG",@progbits,_ZN4vllm25paged_attention_v1_kernelIthLi112ELi16ELi128ELNS_18Fp8KVCacheDataTypeE1ELb1EEEvPT_PKS2_PKT0_S8_ifPKiSA_iPKfiiiSC_SC_iiiii,comdat
	.protected	_ZN4vllm25paged_attention_v1_kernelIthLi112ELi16ELi128ELNS_18Fp8KVCacheDataTypeE1ELb1EEEvPT_PKS2_PKT0_S8_ifPKiSA_iPKfiiiSC_SC_iiiii ; -- Begin function _ZN4vllm25paged_attention_v1_kernelIthLi112ELi16ELi128ELNS_18Fp8KVCacheDataTypeE1ELb1EEEvPT_PKS2_PKT0_S8_ifPKiSA_iPKfiiiSC_SC_iiiii
	.globl	_ZN4vllm25paged_attention_v1_kernelIthLi112ELi16ELi128ELNS_18Fp8KVCacheDataTypeE1ELb1EEEvPT_PKS2_PKT0_S8_ifPKiSA_iPKfiiiSC_SC_iiiii
	.p2align	8
	.type	_ZN4vllm25paged_attention_v1_kernelIthLi112ELi16ELi128ELNS_18Fp8KVCacheDataTypeE1ELb1EEEvPT_PKS2_PKT0_S8_ifPKiSA_iPKfiiiSC_SC_iiiii,@function
_ZN4vllm25paged_attention_v1_kernelIthLi112ELi16ELi128ELNS_18Fp8KVCacheDataTypeE1ELb1EEEvPT_PKS2_PKT0_S8_ifPKiSA_iPKfiiiSC_SC_iiiii: ; @_ZN4vllm25paged_attention_v1_kernelIthLi112ELi16ELi128ELNS_18Fp8KVCacheDataTypeE1ELb1EEEvPT_PKS2_PKT0_S8_ifPKiSA_iPKfiiiSC_SC_iiiii
; %bb.0:
	s_load_dword s5, s[0:1], 0x80
	s_load_dwordx2 s[6:7], s[0:1], 0x30
	s_load_dwordx2 s[36:37], s[0:1], 0x20
	s_mov_b32 s10, s3
	s_ashr_i32 s11, s3, 31
	s_lshl_b64 s[8:9], s[10:11], 2
	s_waitcnt lgkmcnt(0)
	s_add_u32 s6, s6, s8
	s_addc_u32 s7, s7, s9
	s_abs_i32 s3, s36
	v_cvt_f32_u32_e32 v1, s3
	s_sub_i32 s11, 0, s3
	s_abs_i32 s9, s5
	s_xor_b32 s8, s5, s36
	v_rcp_iflag_f32_e32 v1, v1
	s_ashr_i32 s8, s8, 31
	s_mov_b32 s49, 0
	v_mul_f32_e32 v1, 0x4f7ffffe, v1
	v_cvt_u32_f32_e32 v1, v1
	s_nop 0
	v_readfirstlane_b32 s12, v1
	s_mul_i32 s11, s11, s12
	s_mul_hi_u32 s11, s12, s11
	s_add_i32 s12, s12, s11
	s_mul_hi_u32 s11, s9, s12
	s_mul_i32 s12, s11, s3
	s_sub_i32 s9, s9, s12
	s_add_i32 s12, s11, 1
	s_sub_i32 s13, s9, s3
	s_cmp_ge_u32 s9, s3
	s_cselect_b32 s11, s12, s11
	s_cselect_b32 s9, s13, s9
	s_add_i32 s12, s11, 1
	s_cmp_ge_u32 s9, s3
	s_cselect_b32 s3, s12, s11
	s_xor_b32 s3, s3, s8
	s_sub_i32 s14, s3, s8
	s_abs_i32 s11, s14
	v_cvt_f32_u32_e32 v1, s11
	s_load_dwordx2 s[8:9], s[0:1], 0x40
	s_sub_i32 s3, 0, s11
	s_abs_i32 s12, s2
	v_rcp_iflag_f32_e32 v1, v1
	s_nop 0
	v_mul_f32_e32 v1, 0x4f7ffffe, v1
	v_cvt_u32_f32_e32 v1, v1
	s_nop 0
	v_readfirstlane_b32 s13, v1
	s_mul_i32 s3, s3, s13
	s_mul_hi_u32 s3, s13, s3
	s_add_i32 s13, s13, s3
	s_waitcnt lgkmcnt(0)
	s_cmp_eq_u64 s[8:9], 0
	s_mul_hi_u32 s13, s12, s13
	s_cbranch_scc1 .LBB238_2
; %bb.1:
	s_ashr_i32 s3, s2, 31
	s_lshl_b64 s[16:17], s[2:3], 2
	s_add_u32 s8, s8, s16
	s_addc_u32 s9, s9, s17
	s_load_dword s49, s[8:9], 0x0
.LBB238_2:
	s_load_dword s33, s[6:7], 0x0
	s_load_dwordx4 s[16:19], s[0:1], 0x48
	s_ashr_i32 s3, s2, 31
	s_ashr_i32 s9, s14, 31
	v_and_b32_e32 v4, 3, v0
	s_mul_i32 s24, s2, 0x70
	v_cmp_gt_u32_e32 vcc, 56, v0
	s_and_saveexec_b64 s[6:7], vcc
	s_cbranch_execz .LBB238_4
; %bb.3:
	s_load_dwordx2 s[14:15], s[0:1], 0x8
	s_waitcnt lgkmcnt(0)
	s_mul_i32 s20, s16, s10
	s_ashr_i32 s21, s20, 31
	s_lshl_b64 s[20:21], s[20:21], 1
	v_lshlrev_b32_e32 v1, 2, v0
	s_add_u32 s8, s14, s20
	s_addc_u32 s16, s15, s21
	s_ashr_i32 s25, s24, 31
	s_lshl_b64 s[14:15], s[24:25], 1
	s_add_u32 s14, s8, s14
	s_addc_u32 s15, s16, s15
	global_load_dword v1, v1, s[14:15]
	v_and_b32_e32 v2, 0x3fc, v0
	v_mad_u32_u24 v2, v4, 56, v2
	s_waitcnt vmcnt(0)
	ds_write_b32 v2, v1
.LBB238_4:
	s_or_b64 exec, exec, s[6:7]
	s_mul_i32 s6, s13, s11
	s_sub_i32 s6, s12, s6
	s_xor_b32 s3, s3, s9
	s_add_i32 s7, s13, 1
	s_sub_i32 s9, s6, s11
	s_load_dwordx4 s[20:23], s[0:1], 0x68
	s_load_dword s8, s[0:1], 0x78
	s_cmp_ge_u32 s6, s11
	s_cselect_b32 s7, s7, s13
	s_cselect_b32 s6, s9, s6
	s_add_i32 s9, s7, 1
	s_cmp_ge_u32 s6, s11
	s_cselect_b32 s6, s9, s7
	s_waitcnt lgkmcnt(0)
	s_abs_i32 s25, s23
	v_cvt_f32_u32_e32 v1, s25
	s_xor_b32 s6, s6, s3
	s_sub_i32 s3, s6, s3
	s_sub_i32 s6, 0, s25
	v_rcp_iflag_f32_e32 v1, v1
	s_add_i32 s11, s33, -1
	s_abs_i32 s9, s11
	v_mul_f32_e32 v1, 0x4f7ffffe, v1
	v_cvt_u32_f32_e32 v1, v1
	s_barrier
	v_readfirstlane_b32 s46, v1
	s_mul_i32 s6, s6, s46
	s_mul_hi_u32 s6, s46, s6
	s_add_i32 s46, s46, s6
	s_cmp_lt_i32 s8, 0
	s_mul_hi_u32 s16, s9, s46
	s_cbranch_scc0 .LBB238_6
; %bb.5:
	s_mul_i32 s6, s20, s36
	s_add_i32 s6, s3, s6
	s_mul_i32 s6, s6, s8
	s_sub_i32 s36, 1, s6
	s_mov_b64 s[6:7], 0
	s_branch .LBB238_7
.LBB238_6:
	s_mov_b64 s[6:7], -1
                                        ; implicit-def: $sgpr36
.LBB238_7:
	s_load_dwordx2 s[28:29], s[0:1], 0x28
	s_ashr_i32 s19, s11, 31
	s_andn2_b64 vcc, exec, s[6:7]
	s_ashr_i32 s47, s23, 31
	s_cbranch_vccnz .LBB238_9
; %bb.8:
	s_mul_i32 s6, s5, s20
	s_add_i32 s2, s6, s2
	s_mul_i32 s2, s2, s8
	s_add_i32 s36, s2, 1
.LBB238_9:
	s_load_dword s2, s[0:1], 0x38
	s_load_dwordx2 s[26:27], s[0:1], 0x0
	s_load_dwordx2 s[34:35], s[0:1], 0x18
	s_load_dword s11, s[0:1], 0x88
	s_load_dwordx4 s[12:15], s[0:1], 0x58
	s_mul_i32 s6, s16, s25
	s_waitcnt lgkmcnt(0)
	s_mul_i32 s30, s2, s10
	s_sub_i32 s6, s9, s6
	s_ashr_i32 s31, s30, 31
	s_xor_b32 s2, s19, s47
	s_add_i32 s7, s16, 1
	s_sub_i32 s8, s6, s25
	s_cmp_ge_u32 s6, s25
	s_cselect_b32 s7, s7, s16
	s_cselect_b32 s6, s8, s6
	s_add_i32 s8, s7, 1
	s_cmp_ge_u32 s6, s25
	s_cselect_b32 s6, s8, s7
	s_xor_b32 s6, s6, s2
	s_sub_i32 s16, s6, s2
	s_add_i32 s2, s33, 15
	s_ashr_i32 s6, s2, 31
	s_lshr_b32 s6, s6, 28
	s_add_i32 s2, s2, s6
	s_ashr_i32 s48, s2, 4
	v_lshrrev_b32_e32 v28, 6, v0
	v_cmp_le_i32_e64 s[6:7], s48, v28
	v_cmp_gt_i32_e32 vcc, s48, v28
	v_mov_b32_e32 v13, 0xff7fffff
	s_mul_i32 s20, s3, s18
	v_lshrrev_b32_e32 v1, 4, v0
	v_lshlrev_b32_e32 v29, 4, v28
	v_mbcnt_lo_u32_b32 v10, -1, 0
	s_and_saveexec_b64 s[18:19], vcc
	s_cbranch_execz .LBB238_189
; %bb.10:
	s_load_dwordx2 s[0:1], s[0:1], 0x10
	s_sub_i32 s23, s16, s21
	s_ashr_i32 s2, s20, 31
	v_bfe_u32 v11, v0, 2, 4
	v_mov_b32_e32 v3, 0
	s_waitcnt lgkmcnt(0)
	s_add_u32 s0, s0, s20
	s_addc_u32 s1, s1, s2
	s_abs_i32 s50, s22
	v_cvt_f32_u32_e32 v2, s50
	v_cmp_eq_u32_e32 vcc, 0, v4
	v_mul_u32_u24_e32 v12, 56, v4
	s_mov_b32 s51, s17
	v_rcp_iflag_f32_e32 v5, v2
	v_lshlrev_b32_e32 v2, 4, v11
	v_lshl_add_u64 v[6:7], s[0:1], 0, v[2:3]
	s_sub_i32 s0, 0, s50
	v_mul_f32_e32 v5, 0x4f7ffffe, v5
	v_cvt_u32_f32_e32 v5, v5
	v_lshlrev_b32_e32 v2, 1, v4
	v_cmp_neq_f32_e64 s[2:3], s49, 0
	v_lshlrev_b32_e32 v15, 4, v28
	v_mul_lo_u32 v4, s0, v5
	s_lshl_b64 s[0:1], s[30:31], 2
	v_mul_hi_u32 v4, v5, v4
	s_add_u32 s0, s28, s0
	v_add_u32_e32 v14, v5, v4
	v_lshl_add_u64 v[4:5], v[6:7], 0, v[2:3]
	v_and_b32_e32 v2, 60, v1
	s_addc_u32 s1, s29, s1
	v_lshl_add_u64 v[6:7], s[0:1], 0, v[2:3]
	v_subrev_u32_e32 v2, s33, v11
	v_add_u32_e32 v16, 1, v2
	v_lshlrev_b32_e32 v2, 2, v11
	v_lshl_or_b32 v2, v28, 6, v2
	v_add_u32_e32 v17, 0xf0, v2
	v_mov_b32_e32 v18, 0xff7fffff
	s_mov_b64 s[38:39], 0
	s_movk_i32 s52, 0x80
	s_movk_i32 s53, 0x7f
	s_mov_b32 s54, 0x8000
	v_mov_b32_e32 v19, 0x2000
	v_mbcnt_hi_u32_b32 v20, -1, v10
	v_mov_b32_e32 v13, 0xff7fffff
	v_mov_b32_e32 v21, v28
	s_branch .LBB238_13
.LBB238_11:                             ;   in Loop: Header=BB238_13 Depth=1
	s_or_b64 exec, exec, s[40:41]
.LBB238_12:                             ;   in Loop: Header=BB238_13 Depth=1
	s_or_b64 exec, exec, s[8:9]
	v_add_u32_e32 v21, 2, v21
	v_cmp_le_i32_e64 s[0:1], s48, v21
	v_lshl_add_u64 v[6:7], v[6:7], 0, 8
	v_add_u32_e32 v15, 32, v15
	s_or_b64 s[38:39], s[0:1], s[38:39]
	v_add_u32_e32 v17, 0x80, v17
	s_andn2_b64 exec, exec, s[38:39]
	s_cbranch_execz .LBB238_188
.LBB238_13:                             ; =>This Inner Loop Header: Depth=1
	v_mul_hi_u32 v2, v15, s46
	s_waitcnt lgkmcnt(0)
	v_mul_lo_u32 v8, v2, s25
	v_sub_u32_e32 v8, v15, v8
	v_add_u32_e32 v9, 1, v2
	v_cmp_le_u32_e64 s[0:1], s25, v8
	s_nop 1
	v_cndmask_b32_e64 v2, v2, v9, s[0:1]
	v_subrev_u32_e32 v9, s25, v8
	v_cndmask_b32_e64 v8, v8, v9, s[0:1]
	v_add_u32_e32 v9, 1, v2
	v_cmp_le_u32_e64 s[0:1], s25, v8
	s_nop 1
	v_cndmask_b32_e64 v2, v2, v9, s[0:1]
	v_xor_b32_e32 v2, s47, v2
	v_subrev_u32_e32 v2, s47, v2
	v_add_u32_e32 v8, s36, v2
	v_sub_u32_e32 v22, 0, v8
	v_ashrrev_i32_e32 v9, 31, v8
	v_max_i32_e32 v8, v8, v22
	v_mul_hi_u32 v22, v8, v14
	v_mul_lo_u32 v22, v22, s50
	v_sub_u32_e32 v8, v8, v22
	v_subrev_u32_e32 v22, s50, v8
	v_cmp_le_u32_e64 s[0:1], s50, v8
	v_cmp_ge_i32_e64 s[8:9], s23, v2
	s_nop 0
	v_cndmask_b32_e64 v8, v8, v22, s[0:1]
	v_subrev_u32_e32 v22, s50, v8
	v_cmp_le_u32_e64 s[0:1], s50, v8
	s_nop 1
	v_cndmask_b32_e64 v8, v8, v22, s[0:1]
	v_xor_b32_e32 v8, v8, v9
	v_sub_u32_e32 v8, v8, v9
	v_cmp_ne_u32_e64 s[0:1], 0, v8
	s_and_b64 s[0:1], s[0:1], s[8:9]
	s_and_saveexec_b64 s[8:9], s[0:1]
	s_xor_b64 s[0:1], exec, s[8:9]
	s_cbranch_execz .LBB238_17
; %bb.14:                               ;   in Loop: Header=BB238_13 Depth=1
	s_and_saveexec_b64 s[8:9], vcc
; %bb.15:                               ;   in Loop: Header=BB238_13 Depth=1
	ds_write_b32 v17, v18
; %bb.16:                               ;   in Loop: Header=BB238_13 Depth=1
	s_or_b64 exec, exec, s[8:9]
.LBB238_17:                             ;   in Loop: Header=BB238_13 Depth=1
	s_andn2_saveexec_b64 s[8:9], s[0:1]
	s_cbranch_execz .LBB238_12
; %bb.18:                               ;   in Loop: Header=BB238_13 Depth=1
	global_load_dword v2, v[6:7], off
	v_mov_b32_e32 v23, 0
	global_load_dword v22, v23, s[12:13]
	s_waitcnt vmcnt(1)
	v_mad_i64_i32 v[8:9], s[0:1], v2, s51, v[4:5]
	global_load_ushort v24, v[8:9], off
	s_waitcnt vmcnt(0)
	v_and_b32_e32 v2, 0xffff, v24
	v_cmp_ne_u16_sdwa s[0:1], v24, v3 src0_sel:BYTE_0 src1_sel:DWORD
	v_mov_b32_e32 v24, 0
	s_and_saveexec_b64 s[40:41], s[0:1]
	s_cbranch_execz .LBB238_24
; %bb.19:                               ;   in Loop: Header=BB238_13 Depth=1
	v_cmp_ne_u16_sdwa s[0:1], v2, s52 src0_sel:BYTE_0 src1_sel:DWORD
	v_mov_b32_e32 v24, 0x8000
	s_and_saveexec_b64 s[42:43], s[0:1]
	s_cbranch_execz .LBB238_23
; %bb.20:                               ;   in Loop: Header=BB238_13 Depth=1
	v_and_b32_e32 v25, 0x7f, v2
	v_cmp_ne_u32_e64 s[0:1], s53, v25
	v_mov_b32_e32 v24, 0x7c01
	s_and_saveexec_b64 s[44:45], s[0:1]
	s_cbranch_execz .LBB238_22
; %bb.21:                               ;   in Loop: Header=BB238_13 Depth=1
	v_and_b32_e32 v24, 7, v2
	v_ffbh_u32_e32 v26, v24
	v_min_u32_e32 v31, 32, v26
	v_subrev_u32_e32 v26, 28, v31
	v_lshlrev_b64 v[26:27], v26, v[2:3]
	v_lshrrev_b32_e32 v30, 3, v25
	v_sub_u32_e32 v27, 29, v31
	v_cmp_gt_u32_e64 s[0:1], 8, v25
	v_and_b32_e32 v26, 7, v26
	s_nop 0
	v_cndmask_b32_e64 v25, v30, v27, s[0:1]
	v_lshl_add_u32 v25, v25, 10, v19
	v_lshlrev_b32_e32 v27, 8, v2
	v_and_b32_e32 v25, 0xfc00, v25
	v_cndmask_b32_e64 v24, v24, v26, s[0:1]
	v_and_or_b32 v25, v27, s54, v25
	v_lshl_or_b32 v24, v24, 7, v25
.LBB238_22:                             ;   in Loop: Header=BB238_13 Depth=1
	s_or_b64 exec, exec, s[44:45]
.LBB238_23:                             ;   in Loop: Header=BB238_13 Depth=1
	s_or_b64 exec, exec, s[42:43]
.LBB238_24:                             ;   in Loop: Header=BB238_13 Depth=1
	s_or_b64 exec, exec, s[40:41]
	v_lshrrev_b16_e32 v2, 8, v2
	v_cmp_ne_u16_e64 s[0:1], 0, v2
	s_and_saveexec_b64 s[40:41], s[0:1]
	s_cbranch_execz .LBB238_30
; %bb.25:                               ;   in Loop: Header=BB238_13 Depth=1
	v_cmp_ne_u16_e64 s[0:1], s52, v2
	v_bfrev_b32_e32 v23, 1
	s_and_saveexec_b64 s[42:43], s[0:1]
	s_cbranch_execz .LBB238_29
; %bb.26:                               ;   in Loop: Header=BB238_13 Depth=1
	v_and_b32_e32 v25, 0x7f, v2
	v_cmp_ne_u32_e64 s[0:1], s53, v25
	v_mov_b32_e32 v23, 0x7c010000
	s_and_saveexec_b64 s[44:45], s[0:1]
	s_cbranch_execz .LBB238_28
; %bb.27:                               ;   in Loop: Header=BB238_13 Depth=1
	v_and_b32_e32 v23, 7, v2
	v_ffbh_u32_e32 v26, v23
	v_min_u32_e32 v31, 32, v26
	v_subrev_u32_e32 v26, 28, v31
	v_lshlrev_b64 v[26:27], v26, v[2:3]
	v_lshrrev_b32_e32 v30, 3, v25
	v_sub_u32_e32 v27, 29, v31
	v_cmp_gt_u32_e64 s[0:1], 8, v25
	v_lshlrev_b32_e32 v2, 8, v2
	v_and_b32_e32 v26, 7, v26
	v_cndmask_b32_e64 v25, v30, v27, s[0:1]
	v_lshl_add_u32 v25, v25, 10, v19
	v_and_or_b32 v2, v2, s54, v25
	v_cndmask_b32_e64 v23, v23, v26, s[0:1]
	v_lshlrev_b32_e32 v2, 16, v2
	v_lshl_or_b32 v23, v23, 23, v2
.LBB238_28:                             ;   in Loop: Header=BB238_13 Depth=1
	s_or_b64 exec, exec, s[44:45]
.LBB238_29:                             ;   in Loop: Header=BB238_13 Depth=1
	s_or_b64 exec, exec, s[42:43]
.LBB238_30:                             ;   in Loop: Header=BB238_13 Depth=1
	s_or_b64 exec, exec, s[40:41]
	global_load_ushort v26, v[8:9], off offset:8
	v_mov_b32_e32 v25, 0
	s_waitcnt vmcnt(0)
	v_and_b32_e32 v2, 0xffff, v26
	v_cmp_ne_u16_sdwa s[0:1], v26, v3 src0_sel:BYTE_0 src1_sel:DWORD
	v_mov_b32_e32 v26, 0
	s_and_saveexec_b64 s[40:41], s[0:1]
	s_cbranch_execz .LBB238_36
; %bb.31:                               ;   in Loop: Header=BB238_13 Depth=1
	v_cmp_ne_u16_sdwa s[0:1], v2, s52 src0_sel:BYTE_0 src1_sel:DWORD
	v_mov_b32_e32 v26, 0x8000
	s_and_saveexec_b64 s[42:43], s[0:1]
	s_cbranch_execz .LBB238_35
; %bb.32:                               ;   in Loop: Header=BB238_13 Depth=1
	v_and_b32_e32 v27, 0x7f, v2
	v_cmp_ne_u32_e64 s[0:1], s53, v27
	v_mov_b32_e32 v26, 0x7c01
	s_and_saveexec_b64 s[44:45], s[0:1]
	s_cbranch_execz .LBB238_34
; %bb.33:                               ;   in Loop: Header=BB238_13 Depth=1
	v_and_b32_e32 v26, 7, v2
	v_ffbh_u32_e32 v30, v26
	v_min_u32_e32 v33, 32, v30
	v_subrev_u32_e32 v30, 28, v33
	v_lshlrev_b64 v[30:31], v30, v[2:3]
	v_lshrrev_b32_e32 v32, 3, v27
	v_sub_u32_e32 v31, 29, v33
	v_cmp_gt_u32_e64 s[0:1], 8, v27
	v_and_b32_e32 v30, 7, v30
	s_nop 0
	v_cndmask_b32_e64 v27, v32, v31, s[0:1]
	v_lshl_add_u32 v27, v27, 10, v19
	v_lshlrev_b32_e32 v31, 8, v2
	v_and_b32_e32 v27, 0xfc00, v27
	v_cndmask_b32_e64 v26, v26, v30, s[0:1]
	v_and_or_b32 v27, v31, s54, v27
	v_lshl_or_b32 v26, v26, 7, v27
.LBB238_34:                             ;   in Loop: Header=BB238_13 Depth=1
	s_or_b64 exec, exec, s[44:45]
.LBB238_35:                             ;   in Loop: Header=BB238_13 Depth=1
	s_or_b64 exec, exec, s[42:43]
.LBB238_36:                             ;   in Loop: Header=BB238_13 Depth=1
	s_or_b64 exec, exec, s[40:41]
	v_lshrrev_b16_e32 v2, 8, v2
	v_cmp_ne_u16_e64 s[0:1], 0, v2
	s_and_saveexec_b64 s[40:41], s[0:1]
	s_cbranch_execz .LBB238_42
; %bb.37:                               ;   in Loop: Header=BB238_13 Depth=1
	v_cmp_ne_u16_e64 s[0:1], s52, v2
	v_bfrev_b32_e32 v25, 1
	s_and_saveexec_b64 s[42:43], s[0:1]
	s_cbranch_execz .LBB238_41
; %bb.38:                               ;   in Loop: Header=BB238_13 Depth=1
	v_and_b32_e32 v27, 0x7f, v2
	v_cmp_ne_u32_e64 s[0:1], s53, v27
	v_mov_b32_e32 v25, 0x7c010000
	s_and_saveexec_b64 s[44:45], s[0:1]
	s_cbranch_execz .LBB238_40
; %bb.39:                               ;   in Loop: Header=BB238_13 Depth=1
	v_and_b32_e32 v25, 7, v2
	v_ffbh_u32_e32 v30, v25
	v_min_u32_e32 v33, 32, v30
	v_subrev_u32_e32 v30, 28, v33
	v_lshlrev_b64 v[30:31], v30, v[2:3]
	v_lshrrev_b32_e32 v32, 3, v27
	v_sub_u32_e32 v31, 29, v33
	v_cmp_gt_u32_e64 s[0:1], 8, v27
	v_lshlrev_b32_e32 v2, 8, v2
	v_and_b32_e32 v30, 7, v30
	v_cndmask_b32_e64 v27, v32, v31, s[0:1]
	v_lshl_add_u32 v27, v27, 10, v19
	v_and_or_b32 v2, v2, s54, v27
	v_cndmask_b32_e64 v25, v25, v30, s[0:1]
	v_lshlrev_b32_e32 v2, 16, v2
	v_lshl_or_b32 v25, v25, 23, v2
.LBB238_40:                             ;   in Loop: Header=BB238_13 Depth=1
	s_or_b64 exec, exec, s[44:45]
.LBB238_41:                             ;   in Loop: Header=BB238_13 Depth=1
	s_or_b64 exec, exec, s[42:43]
.LBB238_42:                             ;   in Loop: Header=BB238_13 Depth=1
	s_or_b64 exec, exec, s[40:41]
	global_load_ushort v30, v[8:9], off offset:256
	v_mov_b32_e32 v27, 0
	s_waitcnt vmcnt(0)
	v_and_b32_e32 v2, 0xffff, v30
	v_cmp_ne_u16_sdwa s[0:1], v30, v3 src0_sel:BYTE_0 src1_sel:DWORD
	v_mov_b32_e32 v30, 0
	s_and_saveexec_b64 s[40:41], s[0:1]
	s_cbranch_execz .LBB238_48
; %bb.43:                               ;   in Loop: Header=BB238_13 Depth=1
	v_cmp_ne_u16_sdwa s[0:1], v2, s52 src0_sel:BYTE_0 src1_sel:DWORD
	v_mov_b32_e32 v30, 0x8000
	s_and_saveexec_b64 s[42:43], s[0:1]
	s_cbranch_execz .LBB238_47
; %bb.44:                               ;   in Loop: Header=BB238_13 Depth=1
	v_and_b32_e32 v31, 0x7f, v2
	v_cmp_ne_u32_e64 s[0:1], s53, v31
	v_mov_b32_e32 v30, 0x7c01
	s_and_saveexec_b64 s[44:45], s[0:1]
	s_cbranch_execz .LBB238_46
; %bb.45:                               ;   in Loop: Header=BB238_13 Depth=1
	v_and_b32_e32 v30, 7, v2
	v_ffbh_u32_e32 v32, v30
	v_min_u32_e32 v35, 32, v32
	v_subrev_u32_e32 v32, 28, v35
	v_lshlrev_b64 v[32:33], v32, v[2:3]
	v_lshrrev_b32_e32 v34, 3, v31
	v_sub_u32_e32 v33, 29, v35
	v_cmp_gt_u32_e64 s[0:1], 8, v31
	v_and_b32_e32 v32, 7, v32
	s_nop 0
	v_cndmask_b32_e64 v31, v34, v33, s[0:1]
	v_lshl_add_u32 v31, v31, 10, v19
	v_lshlrev_b32_e32 v33, 8, v2
	v_and_b32_e32 v31, 0xfc00, v31
	v_cndmask_b32_e64 v30, v30, v32, s[0:1]
	v_and_or_b32 v31, v33, s54, v31
	v_lshl_or_b32 v30, v30, 7, v31
.LBB238_46:                             ;   in Loop: Header=BB238_13 Depth=1
	s_or_b64 exec, exec, s[44:45]
.LBB238_47:                             ;   in Loop: Header=BB238_13 Depth=1
	s_or_b64 exec, exec, s[42:43]
.LBB238_48:                             ;   in Loop: Header=BB238_13 Depth=1
	s_or_b64 exec, exec, s[40:41]
	v_lshrrev_b16_e32 v2, 8, v2
	v_cmp_ne_u16_e64 s[0:1], 0, v2
	s_and_saveexec_b64 s[40:41], s[0:1]
	s_cbranch_execz .LBB238_54
; %bb.49:                               ;   in Loop: Header=BB238_13 Depth=1
	v_cmp_ne_u16_e64 s[0:1], s52, v2
	v_bfrev_b32_e32 v27, 1
	s_and_saveexec_b64 s[42:43], s[0:1]
	s_cbranch_execz .LBB238_53
; %bb.50:                               ;   in Loop: Header=BB238_13 Depth=1
	v_and_b32_e32 v31, 0x7f, v2
	v_cmp_ne_u32_e64 s[0:1], s53, v31
	v_mov_b32_e32 v27, 0x7c010000
	s_and_saveexec_b64 s[44:45], s[0:1]
	s_cbranch_execz .LBB238_52
; %bb.51:                               ;   in Loop: Header=BB238_13 Depth=1
	v_and_b32_e32 v27, 7, v2
	v_ffbh_u32_e32 v32, v27
	v_min_u32_e32 v35, 32, v32
	v_subrev_u32_e32 v32, 28, v35
	v_lshlrev_b64 v[32:33], v32, v[2:3]
	v_lshrrev_b32_e32 v34, 3, v31
	v_sub_u32_e32 v33, 29, v35
	v_cmp_gt_u32_e64 s[0:1], 8, v31
	v_lshlrev_b32_e32 v2, 8, v2
	v_and_b32_e32 v32, 7, v32
	v_cndmask_b32_e64 v31, v34, v33, s[0:1]
	v_lshl_add_u32 v31, v31, 10, v19
	v_and_or_b32 v2, v2, s54, v31
	v_cndmask_b32_e64 v27, v27, v32, s[0:1]
	v_lshlrev_b32_e32 v2, 16, v2
	v_lshl_or_b32 v27, v27, 23, v2
.LBB238_52:                             ;   in Loop: Header=BB238_13 Depth=1
	s_or_b64 exec, exec, s[44:45]
.LBB238_53:                             ;   in Loop: Header=BB238_13 Depth=1
	s_or_b64 exec, exec, s[42:43]
.LBB238_54:                             ;   in Loop: Header=BB238_13 Depth=1
	s_or_b64 exec, exec, s[40:41]
	global_load_ushort v32, v[8:9], off offset:264
	v_mov_b32_e32 v31, 0
	s_waitcnt vmcnt(0)
	v_and_b32_e32 v2, 0xffff, v32
	v_cmp_ne_u16_sdwa s[0:1], v32, v3 src0_sel:BYTE_0 src1_sel:DWORD
	v_mov_b32_e32 v32, 0
	s_and_saveexec_b64 s[40:41], s[0:1]
	s_cbranch_execz .LBB238_60
; %bb.55:                               ;   in Loop: Header=BB238_13 Depth=1
	v_cmp_ne_u16_sdwa s[0:1], v2, s52 src0_sel:BYTE_0 src1_sel:DWORD
	v_mov_b32_e32 v32, 0x8000
	s_and_saveexec_b64 s[42:43], s[0:1]
	s_cbranch_execz .LBB238_59
; %bb.56:                               ;   in Loop: Header=BB238_13 Depth=1
	v_and_b32_e32 v33, 0x7f, v2
	v_cmp_ne_u32_e64 s[0:1], s53, v33
	v_mov_b32_e32 v32, 0x7c01
	s_and_saveexec_b64 s[44:45], s[0:1]
	s_cbranch_execz .LBB238_58
; %bb.57:                               ;   in Loop: Header=BB238_13 Depth=1
	v_and_b32_e32 v32, 7, v2
	v_ffbh_u32_e32 v34, v32
	v_min_u32_e32 v37, 32, v34
	v_subrev_u32_e32 v34, 28, v37
	v_lshlrev_b64 v[34:35], v34, v[2:3]
	v_lshrrev_b32_e32 v36, 3, v33
	v_sub_u32_e32 v35, 29, v37
	v_cmp_gt_u32_e64 s[0:1], 8, v33
	v_and_b32_e32 v34, 7, v34
	s_nop 0
	v_cndmask_b32_e64 v33, v36, v35, s[0:1]
	v_lshl_add_u32 v33, v33, 10, v19
	v_lshlrev_b32_e32 v35, 8, v2
	v_and_b32_e32 v33, 0xfc00, v33
	v_cndmask_b32_e64 v32, v32, v34, s[0:1]
	v_and_or_b32 v33, v35, s54, v33
	v_lshl_or_b32 v32, v32, 7, v33
.LBB238_58:                             ;   in Loop: Header=BB238_13 Depth=1
	s_or_b64 exec, exec, s[44:45]
.LBB238_59:                             ;   in Loop: Header=BB238_13 Depth=1
	s_or_b64 exec, exec, s[42:43]
.LBB238_60:                             ;   in Loop: Header=BB238_13 Depth=1
	s_or_b64 exec, exec, s[40:41]
	v_lshrrev_b16_e32 v2, 8, v2
	v_cmp_ne_u16_e64 s[0:1], 0, v2
	s_and_saveexec_b64 s[40:41], s[0:1]
	s_cbranch_execz .LBB238_66
; %bb.61:                               ;   in Loop: Header=BB238_13 Depth=1
	v_cmp_ne_u16_e64 s[0:1], s52, v2
	v_bfrev_b32_e32 v31, 1
	s_and_saveexec_b64 s[42:43], s[0:1]
	s_cbranch_execz .LBB238_65
; %bb.62:                               ;   in Loop: Header=BB238_13 Depth=1
	v_and_b32_e32 v33, 0x7f, v2
	v_cmp_ne_u32_e64 s[0:1], s53, v33
	v_mov_b32_e32 v31, 0x7c010000
	s_and_saveexec_b64 s[44:45], s[0:1]
	s_cbranch_execz .LBB238_64
; %bb.63:                               ;   in Loop: Header=BB238_13 Depth=1
	v_and_b32_e32 v31, 7, v2
	v_ffbh_u32_e32 v34, v31
	v_min_u32_e32 v37, 32, v34
	v_subrev_u32_e32 v34, 28, v37
	v_lshlrev_b64 v[34:35], v34, v[2:3]
	v_lshrrev_b32_e32 v36, 3, v33
	v_sub_u32_e32 v35, 29, v37
	v_cmp_gt_u32_e64 s[0:1], 8, v33
	v_lshlrev_b32_e32 v2, 8, v2
	v_and_b32_e32 v34, 7, v34
	v_cndmask_b32_e64 v33, v36, v35, s[0:1]
	v_lshl_add_u32 v33, v33, 10, v19
	v_and_or_b32 v2, v2, s54, v33
	v_cndmask_b32_e64 v31, v31, v34, s[0:1]
	v_lshlrev_b32_e32 v2, 16, v2
	v_lshl_or_b32 v31, v31, 23, v2
.LBB238_64:                             ;   in Loop: Header=BB238_13 Depth=1
	s_or_b64 exec, exec, s[44:45]
.LBB238_65:                             ;   in Loop: Header=BB238_13 Depth=1
	s_or_b64 exec, exec, s[42:43]
.LBB238_66:                             ;   in Loop: Header=BB238_13 Depth=1
	s_or_b64 exec, exec, s[40:41]
	global_load_ushort v34, v[8:9], off offset:512
	v_mov_b32_e32 v33, 0
	s_waitcnt vmcnt(0)
	v_and_b32_e32 v2, 0xffff, v34
	v_cmp_ne_u16_sdwa s[0:1], v34, v3 src0_sel:BYTE_0 src1_sel:DWORD
	v_mov_b32_e32 v34, 0
	s_and_saveexec_b64 s[40:41], s[0:1]
	s_cbranch_execz .LBB238_72
; %bb.67:                               ;   in Loop: Header=BB238_13 Depth=1
	v_cmp_ne_u16_sdwa s[0:1], v2, s52 src0_sel:BYTE_0 src1_sel:DWORD
	v_mov_b32_e32 v34, 0x8000
	s_and_saveexec_b64 s[42:43], s[0:1]
	s_cbranch_execz .LBB238_71
; %bb.68:                               ;   in Loop: Header=BB238_13 Depth=1
	v_and_b32_e32 v35, 0x7f, v2
	v_cmp_ne_u32_e64 s[0:1], s53, v35
	v_mov_b32_e32 v34, 0x7c01
	s_and_saveexec_b64 s[44:45], s[0:1]
	s_cbranch_execz .LBB238_70
; %bb.69:                               ;   in Loop: Header=BB238_13 Depth=1
	v_and_b32_e32 v34, 7, v2
	v_ffbh_u32_e32 v36, v34
	v_min_u32_e32 v39, 32, v36
	v_subrev_u32_e32 v36, 28, v39
	v_lshlrev_b64 v[36:37], v36, v[2:3]
	v_lshrrev_b32_e32 v38, 3, v35
	v_sub_u32_e32 v37, 29, v39
	v_cmp_gt_u32_e64 s[0:1], 8, v35
	v_and_b32_e32 v36, 7, v36
	s_nop 0
	v_cndmask_b32_e64 v35, v38, v37, s[0:1]
	v_lshl_add_u32 v35, v35, 10, v19
	v_lshlrev_b32_e32 v37, 8, v2
	v_and_b32_e32 v35, 0xfc00, v35
	v_cndmask_b32_e64 v34, v34, v36, s[0:1]
	v_and_or_b32 v35, v37, s54, v35
	v_lshl_or_b32 v34, v34, 7, v35
.LBB238_70:                             ;   in Loop: Header=BB238_13 Depth=1
	s_or_b64 exec, exec, s[44:45]
.LBB238_71:                             ;   in Loop: Header=BB238_13 Depth=1
	s_or_b64 exec, exec, s[42:43]
.LBB238_72:                             ;   in Loop: Header=BB238_13 Depth=1
	s_or_b64 exec, exec, s[40:41]
	v_lshrrev_b16_e32 v2, 8, v2
	v_cmp_ne_u16_e64 s[0:1], 0, v2
	s_and_saveexec_b64 s[40:41], s[0:1]
	s_cbranch_execz .LBB238_78
; %bb.73:                               ;   in Loop: Header=BB238_13 Depth=1
	v_cmp_ne_u16_e64 s[0:1], s52, v2
	v_bfrev_b32_e32 v33, 1
	s_and_saveexec_b64 s[42:43], s[0:1]
	s_cbranch_execz .LBB238_77
; %bb.74:                               ;   in Loop: Header=BB238_13 Depth=1
	v_and_b32_e32 v35, 0x7f, v2
	v_cmp_ne_u32_e64 s[0:1], s53, v35
	v_mov_b32_e32 v33, 0x7c010000
	s_and_saveexec_b64 s[44:45], s[0:1]
	s_cbranch_execz .LBB238_76
; %bb.75:                               ;   in Loop: Header=BB238_13 Depth=1
	v_and_b32_e32 v33, 7, v2
	v_ffbh_u32_e32 v36, v33
	v_min_u32_e32 v39, 32, v36
	v_subrev_u32_e32 v36, 28, v39
	v_lshlrev_b64 v[36:37], v36, v[2:3]
	v_lshrrev_b32_e32 v38, 3, v35
	v_sub_u32_e32 v37, 29, v39
	v_cmp_gt_u32_e64 s[0:1], 8, v35
	v_lshlrev_b32_e32 v2, 8, v2
	v_and_b32_e32 v36, 7, v36
	v_cndmask_b32_e64 v35, v38, v37, s[0:1]
	v_lshl_add_u32 v35, v35, 10, v19
	v_and_or_b32 v2, v2, s54, v35
	v_cndmask_b32_e64 v33, v33, v36, s[0:1]
	v_lshlrev_b32_e32 v2, 16, v2
	v_lshl_or_b32 v33, v33, 23, v2
.LBB238_76:                             ;   in Loop: Header=BB238_13 Depth=1
	s_or_b64 exec, exec, s[44:45]
.LBB238_77:                             ;   in Loop: Header=BB238_13 Depth=1
	s_or_b64 exec, exec, s[42:43]
.LBB238_78:                             ;   in Loop: Header=BB238_13 Depth=1
	s_or_b64 exec, exec, s[40:41]
	global_load_ushort v36, v[8:9], off offset:520
	v_mov_b32_e32 v35, 0
	s_waitcnt vmcnt(0)
	v_and_b32_e32 v2, 0xffff, v36
	v_cmp_ne_u16_sdwa s[0:1], v36, v3 src0_sel:BYTE_0 src1_sel:DWORD
	v_mov_b32_e32 v36, 0
	s_and_saveexec_b64 s[40:41], s[0:1]
	s_cbranch_execz .LBB238_84
; %bb.79:                               ;   in Loop: Header=BB238_13 Depth=1
	v_cmp_ne_u16_sdwa s[0:1], v2, s52 src0_sel:BYTE_0 src1_sel:DWORD
	v_mov_b32_e32 v36, 0x8000
	s_and_saveexec_b64 s[42:43], s[0:1]
	s_cbranch_execz .LBB238_83
; %bb.80:                               ;   in Loop: Header=BB238_13 Depth=1
	v_and_b32_e32 v37, 0x7f, v2
	v_cmp_ne_u32_e64 s[0:1], s53, v37
	v_mov_b32_e32 v36, 0x7c01
	s_and_saveexec_b64 s[44:45], s[0:1]
	s_cbranch_execz .LBB238_82
; %bb.81:                               ;   in Loop: Header=BB238_13 Depth=1
	v_and_b32_e32 v36, 7, v2
	v_ffbh_u32_e32 v38, v36
	v_min_u32_e32 v41, 32, v38
	v_subrev_u32_e32 v38, 28, v41
	v_lshlrev_b64 v[38:39], v38, v[2:3]
	v_lshrrev_b32_e32 v40, 3, v37
	v_sub_u32_e32 v39, 29, v41
	v_cmp_gt_u32_e64 s[0:1], 8, v37
	v_and_b32_e32 v38, 7, v38
	s_nop 0
	v_cndmask_b32_e64 v37, v40, v39, s[0:1]
	v_lshl_add_u32 v37, v37, 10, v19
	v_lshlrev_b32_e32 v39, 8, v2
	v_and_b32_e32 v37, 0xfc00, v37
	v_cndmask_b32_e64 v36, v36, v38, s[0:1]
	v_and_or_b32 v37, v39, s54, v37
	v_lshl_or_b32 v36, v36, 7, v37
.LBB238_82:                             ;   in Loop: Header=BB238_13 Depth=1
	s_or_b64 exec, exec, s[44:45]
.LBB238_83:                             ;   in Loop: Header=BB238_13 Depth=1
	s_or_b64 exec, exec, s[42:43]
.LBB238_84:                             ;   in Loop: Header=BB238_13 Depth=1
	s_or_b64 exec, exec, s[40:41]
	v_lshrrev_b16_e32 v2, 8, v2
	v_cmp_ne_u16_e64 s[0:1], 0, v2
	s_and_saveexec_b64 s[40:41], s[0:1]
	s_cbranch_execz .LBB238_90
; %bb.85:                               ;   in Loop: Header=BB238_13 Depth=1
	v_cmp_ne_u16_e64 s[0:1], s52, v2
	v_bfrev_b32_e32 v35, 1
	s_and_saveexec_b64 s[42:43], s[0:1]
	s_cbranch_execz .LBB238_89
; %bb.86:                               ;   in Loop: Header=BB238_13 Depth=1
	v_and_b32_e32 v37, 0x7f, v2
	v_cmp_ne_u32_e64 s[0:1], s53, v37
	v_mov_b32_e32 v35, 0x7c010000
	s_and_saveexec_b64 s[44:45], s[0:1]
	s_cbranch_execz .LBB238_88
; %bb.87:                               ;   in Loop: Header=BB238_13 Depth=1
	v_and_b32_e32 v35, 7, v2
	v_ffbh_u32_e32 v38, v35
	v_min_u32_e32 v41, 32, v38
	v_subrev_u32_e32 v38, 28, v41
	v_lshlrev_b64 v[38:39], v38, v[2:3]
	v_lshrrev_b32_e32 v40, 3, v37
	v_sub_u32_e32 v39, 29, v41
	v_cmp_gt_u32_e64 s[0:1], 8, v37
	v_lshlrev_b32_e32 v2, 8, v2
	v_and_b32_e32 v38, 7, v38
	v_cndmask_b32_e64 v37, v40, v39, s[0:1]
	v_lshl_add_u32 v37, v37, 10, v19
	v_and_or_b32 v2, v2, s54, v37
	v_cndmask_b32_e64 v35, v35, v38, s[0:1]
	v_lshlrev_b32_e32 v2, 16, v2
	v_lshl_or_b32 v35, v35, 23, v2
.LBB238_88:                             ;   in Loop: Header=BB238_13 Depth=1
	s_or_b64 exec, exec, s[44:45]
.LBB238_89:                             ;   in Loop: Header=BB238_13 Depth=1
	s_or_b64 exec, exec, s[42:43]
.LBB238_90:                             ;   in Loop: Header=BB238_13 Depth=1
	s_or_b64 exec, exec, s[40:41]
	global_load_ushort v38, v[8:9], off offset:768
	v_mov_b32_e32 v37, 0
	s_waitcnt vmcnt(0)
	v_and_b32_e32 v2, 0xffff, v38
	v_cmp_ne_u16_sdwa s[0:1], v38, v3 src0_sel:BYTE_0 src1_sel:DWORD
	v_mov_b32_e32 v38, 0
	s_and_saveexec_b64 s[40:41], s[0:1]
	s_cbranch_execz .LBB238_96
; %bb.91:                               ;   in Loop: Header=BB238_13 Depth=1
	v_cmp_ne_u16_sdwa s[0:1], v2, s52 src0_sel:BYTE_0 src1_sel:DWORD
	v_mov_b32_e32 v38, 0x8000
	s_and_saveexec_b64 s[42:43], s[0:1]
	s_cbranch_execz .LBB238_95
; %bb.92:                               ;   in Loop: Header=BB238_13 Depth=1
	v_and_b32_e32 v39, 0x7f, v2
	v_cmp_ne_u32_e64 s[0:1], s53, v39
	v_mov_b32_e32 v38, 0x7c01
	s_and_saveexec_b64 s[44:45], s[0:1]
	s_cbranch_execz .LBB238_94
; %bb.93:                               ;   in Loop: Header=BB238_13 Depth=1
	v_and_b32_e32 v38, 7, v2
	v_ffbh_u32_e32 v40, v38
	v_min_u32_e32 v43, 32, v40
	v_subrev_u32_e32 v40, 28, v43
	v_lshlrev_b64 v[40:41], v40, v[2:3]
	v_lshrrev_b32_e32 v42, 3, v39
	v_sub_u32_e32 v41, 29, v43
	v_cmp_gt_u32_e64 s[0:1], 8, v39
	v_and_b32_e32 v40, 7, v40
	s_nop 0
	v_cndmask_b32_e64 v39, v42, v41, s[0:1]
	v_lshl_add_u32 v39, v39, 10, v19
	v_lshlrev_b32_e32 v41, 8, v2
	v_and_b32_e32 v39, 0xfc00, v39
	v_cndmask_b32_e64 v38, v38, v40, s[0:1]
	v_and_or_b32 v39, v41, s54, v39
	v_lshl_or_b32 v38, v38, 7, v39
.LBB238_94:                             ;   in Loop: Header=BB238_13 Depth=1
	s_or_b64 exec, exec, s[44:45]
.LBB238_95:                             ;   in Loop: Header=BB238_13 Depth=1
	s_or_b64 exec, exec, s[42:43]
.LBB238_96:                             ;   in Loop: Header=BB238_13 Depth=1
	s_or_b64 exec, exec, s[40:41]
	v_lshrrev_b16_e32 v2, 8, v2
	v_cmp_ne_u16_e64 s[0:1], 0, v2
	s_and_saveexec_b64 s[40:41], s[0:1]
	s_cbranch_execz .LBB238_102
; %bb.97:                               ;   in Loop: Header=BB238_13 Depth=1
	v_cmp_ne_u16_e64 s[0:1], s52, v2
	v_bfrev_b32_e32 v37, 1
	s_and_saveexec_b64 s[42:43], s[0:1]
	s_cbranch_execz .LBB238_101
; %bb.98:                               ;   in Loop: Header=BB238_13 Depth=1
	v_and_b32_e32 v39, 0x7f, v2
	v_cmp_ne_u32_e64 s[0:1], s53, v39
	v_mov_b32_e32 v37, 0x7c010000
	s_and_saveexec_b64 s[44:45], s[0:1]
	s_cbranch_execz .LBB238_100
; %bb.99:                               ;   in Loop: Header=BB238_13 Depth=1
	v_and_b32_e32 v37, 7, v2
	v_ffbh_u32_e32 v40, v37
	v_min_u32_e32 v43, 32, v40
	v_subrev_u32_e32 v40, 28, v43
	v_lshlrev_b64 v[40:41], v40, v[2:3]
	v_lshrrev_b32_e32 v42, 3, v39
	v_sub_u32_e32 v41, 29, v43
	v_cmp_gt_u32_e64 s[0:1], 8, v39
	v_lshlrev_b32_e32 v2, 8, v2
	v_and_b32_e32 v40, 7, v40
	v_cndmask_b32_e64 v39, v42, v41, s[0:1]
	v_lshl_add_u32 v39, v39, 10, v19
	v_and_or_b32 v2, v2, s54, v39
	v_cndmask_b32_e64 v37, v37, v40, s[0:1]
	v_lshlrev_b32_e32 v2, 16, v2
	v_lshl_or_b32 v37, v37, 23, v2
.LBB238_100:                            ;   in Loop: Header=BB238_13 Depth=1
	s_or_b64 exec, exec, s[44:45]
.LBB238_101:                            ;   in Loop: Header=BB238_13 Depth=1
	s_or_b64 exec, exec, s[42:43]
.LBB238_102:                            ;   in Loop: Header=BB238_13 Depth=1
	s_or_b64 exec, exec, s[40:41]
	global_load_ushort v40, v[8:9], off offset:776
	v_mov_b32_e32 v39, 0
	s_waitcnt vmcnt(0)
	v_and_b32_e32 v2, 0xffff, v40
	v_cmp_ne_u16_sdwa s[0:1], v40, v3 src0_sel:BYTE_0 src1_sel:DWORD
	v_mov_b32_e32 v40, 0
	s_and_saveexec_b64 s[40:41], s[0:1]
	s_cbranch_execz .LBB238_108
; %bb.103:                              ;   in Loop: Header=BB238_13 Depth=1
	v_cmp_ne_u16_sdwa s[0:1], v2, s52 src0_sel:BYTE_0 src1_sel:DWORD
	v_mov_b32_e32 v40, 0x8000
	s_and_saveexec_b64 s[42:43], s[0:1]
	s_cbranch_execz .LBB238_107
; %bb.104:                              ;   in Loop: Header=BB238_13 Depth=1
	v_and_b32_e32 v41, 0x7f, v2
	v_cmp_ne_u32_e64 s[0:1], s53, v41
	v_mov_b32_e32 v40, 0x7c01
	s_and_saveexec_b64 s[44:45], s[0:1]
	s_cbranch_execz .LBB238_106
; %bb.105:                              ;   in Loop: Header=BB238_13 Depth=1
	v_and_b32_e32 v40, 7, v2
	v_ffbh_u32_e32 v42, v40
	v_min_u32_e32 v45, 32, v42
	v_subrev_u32_e32 v42, 28, v45
	v_lshlrev_b64 v[42:43], v42, v[2:3]
	v_lshrrev_b32_e32 v44, 3, v41
	v_sub_u32_e32 v43, 29, v45
	v_cmp_gt_u32_e64 s[0:1], 8, v41
	v_and_b32_e32 v42, 7, v42
	s_nop 0
	v_cndmask_b32_e64 v41, v44, v43, s[0:1]
	v_lshl_add_u32 v41, v41, 10, v19
	v_lshlrev_b32_e32 v43, 8, v2
	v_and_b32_e32 v41, 0xfc00, v41
	v_cndmask_b32_e64 v40, v40, v42, s[0:1]
	v_and_or_b32 v41, v43, s54, v41
	v_lshl_or_b32 v40, v40, 7, v41
.LBB238_106:                            ;   in Loop: Header=BB238_13 Depth=1
	s_or_b64 exec, exec, s[44:45]
.LBB238_107:                            ;   in Loop: Header=BB238_13 Depth=1
	s_or_b64 exec, exec, s[42:43]
.LBB238_108:                            ;   in Loop: Header=BB238_13 Depth=1
	s_or_b64 exec, exec, s[40:41]
	v_lshrrev_b16_e32 v2, 8, v2
	v_cmp_ne_u16_e64 s[0:1], 0, v2
	s_and_saveexec_b64 s[40:41], s[0:1]
	s_cbranch_execz .LBB238_114
; %bb.109:                              ;   in Loop: Header=BB238_13 Depth=1
	v_cmp_ne_u16_e64 s[0:1], s52, v2
	v_bfrev_b32_e32 v39, 1
	s_and_saveexec_b64 s[42:43], s[0:1]
	s_cbranch_execz .LBB238_113
; %bb.110:                              ;   in Loop: Header=BB238_13 Depth=1
	v_and_b32_e32 v41, 0x7f, v2
	v_cmp_ne_u32_e64 s[0:1], s53, v41
	v_mov_b32_e32 v39, 0x7c010000
	s_and_saveexec_b64 s[44:45], s[0:1]
	s_cbranch_execz .LBB238_112
; %bb.111:                              ;   in Loop: Header=BB238_13 Depth=1
	v_and_b32_e32 v39, 7, v2
	v_ffbh_u32_e32 v42, v39
	v_min_u32_e32 v45, 32, v42
	v_subrev_u32_e32 v42, 28, v45
	v_lshlrev_b64 v[42:43], v42, v[2:3]
	v_lshrrev_b32_e32 v44, 3, v41
	v_sub_u32_e32 v43, 29, v45
	v_cmp_gt_u32_e64 s[0:1], 8, v41
	v_lshlrev_b32_e32 v2, 8, v2
	v_and_b32_e32 v42, 7, v42
	v_cndmask_b32_e64 v41, v44, v43, s[0:1]
	v_lshl_add_u32 v41, v41, 10, v19
	v_and_or_b32 v2, v2, s54, v41
	v_cndmask_b32_e64 v39, v39, v42, s[0:1]
	v_lshlrev_b32_e32 v2, 16, v2
	v_lshl_or_b32 v39, v39, 23, v2
.LBB238_112:                            ;   in Loop: Header=BB238_13 Depth=1
	s_or_b64 exec, exec, s[44:45]
.LBB238_113:                            ;   in Loop: Header=BB238_13 Depth=1
	s_or_b64 exec, exec, s[42:43]
.LBB238_114:                            ;   in Loop: Header=BB238_13 Depth=1
	s_or_b64 exec, exec, s[40:41]
	global_load_ushort v42, v[8:9], off offset:1024
	v_mov_b32_e32 v41, 0
	s_waitcnt vmcnt(0)
	v_and_b32_e32 v2, 0xffff, v42
	v_cmp_ne_u16_sdwa s[0:1], v42, v3 src0_sel:BYTE_0 src1_sel:DWORD
	v_mov_b32_e32 v42, 0
	s_and_saveexec_b64 s[40:41], s[0:1]
	s_cbranch_execz .LBB238_120
; %bb.115:                              ;   in Loop: Header=BB238_13 Depth=1
	v_cmp_ne_u16_sdwa s[0:1], v2, s52 src0_sel:BYTE_0 src1_sel:DWORD
	v_mov_b32_e32 v42, 0x8000
	s_and_saveexec_b64 s[42:43], s[0:1]
	s_cbranch_execz .LBB238_119
; %bb.116:                              ;   in Loop: Header=BB238_13 Depth=1
	v_and_b32_e32 v43, 0x7f, v2
	v_cmp_ne_u32_e64 s[0:1], s53, v43
	v_mov_b32_e32 v42, 0x7c01
	s_and_saveexec_b64 s[44:45], s[0:1]
	s_cbranch_execz .LBB238_118
; %bb.117:                              ;   in Loop: Header=BB238_13 Depth=1
	v_and_b32_e32 v42, 7, v2
	v_ffbh_u32_e32 v44, v42
	v_min_u32_e32 v47, 32, v44
	v_subrev_u32_e32 v44, 28, v47
	v_lshlrev_b64 v[44:45], v44, v[2:3]
	v_lshrrev_b32_e32 v46, 3, v43
	v_sub_u32_e32 v45, 29, v47
	v_cmp_gt_u32_e64 s[0:1], 8, v43
	v_and_b32_e32 v44, 7, v44
	s_nop 0
	v_cndmask_b32_e64 v43, v46, v45, s[0:1]
	v_lshl_add_u32 v43, v43, 10, v19
	v_lshlrev_b32_e32 v45, 8, v2
	v_and_b32_e32 v43, 0xfc00, v43
	v_cndmask_b32_e64 v42, v42, v44, s[0:1]
	v_and_or_b32 v43, v45, s54, v43
	v_lshl_or_b32 v42, v42, 7, v43
.LBB238_118:                            ;   in Loop: Header=BB238_13 Depth=1
	s_or_b64 exec, exec, s[44:45]
.LBB238_119:                            ;   in Loop: Header=BB238_13 Depth=1
	s_or_b64 exec, exec, s[42:43]
.LBB238_120:                            ;   in Loop: Header=BB238_13 Depth=1
	s_or_b64 exec, exec, s[40:41]
	v_lshrrev_b16_e32 v2, 8, v2
	v_cmp_ne_u16_e64 s[0:1], 0, v2
	s_and_saveexec_b64 s[40:41], s[0:1]
	s_cbranch_execz .LBB238_126
; %bb.121:                              ;   in Loop: Header=BB238_13 Depth=1
	v_cmp_ne_u16_e64 s[0:1], s52, v2
	v_bfrev_b32_e32 v41, 1
	s_and_saveexec_b64 s[42:43], s[0:1]
	s_cbranch_execz .LBB238_125
; %bb.122:                              ;   in Loop: Header=BB238_13 Depth=1
	v_and_b32_e32 v43, 0x7f, v2
	v_cmp_ne_u32_e64 s[0:1], s53, v43
	v_mov_b32_e32 v41, 0x7c010000
	s_and_saveexec_b64 s[44:45], s[0:1]
	s_cbranch_execz .LBB238_124
; %bb.123:                              ;   in Loop: Header=BB238_13 Depth=1
	v_and_b32_e32 v41, 7, v2
	v_ffbh_u32_e32 v44, v41
	v_min_u32_e32 v47, 32, v44
	v_subrev_u32_e32 v44, 28, v47
	v_lshlrev_b64 v[44:45], v44, v[2:3]
	v_lshrrev_b32_e32 v46, 3, v43
	v_sub_u32_e32 v45, 29, v47
	v_cmp_gt_u32_e64 s[0:1], 8, v43
	v_lshlrev_b32_e32 v2, 8, v2
	v_and_b32_e32 v44, 7, v44
	v_cndmask_b32_e64 v43, v46, v45, s[0:1]
	v_lshl_add_u32 v43, v43, 10, v19
	v_and_or_b32 v2, v2, s54, v43
	v_cndmask_b32_e64 v41, v41, v44, s[0:1]
	v_lshlrev_b32_e32 v2, 16, v2
	v_lshl_or_b32 v41, v41, 23, v2
.LBB238_124:                            ;   in Loop: Header=BB238_13 Depth=1
	s_or_b64 exec, exec, s[44:45]
.LBB238_125:                            ;   in Loop: Header=BB238_13 Depth=1
	s_or_b64 exec, exec, s[42:43]
.LBB238_126:                            ;   in Loop: Header=BB238_13 Depth=1
	s_or_b64 exec, exec, s[40:41]
	global_load_ushort v44, v[8:9], off offset:1032
	v_mov_b32_e32 v43, 0
	s_waitcnt vmcnt(0)
	v_and_b32_e32 v2, 0xffff, v44
	v_cmp_ne_u16_sdwa s[0:1], v44, v3 src0_sel:BYTE_0 src1_sel:DWORD
	v_mov_b32_e32 v44, 0
	s_and_saveexec_b64 s[40:41], s[0:1]
	s_cbranch_execz .LBB238_132
; %bb.127:                              ;   in Loop: Header=BB238_13 Depth=1
	v_cmp_ne_u16_sdwa s[0:1], v2, s52 src0_sel:BYTE_0 src1_sel:DWORD
	v_mov_b32_e32 v44, 0x8000
	s_and_saveexec_b64 s[42:43], s[0:1]
	s_cbranch_execz .LBB238_131
; %bb.128:                              ;   in Loop: Header=BB238_13 Depth=1
	v_and_b32_e32 v45, 0x7f, v2
	v_cmp_ne_u32_e64 s[0:1], s53, v45
	v_mov_b32_e32 v44, 0x7c01
	s_and_saveexec_b64 s[44:45], s[0:1]
	s_cbranch_execz .LBB238_130
; %bb.129:                              ;   in Loop: Header=BB238_13 Depth=1
	v_and_b32_e32 v44, 7, v2
	v_ffbh_u32_e32 v46, v44
	v_min_u32_e32 v49, 32, v46
	v_subrev_u32_e32 v46, 28, v49
	v_lshlrev_b64 v[46:47], v46, v[2:3]
	v_lshrrev_b32_e32 v48, 3, v45
	v_sub_u32_e32 v47, 29, v49
	v_cmp_gt_u32_e64 s[0:1], 8, v45
	v_and_b32_e32 v46, 7, v46
	s_nop 0
	v_cndmask_b32_e64 v45, v48, v47, s[0:1]
	v_lshl_add_u32 v45, v45, 10, v19
	v_lshlrev_b32_e32 v47, 8, v2
	v_and_b32_e32 v45, 0xfc00, v45
	v_cndmask_b32_e64 v44, v44, v46, s[0:1]
	v_and_or_b32 v45, v47, s54, v45
	v_lshl_or_b32 v44, v44, 7, v45
.LBB238_130:                            ;   in Loop: Header=BB238_13 Depth=1
	s_or_b64 exec, exec, s[44:45]
.LBB238_131:                            ;   in Loop: Header=BB238_13 Depth=1
	s_or_b64 exec, exec, s[42:43]
.LBB238_132:                            ;   in Loop: Header=BB238_13 Depth=1
	s_or_b64 exec, exec, s[40:41]
	v_lshrrev_b16_e32 v2, 8, v2
	v_cmp_ne_u16_e64 s[0:1], 0, v2
	s_and_saveexec_b64 s[40:41], s[0:1]
	s_cbranch_execz .LBB238_138
; %bb.133:                              ;   in Loop: Header=BB238_13 Depth=1
	v_cmp_ne_u16_e64 s[0:1], s52, v2
	v_bfrev_b32_e32 v43, 1
	s_and_saveexec_b64 s[42:43], s[0:1]
	s_cbranch_execz .LBB238_137
; %bb.134:                              ;   in Loop: Header=BB238_13 Depth=1
	v_and_b32_e32 v45, 0x7f, v2
	v_cmp_ne_u32_e64 s[0:1], s53, v45
	v_mov_b32_e32 v43, 0x7c010000
	s_and_saveexec_b64 s[44:45], s[0:1]
	s_cbranch_execz .LBB238_136
; %bb.135:                              ;   in Loop: Header=BB238_13 Depth=1
	v_and_b32_e32 v43, 7, v2
	v_ffbh_u32_e32 v46, v43
	v_min_u32_e32 v49, 32, v46
	v_subrev_u32_e32 v46, 28, v49
	v_lshlrev_b64 v[46:47], v46, v[2:3]
	v_lshrrev_b32_e32 v48, 3, v45
	v_sub_u32_e32 v47, 29, v49
	v_cmp_gt_u32_e64 s[0:1], 8, v45
	v_lshlrev_b32_e32 v2, 8, v2
	v_and_b32_e32 v46, 7, v46
	v_cndmask_b32_e64 v45, v48, v47, s[0:1]
	v_lshl_add_u32 v45, v45, 10, v19
	v_and_or_b32 v2, v2, s54, v45
	v_cndmask_b32_e64 v43, v43, v46, s[0:1]
	v_lshlrev_b32_e32 v2, 16, v2
	v_lshl_or_b32 v43, v43, 23, v2
.LBB238_136:                            ;   in Loop: Header=BB238_13 Depth=1
	s_or_b64 exec, exec, s[44:45]
.LBB238_137:                            ;   in Loop: Header=BB238_13 Depth=1
	s_or_b64 exec, exec, s[42:43]
.LBB238_138:                            ;   in Loop: Header=BB238_13 Depth=1
	s_or_b64 exec, exec, s[40:41]
	global_load_ushort v46, v[8:9], off offset:1280
	v_mov_b32_e32 v45, 0
	s_waitcnt vmcnt(0)
	v_and_b32_e32 v2, 0xffff, v46
	v_cmp_ne_u16_sdwa s[0:1], v46, v3 src0_sel:BYTE_0 src1_sel:DWORD
	v_mov_b32_e32 v46, 0
	s_and_saveexec_b64 s[40:41], s[0:1]
	s_cbranch_execz .LBB238_144
; %bb.139:                              ;   in Loop: Header=BB238_13 Depth=1
	v_cmp_ne_u16_sdwa s[0:1], v2, s52 src0_sel:BYTE_0 src1_sel:DWORD
	v_mov_b32_e32 v46, 0x8000
	s_and_saveexec_b64 s[42:43], s[0:1]
	s_cbranch_execz .LBB238_143
; %bb.140:                              ;   in Loop: Header=BB238_13 Depth=1
	v_and_b32_e32 v47, 0x7f, v2
	v_cmp_ne_u32_e64 s[0:1], s53, v47
	v_mov_b32_e32 v46, 0x7c01
	s_and_saveexec_b64 s[44:45], s[0:1]
	s_cbranch_execz .LBB238_142
; %bb.141:                              ;   in Loop: Header=BB238_13 Depth=1
	v_and_b32_e32 v46, 7, v2
	v_ffbh_u32_e32 v48, v46
	v_min_u32_e32 v51, 32, v48
	v_subrev_u32_e32 v48, 28, v51
	v_lshlrev_b64 v[48:49], v48, v[2:3]
	v_lshrrev_b32_e32 v50, 3, v47
	v_sub_u32_e32 v49, 29, v51
	v_cmp_gt_u32_e64 s[0:1], 8, v47
	v_and_b32_e32 v48, 7, v48
	s_nop 0
	v_cndmask_b32_e64 v47, v50, v49, s[0:1]
	v_lshl_add_u32 v47, v47, 10, v19
	v_lshlrev_b32_e32 v49, 8, v2
	v_and_b32_e32 v47, 0xfc00, v47
	v_cndmask_b32_e64 v46, v46, v48, s[0:1]
	v_and_or_b32 v47, v49, s54, v47
	v_lshl_or_b32 v46, v46, 7, v47
.LBB238_142:                            ;   in Loop: Header=BB238_13 Depth=1
	s_or_b64 exec, exec, s[44:45]
.LBB238_143:                            ;   in Loop: Header=BB238_13 Depth=1
	s_or_b64 exec, exec, s[42:43]
.LBB238_144:                            ;   in Loop: Header=BB238_13 Depth=1
	s_or_b64 exec, exec, s[40:41]
	v_lshrrev_b16_e32 v2, 8, v2
	v_cmp_ne_u16_e64 s[0:1], 0, v2
	s_and_saveexec_b64 s[40:41], s[0:1]
	s_cbranch_execz .LBB238_150
; %bb.145:                              ;   in Loop: Header=BB238_13 Depth=1
	v_cmp_ne_u16_e64 s[0:1], s52, v2
	v_bfrev_b32_e32 v45, 1
	s_and_saveexec_b64 s[42:43], s[0:1]
	s_cbranch_execz .LBB238_149
; %bb.146:                              ;   in Loop: Header=BB238_13 Depth=1
	v_and_b32_e32 v47, 0x7f, v2
	v_cmp_ne_u32_e64 s[0:1], s53, v47
	v_mov_b32_e32 v45, 0x7c010000
	s_and_saveexec_b64 s[44:45], s[0:1]
	s_cbranch_execz .LBB238_148
; %bb.147:                              ;   in Loop: Header=BB238_13 Depth=1
	v_and_b32_e32 v45, 7, v2
	v_ffbh_u32_e32 v48, v45
	v_min_u32_e32 v51, 32, v48
	v_subrev_u32_e32 v48, 28, v51
	v_lshlrev_b64 v[48:49], v48, v[2:3]
	v_lshrrev_b32_e32 v50, 3, v47
	v_sub_u32_e32 v49, 29, v51
	v_cmp_gt_u32_e64 s[0:1], 8, v47
	v_lshlrev_b32_e32 v2, 8, v2
	v_and_b32_e32 v48, 7, v48
	v_cndmask_b32_e64 v47, v50, v49, s[0:1]
	v_lshl_add_u32 v47, v47, 10, v19
	v_and_or_b32 v2, v2, s54, v47
	v_cndmask_b32_e64 v45, v45, v48, s[0:1]
	v_lshlrev_b32_e32 v2, 16, v2
	v_lshl_or_b32 v45, v45, 23, v2
.LBB238_148:                            ;   in Loop: Header=BB238_13 Depth=1
	s_or_b64 exec, exec, s[44:45]
.LBB238_149:                            ;   in Loop: Header=BB238_13 Depth=1
	s_or_b64 exec, exec, s[42:43]
.LBB238_150:                            ;   in Loop: Header=BB238_13 Depth=1
	s_or_b64 exec, exec, s[40:41]
	global_load_ushort v48, v[8:9], off offset:1288
	v_mov_b32_e32 v47, 0
	s_waitcnt vmcnt(0)
	v_and_b32_e32 v2, 0xffff, v48
	v_cmp_ne_u16_sdwa s[0:1], v48, v3 src0_sel:BYTE_0 src1_sel:DWORD
	v_mov_b32_e32 v48, 0
	s_and_saveexec_b64 s[40:41], s[0:1]
	s_cbranch_execz .LBB238_156
; %bb.151:                              ;   in Loop: Header=BB238_13 Depth=1
	v_cmp_ne_u16_sdwa s[0:1], v2, s52 src0_sel:BYTE_0 src1_sel:DWORD
	v_mov_b32_e32 v48, 0x8000
	s_and_saveexec_b64 s[42:43], s[0:1]
	s_cbranch_execz .LBB238_155
; %bb.152:                              ;   in Loop: Header=BB238_13 Depth=1
	v_and_b32_e32 v49, 0x7f, v2
	v_cmp_ne_u32_e64 s[0:1], s53, v49
	v_mov_b32_e32 v48, 0x7c01
	s_and_saveexec_b64 s[44:45], s[0:1]
	s_cbranch_execz .LBB238_154
; %bb.153:                              ;   in Loop: Header=BB238_13 Depth=1
	v_and_b32_e32 v48, 7, v2
	v_ffbh_u32_e32 v50, v48
	v_min_u32_e32 v53, 32, v50
	v_subrev_u32_e32 v50, 28, v53
	v_lshlrev_b64 v[50:51], v50, v[2:3]
	v_lshrrev_b32_e32 v52, 3, v49
	v_sub_u32_e32 v51, 29, v53
	v_cmp_gt_u32_e64 s[0:1], 8, v49
	v_and_b32_e32 v50, 7, v50
	s_nop 0
	v_cndmask_b32_e64 v49, v52, v51, s[0:1]
	v_lshl_add_u32 v49, v49, 10, v19
	v_lshlrev_b32_e32 v51, 8, v2
	v_and_b32_e32 v49, 0xfc00, v49
	v_cndmask_b32_e64 v48, v48, v50, s[0:1]
	v_and_or_b32 v49, v51, s54, v49
	v_lshl_or_b32 v48, v48, 7, v49
.LBB238_154:                            ;   in Loop: Header=BB238_13 Depth=1
	s_or_b64 exec, exec, s[44:45]
.LBB238_155:                            ;   in Loop: Header=BB238_13 Depth=1
	s_or_b64 exec, exec, s[42:43]
.LBB238_156:                            ;   in Loop: Header=BB238_13 Depth=1
	s_or_b64 exec, exec, s[40:41]
	v_lshrrev_b16_e32 v2, 8, v2
	v_cmp_ne_u16_e64 s[0:1], 0, v2
	s_and_saveexec_b64 s[40:41], s[0:1]
	s_cbranch_execz .LBB238_162
; %bb.157:                              ;   in Loop: Header=BB238_13 Depth=1
	v_cmp_ne_u16_e64 s[0:1], s52, v2
	v_bfrev_b32_e32 v47, 1
	s_and_saveexec_b64 s[42:43], s[0:1]
	s_cbranch_execz .LBB238_161
; %bb.158:                              ;   in Loop: Header=BB238_13 Depth=1
	v_and_b32_e32 v49, 0x7f, v2
	v_cmp_ne_u32_e64 s[0:1], s53, v49
	v_mov_b32_e32 v47, 0x7c010000
	s_and_saveexec_b64 s[44:45], s[0:1]
	s_cbranch_execz .LBB238_160
; %bb.159:                              ;   in Loop: Header=BB238_13 Depth=1
	v_and_b32_e32 v47, 7, v2
	v_ffbh_u32_e32 v50, v47
	v_min_u32_e32 v53, 32, v50
	v_subrev_u32_e32 v50, 28, v53
	v_lshlrev_b64 v[50:51], v50, v[2:3]
	v_lshrrev_b32_e32 v52, 3, v49
	v_sub_u32_e32 v51, 29, v53
	v_cmp_gt_u32_e64 s[0:1], 8, v49
	v_lshlrev_b32_e32 v2, 8, v2
	v_and_b32_e32 v50, 7, v50
	v_cndmask_b32_e64 v49, v52, v51, s[0:1]
	v_lshl_add_u32 v49, v49, 10, v19
	v_and_or_b32 v2, v2, s54, v49
	v_cndmask_b32_e64 v47, v47, v50, s[0:1]
	v_lshlrev_b32_e32 v2, 16, v2
	v_lshl_or_b32 v47, v47, 23, v2
.LBB238_160:                            ;   in Loop: Header=BB238_13 Depth=1
	s_or_b64 exec, exec, s[44:45]
.LBB238_161:                            ;   in Loop: Header=BB238_13 Depth=1
	s_or_b64 exec, exec, s[42:43]
.LBB238_162:                            ;   in Loop: Header=BB238_13 Depth=1
	s_or_b64 exec, exec, s[40:41]
	global_load_ushort v49, v[8:9], off offset:1536
	v_mov_b32_e32 v50, 0
	v_mov_b32_e32 v51, 0
	s_waitcnt vmcnt(0)
	v_and_b32_e32 v2, 0xffff, v49
	v_cmp_ne_u16_sdwa s[0:1], v49, v3 src0_sel:BYTE_0 src1_sel:DWORD
	s_and_saveexec_b64 s[40:41], s[0:1]
	s_cbranch_execz .LBB238_168
; %bb.163:                              ;   in Loop: Header=BB238_13 Depth=1
	v_cmp_ne_u16_sdwa s[0:1], v2, s52 src0_sel:BYTE_0 src1_sel:DWORD
	v_mov_b32_e32 v51, 0x8000
	s_and_saveexec_b64 s[42:43], s[0:1]
	s_cbranch_execz .LBB238_167
; %bb.164:                              ;   in Loop: Header=BB238_13 Depth=1
	v_and_b32_e32 v49, 0x7f, v2
	v_cmp_ne_u32_e64 s[0:1], s53, v49
	v_mov_b32_e32 v51, 0x7c01
	s_and_saveexec_b64 s[44:45], s[0:1]
	s_cbranch_execz .LBB238_166
; %bb.165:                              ;   in Loop: Header=BB238_13 Depth=1
	v_and_b32_e32 v51, 7, v2
	v_ffbh_u32_e32 v52, v51
	v_min_u32_e32 v55, 32, v52
	v_subrev_u32_e32 v52, 28, v55
	v_lshlrev_b64 v[52:53], v52, v[2:3]
	v_lshrrev_b32_e32 v54, 3, v49
	v_sub_u32_e32 v53, 29, v55
	v_cmp_gt_u32_e64 s[0:1], 8, v49
	v_and_b32_e32 v52, 7, v52
	s_nop 0
	v_cndmask_b32_e64 v49, v54, v53, s[0:1]
	v_lshl_add_u32 v49, v49, 10, v19
	v_lshlrev_b32_e32 v53, 8, v2
	v_and_b32_e32 v49, 0xfc00, v49
	v_cndmask_b32_e64 v51, v51, v52, s[0:1]
	v_and_or_b32 v49, v53, s54, v49
	v_lshl_or_b32 v51, v51, 7, v49
.LBB238_166:                            ;   in Loop: Header=BB238_13 Depth=1
	s_or_b64 exec, exec, s[44:45]
.LBB238_167:                            ;   in Loop: Header=BB238_13 Depth=1
	s_or_b64 exec, exec, s[42:43]
.LBB238_168:                            ;   in Loop: Header=BB238_13 Depth=1
	s_or_b64 exec, exec, s[40:41]
	v_lshrrev_b16_e32 v2, 8, v2
	v_cmp_ne_u16_e64 s[0:1], 0, v2
	s_and_saveexec_b64 s[40:41], s[0:1]
	s_cbranch_execz .LBB238_174
; %bb.169:                              ;   in Loop: Header=BB238_13 Depth=1
	v_cmp_ne_u16_e64 s[0:1], s52, v2
	v_bfrev_b32_e32 v50, 1
	s_and_saveexec_b64 s[42:43], s[0:1]
	s_cbranch_execz .LBB238_173
; %bb.170:                              ;   in Loop: Header=BB238_13 Depth=1
	v_and_b32_e32 v49, 0x7f, v2
	v_cmp_ne_u32_e64 s[0:1], s53, v49
	v_mov_b32_e32 v50, 0x7c010000
	s_and_saveexec_b64 s[44:45], s[0:1]
	s_cbranch_execz .LBB238_172
; %bb.171:                              ;   in Loop: Header=BB238_13 Depth=1
	v_and_b32_e32 v50, 7, v2
	v_ffbh_u32_e32 v52, v50
	v_min_u32_e32 v55, 32, v52
	v_subrev_u32_e32 v52, 28, v55
	v_lshlrev_b64 v[52:53], v52, v[2:3]
	v_lshrrev_b32_e32 v54, 3, v49
	v_sub_u32_e32 v53, 29, v55
	v_cmp_gt_u32_e64 s[0:1], 8, v49
	v_lshlrev_b32_e32 v2, 8, v2
	v_and_b32_e32 v52, 7, v52
	v_cndmask_b32_e64 v49, v54, v53, s[0:1]
	v_lshl_add_u32 v49, v49, 10, v19
	v_and_or_b32 v2, v2, s54, v49
	v_cndmask_b32_e64 v50, v50, v52, s[0:1]
	v_lshlrev_b32_e32 v2, 16, v2
	v_lshl_or_b32 v50, v50, 23, v2
.LBB238_172:                            ;   in Loop: Header=BB238_13 Depth=1
	s_or_b64 exec, exec, s[44:45]
.LBB238_173:                            ;   in Loop: Header=BB238_13 Depth=1
	s_or_b64 exec, exec, s[42:43]
.LBB238_174:                            ;   in Loop: Header=BB238_13 Depth=1
	s_or_b64 exec, exec, s[40:41]
	global_load_ushort v8, v[8:9], off offset:1544
	v_mov_b32_e32 v9, 0
	v_mov_b32_e32 v49, 0
	s_waitcnt vmcnt(0)
	v_and_b32_e32 v2, 0xffff, v8
	v_cmp_ne_u16_sdwa s[0:1], v8, v3 src0_sel:BYTE_0 src1_sel:DWORD
	s_and_saveexec_b64 s[40:41], s[0:1]
	s_cbranch_execz .LBB238_180
; %bb.175:                              ;   in Loop: Header=BB238_13 Depth=1
	v_cmp_ne_u16_sdwa s[0:1], v2, s52 src0_sel:BYTE_0 src1_sel:DWORD
	v_mov_b32_e32 v49, 0x8000
	s_and_saveexec_b64 s[42:43], s[0:1]
	s_cbranch_execz .LBB238_179
; %bb.176:                              ;   in Loop: Header=BB238_13 Depth=1
	v_and_b32_e32 v8, 0x7f, v2
	v_cmp_ne_u32_e64 s[0:1], s53, v8
	v_mov_b32_e32 v49, 0x7c01
	s_and_saveexec_b64 s[44:45], s[0:1]
	s_cbranch_execz .LBB238_178
; %bb.177:                              ;   in Loop: Header=BB238_13 Depth=1
	v_and_b32_e32 v49, 7, v2
	v_ffbh_u32_e32 v52, v49
	v_min_u32_e32 v55, 32, v52
	v_subrev_u32_e32 v52, 28, v55
	v_lshlrev_b64 v[52:53], v52, v[2:3]
	v_lshrrev_b32_e32 v54, 3, v8
	v_sub_u32_e32 v53, 29, v55
	v_cmp_gt_u32_e64 s[0:1], 8, v8
	v_and_b32_e32 v52, 7, v52
	s_nop 0
	v_cndmask_b32_e64 v8, v54, v53, s[0:1]
	v_lshl_add_u32 v8, v8, 10, v19
	v_lshlrev_b32_e32 v53, 8, v2
	v_and_b32_e32 v8, 0xfc00, v8
	v_cndmask_b32_e64 v49, v49, v52, s[0:1]
	v_and_or_b32 v8, v53, s54, v8
	v_lshl_or_b32 v49, v49, 7, v8
.LBB238_178:                            ;   in Loop: Header=BB238_13 Depth=1
	s_or_b64 exec, exec, s[44:45]
.LBB238_179:                            ;   in Loop: Header=BB238_13 Depth=1
	s_or_b64 exec, exec, s[42:43]
.LBB238_180:                            ;   in Loop: Header=BB238_13 Depth=1
	s_or_b64 exec, exec, s[40:41]
	v_lshrrev_b16_e32 v2, 8, v2
	v_cmp_ne_u16_e64 s[0:1], 0, v2
	s_and_saveexec_b64 s[40:41], s[0:1]
	s_cbranch_execz .LBB238_186
; %bb.181:                              ;   in Loop: Header=BB238_13 Depth=1
	v_cmp_ne_u16_e64 s[0:1], s52, v2
	v_bfrev_b32_e32 v9, 1
	s_and_saveexec_b64 s[42:43], s[0:1]
	s_cbranch_execz .LBB238_185
; %bb.182:                              ;   in Loop: Header=BB238_13 Depth=1
	v_and_b32_e32 v8, 0x7f, v2
	v_cmp_ne_u32_e64 s[0:1], s53, v8
	v_mov_b32_e32 v9, 0x7c010000
	s_and_saveexec_b64 s[44:45], s[0:1]
	s_cbranch_execz .LBB238_184
; %bb.183:                              ;   in Loop: Header=BB238_13 Depth=1
	v_and_b32_e32 v9, 7, v2
	v_ffbh_u32_e32 v52, v9
	v_min_u32_e32 v55, 32, v52
	v_subrev_u32_e32 v52, 28, v55
	v_lshlrev_b64 v[52:53], v52, v[2:3]
	v_lshrrev_b32_e32 v54, 3, v8
	v_sub_u32_e32 v53, 29, v55
	v_cmp_gt_u32_e64 s[0:1], 8, v8
	v_lshlrev_b32_e32 v2, 8, v2
	v_and_b32_e32 v52, 7, v52
	v_cndmask_b32_e64 v8, v54, v53, s[0:1]
	v_lshl_add_u32 v8, v8, 10, v19
	v_and_or_b32 v2, v2, s54, v8
	v_cndmask_b32_e64 v9, v9, v52, s[0:1]
	v_lshlrev_b32_e32 v2, 16, v2
	v_lshl_or_b32 v9, v9, 23, v2
.LBB238_184:                            ;   in Loop: Header=BB238_13 Depth=1
	s_or_b64 exec, exec, s[44:45]
.LBB238_185:                            ;   in Loop: Header=BB238_13 Depth=1
	s_or_b64 exec, exec, s[42:43]
.LBB238_186:                            ;   in Loop: Header=BB238_13 Depth=1
	s_or_b64 exec, exec, s[40:41]
	v_or_b32_e32 v2, v50, v51
	v_fma_mixlo_f16 v8, v22, v2, 0 op_sel_hi:[0,1,0]
	v_fma_mixlo_f16 v2, v22, v50, 0 op_sel:[0,1,0] op_sel_hi:[0,1,0]
	ds_read_b32 v50, v12
	v_or_b32_e32 v24, v23, v24
	v_fma_mixlo_f16 v24, v22, v24, 0 op_sel_hi:[0,1,0]
	v_fma_mixlo_f16 v23, v22, v23, 0 op_sel:[0,1,0] op_sel_hi:[0,1,0]
	v_and_b32_e32 v24, 0xffff, v24
	s_waitcnt lgkmcnt(0)
	v_lshrrev_b32_e32 v51, 16, v50
	v_and_b32_e32 v50, 0xffff, v50
	v_and_b32_e32 v23, 0xffff, v23
	;;#ASMSTART
	v_cvt_f32_f16 v50, v50;
	;;#ASMEND
	;;#ASMSTART
	v_cvt_f32_f16 v51, v51;
	;;#ASMEND
	;;#ASMSTART
	v_cvt_f32_f16 v24, v24;
	;;#ASMEND
	;;#ASMSTART
	v_cvt_f32_f16 v23, v23;
	;;#ASMEND
	ds_read_b32 v52, v12 offset:4
	v_or_b32_e32 v26, v25, v26
	v_fma_mixlo_f16 v26, v22, v26, 0 op_sel_hi:[0,1,0]
	v_fma_mixlo_f16 v25, v22, v25, 0 op_sel:[0,1,0] op_sel_hi:[0,1,0]
	v_and_b32_e32 v26, 0xffff, v26
	s_waitcnt lgkmcnt(0)
	v_lshrrev_b32_e32 v53, 16, v52
	v_and_b32_e32 v52, 0xffff, v52
	v_and_b32_e32 v25, 0xffff, v25
	;;#ASMSTART
	v_cvt_f32_f16 v52, v52;
	;;#ASMEND
	;;#ASMSTART
	v_cvt_f32_f16 v53, v53;
	;;#ASMEND
	;;#ASMSTART
	v_cvt_f32_f16 v26, v26;
	;;#ASMEND
	;;#ASMSTART
	v_cvt_f32_f16 v25, v25;
	;;#ASMEND
	ds_read_b32 v54, v12 offset:8
	v_or_b32_e32 v30, v27, v30
	v_fma_mixlo_f16 v30, v22, v30, 0 op_sel_hi:[0,1,0]
	v_fma_mixlo_f16 v27, v22, v27, 0 op_sel:[0,1,0] op_sel_hi:[0,1,0]
	v_and_b32_e32 v30, 0xffff, v30
	s_waitcnt lgkmcnt(0)
	v_lshrrev_b32_e32 v55, 16, v54
	v_and_b32_e32 v54, 0xffff, v54
	v_and_b32_e32 v27, 0xffff, v27
	;;#ASMSTART
	v_cvt_f32_f16 v54, v54;
	;;#ASMEND
	;;#ASMSTART
	v_cvt_f32_f16 v55, v55;
	;;#ASMEND
	;;#ASMSTART
	v_cvt_f32_f16 v30, v30;
	;;#ASMEND
	;;#ASMSTART
	v_cvt_f32_f16 v27, v27;
	;;#ASMEND
	ds_read_b32 v56, v12 offset:12
	v_or_b32_e32 v32, v31, v32
	v_fma_mixlo_f16 v32, v22, v32, 0 op_sel_hi:[0,1,0]
	v_fma_mixlo_f16 v31, v22, v31, 0 op_sel:[0,1,0] op_sel_hi:[0,1,0]
	v_and_b32_e32 v32, 0xffff, v32
	s_waitcnt lgkmcnt(0)
	v_lshrrev_b32_e32 v57, 16, v56
	v_and_b32_e32 v56, 0xffff, v56
	v_and_b32_e32 v31, 0xffff, v31
	;;#ASMSTART
	v_cvt_f32_f16 v56, v56;
	;;#ASMEND
	;;#ASMSTART
	v_cvt_f32_f16 v57, v57;
	;;#ASMEND
	;;#ASMSTART
	v_cvt_f32_f16 v32, v32;
	;;#ASMEND
	;;#ASMSTART
	v_cvt_f32_f16 v31, v31;
	;;#ASMEND
	ds_read_b32 v58, v12 offset:16
	v_or_b32_e32 v34, v33, v34
	v_fma_mixlo_f16 v34, v22, v34, 0 op_sel_hi:[0,1,0]
	v_fma_mixlo_f16 v33, v22, v33, 0 op_sel:[0,1,0] op_sel_hi:[0,1,0]
	v_and_b32_e32 v34, 0xffff, v34
	s_waitcnt lgkmcnt(0)
	v_lshrrev_b32_e32 v59, 16, v58
	v_and_b32_e32 v58, 0xffff, v58
	v_and_b32_e32 v33, 0xffff, v33
	;;#ASMSTART
	v_cvt_f32_f16 v58, v58;
	;;#ASMEND
	;;#ASMSTART
	v_cvt_f32_f16 v59, v59;
	;;#ASMEND
	;;#ASMSTART
	v_cvt_f32_f16 v34, v34;
	;;#ASMEND
	;;#ASMSTART
	v_cvt_f32_f16 v33, v33;
	;;#ASMEND
	ds_read_b32 v60, v12 offset:20
	v_or_b32_e32 v36, v35, v36
	v_fma_mixlo_f16 v36, v22, v36, 0 op_sel_hi:[0,1,0]
	v_fma_mixlo_f16 v35, v22, v35, 0 op_sel:[0,1,0] op_sel_hi:[0,1,0]
	v_and_b32_e32 v36, 0xffff, v36
	s_waitcnt lgkmcnt(0)
	v_lshrrev_b32_e32 v61, 16, v60
	v_and_b32_e32 v60, 0xffff, v60
	v_and_b32_e32 v35, 0xffff, v35
	;;#ASMSTART
	v_cvt_f32_f16 v60, v60;
	;;#ASMEND
	;;#ASMSTART
	v_cvt_f32_f16 v61, v61;
	;;#ASMEND
	;;#ASMSTART
	v_cvt_f32_f16 v36, v36;
	;;#ASMEND
	;;#ASMSTART
	v_cvt_f32_f16 v35, v35;
	;;#ASMEND
	ds_read_b32 v62, v12 offset:24
	v_or_b32_e32 v38, v37, v38
	v_fma_mixlo_f16 v38, v22, v38, 0 op_sel_hi:[0,1,0]
	v_fma_mixlo_f16 v37, v22, v37, 0 op_sel:[0,1,0] op_sel_hi:[0,1,0]
	v_and_b32_e32 v38, 0xffff, v38
	s_waitcnt lgkmcnt(0)
	v_lshrrev_b32_e32 v63, 16, v62
	v_and_b32_e32 v62, 0xffff, v62
	v_and_b32_e32 v37, 0xffff, v37
	;;#ASMSTART
	v_cvt_f32_f16 v62, v62;
	;;#ASMEND
	;;#ASMSTART
	v_cvt_f32_f16 v63, v63;
	;;#ASMEND
	;;#ASMSTART
	v_cvt_f32_f16 v38, v38;
	;;#ASMEND
	;;#ASMSTART
	v_cvt_f32_f16 v37, v37;
	;;#ASMEND
	ds_read_b32 v64, v12 offset:28
	v_or_b32_e32 v48, v47, v48
	v_or_b32_e32 v46, v45, v46
	;; [unrolled: 1-line block ×6, first 2 shown]
	v_fma_mixlo_f16 v48, v22, v48, 0 op_sel_hi:[0,1,0]
	v_fma_mixlo_f16 v47, v22, v47, 0 op_sel:[0,1,0] op_sel_hi:[0,1,0]
	v_fma_mixlo_f16 v46, v22, v46, 0 op_sel_hi:[0,1,0]
	v_fma_mixlo_f16 v45, v22, v45, 0 op_sel:[0,1,0] op_sel_hi:[0,1,0]
	;; [unrolled: 2-line block ×6, first 2 shown]
	v_mul_f32_e32 v22, v52, v26
	v_fmac_f32_e32 v22, v50, v24
	s_waitcnt lgkmcnt(0)
	v_lshrrev_b32_e32 v26, 16, v64
	v_and_b32_e32 v24, 0xffff, v64
	v_and_b32_e32 v40, 0xffff, v40
	;; [unrolled: 1-line block ×3, first 2 shown]
	;;#ASMSTART
	v_cvt_f32_f16 v24, v24;
	;;#ASMEND
	;;#ASMSTART
	v_cvt_f32_f16 v26, v26;
	;;#ASMEND
	;; [unrolled: 3-line block ×4, first 2 shown]
	ds_read_b32 v50, v12 offset:32
	v_mul_f32_e32 v25, v53, v25
	v_fmac_f32_e32 v25, v51, v23
	v_fmac_f32_e32 v22, v54, v30
	v_fmac_f32_e32 v25, v55, v27
	s_waitcnt lgkmcnt(0)
	v_lshrrev_b32_e32 v27, 16, v50
	v_and_b32_e32 v23, 0xffff, v50
	v_and_b32_e32 v30, 0xffff, v42
	v_and_b32_e32 v41, 0xffff, v41
	;;#ASMSTART
	v_cvt_f32_f16 v23, v23;
	;;#ASMEND
	;;#ASMSTART
	v_cvt_f32_f16 v27, v27;
	;;#ASMEND
	;;#ASMSTART
	v_cvt_f32_f16 v30, v30;
	;;#ASMEND
	;;#ASMSTART
	v_cvt_f32_f16 v41, v41;
	;;#ASMEND
	ds_read_b32 v42, v12 offset:36
	v_fmac_f32_e32 v22, v56, v32
	v_fmac_f32_e32 v25, v57, v31
	v_fmac_f32_e32 v22, v58, v34
	v_fmac_f32_e32 v25, v59, v33
	s_waitcnt lgkmcnt(0)
	v_lshrrev_b32_e32 v32, 16, v42
	v_and_b32_e32 v31, 0xffff, v42
	v_and_b32_e32 v33, 0xffff, v44
	v_and_b32_e32 v34, 0xffff, v43
	;;#ASMSTART
	v_cvt_f32_f16 v31, v31;
	;;#ASMEND
	;;#ASMSTART
	v_cvt_f32_f16 v32, v32;
	;;#ASMEND
	;;#ASMSTART
	v_cvt_f32_f16 v33, v33;
	;;#ASMEND
	;;#ASMSTART
	v_cvt_f32_f16 v34, v34;
	;;#ASMEND
	ds_read_b32 v42, v12 offset:40
	v_fmac_f32_e32 v22, v60, v36
	;; [unrolled: 22-line block ×4, first 2 shown]
	v_and_b32_e32 v8, 0xffff, v8
	v_and_b32_e32 v2, 0xffff, v2
	v_fmac_f32_e32 v25, v32, v34
	s_waitcnt lgkmcnt(0)
	v_lshrrev_b32_e32 v31, 16, v30
	v_and_b32_e32 v30, 0xffff, v30
	;;#ASMSTART
	v_cvt_f32_f16 v30, v30;
	;;#ASMEND
	;;#ASMSTART
	v_cvt_f32_f16 v31, v31;
	;;#ASMEND
	;; [unrolled: 3-line block ×4, first 2 shown]
	ds_read_b32 v32, v12 offset:52
	v_fmac_f32_e32 v22, v35, v37
	v_fmac_f32_e32 v25, v36, v38
	;; [unrolled: 1-line block ×6, first 2 shown]
	s_waitcnt lgkmcnt(0)
	v_lshrrev_b32_e32 v8, 16, v32
	v_and_b32_e32 v2, 0xffff, v32
	;;#ASMSTART
	v_cvt_f32_f16 v2, v2;
	;;#ASMEND
	;;#ASMSTART
	v_cvt_f32_f16 v8, v8;
	;;#ASMEND
	v_and_b32_e32 v23, 0xffff, v49
	v_and_b32_e32 v9, 0xffff, v9
	;;#ASMSTART
	v_cvt_f32_f16 v23, v23;
	;;#ASMEND
	;;#ASMSTART
	v_cvt_f32_f16 v9, v9;
	;;#ASMEND
	s_nop 0
	v_fmac_f32_e32 v25, v8, v9
	v_and_b32_e32 v8, 64, v20
	v_add_u32_e32 v8, 64, v8
	v_xor_b32_e32 v9, 2, v20
	v_cmp_lt_i32_e64 s[0:1], v9, v8
	v_fmac_f32_e32 v22, v2, v23
	v_add_f32_e32 v2, v22, v25
	v_cndmask_b32_e64 v9, v20, v9, s[0:1]
	v_lshlrev_b32_e32 v9, 2, v9
	ds_bpermute_b32 v9, v9, v2
	s_waitcnt lgkmcnt(0)
	v_add_f32_e32 v2, v2, v9
	v_xor_b32_e32 v9, 1, v20
	v_cmp_lt_i32_e64 s[0:1], v9, v8
	s_nop 1
	v_cndmask_b32_e64 v8, v20, v9, s[0:1]
	v_lshlrev_b32_e32 v8, 2, v8
	ds_bpermute_b32 v8, v8, v2
	s_and_saveexec_b64 s[40:41], vcc
	s_cbranch_execz .LBB238_11
; %bb.187:                              ;   in Loop: Header=BB238_13 Depth=1
	v_add_u32_e32 v9, v16, v15
	v_cvt_f32_i32_e32 v9, v9
	s_waitcnt lgkmcnt(0)
	v_add_f32_e32 v2, v2, v8
	v_add_u32_e32 v22, v11, v15
	v_cmp_gt_i32_e64 s[0:1], s33, v22
	v_mul_f32_e32 v8, s49, v9
	v_cndmask_b32_e64 v8, 0, v8, s[2:3]
	v_fmac_f32_e32 v8, s37, v2
	v_cndmask_b32_e64 v2, 0, v8, s[0:1]
	ds_write_b32 v17, v2
	v_max_f32_e32 v2, v13, v13
	v_max_f32_e32 v2, v2, v8
	v_cndmask_b32_e64 v13, v13, v2, s[0:1]
	s_branch .LBB238_11
.LBB238_188:
	s_or_b64 exec, exec, s[38:39]
.LBB238_189:
	s_or_b64 exec, exec, s[18:19]
	v_mbcnt_hi_u32_b32 v2, -1, v10
	v_and_b32_e32 v11, 64, v2
	v_add_u32_e32 v3, 64, v11
	v_xor_b32_e32 v4, 32, v2
	v_cmp_lt_i32_e32 vcc, v4, v3
	v_xor_b32_e32 v7, 16, v2
	v_max_f32_e32 v6, v13, v13
	v_cndmask_b32_e32 v4, v2, v4, vcc
	v_lshlrev_b32_e32 v5, 2, v4
	ds_bpermute_b32 v4, v5, v13
	v_cmp_lt_i32_e32 vcc, v7, v3
	s_waitcnt lgkmcnt(1)
	v_xor_b32_e32 v8, 8, v2
	v_xor_b32_e32 v10, 4, v2
	s_waitcnt lgkmcnt(0)
	v_max_f32_e32 v4, v4, v4
	v_max_f32_e32 v4, v6, v4
	v_cndmask_b32_e32 v6, v2, v7, vcc
	v_lshlrev_b32_e32 v6, 2, v6
	ds_bpermute_b32 v7, v6, v4
	v_cmp_lt_i32_e32 vcc, v8, v3
	s_waitcnt lgkmcnt(0)
	v_max_f32_e32 v7, v7, v7
	v_max_f32_e32 v4, v4, v7
	v_cndmask_b32_e32 v7, v2, v8, vcc
	v_lshlrev_b32_e32 v9, 2, v7
	ds_bpermute_b32 v7, v9, v4
	v_cmp_lt_i32_e32 vcc, v10, v3
	s_waitcnt lgkmcnt(0)
	v_max_f32_e32 v7, v7, v7
	v_max_f32_e32 v8, v4, v7
	v_cndmask_b32_e32 v4, v2, v10, vcc
	v_lshlrev_b32_e32 v10, 2, v4
	ds_bpermute_b32 v12, v10, v8
	v_and_b32_e32 v4, 63, v0
	v_cmp_eq_u32_e32 vcc, 0, v4
	v_lshlrev_b32_e32 v7, 2, v28
	s_and_saveexec_b64 s[0:1], vcc
	s_cbranch_execz .LBB238_191
; %bb.190:
	s_waitcnt lgkmcnt(0)
	v_max_f32_e32 v12, v12, v12
	v_max_f32_e32 v8, v8, v8
	;; [unrolled: 1-line block ×3, first 2 shown]
	ds_write_b32 v7, v8 offset:224
.LBB238_191:
	s_or_b64 exec, exec, s[0:1]
	v_cmp_gt_u32_e64 s[0:1], 2, v4
	s_waitcnt lgkmcnt(0)
	v_mov_b32_e32 v12, 0xff7fffff
	v_lshlrev_b32_e32 v8, 2, v4
	s_barrier
	s_and_saveexec_b64 s[2:3], s[0:1]
; %bb.192:
	ds_read_b32 v12, v8 offset:224
; %bb.193:
	s_or_b64 exec, exec, s[2:3]
	v_xor_b32_e32 v13, 1, v2
	v_cmp_lt_i32_e64 s[2:3], v13, v3
	v_lshlrev_b32_e32 v11, 2, v11
	s_nop 0
	v_cndmask_b32_e64 v13, v2, v13, s[2:3]
	v_lshlrev_b32_e32 v30, 2, v13
	s_waitcnt lgkmcnt(0)
	ds_bpermute_b32 v13, v30, v12
	v_max_f32_e32 v12, v12, v12
	s_lshl_b32 s2, s48, 4
	s_min_i32 s23, s2, s33
	v_cmp_gt_i32_e64 s[2:3], s23, v0
	s_waitcnt lgkmcnt(0)
	v_max_f32_e32 v13, v13, v13
	v_max_f32_e32 v12, v12, v13
	ds_bpermute_b32 v12, v11, v12
	v_mov_b32_e32 v11, 0
	s_and_saveexec_b64 s[12:13], s[2:3]
	s_cbranch_execz .LBB238_197
; %bb.194:
	v_mov_b32_e32 v11, 0xf0
	v_lshl_add_u32 v13, v0, 2, v11
	v_mov_b32_e32 v11, 0
	s_mov_b64 s[18:19], 0
	v_mov_b32_e32 v14, v0
.LBB238_195:                            ; =>This Inner Loop Header: Depth=1
	ds_read_b32 v15, v13
	v_add_u32_e32 v14, 0x80, v14
	v_cmp_le_i32_e64 s[8:9], s23, v14
	s_or_b64 s[18:19], s[8:9], s[18:19]
	s_waitcnt lgkmcnt(0)
	v_sub_f32_e32 v15, v15, v12
	v_mul_f32_e32 v15, 0x3fb8aa3b, v15
	v_exp_f32_e32 v15, v15
	ds_write_b32 v13, v15
	v_add_f32_e32 v11, v11, v15
	v_add_u32_e32 v13, 0x200, v13
	s_andn2_b64 exec, exec, s[18:19]
	s_cbranch_execnz .LBB238_195
; %bb.196:
	s_or_b64 exec, exec, s[18:19]
.LBB238_197:
	s_or_b64 exec, exec, s[12:13]
	ds_bpermute_b32 v5, v5, v11
	s_waitcnt lgkmcnt(0)
	v_add_f32_e32 v5, v11, v5
	ds_bpermute_b32 v6, v6, v5
	s_waitcnt lgkmcnt(0)
	v_add_f32_e32 v5, v5, v6
	ds_bpermute_b32 v6, v9, v5
	v_xor_b32_e32 v9, 2, v2
	v_cmp_lt_i32_e64 s[8:9], v9, v3
	s_waitcnt lgkmcnt(0)
	v_add_f32_e32 v5, v5, v6
	ds_bpermute_b32 v6, v10, v5
	v_cndmask_b32_e64 v3, v2, v9, s[8:9]
	v_lshlrev_b32_e32 v3, 2, v3
	s_waitcnt lgkmcnt(0)
	v_add_f32_e32 v5, v5, v6
	ds_bpermute_b32 v3, v3, v5
	s_waitcnt lgkmcnt(0)
	v_add_f32_e32 v3, v5, v3
	ds_bpermute_b32 v5, v30, v3
	s_waitcnt lgkmcnt(0)
	v_add_f32_e32 v3, v3, v5
	s_and_saveexec_b64 s[8:9], vcc
; %bb.198:
	ds_write_b32 v7, v3 offset:232
; %bb.199:
	s_or_b64 exec, exec, s[8:9]
	s_waitcnt lgkmcnt(0)
	s_barrier
	s_and_saveexec_b64 s[8:9], s[0:1]
; %bb.200:
	ds_read_b32 v3, v8 offset:232
; %bb.201:
	s_or_b64 exec, exec, s[8:9]
	s_waitcnt lgkmcnt(0)
	ds_bpermute_b32 v5, v30, v3
	v_lshlrev_b32_e32 v2, 2, v2
	v_and_b32_e32 v2, 0x100, v2
	s_waitcnt lgkmcnt(0)
	v_add_f32_e32 v3, v3, v5
	ds_bpermute_b32 v2, v2, v3
	s_and_saveexec_b64 s[0:1], s[2:3]
	s_cbranch_execz .LBB238_214
; %bb.202:
	s_waitcnt lgkmcnt(0)
	v_add_f32_e32 v2, 0x358637bd, v2
	v_div_scale_f32 v3, s[2:3], v2, v2, 1.0
	v_rcp_f32_e32 v5, v3
	v_div_scale_f32 v6, vcc, 1.0, v2, 1.0
	s_movk_i32 s2, 0x7f
	v_fma_f32 v7, -v3, v5, 1.0
	v_fmac_f32_e32 v5, v7, v5
	v_mul_f32_e32 v7, v6, v5
	v_fma_f32 v8, -v3, v7, v6
	v_fmac_f32_e32 v7, v8, v5
	v_fma_f32 v3, -v3, v7, v6
	v_div_fmas_f32 v3, v3, v5, v7
	v_xad_u32 v5, v0, -1, s23
	v_div_fixup_f32 v2, v3, v2, 1.0
	v_cmp_lt_u32_e32 vcc, s2, v5
	s_mov_b64 s[8:9], -1
	v_mov_b32_e32 v3, v0
	s_and_saveexec_b64 s[2:3], vcc
	s_cbranch_execz .LBB238_211
; %bb.203:
	v_lshrrev_b32_e32 v5, 7, v5
	v_add_u32_e32 v7, -1, v5
	v_lshrrev_b32_e32 v6, 1, v7
	v_mov_b32_e32 v3, v2
	v_add_u32_e32 v6, 1, v6
	v_cmp_lt_u32_e32 vcc, 13, v7
	v_mov_b32_e32 v9, 0
	s_and_saveexec_b64 s[8:9], vcc
	s_cbranch_execz .LBB238_207
; %bb.204:
	v_mov_b32_e32 v8, 0xf0
	v_and_b32_e32 v7, -8, v6
	v_lshl_add_u32 v8, v0, 2, v8
	s_mov_b32 s18, 0
	s_mov_b64 s[12:13], 0
.LBB238_205:                            ; =>This Inner Loop Header: Depth=1
	ds_read2st64_b32 v[10:11], v8 offset1:2
	ds_read2st64_b32 v[12:13], v8 offset0:4 offset1:6
	ds_read2st64_b32 v[14:15], v8 offset0:8 offset1:10
	;; [unrolled: 1-line block ×3, first 2 shown]
	v_add_u32_e32 v7, -8, v7
	s_waitcnt lgkmcnt(3)
	v_pk_mul_f32 v[10:11], v[2:3], v[10:11]
	s_waitcnt lgkmcnt(2)
	v_pk_mul_f32 v[12:13], v[2:3], v[12:13]
	ds_write2st64_b32 v8, v10, v11 offset1:2
	ds_write2st64_b32 v8, v12, v13 offset0:4 offset1:6
	ds_read2st64_b32 v[12:13], v8 offset0:16 offset1:18
	s_waitcnt lgkmcnt(4)
	v_pk_mul_f32 v[10:11], v[2:3], v[14:15]
	ds_write2st64_b32 v8, v10, v11 offset0:8 offset1:10
	s_waitcnt lgkmcnt(4)
	v_pk_mul_f32 v[10:11], v[2:3], v[16:17]
	ds_write2st64_b32 v8, v10, v11 offset0:12 offset1:14
	ds_read2st64_b32 v[10:11], v8 offset0:20 offset1:22
	s_waitcnt lgkmcnt(3)
	v_pk_mul_f32 v[12:13], v[2:3], v[12:13]
	ds_read2st64_b32 v[14:15], v8 offset0:24 offset1:26
	ds_write2st64_b32 v8, v12, v13 offset0:16 offset1:18
	ds_read2st64_b32 v[12:13], v8 offset0:28 offset1:30
	s_waitcnt lgkmcnt(3)
	v_pk_mul_f32 v[10:11], v[2:3], v[10:11]
	ds_write2st64_b32 v8, v10, v11 offset0:20 offset1:22
	s_waitcnt lgkmcnt(3)
	v_pk_mul_f32 v[10:11], v[2:3], v[14:15]
	ds_write2st64_b32 v8, v10, v11 offset0:24 offset1:26
	s_waitcnt lgkmcnt(2)
	v_pk_mul_f32 v[10:11], v[2:3], v[12:13]
	s_add_i32 s18, s18, 16
	v_cmp_eq_u32_e32 vcc, 0, v7
	ds_write2st64_b32 v8, v10, v11 offset0:28 offset1:30
	v_add_u32_e32 v8, 0x2000, v8
	s_or_b64 s[12:13], vcc, s[12:13]
	v_mov_b32_e32 v9, s18
	s_andn2_b64 exec, exec, s[12:13]
	s_cbranch_execnz .LBB238_205
; %bb.206:
	s_or_b64 exec, exec, s[12:13]
.LBB238_207:
	s_or_b64 exec, exec, s[8:9]
	v_and_b32_e32 v6, 7, v6
	v_cmp_ne_u32_e32 vcc, 0, v6
	s_and_saveexec_b64 s[8:9], vcc
	s_cbranch_execz .LBB238_210
; %bb.208:
	v_lshlrev_b32_e32 v7, 9, v9
	v_lshlrev_b32_e32 v8, 2, v0
	s_movk_i32 s12, 0xf0
	v_add3_u32 v7, v7, v8, s12
	s_mov_b64 s[12:13], 0
.LBB238_209:                            ; =>This Inner Loop Header: Depth=1
	ds_read2st64_b32 v[8:9], v7 offset1:2
	v_add_u32_e32 v6, -1, v6
	v_cmp_eq_u32_e32 vcc, 0, v6
	s_or_b64 s[12:13], vcc, s[12:13]
	s_waitcnt lgkmcnt(0)
	v_pk_mul_f32 v[8:9], v[2:3], v[8:9]
	ds_write2st64_b32 v7, v8, v9 offset1:2
	v_add_u32_e32 v7, 0x400, v7
	s_andn2_b64 exec, exec, s[12:13]
	s_cbranch_execnz .LBB238_209
.LBB238_210:
	s_or_b64 exec, exec, s[8:9]
	v_add_u32_e32 v5, 1, v5
	v_and_b32_e32 v6, 0x3fffffe, v5
	v_cmp_ne_u32_e32 vcc, v5, v6
	v_lshl_add_u32 v3, v6, 7, v0
	s_orn2_b64 s[8:9], vcc, exec
.LBB238_211:
	s_or_b64 exec, exec, s[2:3]
	s_and_b64 exec, exec, s[8:9]
	s_cbranch_execz .LBB238_214
; %bb.212:
	v_mov_b32_e32 v5, 0xf0
	v_lshl_add_u32 v5, v3, 2, v5
	s_mov_b64 s[2:3], 0
.LBB238_213:                            ; =>This Inner Loop Header: Depth=1
	ds_read_b32 v6, v5
	v_add_u32_e32 v3, 0x80, v3
	v_cmp_le_i32_e32 vcc, s23, v3
	s_or_b64 s[2:3], vcc, s[2:3]
	s_waitcnt lgkmcnt(0)
	v_mul_f32_e32 v6, v2, v6
	ds_write_b32 v5, v6
	v_add_u32_e32 v5, 0x200, v5
	s_andn2_b64 exec, exec, s[2:3]
	s_cbranch_execnz .LBB238_213
.LBB238_214:
	s_or_b64 exec, exec, s[0:1]
	v_lshrrev_b32_e32 v31, 1, v4
	s_waitcnt lgkmcnt(0)
	s_barrier
	s_and_saveexec_b64 s[0:1], s[6:7]
	s_xor_b64 s[0:1], exec, s[0:1]
; %bb.215:
	v_lshrrev_b32_e32 v31, 1, v4
                                        ; implicit-def: $vgpr29
                                        ; implicit-def: $vgpr28
                                        ; implicit-def: $vgpr1
; %bb.216:
	s_or_saveexec_b64 s[6:7], s[0:1]
	v_mov_b32_e32 v5, 0
	v_and_b32_e32 v32, 1, v0
	v_mov_b32_e32 v4, 0
	v_mov_b32_e32 v9, 0
	;; [unrolled: 1-line block ×3, first 2 shown]
	s_xor_b64 exec, exec, s[6:7]
	s_cbranch_execz .LBB238_424
; %bb.217:
	s_sub_i32 s37, s16, s21
	s_ashr_i32 s0, s20, 31
	s_add_u32 s8, s34, s20
	s_addc_u32 s9, s35, s0
	s_abs_i32 s35, s22
	v_cvt_f32_u32_e32 v4, s35
	v_lshlrev_b32_e32 v2, 3, v0
	v_or_b32_e32 v5, 0x60, v31
	s_movk_i32 s0, 0x70
	v_rcp_iflag_f32_e32 v4, v4
	v_and_b32_e32 v33, 8, v2
	v_cmp_gt_u32_e32 vcc, s0, v5
	s_sub_i32 s0, 0, s35
	v_mul_f32_e32 v4, 0x4f7ffffe, v4
	v_cvt_u32_f32_e32 v4, v4
	s_add_i32 s34, s48, -1
	v_lshl_or_b32 v10, v5, 4, v33
	v_and_b32_e32 v6, 60, v1
	v_mul_lo_u32 v5, s0, v4
	s_lshl_b64 s[0:1], s[30:31], 2
	s_add_u32 s0, s28, s0
	v_lshlrev_b32_e32 v1, 5, v32
	s_mov_b32 s12, -1
	v_mov_b32_e32 v7, 0
	v_mul_hi_u32 v5, v4, v5
	s_addc_u32 s1, s29, s1
	v_lshl_or_b32 v1, v28, 6, v1
	s_mov_b32 s38, s17
	s_mov_b32 s13, 0xffffff
	v_lshl_or_b32 v2, v31, 4, v33
	v_mov_b32_e32 v3, v7
	v_mov_b32_e32 v11, v7
	s_mov_b32 s39, s33
	v_add_u32_e32 v34, v4, v5
	v_lshl_add_u64 v[12:13], s[0:1], 0, v[6:7]
	v_add_u32_e32 v35, 0xf0, v1
	s_mov_b64 s[16:17], 0
	s_movk_i32 s40, 0x80
	s_movk_i32 s41, 0x7f
	s_mov_b32 s42, 0x8000
	v_mov_b32_e32 v36, 0x2000
	v_mov_b32_e32 v8, 0
	;; [unrolled: 1-line block ×5, first 2 shown]
	s_branch .LBB238_221
.LBB238_218:                            ;   in Loop: Header=BB238_221 Depth=1
	s_or_b64 exec, exec, s[2:3]
	;;#ASMSTART
	v_pk_mul_f16 v1, v43, v1;

	;;#ASMEND
	;;#ASMSTART
	v_pk_mul_f16 v6, v42, v16;

	;;#ASMEND
	;; [unrolled: 4-line block ×4, first 2 shown]
	s_nop 0
	;;#ASMSTART
	v_pk_add_f16 v1, v1, v6;

	;;#ASMEND
	s_nop 0
	;;#ASMSTART
	v_pk_add_f16 v1, v1, v14;

	;;#ASMEND
	;; [unrolled: 5-line block ×3, first 2 shown]
	s_nop 0
	v_lshrrev_b32_e32 v6, 16, v1
	v_and_b32_e32 v1, 0xffff, v1
	;;#ASMSTART
	v_cvt_f32_f16 v1, v1;
	;;#ASMEND
	;;#ASMSTART
	v_cvt_f32_f16 v6, v6;
	;;#ASMEND
	s_nop 0
	v_add_f32_e32 v1, v1, v6
	v_add_f32_e32 v5, v5, v1
.LBB238_219:                            ;   in Loop: Header=BB238_221 Depth=1
	s_or_b64 exec, exec, s[20:21]
	v_add_f32_e32 v1, v26, v27
	v_add_f32_e32 v9, v9, v1
	;; [unrolled: 1-line block ×6, first 2 shown]
.LBB238_220:                            ;   in Loop: Header=BB238_221 Depth=1
	s_or_b64 exec, exec, s[18:19]
	v_add_u32_e32 v28, 2, v28
	v_cmp_le_i32_e64 s[0:1], s48, v28
	v_lshl_add_u64 v[12:13], v[12:13], 0, 8
	v_add_u32_e32 v29, 32, v29
	s_or_b64 s[16:17], s[0:1], s[16:17]
	v_add_u32_e32 v35, 0x80, v35
	s_andn2_b64 exec, exec, s[16:17]
	s_cbranch_execz .LBB238_423
.LBB238_221:                            ; =>This Inner Loop Header: Depth=1
	v_mul_hi_u32 v1, v29, s46
	v_mul_lo_u32 v6, v1, s25
	v_sub_u32_e32 v6, v29, v6
	v_add_u32_e32 v14, 1, v1
	v_cmp_le_u32_e64 s[0:1], s25, v6
	s_nop 1
	v_cndmask_b32_e64 v1, v1, v14, s[0:1]
	v_subrev_u32_e32 v14, s25, v6
	v_cndmask_b32_e64 v6, v6, v14, s[0:1]
	v_add_u32_e32 v14, 1, v1
	v_cmp_le_u32_e64 s[0:1], s25, v6
	s_nop 1
	v_cndmask_b32_e64 v1, v1, v14, s[0:1]
	v_xor_b32_e32 v1, s47, v1
	v_subrev_u32_e32 v1, s47, v1
	v_add_u32_e32 v6, s36, v1
	v_sub_u32_e32 v15, 0, v6
	v_ashrrev_i32_e32 v14, 31, v6
	v_max_i32_e32 v6, v6, v15
	v_mul_hi_u32 v15, v6, v34
	v_mul_lo_u32 v15, v15, s35
	v_sub_u32_e32 v6, v6, v15
	v_subrev_u32_e32 v15, s35, v6
	v_cmp_le_u32_e64 s[0:1], s35, v6
	v_cmp_lt_i32_e64 s[2:3], s37, v1
	s_nop 0
	v_cndmask_b32_e64 v6, v6, v15, s[0:1]
	v_subrev_u32_e32 v15, s35, v6
	v_cmp_le_u32_e64 s[0:1], s35, v6
	s_nop 1
	v_cndmask_b32_e64 v6, v6, v15, s[0:1]
	v_xor_b32_e32 v6, v6, v14
	v_sub_u32_e32 v6, v6, v14
	v_cmp_eq_u32_e64 s[0:1], 0, v6
	s_or_b64 s[0:1], s[0:1], s[2:3]
	s_and_saveexec_b64 s[18:19], s[0:1]
	s_cbranch_execz .LBB238_220
; %bb.222:                              ;   in Loop: Header=BB238_221 Depth=1
	global_load_dword v1, v[12:13], off
	ds_read2_b64 v[14:17], v35 offset1:1
	ds_read2_b64 v[18:21], v35 offset0:2 offset1:3
	v_mov_b64_e32 v[22:23], s[8:9]
	s_waitcnt lgkmcnt(1)
	;;#ASMSTART
	v_cvt_f16_f32 v38, v14;

	;;#ASMEND
	;;#ASMSTART
	v_cvt_f16_f32 v39, v15;

	;;#ASMEND
	;; [unrolled: 4-line block ×4, first 2 shown]
	s_waitcnt lgkmcnt(0)
	;;#ASMSTART
	v_cvt_f16_f32 v44, v18;

	;;#ASMEND
	;;#ASMSTART
	v_cvt_f16_f32 v45, v19;

	;;#ASMEND
	;; [unrolled: 4-line block ×4, first 2 shown]
	v_mov_b32_e32 v19, 0
	s_waitcnt vmcnt(0)
	v_mad_i64_i32 v[14:15], s[0:1], v1, s38, v[22:23]
	v_lshl_add_u64 v[16:17], v[14:15], 0, v[2:3]
	global_load_dwordx2 v[20:21], v[16:17], off
	v_mov_b32_e32 v1, 0
	global_load_dword v18, v1, s[14:15]
	s_waitcnt vmcnt(1)
	v_cmp_ne_u16_sdwa s[0:1], v20, v7 src0_sel:BYTE_0 src1_sel:DWORD
	s_and_saveexec_b64 s[2:3], s[0:1]
	s_cbranch_execz .LBB238_228
; %bb.223:                              ;   in Loop: Header=BB238_221 Depth=1
	v_cmp_ne_u16_sdwa s[0:1], v20, s40 src0_sel:BYTE_0 src1_sel:DWORD
	v_mov_b32_e32 v19, 0x8000
	s_and_saveexec_b64 s[20:21], s[0:1]
	s_cbranch_execz .LBB238_227
; %bb.224:                              ;   in Loop: Header=BB238_221 Depth=1
	v_and_b32_e32 v6, 0x7f, v20
	v_cmp_ne_u32_e64 s[0:1], s41, v6
	v_mov_b32_e32 v19, 0x7c01
	s_and_saveexec_b64 s[22:23], s[0:1]
	s_cbranch_execz .LBB238_226
; %bb.225:                              ;   in Loop: Header=BB238_221 Depth=1
	v_and_b32_e32 v19, 7, v20
	v_ffbh_u32_e32 v22, v19
	v_min_u32_e32 v25, 32, v22
	v_subrev_u32_e32 v22, 28, v25
	v_lshlrev_b64 v[22:23], v22, v[20:21]
	v_lshrrev_b32_e32 v24, 3, v6
	v_sub_u32_e32 v23, 29, v25
	v_cmp_gt_u32_e64 s[0:1], 8, v6
	v_and_b32_e32 v22, 7, v22
	s_nop 0
	v_cndmask_b32_e64 v6, v24, v23, s[0:1]
	v_lshl_add_u32 v6, v6, 10, v36
	v_lshlrev_b32_e32 v23, 8, v20
	v_and_b32_e32 v6, 0xfc00, v6
	v_cndmask_b32_e64 v19, v19, v22, s[0:1]
	v_and_or_b32 v6, v23, s42, v6
	v_lshl_or_b32 v19, v19, 7, v6
.LBB238_226:                            ;   in Loop: Header=BB238_221 Depth=1
	s_or_b64 exec, exec, s[22:23]
.LBB238_227:                            ;   in Loop: Header=BB238_221 Depth=1
	s_or_b64 exec, exec, s[20:21]
.LBB238_228:                            ;   in Loop: Header=BB238_221 Depth=1
	s_or_b64 exec, exec, s[2:3]
	v_lshrrev_b16_e32 v6, 8, v20
	v_cmp_ne_u16_e64 s[0:1], 0, v6
	s_and_saveexec_b64 s[2:3], s[0:1]
	s_cbranch_execz .LBB238_234
; %bb.229:                              ;   in Loop: Header=BB238_221 Depth=1
	v_cmp_ne_u16_e64 s[0:1], s40, v6
	v_bfrev_b32_e32 v1, 1
	s_and_saveexec_b64 s[20:21], s[0:1]
	s_cbranch_execz .LBB238_233
; %bb.230:                              ;   in Loop: Header=BB238_221 Depth=1
	v_and_b32_e32 v22, 0x7f, v6
	v_cmp_ne_u32_e64 s[0:1], s41, v22
	v_mov_b32_e32 v1, 0x7c010000
	s_and_saveexec_b64 s[22:23], s[0:1]
	s_cbranch_execz .LBB238_232
; %bb.231:                              ;   in Loop: Header=BB238_221 Depth=1
	v_and_b32_e32 v1, 7, v6
	v_ffbh_u32_e32 v24, v1
	v_min_u32_e32 v26, 32, v24
	v_subrev_u32_e32 v24, 28, v26
	v_lshlrev_b64 v[24:25], v24, v[6:7]
	v_lshrrev_b32_e32 v23, 3, v22
	v_sub_u32_e32 v25, 29, v26
	v_cmp_gt_u32_e64 s[0:1], 8, v22
	v_lshlrev_b32_e32 v6, 8, v6
	s_nop 0
	v_cndmask_b32_e64 v22, v23, v25, s[0:1]
	v_lshl_add_u32 v22, v22, 10, v36
	v_and_b32_e32 v23, 7, v24
	v_and_or_b32 v6, v6, s42, v22
	v_cndmask_b32_e64 v1, v1, v23, s[0:1]
	v_lshlrev_b32_e32 v6, 16, v6
	v_lshl_or_b32 v1, v1, 23, v6
.LBB238_232:                            ;   in Loop: Header=BB238_221 Depth=1
	s_or_b64 exec, exec, s[22:23]
.LBB238_233:                            ;   in Loop: Header=BB238_221 Depth=1
	s_or_b64 exec, exec, s[20:21]
.LBB238_234:                            ;   in Loop: Header=BB238_221 Depth=1
	s_or_b64 exec, exec, s[2:3]
	v_lshrrev_b32_e32 v6, 16, v20
	v_cmp_ne_u16_sdwa s[0:1], v6, v7 src0_sel:BYTE_0 src1_sel:DWORD
	v_mov_b32_e32 v23, 0
	v_mov_b32_e32 v22, 0
	s_and_saveexec_b64 s[2:3], s[0:1]
	s_cbranch_execz .LBB238_240
; %bb.235:                              ;   in Loop: Header=BB238_221 Depth=1
	v_cmp_ne_u16_sdwa s[0:1], v6, s40 src0_sel:BYTE_0 src1_sel:DWORD
	v_mov_b32_e32 v22, 0x8000
	s_and_saveexec_b64 s[20:21], s[0:1]
	s_cbranch_execz .LBB238_239
; %bb.236:                              ;   in Loop: Header=BB238_221 Depth=1
	v_bfe_u32 v24, v20, 16, 7
	v_cmp_ne_u32_e64 s[0:1], s41, v24
	v_mov_b32_e32 v22, 0x7c01
	s_and_saveexec_b64 s[22:23], s[0:1]
	s_cbranch_execz .LBB238_238
; %bb.237:                              ;   in Loop: Header=BB238_221 Depth=1
	v_and_b32_e32 v22, 7, v6
	v_ffbh_u32_e32 v26, v22
	v_min_u32_e32 v37, 32, v26
	v_subrev_u32_e32 v26, 28, v37
	v_lshlrev_b64 v[26:27], v26, v[6:7]
	v_lshrrev_b32_e32 v25, 3, v24
	v_sub_u32_e32 v27, 29, v37
	v_cmp_gt_u32_e64 s[0:1], 8, v24
	v_lshlrev_b32_e32 v6, 8, v6
	s_nop 0
	v_cndmask_b32_e64 v24, v25, v27, s[0:1]
	v_lshl_add_u32 v24, v24, 10, v36
	v_and_b32_e32 v25, 7, v26
	v_and_b32_e32 v24, 0xfc00, v24
	v_cndmask_b32_e64 v22, v22, v25, s[0:1]
	v_and_or_b32 v6, v6, s42, v24
	v_lshl_or_b32 v22, v22, 7, v6
.LBB238_238:                            ;   in Loop: Header=BB238_221 Depth=1
	s_or_b64 exec, exec, s[22:23]
.LBB238_239:                            ;   in Loop: Header=BB238_221 Depth=1
	s_or_b64 exec, exec, s[20:21]
.LBB238_240:                            ;   in Loop: Header=BB238_221 Depth=1
	s_or_b64 exec, exec, s[2:3]
	v_cmp_lt_u32_e64 s[0:1], s13, v20
	s_and_saveexec_b64 s[2:3], s[0:1]
	s_cbranch_execz .LBB238_246
; %bb.241:                              ;   in Loop: Header=BB238_221 Depth=1
	v_lshrrev_b32_e32 v6, 24, v20
	v_cmp_ne_u32_e64 s[0:1], s40, v6
	v_bfrev_b32_e32 v23, 1
	s_and_saveexec_b64 s[20:21], s[0:1]
	s_cbranch_execz .LBB238_245
; %bb.242:                              ;   in Loop: Header=BB238_221 Depth=1
	v_and_b32_e32 v24, 0x7f, v6
	v_cmp_ne_u32_e64 s[0:1], s41, v24
	v_mov_b32_e32 v23, 0x7c010000
	s_and_saveexec_b64 s[22:23], s[0:1]
	s_cbranch_execz .LBB238_244
; %bb.243:                              ;   in Loop: Header=BB238_221 Depth=1
	v_and_b32_e32 v23, 7, v6
	v_ffbh_u32_e32 v26, v23
	v_min_u32_e32 v37, 32, v26
	v_subrev_u32_e32 v26, 28, v37
	v_lshlrev_b64 v[26:27], v26, v[6:7]
	v_lshrrev_b32_e32 v25, 3, v24
	v_sub_u32_e32 v27, 29, v37
	v_cmp_gt_u32_e64 s[0:1], 8, v24
	v_lshlrev_b32_e32 v6, 8, v6
	s_nop 0
	v_cndmask_b32_e64 v24, v25, v27, s[0:1]
	v_lshl_add_u32 v24, v24, 10, v36
	v_and_b32_e32 v25, 7, v26
	v_and_or_b32 v6, v6, s42, v24
	v_cndmask_b32_e64 v23, v23, v25, s[0:1]
	v_lshlrev_b32_e32 v6, 16, v6
	v_lshl_or_b32 v23, v23, 23, v6
.LBB238_244:                            ;   in Loop: Header=BB238_221 Depth=1
	s_or_b64 exec, exec, s[22:23]
.LBB238_245:                            ;   in Loop: Header=BB238_221 Depth=1
	s_or_b64 exec, exec, s[20:21]
.LBB238_246:                            ;   in Loop: Header=BB238_221 Depth=1
	s_or_b64 exec, exec, s[2:3]
	v_mov_b32_e32 v6, v21
	v_cmp_ne_u16_sdwa s[0:1], v21, v7 src0_sel:BYTE_0 src1_sel:DWORD
	v_mov_b32_e32 v24, 0
	v_mov_b32_e32 v25, 0
	s_and_saveexec_b64 s[2:3], s[0:1]
	s_cbranch_execz .LBB238_252
; %bb.247:                              ;   in Loop: Header=BB238_221 Depth=1
	v_cmp_ne_u16_sdwa s[0:1], v21, s40 src0_sel:BYTE_0 src1_sel:DWORD
	v_mov_b32_e32 v25, 0x8000
	s_and_saveexec_b64 s[20:21], s[0:1]
	s_cbranch_execz .LBB238_251
; %bb.248:                              ;   in Loop: Header=BB238_221 Depth=1
	v_and_b32_e32 v26, 0x7f, v21
	v_cmp_ne_u32_e64 s[0:1], s41, v26
	v_mov_b32_e32 v25, 0x7c01
	s_and_saveexec_b64 s[22:23], s[0:1]
	s_cbranch_execz .LBB238_250
; %bb.249:                              ;   in Loop: Header=BB238_221 Depth=1
	v_and_b32_e32 v25, 7, v21
	v_ffbh_u32_e32 v37, v25
	v_min_u32_e32 v37, 32, v37
	v_lshrrev_b32_e32 v27, 3, v26
	v_subrev_u32_e32 v42, 28, v37
	v_sub_u32_e32 v37, 29, v37
	v_cmp_gt_u32_e64 s[0:1], 8, v26
	v_lshlrev_b64 v[42:43], v42, v[6:7]
	s_nop 0
	v_cndmask_b32_e64 v26, v27, v37, s[0:1]
	v_lshl_add_u32 v26, v26, 10, v36
	v_lshlrev_b32_e32 v27, 8, v21
	v_and_b32_e32 v37, 7, v42
	v_and_b32_e32 v26, 0xfc00, v26
	v_cndmask_b32_e64 v25, v25, v37, s[0:1]
	v_and_or_b32 v26, v27, s42, v26
	v_lshl_or_b32 v25, v25, 7, v26
.LBB238_250:                            ;   in Loop: Header=BB238_221 Depth=1
	s_or_b64 exec, exec, s[22:23]
.LBB238_251:                            ;   in Loop: Header=BB238_221 Depth=1
	s_or_b64 exec, exec, s[20:21]
.LBB238_252:                            ;   in Loop: Header=BB238_221 Depth=1
	s_or_b64 exec, exec, s[2:3]
	v_lshrrev_b16_e32 v6, 8, v6
	v_cmp_ne_u16_e64 s[0:1], 0, v6
	v_mov_b32_e32 v26, 0
	s_and_saveexec_b64 s[2:3], s[0:1]
	s_cbranch_execz .LBB238_258
; %bb.253:                              ;   in Loop: Header=BB238_221 Depth=1
	v_cmp_ne_u16_e64 s[0:1], s40, v6
	v_bfrev_b32_e32 v26, 1
	s_and_saveexec_b64 s[20:21], s[0:1]
	s_cbranch_execz .LBB238_257
; %bb.254:                              ;   in Loop: Header=BB238_221 Depth=1
	v_and_b32_e32 v27, 0x7f, v6
	v_cmp_ne_u32_e64 s[0:1], s41, v27
	v_mov_b32_e32 v26, 0x7c010000
	s_and_saveexec_b64 s[22:23], s[0:1]
	s_cbranch_execz .LBB238_256
; %bb.255:                              ;   in Loop: Header=BB238_221 Depth=1
	v_and_b32_e32 v26, 7, v6
	v_ffbh_u32_e32 v42, v26
	v_min_u32_e32 v48, 32, v42
	v_subrev_u32_e32 v42, 28, v48
	v_lshlrev_b64 v[42:43], v42, v[6:7]
	v_lshrrev_b32_e32 v37, 3, v27
	v_sub_u32_e32 v43, 29, v48
	v_cmp_gt_u32_e64 s[0:1], 8, v27
	v_lshlrev_b32_e32 v6, 8, v6
	s_nop 0
	v_cndmask_b32_e64 v27, v37, v43, s[0:1]
	v_lshl_add_u32 v27, v27, 10, v36
	v_and_b32_e32 v37, 7, v42
	v_and_or_b32 v6, v6, s42, v27
	v_cndmask_b32_e64 v26, v26, v37, s[0:1]
	v_lshlrev_b32_e32 v6, 16, v6
	v_lshl_or_b32 v26, v26, 23, v6
.LBB238_256:                            ;   in Loop: Header=BB238_221 Depth=1
	s_or_b64 exec, exec, s[22:23]
.LBB238_257:                            ;   in Loop: Header=BB238_221 Depth=1
	s_or_b64 exec, exec, s[20:21]
.LBB238_258:                            ;   in Loop: Header=BB238_221 Depth=1
	s_or_b64 exec, exec, s[2:3]
	v_lshrrev_b32_e32 v6, 16, v21
	v_cmp_ne_u16_sdwa s[0:1], v6, v7 src0_sel:BYTE_0 src1_sel:DWORD
	s_and_saveexec_b64 s[2:3], s[0:1]
	s_cbranch_execz .LBB238_264
; %bb.259:                              ;   in Loop: Header=BB238_221 Depth=1
	v_cmp_ne_u16_sdwa s[0:1], v6, s40 src0_sel:BYTE_0 src1_sel:DWORD
	v_mov_b32_e32 v24, 0x8000
	s_and_saveexec_b64 s[20:21], s[0:1]
	s_cbranch_execz .LBB238_263
; %bb.260:                              ;   in Loop: Header=BB238_221 Depth=1
	v_bfe_u32 v27, v21, 16, 7
	v_cmp_ne_u32_e64 s[0:1], s41, v27
	v_mov_b32_e32 v24, 0x7c01
	s_and_saveexec_b64 s[22:23], s[0:1]
	s_cbranch_execz .LBB238_262
; %bb.261:                              ;   in Loop: Header=BB238_221 Depth=1
	v_and_b32_e32 v24, 7, v6
	v_ffbh_u32_e32 v42, v24
	v_min_u32_e32 v48, 32, v42
	v_subrev_u32_e32 v42, 28, v48
	v_lshlrev_b64 v[42:43], v42, v[6:7]
	v_lshrrev_b32_e32 v37, 3, v27
	v_sub_u32_e32 v43, 29, v48
	v_cmp_gt_u32_e64 s[0:1], 8, v27
	v_lshlrev_b32_e32 v6, 8, v6
	s_nop 0
	v_cndmask_b32_e64 v27, v37, v43, s[0:1]
	v_lshl_add_u32 v27, v27, 10, v36
	v_and_b32_e32 v37, 7, v42
	v_and_b32_e32 v27, 0xfc00, v27
	v_cndmask_b32_e64 v24, v24, v37, s[0:1]
	v_and_or_b32 v6, v6, s42, v27
	v_lshl_or_b32 v24, v24, 7, v6
.LBB238_262:                            ;   in Loop: Header=BB238_221 Depth=1
	s_or_b64 exec, exec, s[22:23]
.LBB238_263:                            ;   in Loop: Header=BB238_221 Depth=1
	s_or_b64 exec, exec, s[20:21]
.LBB238_264:                            ;   in Loop: Header=BB238_221 Depth=1
	s_or_b64 exec, exec, s[2:3]
	v_cmp_lt_u64_e64 s[0:1], s[12:13], v[20:21]
	v_mov_b32_e32 v27, 0
	s_and_saveexec_b64 s[2:3], s[0:1]
	s_cbranch_execz .LBB238_270
; %bb.265:                              ;   in Loop: Header=BB238_221 Depth=1
	v_lshrrev_b32_e32 v6, 24, v21
	v_cmp_ne_u32_e64 s[0:1], s40, v6
	v_bfrev_b32_e32 v27, 1
	s_and_saveexec_b64 s[20:21], s[0:1]
	s_cbranch_execz .LBB238_269
; %bb.266:                              ;   in Loop: Header=BB238_221 Depth=1
	v_and_b32_e32 v20, 0x7f, v6
	v_cmp_ne_u32_e64 s[0:1], s41, v20
	v_mov_b32_e32 v27, 0x7c010000
	s_and_saveexec_b64 s[22:23], s[0:1]
	s_cbranch_execz .LBB238_268
; %bb.267:                              ;   in Loop: Header=BB238_221 Depth=1
	v_and_b32_e32 v21, 7, v6
	v_ffbh_u32_e32 v37, v21
	v_min_u32_e32 v37, 32, v37
	v_lshrrev_b32_e32 v27, 3, v20
	v_subrev_u32_e32 v42, 28, v37
	v_sub_u32_e32 v37, 29, v37
	v_cmp_gt_u32_e64 s[0:1], 8, v20
	v_lshlrev_b64 v[42:43], v42, v[6:7]
	v_lshlrev_b32_e32 v6, 8, v6
	v_cndmask_b32_e64 v20, v27, v37, s[0:1]
	v_lshl_add_u32 v20, v20, 10, v36
	v_and_b32_e32 v27, 7, v42
	v_and_or_b32 v6, v6, s42, v20
	v_cndmask_b32_e64 v21, v21, v27, s[0:1]
	v_lshlrev_b32_e32 v6, 16, v6
	v_lshl_or_b32 v27, v21, 23, v6
.LBB238_268:                            ;   in Loop: Header=BB238_221 Depth=1
	s_or_b64 exec, exec, s[22:23]
.LBB238_269:                            ;   in Loop: Header=BB238_221 Depth=1
	s_or_b64 exec, exec, s[20:21]
.LBB238_270:                            ;   in Loop: Header=BB238_221 Depth=1
	s_or_b64 exec, exec, s[2:3]
	v_cvt_f32_f16_sdwa v21, v1 dst_sel:DWORD dst_unused:UNUSED_PAD src0_sel:WORD_1
	v_cvt_f32_f16_sdwa v20, v23 dst_sel:DWORD dst_unused:UNUSED_PAD src0_sel:WORD_1
	v_or_b32_e32 v1, v1, v19
	v_or_b32_e32 v6, v23, v22
	v_cvt_f32_f16_e32 v22, v6
	v_cvt_f32_f16_e32 v23, v1
	s_waitcnt vmcnt(0)
	v_pk_mul_f32 v[20:21], v[18:19], v[20:21] op_sel_hi:[0,1]
	v_cvt_pk_f16_f32 v1, v20, v21
	v_and_b32_e32 v19, 0xffff0000, v1
	v_pk_mul_f32 v[22:23], v[18:19], v[22:23] op_sel_hi:[0,1]
	v_lshlrev_b32_e32 v20, 16, v1
	v_cvt_pk_f16_f32 v1, v22, v23
	v_or_b32_e32 v6, v26, v25
	v_or_b32_e32 v23, v27, v24
	v_cvt_f32_f16_e32 v24, v23
	v_cvt_f32_f16_e32 v25, v6
	v_cvt_f32_f16_sdwa v43, v26 dst_sel:DWORD dst_unused:UNUSED_PAD src0_sel:WORD_1
	v_cvt_f32_f16_sdwa v42, v27 dst_sel:DWORD dst_unused:UNUSED_PAD src0_sel:WORD_1
	v_lshrrev_b32_e32 v21, 16, v1
	v_pk_mul_f32 v[24:25], v[18:19], v[24:25] op_sel_hi:[0,1]
	v_cvt_pk_f16_f32 v26, v24, v25
	v_pk_mul_f32 v[24:25], v[18:19], v[42:43] op_sel_hi:[0,1]
	v_cvt_pk_f16_f32 v18, v24, v25
	v_and_b32_e32 v22, 0xffff, v1
	v_and_b32_e32 v23, 0xffff0000, v18
	v_lshlrev_b32_e32 v18, 16, v18
	v_lshrrev_b32_e32 v25, 16, v26
	v_and_b32_e32 v24, 0xffff, v26
	v_add_u32_e32 v37, v33, v29
	v_cmp_eq_u32_e64 s[0:1], s34, v28
	v_or_b32_e32 v1, v19, v21
	v_or_b32_e32 v6, v20, v22
	;; [unrolled: 1-line block ×4, first 2 shown]
	s_and_saveexec_b64 s[20:21], s[0:1]
	s_cbranch_execz .LBB238_272
; %bb.271:                              ;   in Loop: Header=BB238_221 Depth=1
	v_add_u32_e32 v26, 2, v37
	v_cmp_gt_i32_e64 s[2:3], s39, v37
	v_or_b32_e32 v1, 1, v37
	v_or_b32_e32 v6, 3, v37
	v_cndmask_b32_e64 v21, 0, v21, s[2:3]
	v_cmp_gt_i32_e64 s[2:3], s33, v26
	s_nop 1
	v_cndmask_b32_e64 v22, 0, v22, s[2:3]
	v_cmp_gt_i32_e64 s[2:3], s39, v1
	s_nop 1
	v_cndmask_b32_e64 v1, 0, v19, s[2:3]
	v_cmp_gt_i32_e64 s[2:3], s33, v6
	v_or_b32_e32 v19, 4, v37
	v_or_b32_e32 v1, v1, v21
	v_cndmask_b32_e64 v6, 0, v20, s[2:3]
	v_or_b32_e32 v20, 6, v37
	v_cmp_gt_i32_e64 s[2:3], s39, v19
	v_or_b32_e32 v21, 5, v37
	v_or_b32_e32 v6, v6, v22
	v_cndmask_b32_e64 v19, 0, v25, s[2:3]
	v_cmp_gt_i32_e64 s[2:3], s33, v20
	v_or_b32_e32 v22, 7, v37
	s_nop 0
	v_cndmask_b32_e64 v20, 0, v24, s[2:3]
	v_cmp_gt_i32_e64 s[2:3], s39, v21
	s_nop 1
	v_cndmask_b32_e64 v21, 0, v23, s[2:3]
	v_cmp_gt_i32_e64 s[2:3], s33, v22
	v_or_b32_e32 v27, v21, v19
	s_nop 0
	v_cndmask_b32_e64 v18, 0, v18, s[2:3]
	v_or_b32_e32 v26, v18, v20
.LBB238_272:                            ;   in Loop: Header=BB238_221 Depth=1
	s_or_b64 exec, exec, s[20:21]
	v_and_b32_e32 v18, 0xffff, v38
	v_lshl_or_b32 v43, v39, 16, v18
	v_and_b32_e32 v18, 0xffff, v40
	v_lshl_or_b32 v42, v41, 16, v18
	;; [unrolled: 2-line block ×3, first 2 shown]
	v_and_b32_e32 v18, 0xffff, v46
	;;#ASMSTART
	v_pk_mul_f16 v1, v43, v1;

	;;#ASMEND
	v_lshl_or_b32 v40, v47, 16, v18
	;;#ASMSTART
	v_pk_mul_f16 v6, v42, v6;

	;;#ASMEND
	;;#ASMSTART
	v_pk_mul_f16 v18, v41, v27;

	;;#ASMEND
	;; [unrolled: 4-line block ×3, first 2 shown]
	s_nop 0
	;;#ASMSTART
	v_pk_add_f16 v1, v1, v6;

	;;#ASMEND
	s_nop 0
	;;#ASMSTART
	v_pk_add_f16 v1, v1, v18;

	;;#ASMEND
	;; [unrolled: 5-line block ×3, first 2 shown]
	v_mov_b32_e32 v19, 0
	v_lshrrev_b32_e32 v6, 16, v1
	v_and_b32_e32 v1, 0xffff, v1
	;;#ASMSTART
	v_cvt_f32_f16 v38, v1;
	;;#ASMEND
	;;#ASMSTART
	v_cvt_f32_f16 v39, v6;
	;;#ASMEND
	global_load_dwordx2 v[20:21], v[16:17], off offset:512
	v_mov_b32_e32 v1, 0
	global_load_dword v18, v1, s[14:15]
	s_waitcnt vmcnt(1)
	v_cmp_ne_u16_sdwa s[2:3], v20, v7 src0_sel:BYTE_0 src1_sel:DWORD
	s_and_saveexec_b64 s[20:21], s[2:3]
	s_cbranch_execz .LBB238_278
; %bb.273:                              ;   in Loop: Header=BB238_221 Depth=1
	v_cmp_ne_u16_sdwa s[2:3], v20, s40 src0_sel:BYTE_0 src1_sel:DWORD
	v_mov_b32_e32 v19, 0x8000
	s_and_saveexec_b64 s[22:23], s[2:3]
	s_cbranch_execz .LBB238_277
; %bb.274:                              ;   in Loop: Header=BB238_221 Depth=1
	v_and_b32_e32 v6, 0x7f, v20
	v_cmp_ne_u32_e64 s[2:3], s41, v6
	v_mov_b32_e32 v19, 0x7c01
	s_and_saveexec_b64 s[28:29], s[2:3]
	s_cbranch_execz .LBB238_276
; %bb.275:                              ;   in Loop: Header=BB238_221 Depth=1
	v_and_b32_e32 v19, 7, v20
	v_ffbh_u32_e32 v22, v19
	v_min_u32_e32 v25, 32, v22
	v_subrev_u32_e32 v22, 28, v25
	v_lshlrev_b64 v[22:23], v22, v[20:21]
	v_lshrrev_b32_e32 v24, 3, v6
	v_sub_u32_e32 v23, 29, v25
	v_cmp_gt_u32_e64 s[2:3], 8, v6
	v_and_b32_e32 v22, 7, v22
	s_nop 0
	v_cndmask_b32_e64 v6, v24, v23, s[2:3]
	v_lshl_add_u32 v6, v6, 10, v36
	v_lshlrev_b32_e32 v23, 8, v20
	v_and_b32_e32 v6, 0xfc00, v6
	v_cndmask_b32_e64 v19, v19, v22, s[2:3]
	v_and_or_b32 v6, v23, s42, v6
	v_lshl_or_b32 v19, v19, 7, v6
.LBB238_276:                            ;   in Loop: Header=BB238_221 Depth=1
	s_or_b64 exec, exec, s[28:29]
.LBB238_277:                            ;   in Loop: Header=BB238_221 Depth=1
	s_or_b64 exec, exec, s[22:23]
.LBB238_278:                            ;   in Loop: Header=BB238_221 Depth=1
	s_or_b64 exec, exec, s[20:21]
	v_lshrrev_b16_e32 v6, 8, v20
	v_cmp_ne_u16_e64 s[2:3], 0, v6
	s_and_saveexec_b64 s[20:21], s[2:3]
	s_cbranch_execz .LBB238_284
; %bb.279:                              ;   in Loop: Header=BB238_221 Depth=1
	v_cmp_ne_u16_e64 s[2:3], s40, v6
	v_bfrev_b32_e32 v1, 1
	s_and_saveexec_b64 s[22:23], s[2:3]
	s_cbranch_execz .LBB238_283
; %bb.280:                              ;   in Loop: Header=BB238_221 Depth=1
	v_and_b32_e32 v22, 0x7f, v6
	v_cmp_ne_u32_e64 s[2:3], s41, v22
	v_mov_b32_e32 v1, 0x7c010000
	s_and_saveexec_b64 s[28:29], s[2:3]
	s_cbranch_execz .LBB238_282
; %bb.281:                              ;   in Loop: Header=BB238_221 Depth=1
	v_and_b32_e32 v1, 7, v6
	v_ffbh_u32_e32 v24, v1
	v_min_u32_e32 v26, 32, v24
	v_subrev_u32_e32 v24, 28, v26
	v_lshlrev_b64 v[24:25], v24, v[6:7]
	v_lshrrev_b32_e32 v23, 3, v22
	v_sub_u32_e32 v25, 29, v26
	v_cmp_gt_u32_e64 s[2:3], 8, v22
	v_lshlrev_b32_e32 v6, 8, v6
	s_nop 0
	v_cndmask_b32_e64 v22, v23, v25, s[2:3]
	v_lshl_add_u32 v22, v22, 10, v36
	v_and_b32_e32 v23, 7, v24
	v_and_or_b32 v6, v6, s42, v22
	v_cndmask_b32_e64 v1, v1, v23, s[2:3]
	v_lshlrev_b32_e32 v6, 16, v6
	v_lshl_or_b32 v1, v1, 23, v6
.LBB238_282:                            ;   in Loop: Header=BB238_221 Depth=1
	s_or_b64 exec, exec, s[28:29]
.LBB238_283:                            ;   in Loop: Header=BB238_221 Depth=1
	s_or_b64 exec, exec, s[22:23]
.LBB238_284:                            ;   in Loop: Header=BB238_221 Depth=1
	s_or_b64 exec, exec, s[20:21]
	v_lshrrev_b32_e32 v6, 16, v20
	v_cmp_ne_u16_sdwa s[2:3], v6, v7 src0_sel:BYTE_0 src1_sel:DWORD
	v_mov_b32_e32 v23, 0
	v_mov_b32_e32 v22, 0
	s_and_saveexec_b64 s[20:21], s[2:3]
	s_cbranch_execz .LBB238_290
; %bb.285:                              ;   in Loop: Header=BB238_221 Depth=1
	v_cmp_ne_u16_sdwa s[2:3], v6, s40 src0_sel:BYTE_0 src1_sel:DWORD
	v_mov_b32_e32 v22, 0x8000
	s_and_saveexec_b64 s[22:23], s[2:3]
	s_cbranch_execz .LBB238_289
; %bb.286:                              ;   in Loop: Header=BB238_221 Depth=1
	v_bfe_u32 v24, v20, 16, 7
	v_cmp_ne_u32_e64 s[2:3], s41, v24
	v_mov_b32_e32 v22, 0x7c01
	s_and_saveexec_b64 s[28:29], s[2:3]
	s_cbranch_execz .LBB238_288
; %bb.287:                              ;   in Loop: Header=BB238_221 Depth=1
	v_and_b32_e32 v22, 7, v6
	v_ffbh_u32_e32 v26, v22
	v_min_u32_e32 v44, 32, v26
	v_subrev_u32_e32 v26, 28, v44
	v_lshlrev_b64 v[26:27], v26, v[6:7]
	v_lshrrev_b32_e32 v25, 3, v24
	v_sub_u32_e32 v27, 29, v44
	v_cmp_gt_u32_e64 s[2:3], 8, v24
	v_lshlrev_b32_e32 v6, 8, v6
	s_nop 0
	v_cndmask_b32_e64 v24, v25, v27, s[2:3]
	v_lshl_add_u32 v24, v24, 10, v36
	v_and_b32_e32 v25, 7, v26
	v_and_b32_e32 v24, 0xfc00, v24
	v_cndmask_b32_e64 v22, v22, v25, s[2:3]
	v_and_or_b32 v6, v6, s42, v24
	v_lshl_or_b32 v22, v22, 7, v6
.LBB238_288:                            ;   in Loop: Header=BB238_221 Depth=1
	s_or_b64 exec, exec, s[28:29]
.LBB238_289:                            ;   in Loop: Header=BB238_221 Depth=1
	s_or_b64 exec, exec, s[22:23]
.LBB238_290:                            ;   in Loop: Header=BB238_221 Depth=1
	s_or_b64 exec, exec, s[20:21]
	v_cmp_lt_u32_e64 s[2:3], s13, v20
	s_and_saveexec_b64 s[20:21], s[2:3]
	s_cbranch_execz .LBB238_296
; %bb.291:                              ;   in Loop: Header=BB238_221 Depth=1
	v_lshrrev_b32_e32 v6, 24, v20
	v_cmp_ne_u32_e64 s[2:3], s40, v6
	v_bfrev_b32_e32 v23, 1
	s_and_saveexec_b64 s[22:23], s[2:3]
	s_cbranch_execz .LBB238_295
; %bb.292:                              ;   in Loop: Header=BB238_221 Depth=1
	v_and_b32_e32 v24, 0x7f, v6
	v_cmp_ne_u32_e64 s[2:3], s41, v24
	v_mov_b32_e32 v23, 0x7c010000
	s_and_saveexec_b64 s[28:29], s[2:3]
	s_cbranch_execz .LBB238_294
; %bb.293:                              ;   in Loop: Header=BB238_221 Depth=1
	v_and_b32_e32 v23, 7, v6
	v_ffbh_u32_e32 v26, v23
	v_min_u32_e32 v44, 32, v26
	v_subrev_u32_e32 v26, 28, v44
	v_lshlrev_b64 v[26:27], v26, v[6:7]
	v_lshrrev_b32_e32 v25, 3, v24
	v_sub_u32_e32 v27, 29, v44
	v_cmp_gt_u32_e64 s[2:3], 8, v24
	v_lshlrev_b32_e32 v6, 8, v6
	s_nop 0
	v_cndmask_b32_e64 v24, v25, v27, s[2:3]
	v_lshl_add_u32 v24, v24, 10, v36
	v_and_b32_e32 v25, 7, v26
	v_and_or_b32 v6, v6, s42, v24
	v_cndmask_b32_e64 v23, v23, v25, s[2:3]
	v_lshlrev_b32_e32 v6, 16, v6
	v_lshl_or_b32 v23, v23, 23, v6
.LBB238_294:                            ;   in Loop: Header=BB238_221 Depth=1
	s_or_b64 exec, exec, s[28:29]
.LBB238_295:                            ;   in Loop: Header=BB238_221 Depth=1
	s_or_b64 exec, exec, s[22:23]
.LBB238_296:                            ;   in Loop: Header=BB238_221 Depth=1
	s_or_b64 exec, exec, s[20:21]
	v_mov_b32_e32 v6, v21
	v_cmp_ne_u16_sdwa s[2:3], v21, v7 src0_sel:BYTE_0 src1_sel:DWORD
	v_mov_b32_e32 v24, 0
	v_mov_b32_e32 v25, 0
	s_and_saveexec_b64 s[20:21], s[2:3]
	s_cbranch_execz .LBB238_302
; %bb.297:                              ;   in Loop: Header=BB238_221 Depth=1
	v_cmp_ne_u16_sdwa s[2:3], v21, s40 src0_sel:BYTE_0 src1_sel:DWORD
	v_mov_b32_e32 v25, 0x8000
	s_and_saveexec_b64 s[22:23], s[2:3]
	s_cbranch_execz .LBB238_301
; %bb.298:                              ;   in Loop: Header=BB238_221 Depth=1
	v_and_b32_e32 v26, 0x7f, v21
	v_cmp_ne_u32_e64 s[2:3], s41, v26
	v_mov_b32_e32 v25, 0x7c01
	s_and_saveexec_b64 s[28:29], s[2:3]
	s_cbranch_execz .LBB238_300
; %bb.299:                              ;   in Loop: Header=BB238_221 Depth=1
	v_and_b32_e32 v25, 7, v21
	v_ffbh_u32_e32 v44, v25
	v_min_u32_e32 v46, 32, v44
	v_subrev_u32_e32 v44, 28, v46
	v_lshlrev_b64 v[44:45], v44, v[6:7]
	v_lshrrev_b32_e32 v27, 3, v26
	v_sub_u32_e32 v45, 29, v46
	v_cmp_gt_u32_e64 s[2:3], 8, v26
	v_and_b32_e32 v44, 7, v44
	s_nop 0
	v_cndmask_b32_e64 v26, v27, v45, s[2:3]
	v_lshl_add_u32 v26, v26, 10, v36
	v_lshlrev_b32_e32 v27, 8, v21
	v_and_b32_e32 v26, 0xfc00, v26
	v_cndmask_b32_e64 v25, v25, v44, s[2:3]
	v_and_or_b32 v26, v27, s42, v26
	v_lshl_or_b32 v25, v25, 7, v26
.LBB238_300:                            ;   in Loop: Header=BB238_221 Depth=1
	s_or_b64 exec, exec, s[28:29]
.LBB238_301:                            ;   in Loop: Header=BB238_221 Depth=1
	s_or_b64 exec, exec, s[22:23]
.LBB238_302:                            ;   in Loop: Header=BB238_221 Depth=1
	s_or_b64 exec, exec, s[20:21]
	v_lshrrev_b16_e32 v6, 8, v6
	v_cmp_ne_u16_e64 s[2:3], 0, v6
	v_mov_b32_e32 v26, 0
	s_and_saveexec_b64 s[20:21], s[2:3]
	s_cbranch_execz .LBB238_308
; %bb.303:                              ;   in Loop: Header=BB238_221 Depth=1
	v_cmp_ne_u16_e64 s[2:3], s40, v6
	v_bfrev_b32_e32 v26, 1
	s_and_saveexec_b64 s[22:23], s[2:3]
	s_cbranch_execz .LBB238_307
; %bb.304:                              ;   in Loop: Header=BB238_221 Depth=1
	v_and_b32_e32 v27, 0x7f, v6
	v_cmp_ne_u32_e64 s[2:3], s41, v27
	v_mov_b32_e32 v26, 0x7c010000
	s_and_saveexec_b64 s[28:29], s[2:3]
	s_cbranch_execz .LBB238_306
; %bb.305:                              ;   in Loop: Header=BB238_221 Depth=1
	v_and_b32_e32 v26, 7, v6
	v_ffbh_u32_e32 v44, v26
	v_min_u32_e32 v47, 32, v44
	v_subrev_u32_e32 v44, 28, v47
	v_lshlrev_b64 v[44:45], v44, v[6:7]
	v_lshrrev_b32_e32 v46, 3, v27
	v_sub_u32_e32 v45, 29, v47
	v_cmp_gt_u32_e64 s[2:3], 8, v27
	v_lshlrev_b32_e32 v6, 8, v6
	v_and_b32_e32 v44, 7, v44
	v_cndmask_b32_e64 v27, v46, v45, s[2:3]
	v_lshl_add_u32 v27, v27, 10, v36
	v_and_or_b32 v6, v6, s42, v27
	v_cndmask_b32_e64 v26, v26, v44, s[2:3]
	v_lshlrev_b32_e32 v6, 16, v6
	v_lshl_or_b32 v26, v26, 23, v6
.LBB238_306:                            ;   in Loop: Header=BB238_221 Depth=1
	s_or_b64 exec, exec, s[28:29]
.LBB238_307:                            ;   in Loop: Header=BB238_221 Depth=1
	s_or_b64 exec, exec, s[22:23]
.LBB238_308:                            ;   in Loop: Header=BB238_221 Depth=1
	s_or_b64 exec, exec, s[20:21]
	v_lshrrev_b32_e32 v6, 16, v21
	v_cmp_ne_u16_sdwa s[2:3], v6, v7 src0_sel:BYTE_0 src1_sel:DWORD
	s_and_saveexec_b64 s[20:21], s[2:3]
	s_cbranch_execz .LBB238_314
; %bb.309:                              ;   in Loop: Header=BB238_221 Depth=1
	v_cmp_ne_u16_sdwa s[2:3], v6, s40 src0_sel:BYTE_0 src1_sel:DWORD
	v_mov_b32_e32 v24, 0x8000
	s_and_saveexec_b64 s[22:23], s[2:3]
	s_cbranch_execz .LBB238_313
; %bb.310:                              ;   in Loop: Header=BB238_221 Depth=1
	v_bfe_u32 v27, v21, 16, 7
	v_cmp_ne_u32_e64 s[2:3], s41, v27
	v_mov_b32_e32 v24, 0x7c01
	s_and_saveexec_b64 s[28:29], s[2:3]
	s_cbranch_execz .LBB238_312
; %bb.311:                              ;   in Loop: Header=BB238_221 Depth=1
	v_and_b32_e32 v24, 7, v6
	v_ffbh_u32_e32 v44, v24
	v_min_u32_e32 v47, 32, v44
	v_subrev_u32_e32 v44, 28, v47
	v_lshlrev_b64 v[44:45], v44, v[6:7]
	v_lshrrev_b32_e32 v46, 3, v27
	v_sub_u32_e32 v45, 29, v47
	v_cmp_gt_u32_e64 s[2:3], 8, v27
	v_lshlrev_b32_e32 v6, 8, v6
	v_and_b32_e32 v44, 7, v44
	v_cndmask_b32_e64 v27, v46, v45, s[2:3]
	v_lshl_add_u32 v27, v27, 10, v36
	v_and_b32_e32 v27, 0xfc00, v27
	v_cndmask_b32_e64 v24, v24, v44, s[2:3]
	v_and_or_b32 v6, v6, s42, v27
	v_lshl_or_b32 v24, v24, 7, v6
.LBB238_312:                            ;   in Loop: Header=BB238_221 Depth=1
	s_or_b64 exec, exec, s[28:29]
.LBB238_313:                            ;   in Loop: Header=BB238_221 Depth=1
	s_or_b64 exec, exec, s[22:23]
.LBB238_314:                            ;   in Loop: Header=BB238_221 Depth=1
	s_or_b64 exec, exec, s[20:21]
	v_cmp_lt_u64_e64 s[2:3], s[12:13], v[20:21]
	v_mov_b32_e32 v20, 0
	s_and_saveexec_b64 s[20:21], s[2:3]
	s_cbranch_execz .LBB238_320
; %bb.315:                              ;   in Loop: Header=BB238_221 Depth=1
	v_lshrrev_b32_e32 v6, 24, v21
	v_cmp_ne_u32_e64 s[2:3], s40, v6
	v_bfrev_b32_e32 v20, 1
	s_and_saveexec_b64 s[22:23], s[2:3]
	s_cbranch_execz .LBB238_319
; %bb.316:                              ;   in Loop: Header=BB238_221 Depth=1
	v_and_b32_e32 v21, 0x7f, v6
	v_cmp_ne_u32_e64 s[2:3], s41, v21
	v_mov_b32_e32 v20, 0x7c010000
	s_and_saveexec_b64 s[28:29], s[2:3]
	s_cbranch_execz .LBB238_318
; %bb.317:                              ;   in Loop: Header=BB238_221 Depth=1
	v_and_b32_e32 v20, 7, v6
	v_ffbh_u32_e32 v44, v20
	v_min_u32_e32 v46, 32, v44
	v_subrev_u32_e32 v44, 28, v46
	v_lshlrev_b64 v[44:45], v44, v[6:7]
	v_lshrrev_b32_e32 v27, 3, v21
	v_sub_u32_e32 v45, 29, v46
	v_cmp_gt_u32_e64 s[2:3], 8, v21
	v_lshlrev_b32_e32 v6, 8, v6
	s_nop 0
	v_cndmask_b32_e64 v21, v27, v45, s[2:3]
	v_lshl_add_u32 v21, v21, 10, v36
	v_and_b32_e32 v27, 7, v44
	v_and_or_b32 v6, v6, s42, v21
	v_cndmask_b32_e64 v20, v20, v27, s[2:3]
	v_lshlrev_b32_e32 v6, 16, v6
	v_lshl_or_b32 v20, v20, 23, v6
.LBB238_318:                            ;   in Loop: Header=BB238_221 Depth=1
	s_or_b64 exec, exec, s[28:29]
.LBB238_319:                            ;   in Loop: Header=BB238_221 Depth=1
	s_or_b64 exec, exec, s[22:23]
.LBB238_320:                            ;   in Loop: Header=BB238_221 Depth=1
	s_or_b64 exec, exec, s[20:21]
	v_cvt_f32_f16_sdwa v45, v1 dst_sel:DWORD dst_unused:UNUSED_PAD src0_sel:WORD_1
	v_cvt_f32_f16_sdwa v44, v23 dst_sel:DWORD dst_unused:UNUSED_PAD src0_sel:WORD_1
	v_or_b32_e32 v1, v1, v19
	v_or_b32_e32 v6, v23, v22
	;; [unrolled: 1-line block ×3, first 2 shown]
	s_waitcnt vmcnt(0)
	v_pk_mul_f32 v[22:23], v[18:19], v[44:45] op_sel_hi:[0,1]
	v_cvt_f32_f16_e32 v44, v6
	v_cvt_f32_f16_e32 v45, v1
	v_cvt_pk_f16_f32 v1, v22, v23
	v_and_b32_e32 v19, 0xffff0000, v1
	v_lshlrev_b32_e32 v6, 16, v1
	v_pk_mul_f32 v[22:23], v[18:19], v[44:45] op_sel_hi:[0,1]
	v_cvt_pk_f16_f32 v1, v22, v23
	v_or_b32_e32 v23, v26, v25
	v_cvt_f32_f16_e32 v24, v24
	v_cvt_f32_f16_e32 v25, v23
	v_cvt_f32_f16_sdwa v27, v26 dst_sel:DWORD dst_unused:UNUSED_PAD src0_sel:WORD_1
	v_cvt_f32_f16_sdwa v26, v20 dst_sel:DWORD dst_unused:UNUSED_PAD src0_sel:WORD_1
	v_lshrrev_b32_e32 v21, 16, v1
	v_pk_mul_f32 v[24:25], v[18:19], v[24:25] op_sel_hi:[0,1]
	v_cvt_pk_f16_f32 v44, v24, v25
	v_pk_mul_f32 v[24:25], v[18:19], v[26:27] op_sel_hi:[0,1]
	v_cvt_pk_f16_f32 v18, v24, v25
	v_and_b32_e32 v22, 0xffff, v1
	v_and_b32_e32 v23, 0xffff0000, v18
	v_lshlrev_b32_e32 v18, 16, v18
	v_lshrrev_b32_e32 v25, 16, v44
	v_and_b32_e32 v24, 0xffff, v44
	v_or_b32_e32 v1, v19, v21
	v_or_b32_e32 v20, v6, v22
	v_or_b32_e32 v27, v23, v25
	v_or_b32_e32 v26, v18, v24
	s_and_saveexec_b64 s[20:21], s[0:1]
	s_cbranch_execz .LBB238_322
; %bb.321:                              ;   in Loop: Header=BB238_221 Depth=1
	v_add_u32_e32 v26, 2, v37
	v_cmp_gt_i32_e64 s[2:3], s39, v37
	v_or_b32_e32 v1, 1, v37
	v_or_b32_e32 v20, 3, v37
	v_cndmask_b32_e64 v21, 0, v21, s[2:3]
	v_cmp_gt_i32_e64 s[2:3], s33, v26
	s_nop 1
	v_cndmask_b32_e64 v22, 0, v22, s[2:3]
	v_cmp_gt_i32_e64 s[2:3], s39, v1
	s_nop 1
	v_cndmask_b32_e64 v1, 0, v19, s[2:3]
	v_cmp_gt_i32_e64 s[2:3], s33, v20
	v_or_b32_e32 v19, 6, v37
	v_or_b32_e32 v1, v1, v21
	v_cndmask_b32_e64 v6, 0, v6, s[2:3]
	v_or_b32_e32 v20, v6, v22
	v_or_b32_e32 v6, 4, v37
	v_cmp_gt_i32_e64 s[2:3], s39, v6
	v_or_b32_e32 v21, 5, v37
	v_or_b32_e32 v22, 7, v37
	v_cndmask_b32_e64 v6, 0, v25, s[2:3]
	v_cmp_gt_i32_e64 s[2:3], s33, v19
	s_nop 1
	v_cndmask_b32_e64 v19, 0, v24, s[2:3]
	v_cmp_gt_i32_e64 s[2:3], s39, v21
	s_nop 1
	v_cndmask_b32_e64 v21, 0, v23, s[2:3]
	v_cmp_gt_i32_e64 s[2:3], s33, v22
	v_or_b32_e32 v27, v21, v6
	s_nop 0
	v_cndmask_b32_e64 v18, 0, v18, s[2:3]
	v_or_b32_e32 v26, v18, v19
.LBB238_322:                            ;   in Loop: Header=BB238_221 Depth=1
	s_or_b64 exec, exec, s[20:21]
	;;#ASMSTART
	v_pk_mul_f16 v1, v43, v1;

	;;#ASMEND
	;;#ASMSTART
	v_pk_mul_f16 v6, v42, v20;

	;;#ASMEND
	;; [unrolled: 4-line block ×4, first 2 shown]
	s_nop 0
	;;#ASMSTART
	v_pk_add_f16 v1, v1, v6;

	;;#ASMEND
	s_nop 0
	;;#ASMSTART
	v_pk_add_f16 v1, v1, v18;

	;;#ASMEND
	s_nop 0
	;;#ASMSTART
	v_pk_add_f16 v1, v1, v19;

	;;#ASMEND
	s_nop 0
	v_lshrrev_b32_e32 v6, 16, v1
	v_and_b32_e32 v1, 0xffff, v1
	;;#ASMSTART
	v_cvt_f32_f16 v26, v1;
	;;#ASMEND
	;;#ASMSTART
	v_cvt_f32_f16 v27, v6;
	;;#ASMEND
	global_load_dwordx2 v[18:19], v[16:17], off offset:1024
	v_mov_b32_e32 v1, 0
	global_load_dword v16, v1, s[14:15]
	v_mov_b32_e32 v17, 0
	s_waitcnt vmcnt(1)
	v_cmp_ne_u16_sdwa s[2:3], v18, v7 src0_sel:BYTE_0 src1_sel:DWORD
	s_and_saveexec_b64 s[20:21], s[2:3]
	s_cbranch_execz .LBB238_328
; %bb.323:                              ;   in Loop: Header=BB238_221 Depth=1
	v_cmp_ne_u16_sdwa s[2:3], v18, s40 src0_sel:BYTE_0 src1_sel:DWORD
	v_mov_b32_e32 v17, 0x8000
	s_and_saveexec_b64 s[22:23], s[2:3]
	s_cbranch_execz .LBB238_327
; %bb.324:                              ;   in Loop: Header=BB238_221 Depth=1
	v_and_b32_e32 v6, 0x7f, v18
	v_cmp_ne_u32_e64 s[2:3], s41, v6
	v_mov_b32_e32 v17, 0x7c01
	s_and_saveexec_b64 s[28:29], s[2:3]
	s_cbranch_execz .LBB238_326
; %bb.325:                              ;   in Loop: Header=BB238_221 Depth=1
	v_and_b32_e32 v17, 7, v18
	v_ffbh_u32_e32 v20, v17
	v_min_u32_e32 v23, 32, v20
	v_subrev_u32_e32 v20, 28, v23
	v_lshlrev_b64 v[20:21], v20, v[18:19]
	v_lshrrev_b32_e32 v22, 3, v6
	v_sub_u32_e32 v21, 29, v23
	v_cmp_gt_u32_e64 s[2:3], 8, v6
	v_and_b32_e32 v20, 7, v20
	s_nop 0
	v_cndmask_b32_e64 v6, v22, v21, s[2:3]
	v_lshl_add_u32 v6, v6, 10, v36
	v_lshlrev_b32_e32 v21, 8, v18
	v_and_b32_e32 v6, 0xfc00, v6
	v_cndmask_b32_e64 v17, v17, v20, s[2:3]
	v_and_or_b32 v6, v21, s42, v6
	v_lshl_or_b32 v17, v17, 7, v6
.LBB238_326:                            ;   in Loop: Header=BB238_221 Depth=1
	s_or_b64 exec, exec, s[28:29]
.LBB238_327:                            ;   in Loop: Header=BB238_221 Depth=1
	s_or_b64 exec, exec, s[22:23]
.LBB238_328:                            ;   in Loop: Header=BB238_221 Depth=1
	s_or_b64 exec, exec, s[20:21]
	v_lshrrev_b16_e32 v6, 8, v18
	v_cmp_ne_u16_e64 s[2:3], 0, v6
	s_and_saveexec_b64 s[20:21], s[2:3]
	s_cbranch_execz .LBB238_334
; %bb.329:                              ;   in Loop: Header=BB238_221 Depth=1
	v_cmp_ne_u16_e64 s[2:3], s40, v6
	v_bfrev_b32_e32 v1, 1
	s_and_saveexec_b64 s[22:23], s[2:3]
	s_cbranch_execz .LBB238_333
; %bb.330:                              ;   in Loop: Header=BB238_221 Depth=1
	v_and_b32_e32 v20, 0x7f, v6
	v_cmp_ne_u32_e64 s[2:3], s41, v20
	v_mov_b32_e32 v1, 0x7c010000
	s_and_saveexec_b64 s[28:29], s[2:3]
	s_cbranch_execz .LBB238_332
; %bb.331:                              ;   in Loop: Header=BB238_221 Depth=1
	v_and_b32_e32 v1, 7, v6
	v_ffbh_u32_e32 v22, v1
	v_min_u32_e32 v24, 32, v22
	v_subrev_u32_e32 v22, 28, v24
	v_lshlrev_b64 v[22:23], v22, v[6:7]
	v_lshrrev_b32_e32 v21, 3, v20
	v_sub_u32_e32 v23, 29, v24
	v_cmp_gt_u32_e64 s[2:3], 8, v20
	v_lshlrev_b32_e32 v6, 8, v6
	s_nop 0
	v_cndmask_b32_e64 v20, v21, v23, s[2:3]
	v_lshl_add_u32 v20, v20, 10, v36
	v_and_b32_e32 v21, 7, v22
	v_and_or_b32 v6, v6, s42, v20
	v_cndmask_b32_e64 v1, v1, v21, s[2:3]
	v_lshlrev_b32_e32 v6, 16, v6
	v_lshl_or_b32 v1, v1, 23, v6
.LBB238_332:                            ;   in Loop: Header=BB238_221 Depth=1
	s_or_b64 exec, exec, s[28:29]
.LBB238_333:                            ;   in Loop: Header=BB238_221 Depth=1
	s_or_b64 exec, exec, s[22:23]
.LBB238_334:                            ;   in Loop: Header=BB238_221 Depth=1
	s_or_b64 exec, exec, s[20:21]
	v_lshrrev_b32_e32 v6, 16, v18
	v_cmp_ne_u16_sdwa s[2:3], v6, v7 src0_sel:BYTE_0 src1_sel:DWORD
	v_mov_b32_e32 v21, 0
	v_mov_b32_e32 v20, 0
	s_and_saveexec_b64 s[20:21], s[2:3]
	s_cbranch_execz .LBB238_340
; %bb.335:                              ;   in Loop: Header=BB238_221 Depth=1
	v_cmp_ne_u16_sdwa s[2:3], v6, s40 src0_sel:BYTE_0 src1_sel:DWORD
	v_mov_b32_e32 v20, 0x8000
	s_and_saveexec_b64 s[22:23], s[2:3]
	s_cbranch_execz .LBB238_339
; %bb.336:                              ;   in Loop: Header=BB238_221 Depth=1
	v_bfe_u32 v22, v18, 16, 7
	v_cmp_ne_u32_e64 s[2:3], s41, v22
	v_mov_b32_e32 v20, 0x7c01
	s_and_saveexec_b64 s[28:29], s[2:3]
	s_cbranch_execz .LBB238_338
; %bb.337:                              ;   in Loop: Header=BB238_221 Depth=1
	v_and_b32_e32 v20, 7, v6
	v_ffbh_u32_e32 v24, v20
	v_min_u32_e32 v44, 32, v24
	v_subrev_u32_e32 v24, 28, v44
	v_lshlrev_b64 v[24:25], v24, v[6:7]
	v_lshrrev_b32_e32 v23, 3, v22
	v_sub_u32_e32 v25, 29, v44
	v_cmp_gt_u32_e64 s[2:3], 8, v22
	v_lshlrev_b32_e32 v6, 8, v6
	s_nop 0
	v_cndmask_b32_e64 v22, v23, v25, s[2:3]
	v_lshl_add_u32 v22, v22, 10, v36
	v_and_b32_e32 v23, 7, v24
	v_and_b32_e32 v22, 0xfc00, v22
	v_cndmask_b32_e64 v20, v20, v23, s[2:3]
	v_and_or_b32 v6, v6, s42, v22
	v_lshl_or_b32 v20, v20, 7, v6
.LBB238_338:                            ;   in Loop: Header=BB238_221 Depth=1
	s_or_b64 exec, exec, s[28:29]
.LBB238_339:                            ;   in Loop: Header=BB238_221 Depth=1
	s_or_b64 exec, exec, s[22:23]
.LBB238_340:                            ;   in Loop: Header=BB238_221 Depth=1
	s_or_b64 exec, exec, s[20:21]
	v_cmp_lt_u32_e64 s[2:3], s13, v18
	s_and_saveexec_b64 s[20:21], s[2:3]
	s_cbranch_execz .LBB238_346
; %bb.341:                              ;   in Loop: Header=BB238_221 Depth=1
	v_lshrrev_b32_e32 v6, 24, v18
	v_cmp_ne_u32_e64 s[2:3], s40, v6
	v_bfrev_b32_e32 v21, 1
	s_and_saveexec_b64 s[22:23], s[2:3]
	s_cbranch_execz .LBB238_345
; %bb.342:                              ;   in Loop: Header=BB238_221 Depth=1
	v_and_b32_e32 v22, 0x7f, v6
	v_cmp_ne_u32_e64 s[2:3], s41, v22
	v_mov_b32_e32 v21, 0x7c010000
	s_and_saveexec_b64 s[28:29], s[2:3]
	s_cbranch_execz .LBB238_344
; %bb.343:                              ;   in Loop: Header=BB238_221 Depth=1
	v_and_b32_e32 v21, 7, v6
	v_ffbh_u32_e32 v24, v21
	v_min_u32_e32 v44, 32, v24
	v_subrev_u32_e32 v24, 28, v44
	v_lshlrev_b64 v[24:25], v24, v[6:7]
	v_lshrrev_b32_e32 v23, 3, v22
	v_sub_u32_e32 v25, 29, v44
	v_cmp_gt_u32_e64 s[2:3], 8, v22
	v_lshlrev_b32_e32 v6, 8, v6
	s_nop 0
	v_cndmask_b32_e64 v22, v23, v25, s[2:3]
	v_lshl_add_u32 v22, v22, 10, v36
	v_and_b32_e32 v23, 7, v24
	v_and_or_b32 v6, v6, s42, v22
	v_cndmask_b32_e64 v21, v21, v23, s[2:3]
	v_lshlrev_b32_e32 v6, 16, v6
	v_lshl_or_b32 v21, v21, 23, v6
.LBB238_344:                            ;   in Loop: Header=BB238_221 Depth=1
	s_or_b64 exec, exec, s[28:29]
.LBB238_345:                            ;   in Loop: Header=BB238_221 Depth=1
	s_or_b64 exec, exec, s[22:23]
.LBB238_346:                            ;   in Loop: Header=BB238_221 Depth=1
	s_or_b64 exec, exec, s[20:21]
	v_mov_b32_e32 v6, v19
	v_cmp_ne_u16_sdwa s[2:3], v19, v7 src0_sel:BYTE_0 src1_sel:DWORD
	v_mov_b32_e32 v22, 0
	v_mov_b32_e32 v23, 0
	s_and_saveexec_b64 s[20:21], s[2:3]
	s_cbranch_execz .LBB238_352
; %bb.347:                              ;   in Loop: Header=BB238_221 Depth=1
	v_cmp_ne_u16_sdwa s[2:3], v19, s40 src0_sel:BYTE_0 src1_sel:DWORD
	v_mov_b32_e32 v23, 0x8000
	s_and_saveexec_b64 s[22:23], s[2:3]
	s_cbranch_execz .LBB238_351
; %bb.348:                              ;   in Loop: Header=BB238_221 Depth=1
	v_and_b32_e32 v24, 0x7f, v19
	v_cmp_ne_u32_e64 s[2:3], s41, v24
	v_mov_b32_e32 v23, 0x7c01
	s_and_saveexec_b64 s[28:29], s[2:3]
	s_cbranch_execz .LBB238_350
; %bb.349:                              ;   in Loop: Header=BB238_221 Depth=1
	v_and_b32_e32 v23, 7, v19
	v_ffbh_u32_e32 v44, v23
	v_min_u32_e32 v46, 32, v44
	v_subrev_u32_e32 v44, 28, v46
	v_lshlrev_b64 v[44:45], v44, v[6:7]
	v_lshrrev_b32_e32 v25, 3, v24
	v_sub_u32_e32 v45, 29, v46
	v_cmp_gt_u32_e64 s[2:3], 8, v24
	v_and_b32_e32 v44, 7, v44
	s_nop 0
	v_cndmask_b32_e64 v24, v25, v45, s[2:3]
	v_lshl_add_u32 v24, v24, 10, v36
	v_lshlrev_b32_e32 v25, 8, v19
	v_and_b32_e32 v24, 0xfc00, v24
	v_cndmask_b32_e64 v23, v23, v44, s[2:3]
	v_and_or_b32 v24, v25, s42, v24
	v_lshl_or_b32 v23, v23, 7, v24
.LBB238_350:                            ;   in Loop: Header=BB238_221 Depth=1
	s_or_b64 exec, exec, s[28:29]
.LBB238_351:                            ;   in Loop: Header=BB238_221 Depth=1
	s_or_b64 exec, exec, s[22:23]
.LBB238_352:                            ;   in Loop: Header=BB238_221 Depth=1
	s_or_b64 exec, exec, s[20:21]
	v_lshrrev_b16_e32 v6, 8, v6
	v_cmp_ne_u16_e64 s[2:3], 0, v6
	v_mov_b32_e32 v24, 0
	s_and_saveexec_b64 s[20:21], s[2:3]
	s_cbranch_execz .LBB238_358
; %bb.353:                              ;   in Loop: Header=BB238_221 Depth=1
	v_cmp_ne_u16_e64 s[2:3], s40, v6
	v_bfrev_b32_e32 v24, 1
	s_and_saveexec_b64 s[22:23], s[2:3]
	s_cbranch_execz .LBB238_357
; %bb.354:                              ;   in Loop: Header=BB238_221 Depth=1
	v_and_b32_e32 v25, 0x7f, v6
	v_cmp_ne_u32_e64 s[2:3], s41, v25
	v_mov_b32_e32 v24, 0x7c010000
	s_and_saveexec_b64 s[28:29], s[2:3]
	s_cbranch_execz .LBB238_356
; %bb.355:                              ;   in Loop: Header=BB238_221 Depth=1
	v_and_b32_e32 v24, 7, v6
	v_ffbh_u32_e32 v44, v24
	v_min_u32_e32 v47, 32, v44
	v_subrev_u32_e32 v44, 28, v47
	v_lshlrev_b64 v[44:45], v44, v[6:7]
	v_lshrrev_b32_e32 v46, 3, v25
	v_sub_u32_e32 v45, 29, v47
	v_cmp_gt_u32_e64 s[2:3], 8, v25
	v_lshlrev_b32_e32 v6, 8, v6
	v_and_b32_e32 v44, 7, v44
	v_cndmask_b32_e64 v25, v46, v45, s[2:3]
	v_lshl_add_u32 v25, v25, 10, v36
	v_and_or_b32 v6, v6, s42, v25
	v_cndmask_b32_e64 v24, v24, v44, s[2:3]
	v_lshlrev_b32_e32 v6, 16, v6
	v_lshl_or_b32 v24, v24, 23, v6
.LBB238_356:                            ;   in Loop: Header=BB238_221 Depth=1
	s_or_b64 exec, exec, s[28:29]
.LBB238_357:                            ;   in Loop: Header=BB238_221 Depth=1
	s_or_b64 exec, exec, s[22:23]
.LBB238_358:                            ;   in Loop: Header=BB238_221 Depth=1
	s_or_b64 exec, exec, s[20:21]
	v_lshrrev_b32_e32 v6, 16, v19
	v_cmp_ne_u16_sdwa s[2:3], v6, v7 src0_sel:BYTE_0 src1_sel:DWORD
	s_and_saveexec_b64 s[20:21], s[2:3]
	s_cbranch_execz .LBB238_364
; %bb.359:                              ;   in Loop: Header=BB238_221 Depth=1
	v_cmp_ne_u16_sdwa s[2:3], v6, s40 src0_sel:BYTE_0 src1_sel:DWORD
	v_mov_b32_e32 v22, 0x8000
	s_and_saveexec_b64 s[22:23], s[2:3]
	s_cbranch_execz .LBB238_363
; %bb.360:                              ;   in Loop: Header=BB238_221 Depth=1
	v_bfe_u32 v25, v19, 16, 7
	v_cmp_ne_u32_e64 s[2:3], s41, v25
	v_mov_b32_e32 v22, 0x7c01
	s_and_saveexec_b64 s[28:29], s[2:3]
	s_cbranch_execz .LBB238_362
; %bb.361:                              ;   in Loop: Header=BB238_221 Depth=1
	v_and_b32_e32 v22, 7, v6
	v_ffbh_u32_e32 v44, v22
	v_min_u32_e32 v47, 32, v44
	v_subrev_u32_e32 v44, 28, v47
	v_lshlrev_b64 v[44:45], v44, v[6:7]
	v_lshrrev_b32_e32 v46, 3, v25
	v_sub_u32_e32 v45, 29, v47
	v_cmp_gt_u32_e64 s[2:3], 8, v25
	v_lshlrev_b32_e32 v6, 8, v6
	v_and_b32_e32 v44, 7, v44
	v_cndmask_b32_e64 v25, v46, v45, s[2:3]
	v_lshl_add_u32 v25, v25, 10, v36
	v_and_b32_e32 v25, 0xfc00, v25
	v_cndmask_b32_e64 v22, v22, v44, s[2:3]
	v_and_or_b32 v6, v6, s42, v25
	v_lshl_or_b32 v22, v22, 7, v6
.LBB238_362:                            ;   in Loop: Header=BB238_221 Depth=1
	s_or_b64 exec, exec, s[28:29]
.LBB238_363:                            ;   in Loop: Header=BB238_221 Depth=1
	s_or_b64 exec, exec, s[22:23]
.LBB238_364:                            ;   in Loop: Header=BB238_221 Depth=1
	s_or_b64 exec, exec, s[20:21]
	v_cmp_lt_u64_e64 s[2:3], s[12:13], v[18:19]
	v_mov_b32_e32 v18, 0
	s_and_saveexec_b64 s[20:21], s[2:3]
	s_cbranch_execz .LBB238_370
; %bb.365:                              ;   in Loop: Header=BB238_221 Depth=1
	v_lshrrev_b32_e32 v6, 24, v19
	v_cmp_ne_u32_e64 s[2:3], s40, v6
	v_bfrev_b32_e32 v18, 1
	s_and_saveexec_b64 s[22:23], s[2:3]
	s_cbranch_execz .LBB238_369
; %bb.366:                              ;   in Loop: Header=BB238_221 Depth=1
	v_and_b32_e32 v19, 0x7f, v6
	v_cmp_ne_u32_e64 s[2:3], s41, v19
	v_mov_b32_e32 v18, 0x7c010000
	s_and_saveexec_b64 s[28:29], s[2:3]
	s_cbranch_execz .LBB238_368
; %bb.367:                              ;   in Loop: Header=BB238_221 Depth=1
	v_and_b32_e32 v18, 7, v6
	v_ffbh_u32_e32 v44, v18
	v_min_u32_e32 v46, 32, v44
	v_subrev_u32_e32 v44, 28, v46
	v_lshlrev_b64 v[44:45], v44, v[6:7]
	v_lshrrev_b32_e32 v25, 3, v19
	v_sub_u32_e32 v45, 29, v46
	v_cmp_gt_u32_e64 s[2:3], 8, v19
	v_lshlrev_b32_e32 v6, 8, v6
	s_nop 0
	v_cndmask_b32_e64 v19, v25, v45, s[2:3]
	v_lshl_add_u32 v19, v19, 10, v36
	v_and_b32_e32 v25, 7, v44
	v_and_or_b32 v6, v6, s42, v19
	v_cndmask_b32_e64 v18, v18, v25, s[2:3]
	v_lshlrev_b32_e32 v6, 16, v6
	v_lshl_or_b32 v18, v18, 23, v6
.LBB238_368:                            ;   in Loop: Header=BB238_221 Depth=1
	s_or_b64 exec, exec, s[28:29]
.LBB238_369:                            ;   in Loop: Header=BB238_221 Depth=1
	s_or_b64 exec, exec, s[22:23]
.LBB238_370:                            ;   in Loop: Header=BB238_221 Depth=1
	s_or_b64 exec, exec, s[20:21]
	v_cvt_f32_f16_sdwa v45, v1 dst_sel:DWORD dst_unused:UNUSED_PAD src0_sel:WORD_1
	v_cvt_f32_f16_sdwa v44, v21 dst_sel:DWORD dst_unused:UNUSED_PAD src0_sel:WORD_1
	v_or_b32_e32 v1, v1, v17
	v_or_b32_e32 v6, v21, v20
	;; [unrolled: 1-line block ×3, first 2 shown]
	s_waitcnt vmcnt(0)
	v_pk_mul_f32 v[20:21], v[16:17], v[44:45] op_sel_hi:[0,1]
	v_cvt_f32_f16_e32 v44, v6
	v_cvt_f32_f16_e32 v45, v1
	v_cvt_pk_f16_f32 v1, v20, v21
	v_and_b32_e32 v17, 0xffff0000, v1
	v_lshlrev_b32_e32 v6, 16, v1
	v_pk_mul_f32 v[20:21], v[16:17], v[44:45] op_sel_hi:[0,1]
	v_cvt_pk_f16_f32 v1, v20, v21
	v_or_b32_e32 v21, v24, v23
	v_cvt_f32_f16_e32 v22, v22
	v_cvt_f32_f16_e32 v23, v21
	v_cvt_f32_f16_sdwa v25, v24 dst_sel:DWORD dst_unused:UNUSED_PAD src0_sel:WORD_1
	v_cvt_f32_f16_sdwa v24, v18 dst_sel:DWORD dst_unused:UNUSED_PAD src0_sel:WORD_1
	v_lshrrev_b32_e32 v19, 16, v1
	v_pk_mul_f32 v[22:23], v[16:17], v[22:23] op_sel_hi:[0,1]
	v_cvt_pk_f16_f32 v44, v22, v23
	v_pk_mul_f32 v[22:23], v[16:17], v[24:25] op_sel_hi:[0,1]
	v_cvt_pk_f16_f32 v16, v22, v23
	v_and_b32_e32 v20, 0xffff, v1
	v_and_b32_e32 v21, 0xffff0000, v16
	v_lshlrev_b32_e32 v16, 16, v16
	v_lshrrev_b32_e32 v23, 16, v44
	v_and_b32_e32 v22, 0xffff, v44
	v_or_b32_e32 v1, v17, v19
	v_or_b32_e32 v18, v6, v20
	;; [unrolled: 1-line block ×4, first 2 shown]
	s_and_saveexec_b64 s[20:21], s[0:1]
	s_cbranch_execz .LBB238_372
; %bb.371:                              ;   in Loop: Header=BB238_221 Depth=1
	v_add_u32_e32 v24, 2, v37
	v_cmp_gt_i32_e64 s[2:3], s39, v37
	v_or_b32_e32 v1, 1, v37
	v_or_b32_e32 v18, 3, v37
	v_cndmask_b32_e64 v19, 0, v19, s[2:3]
	v_cmp_gt_i32_e64 s[2:3], s33, v24
	s_nop 1
	v_cndmask_b32_e64 v20, 0, v20, s[2:3]
	v_cmp_gt_i32_e64 s[2:3], s39, v1
	s_nop 1
	v_cndmask_b32_e64 v1, 0, v17, s[2:3]
	v_cmp_gt_i32_e64 s[2:3], s33, v18
	v_or_b32_e32 v17, 6, v37
	v_or_b32_e32 v1, v1, v19
	v_cndmask_b32_e64 v6, 0, v6, s[2:3]
	v_or_b32_e32 v18, v6, v20
	v_or_b32_e32 v6, 4, v37
	v_cmp_gt_i32_e64 s[2:3], s39, v6
	v_or_b32_e32 v19, 5, v37
	v_or_b32_e32 v20, 7, v37
	v_cndmask_b32_e64 v6, 0, v23, s[2:3]
	v_cmp_gt_i32_e64 s[2:3], s33, v17
	s_nop 1
	v_cndmask_b32_e64 v17, 0, v22, s[2:3]
	v_cmp_gt_i32_e64 s[2:3], s39, v19
	s_nop 1
	v_cndmask_b32_e64 v19, 0, v21, s[2:3]
	v_cmp_gt_i32_e64 s[2:3], s33, v20
	v_or_b32_e32 v25, v19, v6
	s_nop 0
	v_cndmask_b32_e64 v16, 0, v16, s[2:3]
	v_or_b32_e32 v24, v16, v17
.LBB238_372:                            ;   in Loop: Header=BB238_221 Depth=1
	s_or_b64 exec, exec, s[20:21]
	;;#ASMSTART
	v_pk_mul_f16 v1, v43, v1;

	;;#ASMEND
	;;#ASMSTART
	v_pk_mul_f16 v6, v42, v18;

	;;#ASMEND
	;; [unrolled: 4-line block ×4, first 2 shown]
	s_nop 0
	;;#ASMSTART
	v_pk_add_f16 v1, v1, v6;

	;;#ASMEND
	s_nop 0
	;;#ASMSTART
	v_pk_add_f16 v1, v1, v16;

	;;#ASMEND
	s_nop 0
	;;#ASMSTART
	v_pk_add_f16 v1, v1, v17;

	;;#ASMEND
	s_nop 0
	v_lshrrev_b32_e32 v6, 16, v1
	v_and_b32_e32 v1, 0xffff, v1
	;;#ASMSTART
	v_cvt_f32_f16 v24, v1;
	;;#ASMEND
	;;#ASMSTART
	v_cvt_f32_f16 v25, v6;
	;;#ASMEND
	s_and_saveexec_b64 s[20:21], vcc
	s_cbranch_execz .LBB238_219
; %bb.373:                              ;   in Loop: Header=BB238_221 Depth=1
	v_lshl_add_u64 v[14:15], v[14:15], 0, v[10:11]
	global_load_dwordx2 v[16:17], v[14:15], off
	v_mov_b32_e32 v1, 0
	global_load_dword v14, v1, s[14:15]
	v_mov_b32_e32 v15, 0
	s_waitcnt vmcnt(1)
	v_cmp_ne_u16_sdwa s[2:3], v16, v7 src0_sel:BYTE_0 src1_sel:DWORD
	s_and_saveexec_b64 s[22:23], s[2:3]
	s_cbranch_execz .LBB238_379
; %bb.374:                              ;   in Loop: Header=BB238_221 Depth=1
	v_cmp_ne_u16_sdwa s[2:3], v16, s40 src0_sel:BYTE_0 src1_sel:DWORD
	v_mov_b32_e32 v15, 0x8000
	s_and_saveexec_b64 s[28:29], s[2:3]
	s_cbranch_execz .LBB238_378
; %bb.375:                              ;   in Loop: Header=BB238_221 Depth=1
	v_and_b32_e32 v6, 0x7f, v16
	v_cmp_ne_u32_e64 s[2:3], s41, v6
	v_mov_b32_e32 v15, 0x7c01
	s_and_saveexec_b64 s[30:31], s[2:3]
	s_cbranch_execz .LBB238_377
; %bb.376:                              ;   in Loop: Header=BB238_221 Depth=1
	v_and_b32_e32 v15, 7, v16
	v_ffbh_u32_e32 v18, v15
	v_min_u32_e32 v21, 32, v18
	v_subrev_u32_e32 v18, 28, v21
	v_lshlrev_b64 v[18:19], v18, v[16:17]
	v_lshrrev_b32_e32 v20, 3, v6
	v_sub_u32_e32 v19, 29, v21
	v_cmp_gt_u32_e64 s[2:3], 8, v6
	v_and_b32_e32 v18, 7, v18
	s_nop 0
	v_cndmask_b32_e64 v6, v20, v19, s[2:3]
	v_lshl_add_u32 v6, v6, 10, v36
	v_lshlrev_b32_e32 v19, 8, v16
	v_and_b32_e32 v6, 0xfc00, v6
	v_cndmask_b32_e64 v15, v15, v18, s[2:3]
	v_and_or_b32 v6, v19, s42, v6
	v_lshl_or_b32 v15, v15, 7, v6
.LBB238_377:                            ;   in Loop: Header=BB238_221 Depth=1
	s_or_b64 exec, exec, s[30:31]
.LBB238_378:                            ;   in Loop: Header=BB238_221 Depth=1
	s_or_b64 exec, exec, s[28:29]
.LBB238_379:                            ;   in Loop: Header=BB238_221 Depth=1
	s_or_b64 exec, exec, s[22:23]
	v_lshrrev_b16_e32 v6, 8, v16
	v_cmp_ne_u16_e64 s[2:3], 0, v6
	s_and_saveexec_b64 s[22:23], s[2:3]
	s_cbranch_execz .LBB238_385
; %bb.380:                              ;   in Loop: Header=BB238_221 Depth=1
	v_cmp_ne_u16_e64 s[2:3], s40, v6
	v_bfrev_b32_e32 v1, 1
	s_and_saveexec_b64 s[28:29], s[2:3]
	s_cbranch_execz .LBB238_384
; %bb.381:                              ;   in Loop: Header=BB238_221 Depth=1
	v_and_b32_e32 v18, 0x7f, v6
	v_cmp_ne_u32_e64 s[2:3], s41, v18
	v_mov_b32_e32 v1, 0x7c010000
	s_and_saveexec_b64 s[30:31], s[2:3]
	s_cbranch_execz .LBB238_383
; %bb.382:                              ;   in Loop: Header=BB238_221 Depth=1
	v_and_b32_e32 v1, 7, v6
	v_ffbh_u32_e32 v20, v1
	v_min_u32_e32 v22, 32, v20
	v_subrev_u32_e32 v20, 28, v22
	v_lshlrev_b64 v[20:21], v20, v[6:7]
	v_lshrrev_b32_e32 v19, 3, v18
	v_sub_u32_e32 v21, 29, v22
	v_cmp_gt_u32_e64 s[2:3], 8, v18
	v_lshlrev_b32_e32 v6, 8, v6
	s_nop 0
	v_cndmask_b32_e64 v18, v19, v21, s[2:3]
	v_lshl_add_u32 v18, v18, 10, v36
	v_and_b32_e32 v19, 7, v20
	v_and_or_b32 v6, v6, s42, v18
	v_cndmask_b32_e64 v1, v1, v19, s[2:3]
	v_lshlrev_b32_e32 v6, 16, v6
	v_lshl_or_b32 v1, v1, 23, v6
.LBB238_383:                            ;   in Loop: Header=BB238_221 Depth=1
	s_or_b64 exec, exec, s[30:31]
.LBB238_384:                            ;   in Loop: Header=BB238_221 Depth=1
	s_or_b64 exec, exec, s[28:29]
.LBB238_385:                            ;   in Loop: Header=BB238_221 Depth=1
	s_or_b64 exec, exec, s[22:23]
	v_lshrrev_b32_e32 v6, 16, v16
	v_cmp_ne_u16_sdwa s[2:3], v6, v7 src0_sel:BYTE_0 src1_sel:DWORD
	v_mov_b32_e32 v19, 0
	v_mov_b32_e32 v18, 0
	s_and_saveexec_b64 s[22:23], s[2:3]
	s_cbranch_execz .LBB238_391
; %bb.386:                              ;   in Loop: Header=BB238_221 Depth=1
	v_cmp_ne_u16_sdwa s[2:3], v6, s40 src0_sel:BYTE_0 src1_sel:DWORD
	v_mov_b32_e32 v18, 0x8000
	s_and_saveexec_b64 s[28:29], s[2:3]
	s_cbranch_execz .LBB238_390
; %bb.387:                              ;   in Loop: Header=BB238_221 Depth=1
	v_bfe_u32 v20, v16, 16, 7
	v_cmp_ne_u32_e64 s[2:3], s41, v20
	v_mov_b32_e32 v18, 0x7c01
	s_and_saveexec_b64 s[30:31], s[2:3]
	s_cbranch_execz .LBB238_389
; %bb.388:                              ;   in Loop: Header=BB238_221 Depth=1
	v_and_b32_e32 v18, 7, v6
	v_ffbh_u32_e32 v22, v18
	v_min_u32_e32 v44, 32, v22
	v_subrev_u32_e32 v22, 28, v44
	v_lshlrev_b64 v[22:23], v22, v[6:7]
	v_lshrrev_b32_e32 v21, 3, v20
	v_sub_u32_e32 v23, 29, v44
	v_cmp_gt_u32_e64 s[2:3], 8, v20
	v_lshlrev_b32_e32 v6, 8, v6
	s_nop 0
	v_cndmask_b32_e64 v20, v21, v23, s[2:3]
	v_lshl_add_u32 v20, v20, 10, v36
	v_and_b32_e32 v21, 7, v22
	v_and_b32_e32 v20, 0xfc00, v20
	v_cndmask_b32_e64 v18, v18, v21, s[2:3]
	v_and_or_b32 v6, v6, s42, v20
	v_lshl_or_b32 v18, v18, 7, v6
.LBB238_389:                            ;   in Loop: Header=BB238_221 Depth=1
	s_or_b64 exec, exec, s[30:31]
.LBB238_390:                            ;   in Loop: Header=BB238_221 Depth=1
	s_or_b64 exec, exec, s[28:29]
.LBB238_391:                            ;   in Loop: Header=BB238_221 Depth=1
	s_or_b64 exec, exec, s[22:23]
	v_cmp_lt_u32_e64 s[2:3], s13, v16
	s_and_saveexec_b64 s[22:23], s[2:3]
	s_cbranch_execz .LBB238_397
; %bb.392:                              ;   in Loop: Header=BB238_221 Depth=1
	v_lshrrev_b32_e32 v6, 24, v16
	v_cmp_ne_u32_e64 s[2:3], s40, v6
	v_bfrev_b32_e32 v19, 1
	s_and_saveexec_b64 s[28:29], s[2:3]
	s_cbranch_execz .LBB238_396
; %bb.393:                              ;   in Loop: Header=BB238_221 Depth=1
	v_and_b32_e32 v20, 0x7f, v6
	v_cmp_ne_u32_e64 s[2:3], s41, v20
	v_mov_b32_e32 v19, 0x7c010000
	s_and_saveexec_b64 s[30:31], s[2:3]
	s_cbranch_execz .LBB238_395
; %bb.394:                              ;   in Loop: Header=BB238_221 Depth=1
	v_and_b32_e32 v19, 7, v6
	v_ffbh_u32_e32 v22, v19
	v_min_u32_e32 v44, 32, v22
	v_subrev_u32_e32 v22, 28, v44
	v_lshlrev_b64 v[22:23], v22, v[6:7]
	v_lshrrev_b32_e32 v21, 3, v20
	v_sub_u32_e32 v23, 29, v44
	v_cmp_gt_u32_e64 s[2:3], 8, v20
	v_lshlrev_b32_e32 v6, 8, v6
	s_nop 0
	v_cndmask_b32_e64 v20, v21, v23, s[2:3]
	v_lshl_add_u32 v20, v20, 10, v36
	v_and_b32_e32 v21, 7, v22
	v_and_or_b32 v6, v6, s42, v20
	v_cndmask_b32_e64 v19, v19, v21, s[2:3]
	v_lshlrev_b32_e32 v6, 16, v6
	v_lshl_or_b32 v19, v19, 23, v6
.LBB238_395:                            ;   in Loop: Header=BB238_221 Depth=1
	s_or_b64 exec, exec, s[30:31]
.LBB238_396:                            ;   in Loop: Header=BB238_221 Depth=1
	s_or_b64 exec, exec, s[28:29]
.LBB238_397:                            ;   in Loop: Header=BB238_221 Depth=1
	s_or_b64 exec, exec, s[22:23]
	v_mov_b32_e32 v6, v17
	v_cmp_ne_u16_sdwa s[2:3], v17, v7 src0_sel:BYTE_0 src1_sel:DWORD
	v_mov_b32_e32 v20, 0
	v_mov_b32_e32 v21, 0
	s_and_saveexec_b64 s[22:23], s[2:3]
	s_cbranch_execz .LBB238_403
; %bb.398:                              ;   in Loop: Header=BB238_221 Depth=1
	v_cmp_ne_u16_sdwa s[2:3], v17, s40 src0_sel:BYTE_0 src1_sel:DWORD
	v_mov_b32_e32 v21, 0x8000
	s_and_saveexec_b64 s[28:29], s[2:3]
	s_cbranch_execz .LBB238_402
; %bb.399:                              ;   in Loop: Header=BB238_221 Depth=1
	v_and_b32_e32 v22, 0x7f, v17
	v_cmp_ne_u32_e64 s[2:3], s41, v22
	v_mov_b32_e32 v21, 0x7c01
	s_and_saveexec_b64 s[30:31], s[2:3]
	s_cbranch_execz .LBB238_401
; %bb.400:                              ;   in Loop: Header=BB238_221 Depth=1
	v_and_b32_e32 v21, 7, v17
	v_ffbh_u32_e32 v44, v21
	v_min_u32_e32 v46, 32, v44
	v_subrev_u32_e32 v44, 28, v46
	v_lshlrev_b64 v[44:45], v44, v[6:7]
	v_lshrrev_b32_e32 v23, 3, v22
	v_sub_u32_e32 v45, 29, v46
	v_cmp_gt_u32_e64 s[2:3], 8, v22
	v_and_b32_e32 v44, 7, v44
	s_nop 0
	v_cndmask_b32_e64 v22, v23, v45, s[2:3]
	v_lshl_add_u32 v22, v22, 10, v36
	v_lshlrev_b32_e32 v23, 8, v17
	v_and_b32_e32 v22, 0xfc00, v22
	v_cndmask_b32_e64 v21, v21, v44, s[2:3]
	v_and_or_b32 v22, v23, s42, v22
	v_lshl_or_b32 v21, v21, 7, v22
.LBB238_401:                            ;   in Loop: Header=BB238_221 Depth=1
	s_or_b64 exec, exec, s[30:31]
.LBB238_402:                            ;   in Loop: Header=BB238_221 Depth=1
	s_or_b64 exec, exec, s[28:29]
.LBB238_403:                            ;   in Loop: Header=BB238_221 Depth=1
	s_or_b64 exec, exec, s[22:23]
	v_lshrrev_b16_e32 v6, 8, v6
	v_cmp_ne_u16_e64 s[2:3], 0, v6
	v_mov_b32_e32 v22, 0
	s_and_saveexec_b64 s[22:23], s[2:3]
	s_cbranch_execz .LBB238_409
; %bb.404:                              ;   in Loop: Header=BB238_221 Depth=1
	v_cmp_ne_u16_e64 s[2:3], s40, v6
	v_bfrev_b32_e32 v22, 1
	s_and_saveexec_b64 s[28:29], s[2:3]
	s_cbranch_execz .LBB238_408
; %bb.405:                              ;   in Loop: Header=BB238_221 Depth=1
	v_and_b32_e32 v23, 0x7f, v6
	v_cmp_ne_u32_e64 s[2:3], s41, v23
	v_mov_b32_e32 v22, 0x7c010000
	s_and_saveexec_b64 s[30:31], s[2:3]
	s_cbranch_execz .LBB238_407
; %bb.406:                              ;   in Loop: Header=BB238_221 Depth=1
	v_and_b32_e32 v22, 7, v6
	v_ffbh_u32_e32 v44, v22
	v_min_u32_e32 v47, 32, v44
	v_subrev_u32_e32 v44, 28, v47
	v_lshlrev_b64 v[44:45], v44, v[6:7]
	v_lshrrev_b32_e32 v46, 3, v23
	v_sub_u32_e32 v45, 29, v47
	v_cmp_gt_u32_e64 s[2:3], 8, v23
	v_lshlrev_b32_e32 v6, 8, v6
	v_and_b32_e32 v44, 7, v44
	v_cndmask_b32_e64 v23, v46, v45, s[2:3]
	v_lshl_add_u32 v23, v23, 10, v36
	v_and_or_b32 v6, v6, s42, v23
	v_cndmask_b32_e64 v22, v22, v44, s[2:3]
	v_lshlrev_b32_e32 v6, 16, v6
	v_lshl_or_b32 v22, v22, 23, v6
.LBB238_407:                            ;   in Loop: Header=BB238_221 Depth=1
	s_or_b64 exec, exec, s[30:31]
.LBB238_408:                            ;   in Loop: Header=BB238_221 Depth=1
	s_or_b64 exec, exec, s[28:29]
.LBB238_409:                            ;   in Loop: Header=BB238_221 Depth=1
	s_or_b64 exec, exec, s[22:23]
	v_lshrrev_b32_e32 v6, 16, v17
	v_cmp_ne_u16_sdwa s[2:3], v6, v7 src0_sel:BYTE_0 src1_sel:DWORD
	s_and_saveexec_b64 s[22:23], s[2:3]
	s_cbranch_execz .LBB238_415
; %bb.410:                              ;   in Loop: Header=BB238_221 Depth=1
	v_cmp_ne_u16_sdwa s[2:3], v6, s40 src0_sel:BYTE_0 src1_sel:DWORD
	v_mov_b32_e32 v20, 0x8000
	s_and_saveexec_b64 s[28:29], s[2:3]
	s_cbranch_execz .LBB238_414
; %bb.411:                              ;   in Loop: Header=BB238_221 Depth=1
	v_bfe_u32 v23, v17, 16, 7
	v_cmp_ne_u32_e64 s[2:3], s41, v23
	v_mov_b32_e32 v20, 0x7c01
	s_and_saveexec_b64 s[30:31], s[2:3]
	s_cbranch_execz .LBB238_413
; %bb.412:                              ;   in Loop: Header=BB238_221 Depth=1
	v_and_b32_e32 v20, 7, v6
	v_ffbh_u32_e32 v44, v20
	v_min_u32_e32 v47, 32, v44
	v_subrev_u32_e32 v44, 28, v47
	v_lshlrev_b64 v[44:45], v44, v[6:7]
	v_lshrrev_b32_e32 v46, 3, v23
	v_sub_u32_e32 v45, 29, v47
	v_cmp_gt_u32_e64 s[2:3], 8, v23
	v_lshlrev_b32_e32 v6, 8, v6
	v_and_b32_e32 v44, 7, v44
	v_cndmask_b32_e64 v23, v46, v45, s[2:3]
	v_lshl_add_u32 v23, v23, 10, v36
	v_and_b32_e32 v23, 0xfc00, v23
	v_cndmask_b32_e64 v20, v20, v44, s[2:3]
	v_and_or_b32 v6, v6, s42, v23
	v_lshl_or_b32 v20, v20, 7, v6
.LBB238_413:                            ;   in Loop: Header=BB238_221 Depth=1
	s_or_b64 exec, exec, s[30:31]
.LBB238_414:                            ;   in Loop: Header=BB238_221 Depth=1
	s_or_b64 exec, exec, s[28:29]
.LBB238_415:                            ;   in Loop: Header=BB238_221 Depth=1
	s_or_b64 exec, exec, s[22:23]
	v_cmp_lt_u64_e64 s[2:3], s[12:13], v[16:17]
	v_mov_b32_e32 v16, 0
	s_and_saveexec_b64 s[22:23], s[2:3]
	s_cbranch_execz .LBB238_421
; %bb.416:                              ;   in Loop: Header=BB238_221 Depth=1
	v_lshrrev_b32_e32 v6, 24, v17
	v_cmp_ne_u32_e64 s[2:3], s40, v6
	v_bfrev_b32_e32 v16, 1
	s_and_saveexec_b64 s[28:29], s[2:3]
	s_cbranch_execz .LBB238_420
; %bb.417:                              ;   in Loop: Header=BB238_221 Depth=1
	v_and_b32_e32 v17, 0x7f, v6
	v_cmp_ne_u32_e64 s[2:3], s41, v17
	v_mov_b32_e32 v16, 0x7c010000
	s_and_saveexec_b64 s[30:31], s[2:3]
	s_cbranch_execz .LBB238_419
; %bb.418:                              ;   in Loop: Header=BB238_221 Depth=1
	v_and_b32_e32 v16, 7, v6
	v_ffbh_u32_e32 v44, v16
	v_min_u32_e32 v46, 32, v44
	v_subrev_u32_e32 v44, 28, v46
	v_lshlrev_b64 v[44:45], v44, v[6:7]
	v_lshrrev_b32_e32 v23, 3, v17
	v_sub_u32_e32 v45, 29, v46
	v_cmp_gt_u32_e64 s[2:3], 8, v17
	v_lshlrev_b32_e32 v6, 8, v6
	s_nop 0
	v_cndmask_b32_e64 v17, v23, v45, s[2:3]
	v_lshl_add_u32 v17, v17, 10, v36
	v_and_b32_e32 v23, 7, v44
	v_and_or_b32 v6, v6, s42, v17
	v_cndmask_b32_e64 v16, v16, v23, s[2:3]
	v_lshlrev_b32_e32 v6, 16, v6
	v_lshl_or_b32 v16, v16, 23, v6
.LBB238_419:                            ;   in Loop: Header=BB238_221 Depth=1
	s_or_b64 exec, exec, s[30:31]
.LBB238_420:                            ;   in Loop: Header=BB238_221 Depth=1
	s_or_b64 exec, exec, s[28:29]
.LBB238_421:                            ;   in Loop: Header=BB238_221 Depth=1
	s_or_b64 exec, exec, s[22:23]
	v_cvt_f32_f16_sdwa v45, v1 dst_sel:DWORD dst_unused:UNUSED_PAD src0_sel:WORD_1
	v_cvt_f32_f16_sdwa v44, v19 dst_sel:DWORD dst_unused:UNUSED_PAD src0_sel:WORD_1
	v_or_b32_e32 v1, v1, v15
	v_or_b32_e32 v6, v19, v18
	v_or_b32_e32 v20, v16, v20
	s_waitcnt vmcnt(0)
	v_pk_mul_f32 v[18:19], v[14:15], v[44:45] op_sel_hi:[0,1]
	v_cvt_f32_f16_e32 v44, v6
	v_cvt_f32_f16_e32 v45, v1
	v_cvt_pk_f16_f32 v1, v18, v19
	v_and_b32_e32 v15, 0xffff0000, v1
	v_lshlrev_b32_e32 v6, 16, v1
	v_pk_mul_f32 v[18:19], v[14:15], v[44:45] op_sel_hi:[0,1]
	v_cvt_pk_f16_f32 v1, v18, v19
	v_or_b32_e32 v19, v22, v21
	v_cvt_f32_f16_e32 v20, v20
	v_cvt_f32_f16_e32 v21, v19
	v_cvt_f32_f16_sdwa v23, v22 dst_sel:DWORD dst_unused:UNUSED_PAD src0_sel:WORD_1
	v_cvt_f32_f16_sdwa v22, v16 dst_sel:DWORD dst_unused:UNUSED_PAD src0_sel:WORD_1
	v_lshrrev_b32_e32 v17, 16, v1
	v_pk_mul_f32 v[20:21], v[14:15], v[20:21] op_sel_hi:[0,1]
	v_cvt_pk_f16_f32 v44, v20, v21
	v_pk_mul_f32 v[20:21], v[14:15], v[22:23] op_sel_hi:[0,1]
	v_cvt_pk_f16_f32 v14, v20, v21
	v_and_b32_e32 v18, 0xffff, v1
	v_and_b32_e32 v19, 0xffff0000, v14
	v_lshlrev_b32_e32 v14, 16, v14
	v_lshrrev_b32_e32 v21, 16, v44
	v_and_b32_e32 v20, 0xffff, v44
	v_or_b32_e32 v1, v15, v17
	v_or_b32_e32 v16, v6, v18
	;; [unrolled: 1-line block ×4, first 2 shown]
	s_and_saveexec_b64 s[2:3], s[0:1]
	s_cbranch_execz .LBB238_218
; %bb.422:                              ;   in Loop: Header=BB238_221 Depth=1
	v_add_u32_e32 v22, 2, v37
	v_cmp_gt_i32_e64 s[0:1], s39, v37
	v_or_b32_e32 v1, 1, v37
	v_or_b32_e32 v16, 3, v37
	v_cndmask_b32_e64 v17, 0, v17, s[0:1]
	v_cmp_gt_i32_e64 s[0:1], s33, v22
	s_nop 1
	v_cndmask_b32_e64 v18, 0, v18, s[0:1]
	v_cmp_gt_i32_e64 s[0:1], s39, v1
	s_nop 1
	v_cndmask_b32_e64 v1, 0, v15, s[0:1]
	v_cmp_gt_i32_e64 s[0:1], s33, v16
	v_or_b32_e32 v15, 6, v37
	v_or_b32_e32 v1, v1, v17
	v_cndmask_b32_e64 v6, 0, v6, s[0:1]
	v_or_b32_e32 v16, v6, v18
	v_or_b32_e32 v6, 4, v37
	v_cmp_gt_i32_e64 s[0:1], s39, v6
	v_or_b32_e32 v17, 5, v37
	v_or_b32_e32 v18, 7, v37
	v_cndmask_b32_e64 v6, 0, v21, s[0:1]
	v_cmp_gt_i32_e64 s[0:1], s33, v15
	s_nop 1
	v_cndmask_b32_e64 v15, 0, v20, s[0:1]
	v_cmp_gt_i32_e64 s[0:1], s39, v17
	s_nop 1
	v_cndmask_b32_e64 v17, 0, v19, s[0:1]
	v_cmp_gt_i32_e64 s[0:1], s33, v18
	v_or_b32_e32 v23, v17, v6
	s_nop 0
	v_cndmask_b32_e64 v14, 0, v14, s[0:1]
	v_or_b32_e32 v22, v14, v15
	s_branch .LBB238_218
.LBB238_423:
	s_or_b64 exec, exec, s[16:17]
.LBB238_424:
	s_or_b64 exec, exec, s[6:7]
	ds_bpermute_b32 v2, v30, v8
	ds_bpermute_b32 v3, v30, v9
	;; [unrolled: 1-line block ×4, first 2 shown]
	v_and_b32_e32 v1, 0x3c0, v0
	v_cmp_eq_u32_e64 s[0:1], 64, v1
	s_waitcnt lgkmcnt(2)
	v_pk_add_f32 v[6:7], v[8:9], v[2:3]
	v_cmp_eq_u32_e32 vcc, 0, v32
	s_waitcnt lgkmcnt(0)
	v_pk_add_f32 v[2:3], v[4:5], v[10:11]
	s_barrier
	s_and_saveexec_b64 s[2:3], s[0:1]
	s_cbranch_execz .LBB238_429
; %bb.425:
	s_and_saveexec_b64 s[0:1], vcc
	s_cbranch_execz .LBB238_427
; %bb.426:
	v_mov_b32_e32 v1, 0xf0
	v_lshl_add_u32 v1, v31, 2, v1
	ds_write2_b32 v1, v6, v7 offset1:32
	ds_write_b32 v1, v2 offset:256
.LBB238_427:
	s_or_b64 exec, exec, s[0:1]
	v_or_b32_e32 v1, 0x60, v31
	s_movk_i32 s0, 0x70
	v_cmp_gt_u32_e64 s[0:1], s0, v1
	s_and_b64 s[0:1], vcc, s[0:1]
	s_and_b64 exec, exec, s[0:1]
; %bb.428:
	v_mov_b32_e32 v1, 0xf0
	v_lshl_add_u32 v1, v31, 2, v1
	ds_write_b32 v1, v3 offset:384
.LBB238_429:
	s_or_b64 exec, exec, s[2:3]
	v_cmp_gt_u32_e64 s[0:1], 64, v0
	v_lshrrev_b32_e32 v0, 1, v0
	s_waitcnt lgkmcnt(0)
	s_barrier
	s_and_saveexec_b64 s[6:7], s[0:1]
	s_cbranch_execz .LBB238_439
; %bb.430:
	s_and_saveexec_b64 s[2:3], vcc
	s_cbranch_execz .LBB238_432
; %bb.431:
	v_mov_b32_e32 v1, 0xf0
	v_lshl_add_u32 v1, v0, 2, v1
	ds_read_b32 v1, v1
	s_waitcnt lgkmcnt(0)
	v_add_f32_e32 v6, v6, v1
.LBB238_432:
	s_or_b64 exec, exec, s[2:3]
	v_or_b32_e32 v1, 32, v0
	s_movk_i32 s8, 0x70
	v_cmp_gt_u32_e64 s[2:3], s8, v1
	s_and_b64 s[12:13], vcc, s[2:3]
	s_and_saveexec_b64 s[2:3], s[12:13]
	s_cbranch_execz .LBB238_434
; %bb.433:
	v_mov_b32_e32 v1, 0xf0
	v_lshl_add_u32 v1, v0, 2, v1
	ds_read_b32 v1, v1 offset:128
	s_waitcnt lgkmcnt(0)
	v_add_f32_e32 v7, v7, v1
.LBB238_434:
	s_or_b64 exec, exec, s[2:3]
	v_or_b32_e32 v1, 64, v0
	v_cmp_gt_u32_e64 s[2:3], s8, v1
	s_and_b64 s[8:9], vcc, s[2:3]
	s_and_saveexec_b64 s[2:3], s[8:9]
	s_cbranch_execz .LBB238_436
; %bb.435:
	v_mov_b32_e32 v1, 0xf0
	v_lshl_add_u32 v1, v0, 2, v1
	ds_read_b32 v1, v1 offset:256
	s_waitcnt lgkmcnt(0)
	v_add_f32_e32 v2, v2, v1
.LBB238_436:
	s_or_b64 exec, exec, s[2:3]
	v_or_b32_e32 v1, 0x60, v0
	s_movk_i32 s2, 0x70
	v_cmp_gt_u32_e64 s[2:3], s2, v1
	s_and_b64 s[8:9], vcc, s[2:3]
	s_and_saveexec_b64 s[2:3], s[8:9]
	s_cbranch_execz .LBB238_438
; %bb.437:
	v_mov_b32_e32 v1, 0xf0
	v_lshl_add_u32 v1, v0, 2, v1
	ds_read_b32 v1, v1 offset:384
	s_waitcnt lgkmcnt(0)
	v_add_f32_e32 v3, v3, v1
.LBB238_438:
	s_or_b64 exec, exec, s[2:3]
.LBB238_439:
	s_or_b64 exec, exec, s[6:7]
	s_barrier
	s_and_saveexec_b64 s[2:3], s[0:1]
	s_cbranch_execz .LBB238_448
; %bb.440:
	s_mul_i32 s0, s10, s11
	s_mul_i32 s0, s0, s5
	s_mulk_i32 s0, 0x70
	s_ashr_i32 s1, s0, 31
	s_lshl_b64 s[0:1], s[0:1], 1
	s_add_u32 s2, s26, s0
	s_mul_i32 s0, s11, s24
	s_addc_u32 s3, s27, s1
	s_ashr_i32 s1, s0, 31
	s_lshl_b64 s[0:1], s[0:1], 1
	s_add_u32 s2, s2, s0
	s_mul_i32 s0, s4, 0x70
	s_addc_u32 s3, s3, s1
	s_ashr_i32 s1, s0, 31
	s_lshl_b64 s[0:1], s[0:1], 1
	s_add_u32 s2, s2, s0
	s_movk_i32 s5, 0x70
	s_addc_u32 s3, s3, s1
	v_lshlrev_b32_e32 v1, 1, v0
	s_and_saveexec_b64 s[0:1], vcc
	s_cbranch_execz .LBB238_442
; %bb.441:
	;;#ASMSTART
	v_cvt_f16_f32 v4, v6;

	;;#ASMEND
	global_store_short v1, v4, s[2:3]
.LBB238_442:
	s_or_b64 exec, exec, s[0:1]
	v_or_b32_e32 v4, 32, v0
	v_cmp_gt_u32_e64 s[0:1], s5, v4
	s_and_b64 s[4:5], vcc, s[0:1]
	s_and_saveexec_b64 s[0:1], s[4:5]
	s_cbranch_execz .LBB238_444
; %bb.443:
	;;#ASMSTART
	v_cvt_f16_f32 v4, v7;

	;;#ASMEND
	global_store_short v1, v4, s[2:3] offset:64
.LBB238_444:
	s_or_b64 exec, exec, s[0:1]
	v_or_b32_e32 v4, 64, v0
	s_movk_i32 s4, 0x70
	v_cmp_gt_u32_e64 s[0:1], s4, v4
	s_and_b64 s[6:7], vcc, s[0:1]
	s_and_saveexec_b64 s[0:1], s[6:7]
	s_cbranch_execz .LBB238_446
; %bb.445:
	;;#ASMSTART
	v_cvt_f16_f32 v2, v2;

	;;#ASMEND
	global_store_short v1, v2, s[2:3] offset:128
.LBB238_446:
	s_or_b64 exec, exec, s[0:1]
	v_or_b32_e32 v0, 0x60, v0
	v_cmp_gt_u32_e64 s[0:1], s4, v0
	s_and_b64 s[0:1], vcc, s[0:1]
	s_and_b64 exec, exec, s[0:1]
	s_cbranch_execz .LBB238_448
; %bb.447:
	;;#ASMSTART
	v_cvt_f16_f32 v0, v3;

	;;#ASMEND
	global_store_short v1, v0, s[2:3] offset:192
.LBB238_448:
	s_endpgm
	.section	.rodata,"a",@progbits
	.p2align	6, 0x0
	.amdhsa_kernel _ZN4vllm25paged_attention_v1_kernelIthLi112ELi16ELi128ELNS_18Fp8KVCacheDataTypeE1ELb1EEEvPT_PKS2_PKT0_S8_ifPKiSA_iPKfiiiSC_SC_iiiii
		.amdhsa_group_segment_fixed_size 240
		.amdhsa_private_segment_fixed_size 0
		.amdhsa_kernarg_size 384
		.amdhsa_user_sgpr_count 2
		.amdhsa_user_sgpr_dispatch_ptr 0
		.amdhsa_user_sgpr_queue_ptr 0
		.amdhsa_user_sgpr_kernarg_segment_ptr 1
		.amdhsa_user_sgpr_dispatch_id 0
		.amdhsa_user_sgpr_kernarg_preload_length 0
		.amdhsa_user_sgpr_kernarg_preload_offset 0
		.amdhsa_user_sgpr_private_segment_size 0
		.amdhsa_uses_dynamic_stack 0
		.amdhsa_enable_private_segment 0
		.amdhsa_system_sgpr_workgroup_id_x 1
		.amdhsa_system_sgpr_workgroup_id_y 1
		.amdhsa_system_sgpr_workgroup_id_z 1
		.amdhsa_system_sgpr_workgroup_info 0
		.amdhsa_system_vgpr_workitem_id 0
		.amdhsa_next_free_vgpr 65
		.amdhsa_next_free_sgpr 55
		.amdhsa_accum_offset 68
		.amdhsa_reserve_vcc 1
		.amdhsa_float_round_mode_32 0
		.amdhsa_float_round_mode_16_64 0
		.amdhsa_float_denorm_mode_32 3
		.amdhsa_float_denorm_mode_16_64 3
		.amdhsa_dx10_clamp 1
		.amdhsa_ieee_mode 1
		.amdhsa_fp16_overflow 0
		.amdhsa_tg_split 0
		.amdhsa_exception_fp_ieee_invalid_op 0
		.amdhsa_exception_fp_denorm_src 0
		.amdhsa_exception_fp_ieee_div_zero 0
		.amdhsa_exception_fp_ieee_overflow 0
		.amdhsa_exception_fp_ieee_underflow 0
		.amdhsa_exception_fp_ieee_inexact 0
		.amdhsa_exception_int_div_zero 0
	.end_amdhsa_kernel
	.section	.text._ZN4vllm25paged_attention_v1_kernelIthLi112ELi16ELi128ELNS_18Fp8KVCacheDataTypeE1ELb1EEEvPT_PKS2_PKT0_S8_ifPKiSA_iPKfiiiSC_SC_iiiii,"axG",@progbits,_ZN4vllm25paged_attention_v1_kernelIthLi112ELi16ELi128ELNS_18Fp8KVCacheDataTypeE1ELb1EEEvPT_PKS2_PKT0_S8_ifPKiSA_iPKfiiiSC_SC_iiiii,comdat
.Lfunc_end238:
	.size	_ZN4vllm25paged_attention_v1_kernelIthLi112ELi16ELi128ELNS_18Fp8KVCacheDataTypeE1ELb1EEEvPT_PKS2_PKT0_S8_ifPKiSA_iPKfiiiSC_SC_iiiii, .Lfunc_end238-_ZN4vllm25paged_attention_v1_kernelIthLi112ELi16ELi128ELNS_18Fp8KVCacheDataTypeE1ELb1EEEvPT_PKS2_PKT0_S8_ifPKiSA_iPKfiiiSC_SC_iiiii
                                        ; -- End function
	.set _ZN4vllm25paged_attention_v1_kernelIthLi112ELi16ELi128ELNS_18Fp8KVCacheDataTypeE1ELb1EEEvPT_PKS2_PKT0_S8_ifPKiSA_iPKfiiiSC_SC_iiiii.num_vgpr, 65
	.set _ZN4vllm25paged_attention_v1_kernelIthLi112ELi16ELi128ELNS_18Fp8KVCacheDataTypeE1ELb1EEEvPT_PKS2_PKT0_S8_ifPKiSA_iPKfiiiSC_SC_iiiii.num_agpr, 0
	.set _ZN4vllm25paged_attention_v1_kernelIthLi112ELi16ELi128ELNS_18Fp8KVCacheDataTypeE1ELb1EEEvPT_PKS2_PKT0_S8_ifPKiSA_iPKfiiiSC_SC_iiiii.numbered_sgpr, 55
	.set _ZN4vllm25paged_attention_v1_kernelIthLi112ELi16ELi128ELNS_18Fp8KVCacheDataTypeE1ELb1EEEvPT_PKS2_PKT0_S8_ifPKiSA_iPKfiiiSC_SC_iiiii.num_named_barrier, 0
	.set _ZN4vllm25paged_attention_v1_kernelIthLi112ELi16ELi128ELNS_18Fp8KVCacheDataTypeE1ELb1EEEvPT_PKS2_PKT0_S8_ifPKiSA_iPKfiiiSC_SC_iiiii.private_seg_size, 0
	.set _ZN4vllm25paged_attention_v1_kernelIthLi112ELi16ELi128ELNS_18Fp8KVCacheDataTypeE1ELb1EEEvPT_PKS2_PKT0_S8_ifPKiSA_iPKfiiiSC_SC_iiiii.uses_vcc, 1
	.set _ZN4vllm25paged_attention_v1_kernelIthLi112ELi16ELi128ELNS_18Fp8KVCacheDataTypeE1ELb1EEEvPT_PKS2_PKT0_S8_ifPKiSA_iPKfiiiSC_SC_iiiii.uses_flat_scratch, 0
	.set _ZN4vllm25paged_attention_v1_kernelIthLi112ELi16ELi128ELNS_18Fp8KVCacheDataTypeE1ELb1EEEvPT_PKS2_PKT0_S8_ifPKiSA_iPKfiiiSC_SC_iiiii.has_dyn_sized_stack, 0
	.set _ZN4vllm25paged_attention_v1_kernelIthLi112ELi16ELi128ELNS_18Fp8KVCacheDataTypeE1ELb1EEEvPT_PKS2_PKT0_S8_ifPKiSA_iPKfiiiSC_SC_iiiii.has_recursion, 0
	.set _ZN4vllm25paged_attention_v1_kernelIthLi112ELi16ELi128ELNS_18Fp8KVCacheDataTypeE1ELb1EEEvPT_PKS2_PKT0_S8_ifPKiSA_iPKfiiiSC_SC_iiiii.has_indirect_call, 0
	.section	.AMDGPU.csdata,"",@progbits
; Kernel info:
; codeLenInByte = 20116
; TotalNumSgprs: 61
; NumVgprs: 65
; NumAgprs: 0
; TotalNumVgprs: 65
; ScratchSize: 0
; MemoryBound: 0
; FloatMode: 240
; IeeeMode: 1
; LDSByteSize: 240 bytes/workgroup (compile time only)
; SGPRBlocks: 7
; VGPRBlocks: 8
; NumSGPRsForWavesPerEU: 61
; NumVGPRsForWavesPerEU: 65
; AccumOffset: 68
; Occupancy: 7
; WaveLimiterHint : 1
; COMPUTE_PGM_RSRC2:SCRATCH_EN: 0
; COMPUTE_PGM_RSRC2:USER_SGPR: 2
; COMPUTE_PGM_RSRC2:TRAP_HANDLER: 0
; COMPUTE_PGM_RSRC2:TGID_X_EN: 1
; COMPUTE_PGM_RSRC2:TGID_Y_EN: 1
; COMPUTE_PGM_RSRC2:TGID_Z_EN: 1
; COMPUTE_PGM_RSRC2:TIDIG_COMP_CNT: 0
; COMPUTE_PGM_RSRC3_GFX90A:ACCUM_OFFSET: 16
; COMPUTE_PGM_RSRC3_GFX90A:TG_SPLIT: 0
	.section	.text._ZN4vllm25paged_attention_v1_kernelIthLi120ELi16ELi128ELNS_18Fp8KVCacheDataTypeE1ELb1EEEvPT_PKS2_PKT0_S8_ifPKiSA_iPKfiiiSC_SC_iiiii,"axG",@progbits,_ZN4vllm25paged_attention_v1_kernelIthLi120ELi16ELi128ELNS_18Fp8KVCacheDataTypeE1ELb1EEEvPT_PKS2_PKT0_S8_ifPKiSA_iPKfiiiSC_SC_iiiii,comdat
	.protected	_ZN4vllm25paged_attention_v1_kernelIthLi120ELi16ELi128ELNS_18Fp8KVCacheDataTypeE1ELb1EEEvPT_PKS2_PKT0_S8_ifPKiSA_iPKfiiiSC_SC_iiiii ; -- Begin function _ZN4vllm25paged_attention_v1_kernelIthLi120ELi16ELi128ELNS_18Fp8KVCacheDataTypeE1ELb1EEEvPT_PKS2_PKT0_S8_ifPKiSA_iPKfiiiSC_SC_iiiii
	.globl	_ZN4vllm25paged_attention_v1_kernelIthLi120ELi16ELi128ELNS_18Fp8KVCacheDataTypeE1ELb1EEEvPT_PKS2_PKT0_S8_ifPKiSA_iPKfiiiSC_SC_iiiii
	.p2align	8
	.type	_ZN4vllm25paged_attention_v1_kernelIthLi120ELi16ELi128ELNS_18Fp8KVCacheDataTypeE1ELb1EEEvPT_PKS2_PKT0_S8_ifPKiSA_iPKfiiiSC_SC_iiiii,@function
_ZN4vllm25paged_attention_v1_kernelIthLi120ELi16ELi128ELNS_18Fp8KVCacheDataTypeE1ELb1EEEvPT_PKS2_PKT0_S8_ifPKiSA_iPKfiiiSC_SC_iiiii: ; @_ZN4vllm25paged_attention_v1_kernelIthLi120ELi16ELi128ELNS_18Fp8KVCacheDataTypeE1ELb1EEEvPT_PKS2_PKT0_S8_ifPKiSA_iPKfiiiSC_SC_iiiii
; %bb.0:
	s_load_dword s5, s[0:1], 0x80
	s_load_dwordx2 s[6:7], s[0:1], 0x30
	s_load_dwordx2 s[36:37], s[0:1], 0x20
	s_mov_b32 s10, s3
	s_ashr_i32 s11, s3, 31
	s_lshl_b64 s[8:9], s[10:11], 2
	s_waitcnt lgkmcnt(0)
	s_add_u32 s6, s6, s8
	s_addc_u32 s7, s7, s9
	s_abs_i32 s3, s36
	v_cvt_f32_u32_e32 v1, s3
	s_sub_i32 s11, 0, s3
	s_abs_i32 s9, s5
	s_xor_b32 s8, s5, s36
	v_rcp_iflag_f32_e32 v1, v1
	s_ashr_i32 s8, s8, 31
	s_mov_b32 s49, 0
	v_mul_f32_e32 v1, 0x4f7ffffe, v1
	v_cvt_u32_f32_e32 v1, v1
	s_nop 0
	v_readfirstlane_b32 s12, v1
	s_mul_i32 s11, s11, s12
	s_mul_hi_u32 s11, s12, s11
	s_add_i32 s12, s12, s11
	s_mul_hi_u32 s11, s9, s12
	s_mul_i32 s12, s11, s3
	s_sub_i32 s9, s9, s12
	s_add_i32 s12, s11, 1
	s_sub_i32 s13, s9, s3
	s_cmp_ge_u32 s9, s3
	s_cselect_b32 s11, s12, s11
	s_cselect_b32 s9, s13, s9
	s_add_i32 s12, s11, 1
	s_cmp_ge_u32 s9, s3
	s_cselect_b32 s3, s12, s11
	s_xor_b32 s3, s3, s8
	s_sub_i32 s14, s3, s8
	s_abs_i32 s11, s14
	v_cvt_f32_u32_e32 v1, s11
	s_load_dwordx2 s[8:9], s[0:1], 0x40
	s_sub_i32 s3, 0, s11
	s_abs_i32 s12, s2
	v_rcp_iflag_f32_e32 v1, v1
	s_nop 0
	v_mul_f32_e32 v1, 0x4f7ffffe, v1
	v_cvt_u32_f32_e32 v1, v1
	s_nop 0
	v_readfirstlane_b32 s13, v1
	s_mul_i32 s3, s3, s13
	s_mul_hi_u32 s3, s13, s3
	s_add_i32 s13, s13, s3
	s_waitcnt lgkmcnt(0)
	s_cmp_eq_u64 s[8:9], 0
	s_mul_hi_u32 s13, s12, s13
	s_cbranch_scc1 .LBB239_2
; %bb.1:
	s_ashr_i32 s3, s2, 31
	s_lshl_b64 s[16:17], s[2:3], 2
	s_add_u32 s8, s8, s16
	s_addc_u32 s9, s9, s17
	s_load_dword s49, s[8:9], 0x0
.LBB239_2:
	s_load_dword s33, s[6:7], 0x0
	s_load_dwordx4 s[16:19], s[0:1], 0x48
	s_ashr_i32 s3, s2, 31
	s_ashr_i32 s9, s14, 31
	v_and_b32_e32 v4, 3, v0
	s_mul_i32 s24, s2, 0x78
	v_cmp_gt_u32_e32 vcc, 60, v0
	s_and_saveexec_b64 s[6:7], vcc
	s_cbranch_execz .LBB239_4
; %bb.3:
	s_load_dwordx2 s[14:15], s[0:1], 0x8
	s_waitcnt lgkmcnt(0)
	s_mul_i32 s20, s16, s10
	s_ashr_i32 s21, s20, 31
	s_lshl_b64 s[20:21], s[20:21], 1
	v_lshlrev_b32_e32 v1, 2, v0
	s_add_u32 s8, s14, s20
	s_addc_u32 s16, s15, s21
	s_ashr_i32 s25, s24, 31
	s_lshl_b64 s[14:15], s[24:25], 1
	s_add_u32 s14, s8, s14
	s_addc_u32 s15, s16, s15
	global_load_dword v1, v1, s[14:15]
	v_and_b32_e32 v2, 0x3fc, v0
	v_mad_u32_u24 v2, v4, 60, v2
	s_waitcnt vmcnt(0)
	ds_write_b32 v2, v1
.LBB239_4:
	s_or_b64 exec, exec, s[6:7]
	s_mul_i32 s6, s13, s11
	s_sub_i32 s6, s12, s6
	s_xor_b32 s3, s3, s9
	s_add_i32 s7, s13, 1
	s_sub_i32 s9, s6, s11
	s_load_dwordx4 s[20:23], s[0:1], 0x68
	s_load_dword s8, s[0:1], 0x78
	s_cmp_ge_u32 s6, s11
	s_cselect_b32 s7, s7, s13
	s_cselect_b32 s6, s9, s6
	s_add_i32 s9, s7, 1
	s_cmp_ge_u32 s6, s11
	s_cselect_b32 s6, s9, s7
	s_waitcnt lgkmcnt(0)
	s_abs_i32 s25, s23
	v_cvt_f32_u32_e32 v1, s25
	s_xor_b32 s6, s6, s3
	s_sub_i32 s3, s6, s3
	s_sub_i32 s6, 0, s25
	v_rcp_iflag_f32_e32 v1, v1
	s_add_i32 s11, s33, -1
	s_abs_i32 s9, s11
	v_mul_f32_e32 v1, 0x4f7ffffe, v1
	v_cvt_u32_f32_e32 v1, v1
	s_barrier
	v_readfirstlane_b32 s46, v1
	s_mul_i32 s6, s6, s46
	s_mul_hi_u32 s6, s46, s6
	s_add_i32 s46, s46, s6
	s_cmp_lt_i32 s8, 0
	s_mul_hi_u32 s16, s9, s46
	s_cbranch_scc0 .LBB239_6
; %bb.5:
	s_mul_i32 s6, s20, s36
	s_add_i32 s6, s3, s6
	s_mul_i32 s6, s6, s8
	s_sub_i32 s36, 1, s6
	s_mov_b64 s[6:7], 0
	s_branch .LBB239_7
.LBB239_6:
	s_mov_b64 s[6:7], -1
                                        ; implicit-def: $sgpr36
.LBB239_7:
	s_load_dwordx2 s[28:29], s[0:1], 0x28
	s_ashr_i32 s19, s11, 31
	s_andn2_b64 vcc, exec, s[6:7]
	s_ashr_i32 s47, s23, 31
	s_cbranch_vccnz .LBB239_9
; %bb.8:
	s_mul_i32 s6, s5, s20
	s_add_i32 s2, s6, s2
	s_mul_i32 s2, s2, s8
	s_add_i32 s36, s2, 1
.LBB239_9:
	s_load_dword s2, s[0:1], 0x38
	s_load_dwordx2 s[26:27], s[0:1], 0x0
	s_load_dwordx2 s[34:35], s[0:1], 0x18
	s_load_dword s11, s[0:1], 0x88
	s_load_dwordx4 s[12:15], s[0:1], 0x58
	s_mul_i32 s6, s16, s25
	s_waitcnt lgkmcnt(0)
	s_mul_i32 s30, s2, s10
	s_sub_i32 s6, s9, s6
	s_ashr_i32 s31, s30, 31
	s_xor_b32 s2, s19, s47
	s_add_i32 s7, s16, 1
	s_sub_i32 s8, s6, s25
	s_cmp_ge_u32 s6, s25
	s_cselect_b32 s7, s7, s16
	s_cselect_b32 s6, s8, s6
	s_add_i32 s8, s7, 1
	s_cmp_ge_u32 s6, s25
	s_cselect_b32 s6, s8, s7
	s_xor_b32 s6, s6, s2
	s_sub_i32 s16, s6, s2
	s_add_i32 s2, s33, 15
	s_ashr_i32 s6, s2, 31
	s_lshr_b32 s6, s6, 28
	s_add_i32 s2, s2, s6
	s_ashr_i32 s48, s2, 4
	v_lshrrev_b32_e32 v28, 6, v0
	v_cmp_le_i32_e64 s[6:7], s48, v28
	v_cmp_gt_i32_e32 vcc, s48, v28
	v_mov_b32_e32 v13, 0xff7fffff
	s_mul_i32 s20, s3, s18
	v_lshrrev_b32_e32 v1, 4, v0
	v_lshlrev_b32_e32 v29, 4, v28
	v_mbcnt_lo_u32_b32 v10, -1, 0
	s_and_saveexec_b64 s[18:19], vcc
	s_cbranch_execz .LBB239_201
; %bb.10:
	s_load_dwordx2 s[0:1], s[0:1], 0x10
	s_sub_i32 s23, s16, s21
	s_ashr_i32 s2, s20, 31
	v_bfe_u32 v11, v0, 2, 4
	v_mov_b32_e32 v3, 0
	s_waitcnt lgkmcnt(0)
	s_add_u32 s0, s0, s20
	s_addc_u32 s1, s1, s2
	s_abs_i32 s50, s22
	v_cvt_f32_u32_e32 v2, s50
	v_cmp_eq_u32_e32 vcc, 0, v4
	v_mul_u32_u24_e32 v12, 60, v4
	s_mov_b32 s51, s17
	v_rcp_iflag_f32_e32 v5, v2
	v_lshlrev_b32_e32 v2, 4, v11
	v_lshl_add_u64 v[6:7], s[0:1], 0, v[2:3]
	s_sub_i32 s0, 0, s50
	v_mul_f32_e32 v5, 0x4f7ffffe, v5
	v_cvt_u32_f32_e32 v5, v5
	v_lshlrev_b32_e32 v2, 1, v4
	v_cmp_neq_f32_e64 s[2:3], s49, 0
	v_lshlrev_b32_e32 v15, 4, v28
	v_mul_lo_u32 v4, s0, v5
	s_lshl_b64 s[0:1], s[30:31], 2
	v_mul_hi_u32 v4, v5, v4
	s_add_u32 s0, s28, s0
	v_add_u32_e32 v14, v5, v4
	v_lshl_add_u64 v[4:5], v[6:7], 0, v[2:3]
	v_and_b32_e32 v2, 60, v1
	s_addc_u32 s1, s29, s1
	v_lshl_add_u64 v[6:7], s[0:1], 0, v[2:3]
	v_subrev_u32_e32 v2, s33, v11
	v_add_u32_e32 v16, 1, v2
	v_lshlrev_b32_e32 v2, 2, v11
	v_lshl_or_b32 v2, v28, 6, v2
	v_add_u32_e32 v17, 0x100, v2
	v_mov_b32_e32 v18, 0xff7fffff
	s_mov_b64 s[38:39], 0
	s_movk_i32 s52, 0x80
	s_movk_i32 s53, 0x7f
	s_mov_b32 s54, 0x8000
	v_mov_b32_e32 v19, 0x2000
	v_mbcnt_hi_u32_b32 v20, -1, v10
	v_mov_b32_e32 v13, 0xff7fffff
	v_mov_b32_e32 v21, v28
	s_branch .LBB239_13
.LBB239_11:                             ;   in Loop: Header=BB239_13 Depth=1
	s_or_b64 exec, exec, s[40:41]
.LBB239_12:                             ;   in Loop: Header=BB239_13 Depth=1
	s_or_b64 exec, exec, s[8:9]
	v_add_u32_e32 v21, 2, v21
	v_cmp_le_i32_e64 s[0:1], s48, v21
	v_lshl_add_u64 v[6:7], v[6:7], 0, 8
	v_add_u32_e32 v15, 32, v15
	s_or_b64 s[38:39], s[0:1], s[38:39]
	v_add_u32_e32 v17, 0x80, v17
	s_andn2_b64 exec, exec, s[38:39]
	s_cbranch_execz .LBB239_200
.LBB239_13:                             ; =>This Inner Loop Header: Depth=1
	v_mul_hi_u32 v2, v15, s46
	s_waitcnt lgkmcnt(0)
	v_mul_lo_u32 v8, v2, s25
	v_sub_u32_e32 v8, v15, v8
	v_add_u32_e32 v9, 1, v2
	v_cmp_le_u32_e64 s[0:1], s25, v8
	s_nop 1
	v_cndmask_b32_e64 v2, v2, v9, s[0:1]
	v_subrev_u32_e32 v9, s25, v8
	v_cndmask_b32_e64 v8, v8, v9, s[0:1]
	v_add_u32_e32 v9, 1, v2
	v_cmp_le_u32_e64 s[0:1], s25, v8
	s_nop 1
	v_cndmask_b32_e64 v2, v2, v9, s[0:1]
	v_xor_b32_e32 v2, s47, v2
	v_subrev_u32_e32 v2, s47, v2
	v_add_u32_e32 v8, s36, v2
	v_sub_u32_e32 v22, 0, v8
	v_ashrrev_i32_e32 v9, 31, v8
	v_max_i32_e32 v8, v8, v22
	v_mul_hi_u32 v22, v8, v14
	v_mul_lo_u32 v22, v22, s50
	v_sub_u32_e32 v8, v8, v22
	v_subrev_u32_e32 v22, s50, v8
	v_cmp_le_u32_e64 s[0:1], s50, v8
	v_cmp_ge_i32_e64 s[8:9], s23, v2
	s_nop 0
	v_cndmask_b32_e64 v8, v8, v22, s[0:1]
	v_subrev_u32_e32 v22, s50, v8
	v_cmp_le_u32_e64 s[0:1], s50, v8
	s_nop 1
	v_cndmask_b32_e64 v8, v8, v22, s[0:1]
	v_xor_b32_e32 v8, v8, v9
	v_sub_u32_e32 v8, v8, v9
	v_cmp_ne_u32_e64 s[0:1], 0, v8
	s_and_b64 s[0:1], s[0:1], s[8:9]
	s_and_saveexec_b64 s[8:9], s[0:1]
	s_xor_b64 s[0:1], exec, s[8:9]
	s_cbranch_execz .LBB239_17
; %bb.14:                               ;   in Loop: Header=BB239_13 Depth=1
	s_and_saveexec_b64 s[8:9], vcc
; %bb.15:                               ;   in Loop: Header=BB239_13 Depth=1
	ds_write_b32 v17, v18
; %bb.16:                               ;   in Loop: Header=BB239_13 Depth=1
	s_or_b64 exec, exec, s[8:9]
.LBB239_17:                             ;   in Loop: Header=BB239_13 Depth=1
	s_andn2_saveexec_b64 s[8:9], s[0:1]
	s_cbranch_execz .LBB239_12
; %bb.18:                               ;   in Loop: Header=BB239_13 Depth=1
	global_load_dword v2, v[6:7], off
	v_mov_b32_e32 v23, 0
	global_load_dword v22, v23, s[12:13]
	s_waitcnt vmcnt(1)
	v_mad_i64_i32 v[8:9], s[0:1], v2, s51, v[4:5]
	global_load_ushort v24, v[8:9], off
	s_waitcnt vmcnt(0)
	v_and_b32_e32 v2, 0xffff, v24
	v_cmp_ne_u16_sdwa s[0:1], v24, v3 src0_sel:BYTE_0 src1_sel:DWORD
	v_mov_b32_e32 v24, 0
	s_and_saveexec_b64 s[40:41], s[0:1]
	s_cbranch_execz .LBB239_24
; %bb.19:                               ;   in Loop: Header=BB239_13 Depth=1
	v_cmp_ne_u16_sdwa s[0:1], v2, s52 src0_sel:BYTE_0 src1_sel:DWORD
	v_mov_b32_e32 v24, 0x8000
	s_and_saveexec_b64 s[42:43], s[0:1]
	s_cbranch_execz .LBB239_23
; %bb.20:                               ;   in Loop: Header=BB239_13 Depth=1
	v_and_b32_e32 v25, 0x7f, v2
	v_cmp_ne_u32_e64 s[0:1], s53, v25
	v_mov_b32_e32 v24, 0x7c01
	s_and_saveexec_b64 s[44:45], s[0:1]
	s_cbranch_execz .LBB239_22
; %bb.21:                               ;   in Loop: Header=BB239_13 Depth=1
	v_and_b32_e32 v24, 7, v2
	v_ffbh_u32_e32 v26, v24
	v_min_u32_e32 v31, 32, v26
	v_subrev_u32_e32 v26, 28, v31
	v_lshlrev_b64 v[26:27], v26, v[2:3]
	v_lshrrev_b32_e32 v30, 3, v25
	v_sub_u32_e32 v27, 29, v31
	v_cmp_gt_u32_e64 s[0:1], 8, v25
	v_and_b32_e32 v26, 7, v26
	s_nop 0
	v_cndmask_b32_e64 v25, v30, v27, s[0:1]
	v_lshl_add_u32 v25, v25, 10, v19
	v_lshlrev_b32_e32 v27, 8, v2
	v_and_b32_e32 v25, 0xfc00, v25
	v_cndmask_b32_e64 v24, v24, v26, s[0:1]
	v_and_or_b32 v25, v27, s54, v25
	v_lshl_or_b32 v24, v24, 7, v25
.LBB239_22:                             ;   in Loop: Header=BB239_13 Depth=1
	s_or_b64 exec, exec, s[44:45]
.LBB239_23:                             ;   in Loop: Header=BB239_13 Depth=1
	s_or_b64 exec, exec, s[42:43]
.LBB239_24:                             ;   in Loop: Header=BB239_13 Depth=1
	s_or_b64 exec, exec, s[40:41]
	v_lshrrev_b16_e32 v2, 8, v2
	v_cmp_ne_u16_e64 s[0:1], 0, v2
	s_and_saveexec_b64 s[40:41], s[0:1]
	s_cbranch_execz .LBB239_30
; %bb.25:                               ;   in Loop: Header=BB239_13 Depth=1
	v_cmp_ne_u16_e64 s[0:1], s52, v2
	v_bfrev_b32_e32 v23, 1
	s_and_saveexec_b64 s[42:43], s[0:1]
	s_cbranch_execz .LBB239_29
; %bb.26:                               ;   in Loop: Header=BB239_13 Depth=1
	v_and_b32_e32 v25, 0x7f, v2
	v_cmp_ne_u32_e64 s[0:1], s53, v25
	v_mov_b32_e32 v23, 0x7c010000
	s_and_saveexec_b64 s[44:45], s[0:1]
	s_cbranch_execz .LBB239_28
; %bb.27:                               ;   in Loop: Header=BB239_13 Depth=1
	v_and_b32_e32 v23, 7, v2
	v_ffbh_u32_e32 v26, v23
	v_min_u32_e32 v31, 32, v26
	v_subrev_u32_e32 v26, 28, v31
	v_lshlrev_b64 v[26:27], v26, v[2:3]
	v_lshrrev_b32_e32 v30, 3, v25
	v_sub_u32_e32 v27, 29, v31
	v_cmp_gt_u32_e64 s[0:1], 8, v25
	v_lshlrev_b32_e32 v2, 8, v2
	v_and_b32_e32 v26, 7, v26
	v_cndmask_b32_e64 v25, v30, v27, s[0:1]
	v_lshl_add_u32 v25, v25, 10, v19
	v_and_or_b32 v2, v2, s54, v25
	v_cndmask_b32_e64 v23, v23, v26, s[0:1]
	v_lshlrev_b32_e32 v2, 16, v2
	v_lshl_or_b32 v23, v23, 23, v2
.LBB239_28:                             ;   in Loop: Header=BB239_13 Depth=1
	s_or_b64 exec, exec, s[44:45]
.LBB239_29:                             ;   in Loop: Header=BB239_13 Depth=1
	s_or_b64 exec, exec, s[42:43]
.LBB239_30:                             ;   in Loop: Header=BB239_13 Depth=1
	s_or_b64 exec, exec, s[40:41]
	global_load_ushort v26, v[8:9], off offset:8
	v_mov_b32_e32 v25, 0
	s_waitcnt vmcnt(0)
	v_and_b32_e32 v2, 0xffff, v26
	v_cmp_ne_u16_sdwa s[0:1], v26, v3 src0_sel:BYTE_0 src1_sel:DWORD
	v_mov_b32_e32 v26, 0
	s_and_saveexec_b64 s[40:41], s[0:1]
	s_cbranch_execz .LBB239_36
; %bb.31:                               ;   in Loop: Header=BB239_13 Depth=1
	v_cmp_ne_u16_sdwa s[0:1], v2, s52 src0_sel:BYTE_0 src1_sel:DWORD
	v_mov_b32_e32 v26, 0x8000
	s_and_saveexec_b64 s[42:43], s[0:1]
	s_cbranch_execz .LBB239_35
; %bb.32:                               ;   in Loop: Header=BB239_13 Depth=1
	v_and_b32_e32 v27, 0x7f, v2
	v_cmp_ne_u32_e64 s[0:1], s53, v27
	v_mov_b32_e32 v26, 0x7c01
	s_and_saveexec_b64 s[44:45], s[0:1]
	s_cbranch_execz .LBB239_34
; %bb.33:                               ;   in Loop: Header=BB239_13 Depth=1
	v_and_b32_e32 v26, 7, v2
	v_ffbh_u32_e32 v30, v26
	v_min_u32_e32 v33, 32, v30
	v_subrev_u32_e32 v30, 28, v33
	v_lshlrev_b64 v[30:31], v30, v[2:3]
	v_lshrrev_b32_e32 v32, 3, v27
	v_sub_u32_e32 v31, 29, v33
	v_cmp_gt_u32_e64 s[0:1], 8, v27
	v_and_b32_e32 v30, 7, v30
	s_nop 0
	v_cndmask_b32_e64 v27, v32, v31, s[0:1]
	v_lshl_add_u32 v27, v27, 10, v19
	v_lshlrev_b32_e32 v31, 8, v2
	v_and_b32_e32 v27, 0xfc00, v27
	v_cndmask_b32_e64 v26, v26, v30, s[0:1]
	v_and_or_b32 v27, v31, s54, v27
	v_lshl_or_b32 v26, v26, 7, v27
.LBB239_34:                             ;   in Loop: Header=BB239_13 Depth=1
	s_or_b64 exec, exec, s[44:45]
.LBB239_35:                             ;   in Loop: Header=BB239_13 Depth=1
	s_or_b64 exec, exec, s[42:43]
.LBB239_36:                             ;   in Loop: Header=BB239_13 Depth=1
	s_or_b64 exec, exec, s[40:41]
	v_lshrrev_b16_e32 v2, 8, v2
	v_cmp_ne_u16_e64 s[0:1], 0, v2
	s_and_saveexec_b64 s[40:41], s[0:1]
	s_cbranch_execz .LBB239_42
; %bb.37:                               ;   in Loop: Header=BB239_13 Depth=1
	v_cmp_ne_u16_e64 s[0:1], s52, v2
	v_bfrev_b32_e32 v25, 1
	s_and_saveexec_b64 s[42:43], s[0:1]
	s_cbranch_execz .LBB239_41
; %bb.38:                               ;   in Loop: Header=BB239_13 Depth=1
	v_and_b32_e32 v27, 0x7f, v2
	v_cmp_ne_u32_e64 s[0:1], s53, v27
	v_mov_b32_e32 v25, 0x7c010000
	s_and_saveexec_b64 s[44:45], s[0:1]
	s_cbranch_execz .LBB239_40
; %bb.39:                               ;   in Loop: Header=BB239_13 Depth=1
	v_and_b32_e32 v25, 7, v2
	v_ffbh_u32_e32 v30, v25
	v_min_u32_e32 v33, 32, v30
	v_subrev_u32_e32 v30, 28, v33
	v_lshlrev_b64 v[30:31], v30, v[2:3]
	v_lshrrev_b32_e32 v32, 3, v27
	v_sub_u32_e32 v31, 29, v33
	v_cmp_gt_u32_e64 s[0:1], 8, v27
	v_lshlrev_b32_e32 v2, 8, v2
	v_and_b32_e32 v30, 7, v30
	v_cndmask_b32_e64 v27, v32, v31, s[0:1]
	v_lshl_add_u32 v27, v27, 10, v19
	v_and_or_b32 v2, v2, s54, v27
	v_cndmask_b32_e64 v25, v25, v30, s[0:1]
	v_lshlrev_b32_e32 v2, 16, v2
	v_lshl_or_b32 v25, v25, 23, v2
.LBB239_40:                             ;   in Loop: Header=BB239_13 Depth=1
	s_or_b64 exec, exec, s[44:45]
.LBB239_41:                             ;   in Loop: Header=BB239_13 Depth=1
	s_or_b64 exec, exec, s[42:43]
.LBB239_42:                             ;   in Loop: Header=BB239_13 Depth=1
	s_or_b64 exec, exec, s[40:41]
	global_load_ushort v30, v[8:9], off offset:256
	v_mov_b32_e32 v27, 0
	s_waitcnt vmcnt(0)
	v_and_b32_e32 v2, 0xffff, v30
	v_cmp_ne_u16_sdwa s[0:1], v30, v3 src0_sel:BYTE_0 src1_sel:DWORD
	v_mov_b32_e32 v30, 0
	s_and_saveexec_b64 s[40:41], s[0:1]
	s_cbranch_execz .LBB239_48
; %bb.43:                               ;   in Loop: Header=BB239_13 Depth=1
	v_cmp_ne_u16_sdwa s[0:1], v2, s52 src0_sel:BYTE_0 src1_sel:DWORD
	v_mov_b32_e32 v30, 0x8000
	s_and_saveexec_b64 s[42:43], s[0:1]
	s_cbranch_execz .LBB239_47
; %bb.44:                               ;   in Loop: Header=BB239_13 Depth=1
	v_and_b32_e32 v31, 0x7f, v2
	v_cmp_ne_u32_e64 s[0:1], s53, v31
	v_mov_b32_e32 v30, 0x7c01
	s_and_saveexec_b64 s[44:45], s[0:1]
	s_cbranch_execz .LBB239_46
; %bb.45:                               ;   in Loop: Header=BB239_13 Depth=1
	v_and_b32_e32 v30, 7, v2
	v_ffbh_u32_e32 v32, v30
	v_min_u32_e32 v35, 32, v32
	v_subrev_u32_e32 v32, 28, v35
	v_lshlrev_b64 v[32:33], v32, v[2:3]
	v_lshrrev_b32_e32 v34, 3, v31
	v_sub_u32_e32 v33, 29, v35
	v_cmp_gt_u32_e64 s[0:1], 8, v31
	v_and_b32_e32 v32, 7, v32
	s_nop 0
	v_cndmask_b32_e64 v31, v34, v33, s[0:1]
	v_lshl_add_u32 v31, v31, 10, v19
	v_lshlrev_b32_e32 v33, 8, v2
	v_and_b32_e32 v31, 0xfc00, v31
	v_cndmask_b32_e64 v30, v30, v32, s[0:1]
	v_and_or_b32 v31, v33, s54, v31
	v_lshl_or_b32 v30, v30, 7, v31
.LBB239_46:                             ;   in Loop: Header=BB239_13 Depth=1
	s_or_b64 exec, exec, s[44:45]
.LBB239_47:                             ;   in Loop: Header=BB239_13 Depth=1
	s_or_b64 exec, exec, s[42:43]
.LBB239_48:                             ;   in Loop: Header=BB239_13 Depth=1
	s_or_b64 exec, exec, s[40:41]
	v_lshrrev_b16_e32 v2, 8, v2
	v_cmp_ne_u16_e64 s[0:1], 0, v2
	s_and_saveexec_b64 s[40:41], s[0:1]
	s_cbranch_execz .LBB239_54
; %bb.49:                               ;   in Loop: Header=BB239_13 Depth=1
	v_cmp_ne_u16_e64 s[0:1], s52, v2
	v_bfrev_b32_e32 v27, 1
	s_and_saveexec_b64 s[42:43], s[0:1]
	s_cbranch_execz .LBB239_53
; %bb.50:                               ;   in Loop: Header=BB239_13 Depth=1
	v_and_b32_e32 v31, 0x7f, v2
	v_cmp_ne_u32_e64 s[0:1], s53, v31
	v_mov_b32_e32 v27, 0x7c010000
	s_and_saveexec_b64 s[44:45], s[0:1]
	s_cbranch_execz .LBB239_52
; %bb.51:                               ;   in Loop: Header=BB239_13 Depth=1
	v_and_b32_e32 v27, 7, v2
	v_ffbh_u32_e32 v32, v27
	v_min_u32_e32 v35, 32, v32
	v_subrev_u32_e32 v32, 28, v35
	v_lshlrev_b64 v[32:33], v32, v[2:3]
	v_lshrrev_b32_e32 v34, 3, v31
	v_sub_u32_e32 v33, 29, v35
	v_cmp_gt_u32_e64 s[0:1], 8, v31
	v_lshlrev_b32_e32 v2, 8, v2
	v_and_b32_e32 v32, 7, v32
	v_cndmask_b32_e64 v31, v34, v33, s[0:1]
	v_lshl_add_u32 v31, v31, 10, v19
	v_and_or_b32 v2, v2, s54, v31
	v_cndmask_b32_e64 v27, v27, v32, s[0:1]
	v_lshlrev_b32_e32 v2, 16, v2
	v_lshl_or_b32 v27, v27, 23, v2
.LBB239_52:                             ;   in Loop: Header=BB239_13 Depth=1
	s_or_b64 exec, exec, s[44:45]
.LBB239_53:                             ;   in Loop: Header=BB239_13 Depth=1
	s_or_b64 exec, exec, s[42:43]
.LBB239_54:                             ;   in Loop: Header=BB239_13 Depth=1
	s_or_b64 exec, exec, s[40:41]
	global_load_ushort v32, v[8:9], off offset:264
	v_mov_b32_e32 v31, 0
	s_waitcnt vmcnt(0)
	v_and_b32_e32 v2, 0xffff, v32
	v_cmp_ne_u16_sdwa s[0:1], v32, v3 src0_sel:BYTE_0 src1_sel:DWORD
	v_mov_b32_e32 v32, 0
	s_and_saveexec_b64 s[40:41], s[0:1]
	s_cbranch_execz .LBB239_60
; %bb.55:                               ;   in Loop: Header=BB239_13 Depth=1
	v_cmp_ne_u16_sdwa s[0:1], v2, s52 src0_sel:BYTE_0 src1_sel:DWORD
	v_mov_b32_e32 v32, 0x8000
	s_and_saveexec_b64 s[42:43], s[0:1]
	s_cbranch_execz .LBB239_59
; %bb.56:                               ;   in Loop: Header=BB239_13 Depth=1
	v_and_b32_e32 v33, 0x7f, v2
	v_cmp_ne_u32_e64 s[0:1], s53, v33
	v_mov_b32_e32 v32, 0x7c01
	s_and_saveexec_b64 s[44:45], s[0:1]
	s_cbranch_execz .LBB239_58
; %bb.57:                               ;   in Loop: Header=BB239_13 Depth=1
	v_and_b32_e32 v32, 7, v2
	v_ffbh_u32_e32 v34, v32
	v_min_u32_e32 v37, 32, v34
	v_subrev_u32_e32 v34, 28, v37
	v_lshlrev_b64 v[34:35], v34, v[2:3]
	v_lshrrev_b32_e32 v36, 3, v33
	v_sub_u32_e32 v35, 29, v37
	v_cmp_gt_u32_e64 s[0:1], 8, v33
	v_and_b32_e32 v34, 7, v34
	s_nop 0
	v_cndmask_b32_e64 v33, v36, v35, s[0:1]
	v_lshl_add_u32 v33, v33, 10, v19
	v_lshlrev_b32_e32 v35, 8, v2
	v_and_b32_e32 v33, 0xfc00, v33
	v_cndmask_b32_e64 v32, v32, v34, s[0:1]
	v_and_or_b32 v33, v35, s54, v33
	v_lshl_or_b32 v32, v32, 7, v33
.LBB239_58:                             ;   in Loop: Header=BB239_13 Depth=1
	s_or_b64 exec, exec, s[44:45]
.LBB239_59:                             ;   in Loop: Header=BB239_13 Depth=1
	s_or_b64 exec, exec, s[42:43]
.LBB239_60:                             ;   in Loop: Header=BB239_13 Depth=1
	s_or_b64 exec, exec, s[40:41]
	v_lshrrev_b16_e32 v2, 8, v2
	v_cmp_ne_u16_e64 s[0:1], 0, v2
	s_and_saveexec_b64 s[40:41], s[0:1]
	s_cbranch_execz .LBB239_66
; %bb.61:                               ;   in Loop: Header=BB239_13 Depth=1
	v_cmp_ne_u16_e64 s[0:1], s52, v2
	v_bfrev_b32_e32 v31, 1
	s_and_saveexec_b64 s[42:43], s[0:1]
	s_cbranch_execz .LBB239_65
; %bb.62:                               ;   in Loop: Header=BB239_13 Depth=1
	v_and_b32_e32 v33, 0x7f, v2
	v_cmp_ne_u32_e64 s[0:1], s53, v33
	v_mov_b32_e32 v31, 0x7c010000
	s_and_saveexec_b64 s[44:45], s[0:1]
	s_cbranch_execz .LBB239_64
; %bb.63:                               ;   in Loop: Header=BB239_13 Depth=1
	v_and_b32_e32 v31, 7, v2
	v_ffbh_u32_e32 v34, v31
	v_min_u32_e32 v37, 32, v34
	v_subrev_u32_e32 v34, 28, v37
	v_lshlrev_b64 v[34:35], v34, v[2:3]
	v_lshrrev_b32_e32 v36, 3, v33
	v_sub_u32_e32 v35, 29, v37
	v_cmp_gt_u32_e64 s[0:1], 8, v33
	v_lshlrev_b32_e32 v2, 8, v2
	v_and_b32_e32 v34, 7, v34
	v_cndmask_b32_e64 v33, v36, v35, s[0:1]
	v_lshl_add_u32 v33, v33, 10, v19
	v_and_or_b32 v2, v2, s54, v33
	v_cndmask_b32_e64 v31, v31, v34, s[0:1]
	v_lshlrev_b32_e32 v2, 16, v2
	v_lshl_or_b32 v31, v31, 23, v2
.LBB239_64:                             ;   in Loop: Header=BB239_13 Depth=1
	s_or_b64 exec, exec, s[44:45]
.LBB239_65:                             ;   in Loop: Header=BB239_13 Depth=1
	s_or_b64 exec, exec, s[42:43]
.LBB239_66:                             ;   in Loop: Header=BB239_13 Depth=1
	s_or_b64 exec, exec, s[40:41]
	global_load_ushort v34, v[8:9], off offset:512
	v_mov_b32_e32 v33, 0
	s_waitcnt vmcnt(0)
	v_and_b32_e32 v2, 0xffff, v34
	v_cmp_ne_u16_sdwa s[0:1], v34, v3 src0_sel:BYTE_0 src1_sel:DWORD
	v_mov_b32_e32 v34, 0
	s_and_saveexec_b64 s[40:41], s[0:1]
	s_cbranch_execz .LBB239_72
; %bb.67:                               ;   in Loop: Header=BB239_13 Depth=1
	v_cmp_ne_u16_sdwa s[0:1], v2, s52 src0_sel:BYTE_0 src1_sel:DWORD
	v_mov_b32_e32 v34, 0x8000
	s_and_saveexec_b64 s[42:43], s[0:1]
	s_cbranch_execz .LBB239_71
; %bb.68:                               ;   in Loop: Header=BB239_13 Depth=1
	v_and_b32_e32 v35, 0x7f, v2
	v_cmp_ne_u32_e64 s[0:1], s53, v35
	v_mov_b32_e32 v34, 0x7c01
	s_and_saveexec_b64 s[44:45], s[0:1]
	s_cbranch_execz .LBB239_70
; %bb.69:                               ;   in Loop: Header=BB239_13 Depth=1
	v_and_b32_e32 v34, 7, v2
	v_ffbh_u32_e32 v36, v34
	v_min_u32_e32 v39, 32, v36
	v_subrev_u32_e32 v36, 28, v39
	v_lshlrev_b64 v[36:37], v36, v[2:3]
	v_lshrrev_b32_e32 v38, 3, v35
	v_sub_u32_e32 v37, 29, v39
	v_cmp_gt_u32_e64 s[0:1], 8, v35
	v_and_b32_e32 v36, 7, v36
	s_nop 0
	v_cndmask_b32_e64 v35, v38, v37, s[0:1]
	v_lshl_add_u32 v35, v35, 10, v19
	v_lshlrev_b32_e32 v37, 8, v2
	v_and_b32_e32 v35, 0xfc00, v35
	v_cndmask_b32_e64 v34, v34, v36, s[0:1]
	v_and_or_b32 v35, v37, s54, v35
	v_lshl_or_b32 v34, v34, 7, v35
.LBB239_70:                             ;   in Loop: Header=BB239_13 Depth=1
	s_or_b64 exec, exec, s[44:45]
.LBB239_71:                             ;   in Loop: Header=BB239_13 Depth=1
	s_or_b64 exec, exec, s[42:43]
.LBB239_72:                             ;   in Loop: Header=BB239_13 Depth=1
	s_or_b64 exec, exec, s[40:41]
	v_lshrrev_b16_e32 v2, 8, v2
	v_cmp_ne_u16_e64 s[0:1], 0, v2
	s_and_saveexec_b64 s[40:41], s[0:1]
	s_cbranch_execz .LBB239_78
; %bb.73:                               ;   in Loop: Header=BB239_13 Depth=1
	v_cmp_ne_u16_e64 s[0:1], s52, v2
	v_bfrev_b32_e32 v33, 1
	s_and_saveexec_b64 s[42:43], s[0:1]
	s_cbranch_execz .LBB239_77
; %bb.74:                               ;   in Loop: Header=BB239_13 Depth=1
	v_and_b32_e32 v35, 0x7f, v2
	v_cmp_ne_u32_e64 s[0:1], s53, v35
	v_mov_b32_e32 v33, 0x7c010000
	s_and_saveexec_b64 s[44:45], s[0:1]
	s_cbranch_execz .LBB239_76
; %bb.75:                               ;   in Loop: Header=BB239_13 Depth=1
	v_and_b32_e32 v33, 7, v2
	v_ffbh_u32_e32 v36, v33
	v_min_u32_e32 v39, 32, v36
	v_subrev_u32_e32 v36, 28, v39
	v_lshlrev_b64 v[36:37], v36, v[2:3]
	v_lshrrev_b32_e32 v38, 3, v35
	v_sub_u32_e32 v37, 29, v39
	v_cmp_gt_u32_e64 s[0:1], 8, v35
	v_lshlrev_b32_e32 v2, 8, v2
	v_and_b32_e32 v36, 7, v36
	v_cndmask_b32_e64 v35, v38, v37, s[0:1]
	v_lshl_add_u32 v35, v35, 10, v19
	v_and_or_b32 v2, v2, s54, v35
	v_cndmask_b32_e64 v33, v33, v36, s[0:1]
	v_lshlrev_b32_e32 v2, 16, v2
	v_lshl_or_b32 v33, v33, 23, v2
.LBB239_76:                             ;   in Loop: Header=BB239_13 Depth=1
	s_or_b64 exec, exec, s[44:45]
.LBB239_77:                             ;   in Loop: Header=BB239_13 Depth=1
	s_or_b64 exec, exec, s[42:43]
.LBB239_78:                             ;   in Loop: Header=BB239_13 Depth=1
	s_or_b64 exec, exec, s[40:41]
	global_load_ushort v36, v[8:9], off offset:520
	v_mov_b32_e32 v35, 0
	s_waitcnt vmcnt(0)
	v_and_b32_e32 v2, 0xffff, v36
	v_cmp_ne_u16_sdwa s[0:1], v36, v3 src0_sel:BYTE_0 src1_sel:DWORD
	v_mov_b32_e32 v36, 0
	s_and_saveexec_b64 s[40:41], s[0:1]
	s_cbranch_execz .LBB239_84
; %bb.79:                               ;   in Loop: Header=BB239_13 Depth=1
	v_cmp_ne_u16_sdwa s[0:1], v2, s52 src0_sel:BYTE_0 src1_sel:DWORD
	v_mov_b32_e32 v36, 0x8000
	s_and_saveexec_b64 s[42:43], s[0:1]
	s_cbranch_execz .LBB239_83
; %bb.80:                               ;   in Loop: Header=BB239_13 Depth=1
	v_and_b32_e32 v37, 0x7f, v2
	v_cmp_ne_u32_e64 s[0:1], s53, v37
	v_mov_b32_e32 v36, 0x7c01
	s_and_saveexec_b64 s[44:45], s[0:1]
	s_cbranch_execz .LBB239_82
; %bb.81:                               ;   in Loop: Header=BB239_13 Depth=1
	v_and_b32_e32 v36, 7, v2
	v_ffbh_u32_e32 v38, v36
	v_min_u32_e32 v41, 32, v38
	v_subrev_u32_e32 v38, 28, v41
	v_lshlrev_b64 v[38:39], v38, v[2:3]
	v_lshrrev_b32_e32 v40, 3, v37
	v_sub_u32_e32 v39, 29, v41
	v_cmp_gt_u32_e64 s[0:1], 8, v37
	v_and_b32_e32 v38, 7, v38
	s_nop 0
	v_cndmask_b32_e64 v37, v40, v39, s[0:1]
	v_lshl_add_u32 v37, v37, 10, v19
	v_lshlrev_b32_e32 v39, 8, v2
	v_and_b32_e32 v37, 0xfc00, v37
	v_cndmask_b32_e64 v36, v36, v38, s[0:1]
	v_and_or_b32 v37, v39, s54, v37
	v_lshl_or_b32 v36, v36, 7, v37
.LBB239_82:                             ;   in Loop: Header=BB239_13 Depth=1
	s_or_b64 exec, exec, s[44:45]
.LBB239_83:                             ;   in Loop: Header=BB239_13 Depth=1
	s_or_b64 exec, exec, s[42:43]
.LBB239_84:                             ;   in Loop: Header=BB239_13 Depth=1
	s_or_b64 exec, exec, s[40:41]
	v_lshrrev_b16_e32 v2, 8, v2
	v_cmp_ne_u16_e64 s[0:1], 0, v2
	s_and_saveexec_b64 s[40:41], s[0:1]
	s_cbranch_execz .LBB239_90
; %bb.85:                               ;   in Loop: Header=BB239_13 Depth=1
	v_cmp_ne_u16_e64 s[0:1], s52, v2
	v_bfrev_b32_e32 v35, 1
	s_and_saveexec_b64 s[42:43], s[0:1]
	s_cbranch_execz .LBB239_89
; %bb.86:                               ;   in Loop: Header=BB239_13 Depth=1
	v_and_b32_e32 v37, 0x7f, v2
	v_cmp_ne_u32_e64 s[0:1], s53, v37
	v_mov_b32_e32 v35, 0x7c010000
	s_and_saveexec_b64 s[44:45], s[0:1]
	s_cbranch_execz .LBB239_88
; %bb.87:                               ;   in Loop: Header=BB239_13 Depth=1
	v_and_b32_e32 v35, 7, v2
	v_ffbh_u32_e32 v38, v35
	v_min_u32_e32 v41, 32, v38
	v_subrev_u32_e32 v38, 28, v41
	v_lshlrev_b64 v[38:39], v38, v[2:3]
	v_lshrrev_b32_e32 v40, 3, v37
	v_sub_u32_e32 v39, 29, v41
	v_cmp_gt_u32_e64 s[0:1], 8, v37
	v_lshlrev_b32_e32 v2, 8, v2
	v_and_b32_e32 v38, 7, v38
	v_cndmask_b32_e64 v37, v40, v39, s[0:1]
	v_lshl_add_u32 v37, v37, 10, v19
	v_and_or_b32 v2, v2, s54, v37
	v_cndmask_b32_e64 v35, v35, v38, s[0:1]
	v_lshlrev_b32_e32 v2, 16, v2
	v_lshl_or_b32 v35, v35, 23, v2
.LBB239_88:                             ;   in Loop: Header=BB239_13 Depth=1
	s_or_b64 exec, exec, s[44:45]
.LBB239_89:                             ;   in Loop: Header=BB239_13 Depth=1
	s_or_b64 exec, exec, s[42:43]
.LBB239_90:                             ;   in Loop: Header=BB239_13 Depth=1
	s_or_b64 exec, exec, s[40:41]
	global_load_ushort v38, v[8:9], off offset:768
	v_mov_b32_e32 v37, 0
	s_waitcnt vmcnt(0)
	v_and_b32_e32 v2, 0xffff, v38
	v_cmp_ne_u16_sdwa s[0:1], v38, v3 src0_sel:BYTE_0 src1_sel:DWORD
	v_mov_b32_e32 v38, 0
	s_and_saveexec_b64 s[40:41], s[0:1]
	s_cbranch_execz .LBB239_96
; %bb.91:                               ;   in Loop: Header=BB239_13 Depth=1
	v_cmp_ne_u16_sdwa s[0:1], v2, s52 src0_sel:BYTE_0 src1_sel:DWORD
	v_mov_b32_e32 v38, 0x8000
	s_and_saveexec_b64 s[42:43], s[0:1]
	s_cbranch_execz .LBB239_95
; %bb.92:                               ;   in Loop: Header=BB239_13 Depth=1
	v_and_b32_e32 v39, 0x7f, v2
	v_cmp_ne_u32_e64 s[0:1], s53, v39
	v_mov_b32_e32 v38, 0x7c01
	s_and_saveexec_b64 s[44:45], s[0:1]
	s_cbranch_execz .LBB239_94
; %bb.93:                               ;   in Loop: Header=BB239_13 Depth=1
	v_and_b32_e32 v38, 7, v2
	v_ffbh_u32_e32 v40, v38
	v_min_u32_e32 v43, 32, v40
	v_subrev_u32_e32 v40, 28, v43
	v_lshlrev_b64 v[40:41], v40, v[2:3]
	v_lshrrev_b32_e32 v42, 3, v39
	v_sub_u32_e32 v41, 29, v43
	v_cmp_gt_u32_e64 s[0:1], 8, v39
	v_and_b32_e32 v40, 7, v40
	s_nop 0
	v_cndmask_b32_e64 v39, v42, v41, s[0:1]
	v_lshl_add_u32 v39, v39, 10, v19
	v_lshlrev_b32_e32 v41, 8, v2
	v_and_b32_e32 v39, 0xfc00, v39
	v_cndmask_b32_e64 v38, v38, v40, s[0:1]
	v_and_or_b32 v39, v41, s54, v39
	v_lshl_or_b32 v38, v38, 7, v39
.LBB239_94:                             ;   in Loop: Header=BB239_13 Depth=1
	s_or_b64 exec, exec, s[44:45]
.LBB239_95:                             ;   in Loop: Header=BB239_13 Depth=1
	s_or_b64 exec, exec, s[42:43]
.LBB239_96:                             ;   in Loop: Header=BB239_13 Depth=1
	s_or_b64 exec, exec, s[40:41]
	v_lshrrev_b16_e32 v2, 8, v2
	v_cmp_ne_u16_e64 s[0:1], 0, v2
	s_and_saveexec_b64 s[40:41], s[0:1]
	s_cbranch_execz .LBB239_102
; %bb.97:                               ;   in Loop: Header=BB239_13 Depth=1
	v_cmp_ne_u16_e64 s[0:1], s52, v2
	v_bfrev_b32_e32 v37, 1
	s_and_saveexec_b64 s[42:43], s[0:1]
	s_cbranch_execz .LBB239_101
; %bb.98:                               ;   in Loop: Header=BB239_13 Depth=1
	v_and_b32_e32 v39, 0x7f, v2
	v_cmp_ne_u32_e64 s[0:1], s53, v39
	v_mov_b32_e32 v37, 0x7c010000
	s_and_saveexec_b64 s[44:45], s[0:1]
	s_cbranch_execz .LBB239_100
; %bb.99:                               ;   in Loop: Header=BB239_13 Depth=1
	v_and_b32_e32 v37, 7, v2
	v_ffbh_u32_e32 v40, v37
	v_min_u32_e32 v43, 32, v40
	v_subrev_u32_e32 v40, 28, v43
	v_lshlrev_b64 v[40:41], v40, v[2:3]
	v_lshrrev_b32_e32 v42, 3, v39
	v_sub_u32_e32 v41, 29, v43
	v_cmp_gt_u32_e64 s[0:1], 8, v39
	v_lshlrev_b32_e32 v2, 8, v2
	v_and_b32_e32 v40, 7, v40
	v_cndmask_b32_e64 v39, v42, v41, s[0:1]
	v_lshl_add_u32 v39, v39, 10, v19
	v_and_or_b32 v2, v2, s54, v39
	v_cndmask_b32_e64 v37, v37, v40, s[0:1]
	v_lshlrev_b32_e32 v2, 16, v2
	v_lshl_or_b32 v37, v37, 23, v2
.LBB239_100:                            ;   in Loop: Header=BB239_13 Depth=1
	s_or_b64 exec, exec, s[44:45]
.LBB239_101:                            ;   in Loop: Header=BB239_13 Depth=1
	s_or_b64 exec, exec, s[42:43]
.LBB239_102:                            ;   in Loop: Header=BB239_13 Depth=1
	s_or_b64 exec, exec, s[40:41]
	global_load_ushort v40, v[8:9], off offset:776
	v_mov_b32_e32 v39, 0
	s_waitcnt vmcnt(0)
	v_and_b32_e32 v2, 0xffff, v40
	v_cmp_ne_u16_sdwa s[0:1], v40, v3 src0_sel:BYTE_0 src1_sel:DWORD
	v_mov_b32_e32 v40, 0
	s_and_saveexec_b64 s[40:41], s[0:1]
	s_cbranch_execz .LBB239_108
; %bb.103:                              ;   in Loop: Header=BB239_13 Depth=1
	v_cmp_ne_u16_sdwa s[0:1], v2, s52 src0_sel:BYTE_0 src1_sel:DWORD
	v_mov_b32_e32 v40, 0x8000
	s_and_saveexec_b64 s[42:43], s[0:1]
	s_cbranch_execz .LBB239_107
; %bb.104:                              ;   in Loop: Header=BB239_13 Depth=1
	v_and_b32_e32 v41, 0x7f, v2
	v_cmp_ne_u32_e64 s[0:1], s53, v41
	v_mov_b32_e32 v40, 0x7c01
	s_and_saveexec_b64 s[44:45], s[0:1]
	s_cbranch_execz .LBB239_106
; %bb.105:                              ;   in Loop: Header=BB239_13 Depth=1
	v_and_b32_e32 v40, 7, v2
	v_ffbh_u32_e32 v42, v40
	v_min_u32_e32 v45, 32, v42
	v_subrev_u32_e32 v42, 28, v45
	v_lshlrev_b64 v[42:43], v42, v[2:3]
	v_lshrrev_b32_e32 v44, 3, v41
	v_sub_u32_e32 v43, 29, v45
	v_cmp_gt_u32_e64 s[0:1], 8, v41
	v_and_b32_e32 v42, 7, v42
	s_nop 0
	v_cndmask_b32_e64 v41, v44, v43, s[0:1]
	v_lshl_add_u32 v41, v41, 10, v19
	v_lshlrev_b32_e32 v43, 8, v2
	v_and_b32_e32 v41, 0xfc00, v41
	v_cndmask_b32_e64 v40, v40, v42, s[0:1]
	v_and_or_b32 v41, v43, s54, v41
	v_lshl_or_b32 v40, v40, 7, v41
.LBB239_106:                            ;   in Loop: Header=BB239_13 Depth=1
	s_or_b64 exec, exec, s[44:45]
.LBB239_107:                            ;   in Loop: Header=BB239_13 Depth=1
	s_or_b64 exec, exec, s[42:43]
.LBB239_108:                            ;   in Loop: Header=BB239_13 Depth=1
	s_or_b64 exec, exec, s[40:41]
	v_lshrrev_b16_e32 v2, 8, v2
	v_cmp_ne_u16_e64 s[0:1], 0, v2
	s_and_saveexec_b64 s[40:41], s[0:1]
	s_cbranch_execz .LBB239_114
; %bb.109:                              ;   in Loop: Header=BB239_13 Depth=1
	v_cmp_ne_u16_e64 s[0:1], s52, v2
	v_bfrev_b32_e32 v39, 1
	s_and_saveexec_b64 s[42:43], s[0:1]
	s_cbranch_execz .LBB239_113
; %bb.110:                              ;   in Loop: Header=BB239_13 Depth=1
	v_and_b32_e32 v41, 0x7f, v2
	v_cmp_ne_u32_e64 s[0:1], s53, v41
	v_mov_b32_e32 v39, 0x7c010000
	s_and_saveexec_b64 s[44:45], s[0:1]
	s_cbranch_execz .LBB239_112
; %bb.111:                              ;   in Loop: Header=BB239_13 Depth=1
	v_and_b32_e32 v39, 7, v2
	v_ffbh_u32_e32 v42, v39
	v_min_u32_e32 v45, 32, v42
	v_subrev_u32_e32 v42, 28, v45
	v_lshlrev_b64 v[42:43], v42, v[2:3]
	v_lshrrev_b32_e32 v44, 3, v41
	v_sub_u32_e32 v43, 29, v45
	v_cmp_gt_u32_e64 s[0:1], 8, v41
	v_lshlrev_b32_e32 v2, 8, v2
	v_and_b32_e32 v42, 7, v42
	v_cndmask_b32_e64 v41, v44, v43, s[0:1]
	v_lshl_add_u32 v41, v41, 10, v19
	v_and_or_b32 v2, v2, s54, v41
	v_cndmask_b32_e64 v39, v39, v42, s[0:1]
	v_lshlrev_b32_e32 v2, 16, v2
	v_lshl_or_b32 v39, v39, 23, v2
.LBB239_112:                            ;   in Loop: Header=BB239_13 Depth=1
	s_or_b64 exec, exec, s[44:45]
.LBB239_113:                            ;   in Loop: Header=BB239_13 Depth=1
	s_or_b64 exec, exec, s[42:43]
.LBB239_114:                            ;   in Loop: Header=BB239_13 Depth=1
	s_or_b64 exec, exec, s[40:41]
	global_load_ushort v42, v[8:9], off offset:1024
	v_mov_b32_e32 v41, 0
	s_waitcnt vmcnt(0)
	v_and_b32_e32 v2, 0xffff, v42
	v_cmp_ne_u16_sdwa s[0:1], v42, v3 src0_sel:BYTE_0 src1_sel:DWORD
	v_mov_b32_e32 v42, 0
	s_and_saveexec_b64 s[40:41], s[0:1]
	s_cbranch_execz .LBB239_120
; %bb.115:                              ;   in Loop: Header=BB239_13 Depth=1
	v_cmp_ne_u16_sdwa s[0:1], v2, s52 src0_sel:BYTE_0 src1_sel:DWORD
	v_mov_b32_e32 v42, 0x8000
	s_and_saveexec_b64 s[42:43], s[0:1]
	s_cbranch_execz .LBB239_119
; %bb.116:                              ;   in Loop: Header=BB239_13 Depth=1
	v_and_b32_e32 v43, 0x7f, v2
	v_cmp_ne_u32_e64 s[0:1], s53, v43
	v_mov_b32_e32 v42, 0x7c01
	s_and_saveexec_b64 s[44:45], s[0:1]
	s_cbranch_execz .LBB239_118
; %bb.117:                              ;   in Loop: Header=BB239_13 Depth=1
	v_and_b32_e32 v42, 7, v2
	v_ffbh_u32_e32 v44, v42
	v_min_u32_e32 v47, 32, v44
	v_subrev_u32_e32 v44, 28, v47
	v_lshlrev_b64 v[44:45], v44, v[2:3]
	v_lshrrev_b32_e32 v46, 3, v43
	v_sub_u32_e32 v45, 29, v47
	v_cmp_gt_u32_e64 s[0:1], 8, v43
	v_and_b32_e32 v44, 7, v44
	s_nop 0
	v_cndmask_b32_e64 v43, v46, v45, s[0:1]
	v_lshl_add_u32 v43, v43, 10, v19
	v_lshlrev_b32_e32 v45, 8, v2
	v_and_b32_e32 v43, 0xfc00, v43
	v_cndmask_b32_e64 v42, v42, v44, s[0:1]
	v_and_or_b32 v43, v45, s54, v43
	v_lshl_or_b32 v42, v42, 7, v43
.LBB239_118:                            ;   in Loop: Header=BB239_13 Depth=1
	s_or_b64 exec, exec, s[44:45]
.LBB239_119:                            ;   in Loop: Header=BB239_13 Depth=1
	s_or_b64 exec, exec, s[42:43]
.LBB239_120:                            ;   in Loop: Header=BB239_13 Depth=1
	s_or_b64 exec, exec, s[40:41]
	v_lshrrev_b16_e32 v2, 8, v2
	v_cmp_ne_u16_e64 s[0:1], 0, v2
	s_and_saveexec_b64 s[40:41], s[0:1]
	s_cbranch_execz .LBB239_126
; %bb.121:                              ;   in Loop: Header=BB239_13 Depth=1
	v_cmp_ne_u16_e64 s[0:1], s52, v2
	v_bfrev_b32_e32 v41, 1
	s_and_saveexec_b64 s[42:43], s[0:1]
	s_cbranch_execz .LBB239_125
; %bb.122:                              ;   in Loop: Header=BB239_13 Depth=1
	v_and_b32_e32 v43, 0x7f, v2
	v_cmp_ne_u32_e64 s[0:1], s53, v43
	v_mov_b32_e32 v41, 0x7c010000
	s_and_saveexec_b64 s[44:45], s[0:1]
	s_cbranch_execz .LBB239_124
; %bb.123:                              ;   in Loop: Header=BB239_13 Depth=1
	v_and_b32_e32 v41, 7, v2
	v_ffbh_u32_e32 v44, v41
	v_min_u32_e32 v47, 32, v44
	v_subrev_u32_e32 v44, 28, v47
	v_lshlrev_b64 v[44:45], v44, v[2:3]
	v_lshrrev_b32_e32 v46, 3, v43
	v_sub_u32_e32 v45, 29, v47
	v_cmp_gt_u32_e64 s[0:1], 8, v43
	v_lshlrev_b32_e32 v2, 8, v2
	v_and_b32_e32 v44, 7, v44
	v_cndmask_b32_e64 v43, v46, v45, s[0:1]
	v_lshl_add_u32 v43, v43, 10, v19
	v_and_or_b32 v2, v2, s54, v43
	v_cndmask_b32_e64 v41, v41, v44, s[0:1]
	v_lshlrev_b32_e32 v2, 16, v2
	v_lshl_or_b32 v41, v41, 23, v2
.LBB239_124:                            ;   in Loop: Header=BB239_13 Depth=1
	s_or_b64 exec, exec, s[44:45]
.LBB239_125:                            ;   in Loop: Header=BB239_13 Depth=1
	s_or_b64 exec, exec, s[42:43]
.LBB239_126:                            ;   in Loop: Header=BB239_13 Depth=1
	s_or_b64 exec, exec, s[40:41]
	global_load_ushort v44, v[8:9], off offset:1032
	v_mov_b32_e32 v43, 0
	s_waitcnt vmcnt(0)
	v_and_b32_e32 v2, 0xffff, v44
	v_cmp_ne_u16_sdwa s[0:1], v44, v3 src0_sel:BYTE_0 src1_sel:DWORD
	v_mov_b32_e32 v44, 0
	s_and_saveexec_b64 s[40:41], s[0:1]
	s_cbranch_execz .LBB239_132
; %bb.127:                              ;   in Loop: Header=BB239_13 Depth=1
	v_cmp_ne_u16_sdwa s[0:1], v2, s52 src0_sel:BYTE_0 src1_sel:DWORD
	v_mov_b32_e32 v44, 0x8000
	s_and_saveexec_b64 s[42:43], s[0:1]
	s_cbranch_execz .LBB239_131
; %bb.128:                              ;   in Loop: Header=BB239_13 Depth=1
	v_and_b32_e32 v45, 0x7f, v2
	v_cmp_ne_u32_e64 s[0:1], s53, v45
	v_mov_b32_e32 v44, 0x7c01
	s_and_saveexec_b64 s[44:45], s[0:1]
	s_cbranch_execz .LBB239_130
; %bb.129:                              ;   in Loop: Header=BB239_13 Depth=1
	v_and_b32_e32 v44, 7, v2
	v_ffbh_u32_e32 v46, v44
	v_min_u32_e32 v49, 32, v46
	v_subrev_u32_e32 v46, 28, v49
	v_lshlrev_b64 v[46:47], v46, v[2:3]
	v_lshrrev_b32_e32 v48, 3, v45
	v_sub_u32_e32 v47, 29, v49
	v_cmp_gt_u32_e64 s[0:1], 8, v45
	v_and_b32_e32 v46, 7, v46
	s_nop 0
	v_cndmask_b32_e64 v45, v48, v47, s[0:1]
	v_lshl_add_u32 v45, v45, 10, v19
	v_lshlrev_b32_e32 v47, 8, v2
	v_and_b32_e32 v45, 0xfc00, v45
	v_cndmask_b32_e64 v44, v44, v46, s[0:1]
	v_and_or_b32 v45, v47, s54, v45
	v_lshl_or_b32 v44, v44, 7, v45
.LBB239_130:                            ;   in Loop: Header=BB239_13 Depth=1
	s_or_b64 exec, exec, s[44:45]
.LBB239_131:                            ;   in Loop: Header=BB239_13 Depth=1
	s_or_b64 exec, exec, s[42:43]
.LBB239_132:                            ;   in Loop: Header=BB239_13 Depth=1
	s_or_b64 exec, exec, s[40:41]
	v_lshrrev_b16_e32 v2, 8, v2
	v_cmp_ne_u16_e64 s[0:1], 0, v2
	s_and_saveexec_b64 s[40:41], s[0:1]
	s_cbranch_execz .LBB239_138
; %bb.133:                              ;   in Loop: Header=BB239_13 Depth=1
	v_cmp_ne_u16_e64 s[0:1], s52, v2
	v_bfrev_b32_e32 v43, 1
	s_and_saveexec_b64 s[42:43], s[0:1]
	s_cbranch_execz .LBB239_137
; %bb.134:                              ;   in Loop: Header=BB239_13 Depth=1
	v_and_b32_e32 v45, 0x7f, v2
	v_cmp_ne_u32_e64 s[0:1], s53, v45
	v_mov_b32_e32 v43, 0x7c010000
	s_and_saveexec_b64 s[44:45], s[0:1]
	s_cbranch_execz .LBB239_136
; %bb.135:                              ;   in Loop: Header=BB239_13 Depth=1
	v_and_b32_e32 v43, 7, v2
	v_ffbh_u32_e32 v46, v43
	v_min_u32_e32 v49, 32, v46
	v_subrev_u32_e32 v46, 28, v49
	v_lshlrev_b64 v[46:47], v46, v[2:3]
	v_lshrrev_b32_e32 v48, 3, v45
	v_sub_u32_e32 v47, 29, v49
	v_cmp_gt_u32_e64 s[0:1], 8, v45
	v_lshlrev_b32_e32 v2, 8, v2
	v_and_b32_e32 v46, 7, v46
	v_cndmask_b32_e64 v45, v48, v47, s[0:1]
	v_lshl_add_u32 v45, v45, 10, v19
	v_and_or_b32 v2, v2, s54, v45
	v_cndmask_b32_e64 v43, v43, v46, s[0:1]
	v_lshlrev_b32_e32 v2, 16, v2
	v_lshl_or_b32 v43, v43, 23, v2
.LBB239_136:                            ;   in Loop: Header=BB239_13 Depth=1
	s_or_b64 exec, exec, s[44:45]
.LBB239_137:                            ;   in Loop: Header=BB239_13 Depth=1
	s_or_b64 exec, exec, s[42:43]
.LBB239_138:                            ;   in Loop: Header=BB239_13 Depth=1
	s_or_b64 exec, exec, s[40:41]
	global_load_ushort v46, v[8:9], off offset:1280
	v_mov_b32_e32 v45, 0
	s_waitcnt vmcnt(0)
	v_and_b32_e32 v2, 0xffff, v46
	v_cmp_ne_u16_sdwa s[0:1], v46, v3 src0_sel:BYTE_0 src1_sel:DWORD
	v_mov_b32_e32 v46, 0
	s_and_saveexec_b64 s[40:41], s[0:1]
	s_cbranch_execz .LBB239_144
; %bb.139:                              ;   in Loop: Header=BB239_13 Depth=1
	v_cmp_ne_u16_sdwa s[0:1], v2, s52 src0_sel:BYTE_0 src1_sel:DWORD
	v_mov_b32_e32 v46, 0x8000
	s_and_saveexec_b64 s[42:43], s[0:1]
	s_cbranch_execz .LBB239_143
; %bb.140:                              ;   in Loop: Header=BB239_13 Depth=1
	v_and_b32_e32 v47, 0x7f, v2
	v_cmp_ne_u32_e64 s[0:1], s53, v47
	v_mov_b32_e32 v46, 0x7c01
	s_and_saveexec_b64 s[44:45], s[0:1]
	s_cbranch_execz .LBB239_142
; %bb.141:                              ;   in Loop: Header=BB239_13 Depth=1
	v_and_b32_e32 v46, 7, v2
	v_ffbh_u32_e32 v48, v46
	v_min_u32_e32 v51, 32, v48
	v_subrev_u32_e32 v48, 28, v51
	v_lshlrev_b64 v[48:49], v48, v[2:3]
	v_lshrrev_b32_e32 v50, 3, v47
	v_sub_u32_e32 v49, 29, v51
	v_cmp_gt_u32_e64 s[0:1], 8, v47
	v_and_b32_e32 v48, 7, v48
	s_nop 0
	v_cndmask_b32_e64 v47, v50, v49, s[0:1]
	v_lshl_add_u32 v47, v47, 10, v19
	v_lshlrev_b32_e32 v49, 8, v2
	v_and_b32_e32 v47, 0xfc00, v47
	v_cndmask_b32_e64 v46, v46, v48, s[0:1]
	v_and_or_b32 v47, v49, s54, v47
	v_lshl_or_b32 v46, v46, 7, v47
.LBB239_142:                            ;   in Loop: Header=BB239_13 Depth=1
	s_or_b64 exec, exec, s[44:45]
.LBB239_143:                            ;   in Loop: Header=BB239_13 Depth=1
	s_or_b64 exec, exec, s[42:43]
.LBB239_144:                            ;   in Loop: Header=BB239_13 Depth=1
	s_or_b64 exec, exec, s[40:41]
	v_lshrrev_b16_e32 v2, 8, v2
	v_cmp_ne_u16_e64 s[0:1], 0, v2
	s_and_saveexec_b64 s[40:41], s[0:1]
	s_cbranch_execz .LBB239_150
; %bb.145:                              ;   in Loop: Header=BB239_13 Depth=1
	v_cmp_ne_u16_e64 s[0:1], s52, v2
	v_bfrev_b32_e32 v45, 1
	s_and_saveexec_b64 s[42:43], s[0:1]
	s_cbranch_execz .LBB239_149
; %bb.146:                              ;   in Loop: Header=BB239_13 Depth=1
	v_and_b32_e32 v47, 0x7f, v2
	v_cmp_ne_u32_e64 s[0:1], s53, v47
	v_mov_b32_e32 v45, 0x7c010000
	s_and_saveexec_b64 s[44:45], s[0:1]
	s_cbranch_execz .LBB239_148
; %bb.147:                              ;   in Loop: Header=BB239_13 Depth=1
	v_and_b32_e32 v45, 7, v2
	v_ffbh_u32_e32 v48, v45
	v_min_u32_e32 v51, 32, v48
	v_subrev_u32_e32 v48, 28, v51
	v_lshlrev_b64 v[48:49], v48, v[2:3]
	v_lshrrev_b32_e32 v50, 3, v47
	v_sub_u32_e32 v49, 29, v51
	v_cmp_gt_u32_e64 s[0:1], 8, v47
	v_lshlrev_b32_e32 v2, 8, v2
	v_and_b32_e32 v48, 7, v48
	v_cndmask_b32_e64 v47, v50, v49, s[0:1]
	v_lshl_add_u32 v47, v47, 10, v19
	v_and_or_b32 v2, v2, s54, v47
	v_cndmask_b32_e64 v45, v45, v48, s[0:1]
	v_lshlrev_b32_e32 v2, 16, v2
	v_lshl_or_b32 v45, v45, 23, v2
.LBB239_148:                            ;   in Loop: Header=BB239_13 Depth=1
	s_or_b64 exec, exec, s[44:45]
.LBB239_149:                            ;   in Loop: Header=BB239_13 Depth=1
	s_or_b64 exec, exec, s[42:43]
.LBB239_150:                            ;   in Loop: Header=BB239_13 Depth=1
	s_or_b64 exec, exec, s[40:41]
	global_load_ushort v48, v[8:9], off offset:1288
	v_mov_b32_e32 v47, 0
	s_waitcnt vmcnt(0)
	v_and_b32_e32 v2, 0xffff, v48
	v_cmp_ne_u16_sdwa s[0:1], v48, v3 src0_sel:BYTE_0 src1_sel:DWORD
	v_mov_b32_e32 v48, 0
	s_and_saveexec_b64 s[40:41], s[0:1]
	s_cbranch_execz .LBB239_156
; %bb.151:                              ;   in Loop: Header=BB239_13 Depth=1
	v_cmp_ne_u16_sdwa s[0:1], v2, s52 src0_sel:BYTE_0 src1_sel:DWORD
	v_mov_b32_e32 v48, 0x8000
	s_and_saveexec_b64 s[42:43], s[0:1]
	s_cbranch_execz .LBB239_155
; %bb.152:                              ;   in Loop: Header=BB239_13 Depth=1
	v_and_b32_e32 v49, 0x7f, v2
	v_cmp_ne_u32_e64 s[0:1], s53, v49
	v_mov_b32_e32 v48, 0x7c01
	s_and_saveexec_b64 s[44:45], s[0:1]
	s_cbranch_execz .LBB239_154
; %bb.153:                              ;   in Loop: Header=BB239_13 Depth=1
	v_and_b32_e32 v48, 7, v2
	v_ffbh_u32_e32 v50, v48
	v_min_u32_e32 v53, 32, v50
	v_subrev_u32_e32 v50, 28, v53
	v_lshlrev_b64 v[50:51], v50, v[2:3]
	v_lshrrev_b32_e32 v52, 3, v49
	v_sub_u32_e32 v51, 29, v53
	v_cmp_gt_u32_e64 s[0:1], 8, v49
	v_and_b32_e32 v50, 7, v50
	s_nop 0
	v_cndmask_b32_e64 v49, v52, v51, s[0:1]
	v_lshl_add_u32 v49, v49, 10, v19
	v_lshlrev_b32_e32 v51, 8, v2
	v_and_b32_e32 v49, 0xfc00, v49
	v_cndmask_b32_e64 v48, v48, v50, s[0:1]
	v_and_or_b32 v49, v51, s54, v49
	v_lshl_or_b32 v48, v48, 7, v49
.LBB239_154:                            ;   in Loop: Header=BB239_13 Depth=1
	s_or_b64 exec, exec, s[44:45]
.LBB239_155:                            ;   in Loop: Header=BB239_13 Depth=1
	s_or_b64 exec, exec, s[42:43]
.LBB239_156:                            ;   in Loop: Header=BB239_13 Depth=1
	s_or_b64 exec, exec, s[40:41]
	v_lshrrev_b16_e32 v2, 8, v2
	v_cmp_ne_u16_e64 s[0:1], 0, v2
	s_and_saveexec_b64 s[40:41], s[0:1]
	s_cbranch_execz .LBB239_162
; %bb.157:                              ;   in Loop: Header=BB239_13 Depth=1
	v_cmp_ne_u16_e64 s[0:1], s52, v2
	v_bfrev_b32_e32 v47, 1
	s_and_saveexec_b64 s[42:43], s[0:1]
	s_cbranch_execz .LBB239_161
; %bb.158:                              ;   in Loop: Header=BB239_13 Depth=1
	v_and_b32_e32 v49, 0x7f, v2
	v_cmp_ne_u32_e64 s[0:1], s53, v49
	v_mov_b32_e32 v47, 0x7c010000
	s_and_saveexec_b64 s[44:45], s[0:1]
	s_cbranch_execz .LBB239_160
; %bb.159:                              ;   in Loop: Header=BB239_13 Depth=1
	v_and_b32_e32 v47, 7, v2
	v_ffbh_u32_e32 v50, v47
	v_min_u32_e32 v53, 32, v50
	v_subrev_u32_e32 v50, 28, v53
	v_lshlrev_b64 v[50:51], v50, v[2:3]
	v_lshrrev_b32_e32 v52, 3, v49
	v_sub_u32_e32 v51, 29, v53
	v_cmp_gt_u32_e64 s[0:1], 8, v49
	v_lshlrev_b32_e32 v2, 8, v2
	v_and_b32_e32 v50, 7, v50
	v_cndmask_b32_e64 v49, v52, v51, s[0:1]
	v_lshl_add_u32 v49, v49, 10, v19
	v_and_or_b32 v2, v2, s54, v49
	v_cndmask_b32_e64 v47, v47, v50, s[0:1]
	v_lshlrev_b32_e32 v2, 16, v2
	v_lshl_or_b32 v47, v47, 23, v2
.LBB239_160:                            ;   in Loop: Header=BB239_13 Depth=1
	s_or_b64 exec, exec, s[44:45]
.LBB239_161:                            ;   in Loop: Header=BB239_13 Depth=1
	s_or_b64 exec, exec, s[42:43]
.LBB239_162:                            ;   in Loop: Header=BB239_13 Depth=1
	s_or_b64 exec, exec, s[40:41]
	global_load_ushort v50, v[8:9], off offset:1536
	v_mov_b32_e32 v49, 0
	s_waitcnt vmcnt(0)
	v_and_b32_e32 v2, 0xffff, v50
	v_cmp_ne_u16_sdwa s[0:1], v50, v3 src0_sel:BYTE_0 src1_sel:DWORD
	v_mov_b32_e32 v50, 0
	s_and_saveexec_b64 s[40:41], s[0:1]
	s_cbranch_execz .LBB239_168
; %bb.163:                              ;   in Loop: Header=BB239_13 Depth=1
	v_cmp_ne_u16_sdwa s[0:1], v2, s52 src0_sel:BYTE_0 src1_sel:DWORD
	v_mov_b32_e32 v50, 0x8000
	s_and_saveexec_b64 s[42:43], s[0:1]
	s_cbranch_execz .LBB239_167
; %bb.164:                              ;   in Loop: Header=BB239_13 Depth=1
	v_and_b32_e32 v51, 0x7f, v2
	v_cmp_ne_u32_e64 s[0:1], s53, v51
	v_mov_b32_e32 v50, 0x7c01
	s_and_saveexec_b64 s[44:45], s[0:1]
	s_cbranch_execz .LBB239_166
; %bb.165:                              ;   in Loop: Header=BB239_13 Depth=1
	v_and_b32_e32 v50, 7, v2
	v_ffbh_u32_e32 v52, v50
	v_min_u32_e32 v55, 32, v52
	v_subrev_u32_e32 v52, 28, v55
	v_lshlrev_b64 v[52:53], v52, v[2:3]
	v_lshrrev_b32_e32 v54, 3, v51
	v_sub_u32_e32 v53, 29, v55
	v_cmp_gt_u32_e64 s[0:1], 8, v51
	v_and_b32_e32 v52, 7, v52
	s_nop 0
	v_cndmask_b32_e64 v51, v54, v53, s[0:1]
	v_lshl_add_u32 v51, v51, 10, v19
	v_lshlrev_b32_e32 v53, 8, v2
	v_and_b32_e32 v51, 0xfc00, v51
	v_cndmask_b32_e64 v50, v50, v52, s[0:1]
	v_and_or_b32 v51, v53, s54, v51
	v_lshl_or_b32 v50, v50, 7, v51
.LBB239_166:                            ;   in Loop: Header=BB239_13 Depth=1
	s_or_b64 exec, exec, s[44:45]
.LBB239_167:                            ;   in Loop: Header=BB239_13 Depth=1
	s_or_b64 exec, exec, s[42:43]
.LBB239_168:                            ;   in Loop: Header=BB239_13 Depth=1
	s_or_b64 exec, exec, s[40:41]
	v_lshrrev_b16_e32 v2, 8, v2
	v_cmp_ne_u16_e64 s[0:1], 0, v2
	s_and_saveexec_b64 s[40:41], s[0:1]
	s_cbranch_execz .LBB239_174
; %bb.169:                              ;   in Loop: Header=BB239_13 Depth=1
	v_cmp_ne_u16_e64 s[0:1], s52, v2
	v_bfrev_b32_e32 v49, 1
	s_and_saveexec_b64 s[42:43], s[0:1]
	s_cbranch_execz .LBB239_173
; %bb.170:                              ;   in Loop: Header=BB239_13 Depth=1
	v_and_b32_e32 v51, 0x7f, v2
	v_cmp_ne_u32_e64 s[0:1], s53, v51
	v_mov_b32_e32 v49, 0x7c010000
	s_and_saveexec_b64 s[44:45], s[0:1]
	s_cbranch_execz .LBB239_172
; %bb.171:                              ;   in Loop: Header=BB239_13 Depth=1
	v_and_b32_e32 v49, 7, v2
	v_ffbh_u32_e32 v52, v49
	v_min_u32_e32 v55, 32, v52
	v_subrev_u32_e32 v52, 28, v55
	v_lshlrev_b64 v[52:53], v52, v[2:3]
	v_lshrrev_b32_e32 v54, 3, v51
	v_sub_u32_e32 v53, 29, v55
	v_cmp_gt_u32_e64 s[0:1], 8, v51
	v_lshlrev_b32_e32 v2, 8, v2
	v_and_b32_e32 v52, 7, v52
	v_cndmask_b32_e64 v51, v54, v53, s[0:1]
	v_lshl_add_u32 v51, v51, 10, v19
	v_and_or_b32 v2, v2, s54, v51
	v_cndmask_b32_e64 v49, v49, v52, s[0:1]
	v_lshlrev_b32_e32 v2, 16, v2
	v_lshl_or_b32 v49, v49, 23, v2
.LBB239_172:                            ;   in Loop: Header=BB239_13 Depth=1
	s_or_b64 exec, exec, s[44:45]
.LBB239_173:                            ;   in Loop: Header=BB239_13 Depth=1
	s_or_b64 exec, exec, s[42:43]
.LBB239_174:                            ;   in Loop: Header=BB239_13 Depth=1
	s_or_b64 exec, exec, s[40:41]
	global_load_ushort v51, v[8:9], off offset:1544
	v_mov_b32_e32 v53, 0
	v_mov_b32_e32 v54, 0
	s_waitcnt vmcnt(0)
	v_and_b32_e32 v2, 0xffff, v51
	v_cmp_ne_u16_sdwa s[0:1], v51, v3 src0_sel:BYTE_0 src1_sel:DWORD
	s_and_saveexec_b64 s[40:41], s[0:1]
	s_cbranch_execz .LBB239_180
; %bb.175:                              ;   in Loop: Header=BB239_13 Depth=1
	v_cmp_ne_u16_sdwa s[0:1], v2, s52 src0_sel:BYTE_0 src1_sel:DWORD
	v_mov_b32_e32 v54, 0x8000
	s_and_saveexec_b64 s[42:43], s[0:1]
	s_cbranch_execz .LBB239_179
; %bb.176:                              ;   in Loop: Header=BB239_13 Depth=1
	v_and_b32_e32 v51, 0x7f, v2
	v_cmp_ne_u32_e64 s[0:1], s53, v51
	v_mov_b32_e32 v54, 0x7c01
	s_and_saveexec_b64 s[44:45], s[0:1]
	s_cbranch_execz .LBB239_178
; %bb.177:                              ;   in Loop: Header=BB239_13 Depth=1
	v_and_b32_e32 v52, 7, v2
	v_ffbh_u32_e32 v54, v52
	v_min_u32_e32 v57, 32, v54
	v_subrev_u32_e32 v54, 28, v57
	v_lshlrev_b64 v[54:55], v54, v[2:3]
	v_lshrrev_b32_e32 v56, 3, v51
	v_sub_u32_e32 v55, 29, v57
	v_cmp_gt_u32_e64 s[0:1], 8, v51
	v_and_b32_e32 v54, 7, v54
	s_nop 0
	v_cndmask_b32_e64 v51, v56, v55, s[0:1]
	v_lshl_add_u32 v51, v51, 10, v19
	v_lshlrev_b32_e32 v55, 8, v2
	v_and_b32_e32 v51, 0xfc00, v51
	v_cndmask_b32_e64 v52, v52, v54, s[0:1]
	v_and_or_b32 v51, v55, s54, v51
	v_lshl_or_b32 v54, v52, 7, v51
.LBB239_178:                            ;   in Loop: Header=BB239_13 Depth=1
	s_or_b64 exec, exec, s[44:45]
.LBB239_179:                            ;   in Loop: Header=BB239_13 Depth=1
	s_or_b64 exec, exec, s[42:43]
.LBB239_180:                            ;   in Loop: Header=BB239_13 Depth=1
	s_or_b64 exec, exec, s[40:41]
	v_lshrrev_b16_e32 v2, 8, v2
	v_cmp_ne_u16_e64 s[0:1], 0, v2
	s_and_saveexec_b64 s[40:41], s[0:1]
	s_cbranch_execz .LBB239_186
; %bb.181:                              ;   in Loop: Header=BB239_13 Depth=1
	v_cmp_ne_u16_e64 s[0:1], s52, v2
	v_bfrev_b32_e32 v53, 1
	s_and_saveexec_b64 s[42:43], s[0:1]
	s_cbranch_execz .LBB239_185
; %bb.182:                              ;   in Loop: Header=BB239_13 Depth=1
	v_and_b32_e32 v51, 0x7f, v2
	v_cmp_ne_u32_e64 s[0:1], s53, v51
	v_mov_b32_e32 v53, 0x7c010000
	s_and_saveexec_b64 s[44:45], s[0:1]
	s_cbranch_execz .LBB239_184
; %bb.183:                              ;   in Loop: Header=BB239_13 Depth=1
	v_and_b32_e32 v55, 7, v2
	v_ffbh_u32_e32 v52, v55
	v_min_u32_e32 v57, 32, v52
	v_subrev_u32_e32 v52, 28, v57
	v_lshlrev_b64 v[52:53], v52, v[2:3]
	v_lshrrev_b32_e32 v56, 3, v51
	v_sub_u32_e32 v53, 29, v57
	v_cmp_gt_u32_e64 s[0:1], 8, v51
	v_lshlrev_b32_e32 v2, 8, v2
	v_and_b32_e32 v52, 7, v52
	v_cndmask_b32_e64 v51, v56, v53, s[0:1]
	v_lshl_add_u32 v51, v51, 10, v19
	v_and_or_b32 v2, v2, s54, v51
	v_cndmask_b32_e64 v52, v55, v52, s[0:1]
	v_lshlrev_b32_e32 v2, 16, v2
	v_lshl_or_b32 v53, v52, 23, v2
.LBB239_184:                            ;   in Loop: Header=BB239_13 Depth=1
	s_or_b64 exec, exec, s[44:45]
.LBB239_185:                            ;   in Loop: Header=BB239_13 Depth=1
	s_or_b64 exec, exec, s[42:43]
.LBB239_186:                            ;   in Loop: Header=BB239_13 Depth=1
	s_or_b64 exec, exec, s[40:41]
	global_load_ushort v8, v[8:9], off offset:1792
	v_mov_b32_e32 v51, 0
	v_mov_b32_e32 v52, 0
	s_waitcnt vmcnt(0)
	v_and_b32_e32 v2, 0xffff, v8
	v_cmp_ne_u16_sdwa s[0:1], v8, v3 src0_sel:BYTE_0 src1_sel:DWORD
	s_and_saveexec_b64 s[40:41], s[0:1]
	s_cbranch_execz .LBB239_192
; %bb.187:                              ;   in Loop: Header=BB239_13 Depth=1
	v_cmp_ne_u16_sdwa s[0:1], v2, s52 src0_sel:BYTE_0 src1_sel:DWORD
	v_mov_b32_e32 v52, 0x8000
	s_and_saveexec_b64 s[42:43], s[0:1]
	s_cbranch_execz .LBB239_191
; %bb.188:                              ;   in Loop: Header=BB239_13 Depth=1
	v_and_b32_e32 v8, 0x7f, v2
	v_cmp_ne_u32_e64 s[0:1], s53, v8
	v_mov_b32_e32 v52, 0x7c01
	s_and_saveexec_b64 s[44:45], s[0:1]
	s_cbranch_execz .LBB239_190
; %bb.189:                              ;   in Loop: Header=BB239_13 Depth=1
	v_and_b32_e32 v9, 7, v2
	v_ffbh_u32_e32 v55, v9
	v_min_u32_e32 v55, 32, v55
	v_lshrrev_b32_e32 v52, 3, v8
	v_subrev_u32_e32 v56, 28, v55
	v_sub_u32_e32 v55, 29, v55
	v_cmp_gt_u32_e64 s[0:1], 8, v8
	v_lshlrev_b64 v[56:57], v56, v[2:3]
	s_nop 0
	v_cndmask_b32_e64 v8, v52, v55, s[0:1]
	v_lshl_add_u32 v8, v8, 10, v19
	v_lshlrev_b32_e32 v52, 8, v2
	v_and_b32_e32 v55, 7, v56
	v_and_b32_e32 v8, 0xfc00, v8
	v_cndmask_b32_e64 v9, v9, v55, s[0:1]
	v_and_or_b32 v8, v52, s54, v8
	v_lshl_or_b32 v52, v9, 7, v8
.LBB239_190:                            ;   in Loop: Header=BB239_13 Depth=1
	s_or_b64 exec, exec, s[44:45]
.LBB239_191:                            ;   in Loop: Header=BB239_13 Depth=1
	s_or_b64 exec, exec, s[42:43]
.LBB239_192:                            ;   in Loop: Header=BB239_13 Depth=1
	s_or_b64 exec, exec, s[40:41]
	v_lshrrev_b16_e32 v2, 8, v2
	v_cmp_ne_u16_e64 s[0:1], 0, v2
	s_and_saveexec_b64 s[40:41], s[0:1]
	s_cbranch_execz .LBB239_198
; %bb.193:                              ;   in Loop: Header=BB239_13 Depth=1
	v_cmp_ne_u16_e64 s[0:1], s52, v2
	v_bfrev_b32_e32 v51, 1
	s_and_saveexec_b64 s[42:43], s[0:1]
	s_cbranch_execz .LBB239_197
; %bb.194:                              ;   in Loop: Header=BB239_13 Depth=1
	v_and_b32_e32 v8, 0x7f, v2
	v_cmp_ne_u32_e64 s[0:1], s53, v8
	v_mov_b32_e32 v51, 0x7c010000
	s_and_saveexec_b64 s[44:45], s[0:1]
	s_cbranch_execz .LBB239_196
; %bb.195:                              ;   in Loop: Header=BB239_13 Depth=1
	v_and_b32_e32 v9, 7, v2
	v_ffbh_u32_e32 v55, v9
	v_min_u32_e32 v55, 32, v55
	v_lshrrev_b32_e32 v51, 3, v8
	v_subrev_u32_e32 v56, 28, v55
	v_sub_u32_e32 v55, 29, v55
	v_cmp_gt_u32_e64 s[0:1], 8, v8
	v_lshlrev_b64 v[56:57], v56, v[2:3]
	v_lshlrev_b32_e32 v2, 8, v2
	v_cndmask_b32_e64 v8, v51, v55, s[0:1]
	v_lshl_add_u32 v8, v8, 10, v19
	v_and_b32_e32 v51, 7, v56
	v_and_or_b32 v2, v2, s54, v8
	v_cndmask_b32_e64 v9, v9, v51, s[0:1]
	v_lshlrev_b32_e32 v2, 16, v2
	v_lshl_or_b32 v51, v9, 23, v2
.LBB239_196:                            ;   in Loop: Header=BB239_13 Depth=1
	s_or_b64 exec, exec, s[44:45]
.LBB239_197:                            ;   in Loop: Header=BB239_13 Depth=1
	s_or_b64 exec, exec, s[42:43]
.LBB239_198:                            ;   in Loop: Header=BB239_13 Depth=1
	s_or_b64 exec, exec, s[40:41]
	v_or_b32_e32 v9, v49, v50
	v_fma_mixlo_f16 v50, v22, v9, 0 op_sel_hi:[0,1,0]
	v_fma_mixlo_f16 v9, v22, v49, 0 op_sel:[0,1,0] op_sel_hi:[0,1,0]
	ds_read_b32 v49, v12
	v_or_b32_e32 v24, v23, v24
	v_or_b32_e32 v2, v53, v54
	v_fma_mixlo_f16 v24, v22, v24, 0 op_sel_hi:[0,1,0]
	v_fma_mixlo_f16 v23, v22, v23, 0 op_sel:[0,1,0] op_sel_hi:[0,1,0]
	v_fma_mixlo_f16 v8, v22, v2, 0 op_sel_hi:[0,1,0]
	v_fma_mixlo_f16 v2, v22, v53, 0 op_sel:[0,1,0] op_sel_hi:[0,1,0]
	s_waitcnt lgkmcnt(0)
	v_lshrrev_b32_e32 v53, 16, v49
	v_and_b32_e32 v49, 0xffff, v49
	v_and_b32_e32 v24, 0xffff, v24
	;; [unrolled: 1-line block ×3, first 2 shown]
	;;#ASMSTART
	v_cvt_f32_f16 v49, v49;
	;;#ASMEND
	;;#ASMSTART
	v_cvt_f32_f16 v53, v53;
	;;#ASMEND
	;;#ASMSTART
	v_cvt_f32_f16 v24, v24;
	;;#ASMEND
	;;#ASMSTART
	v_cvt_f32_f16 v23, v23;
	;;#ASMEND
	ds_read_b32 v54, v12 offset:4
	v_or_b32_e32 v26, v25, v26
	v_fma_mixlo_f16 v26, v22, v26, 0 op_sel_hi:[0,1,0]
	v_fma_mixlo_f16 v25, v22, v25, 0 op_sel:[0,1,0] op_sel_hi:[0,1,0]
	v_and_b32_e32 v26, 0xffff, v26
	s_waitcnt lgkmcnt(0)
	v_lshrrev_b32_e32 v55, 16, v54
	v_and_b32_e32 v54, 0xffff, v54
	v_and_b32_e32 v25, 0xffff, v25
	;;#ASMSTART
	v_cvt_f32_f16 v54, v54;
	;;#ASMEND
	;;#ASMSTART
	v_cvt_f32_f16 v55, v55;
	;;#ASMEND
	;;#ASMSTART
	v_cvt_f32_f16 v26, v26;
	;;#ASMEND
	;;#ASMSTART
	v_cvt_f32_f16 v25, v25;
	;;#ASMEND
	ds_read_b32 v56, v12 offset:8
	v_or_b32_e32 v30, v27, v30
	v_fma_mixlo_f16 v30, v22, v30, 0 op_sel_hi:[0,1,0]
	v_fma_mixlo_f16 v27, v22, v27, 0 op_sel:[0,1,0] op_sel_hi:[0,1,0]
	v_and_b32_e32 v30, 0xffff, v30
	s_waitcnt lgkmcnt(0)
	v_lshrrev_b32_e32 v57, 16, v56
	v_and_b32_e32 v56, 0xffff, v56
	v_and_b32_e32 v27, 0xffff, v27
	;; [unrolled: 21-line block ×6, first 2 shown]
	;;#ASMSTART
	v_cvt_f32_f16 v64, v64;
	;;#ASMEND
	;;#ASMSTART
	v_cvt_f32_f16 v65, v65;
	;;#ASMEND
	;; [unrolled: 3-line block ×4, first 2 shown]
	ds_read_b32 v66, v12 offset:28
	v_or_b32_e32 v40, v39, v40
	v_or_b32_e32 v48, v47, v48
	;; [unrolled: 1-line block ×5, first 2 shown]
	v_fma_mixlo_f16 v40, v22, v40, 0 op_sel_hi:[0,1,0]
	v_fma_mixlo_f16 v39, v22, v39, 0 op_sel:[0,1,0] op_sel_hi:[0,1,0]
	v_or_b32_e32 v52, v51, v52
	v_fma_mixlo_f16 v48, v22, v48, 0 op_sel_hi:[0,1,0]
	v_fma_mixlo_f16 v47, v22, v47, 0 op_sel:[0,1,0] op_sel_hi:[0,1,0]
	v_fma_mixlo_f16 v46, v22, v46, 0 op_sel_hi:[0,1,0]
	v_fma_mixlo_f16 v45, v22, v45, 0 op_sel:[0,1,0] op_sel_hi:[0,1,0]
	;; [unrolled: 2-line block ×5, first 2 shown]
	s_waitcnt lgkmcnt(0)
	v_lshrrev_b32_e32 v67, 16, v66
	v_and_b32_e32 v51, 0xffff, v66
	v_and_b32_e32 v40, 0xffff, v40
	;; [unrolled: 1-line block ×3, first 2 shown]
	;;#ASMSTART
	v_cvt_f32_f16 v51, v51;
	;;#ASMEND
	;;#ASMSTART
	v_cvt_f32_f16 v66, v67;
	;;#ASMEND
	;; [unrolled: 3-line block ×4, first 2 shown]
	ds_read_b32 v67, v12 offset:32
	v_mul_f32_e32 v26, v54, v26
	v_fmac_f32_e32 v26, v49, v24
	v_mul_f32_e32 v24, v55, v25
	v_fmac_f32_e32 v24, v53, v23
	s_waitcnt lgkmcnt(0)
	v_lshrrev_b32_e32 v25, 16, v67
	v_and_b32_e32 v23, 0xffff, v67
	v_and_b32_e32 v42, 0xffff, v42
	v_and_b32_e32 v41, 0xffff, v41
	;;#ASMSTART
	v_cvt_f32_f16 v23, v23;
	;;#ASMEND
	;;#ASMSTART
	v_cvt_f32_f16 v25, v25;
	;;#ASMEND
	;;#ASMSTART
	v_cvt_f32_f16 v42, v42;
	;;#ASMEND
	;;#ASMSTART
	v_cvt_f32_f16 v41, v41;
	;;#ASMEND
	ds_read_b32 v49, v12 offset:36
	v_fmac_f32_e32 v26, v56, v30
	v_fmac_f32_e32 v24, v57, v27
	v_fmac_f32_e32 v26, v58, v32
	v_fmac_f32_e32 v24, v59, v31
	s_waitcnt lgkmcnt(0)
	v_lshrrev_b32_e32 v30, 16, v49
	v_and_b32_e32 v27, 0xffff, v49
	v_and_b32_e32 v31, 0xffff, v44
	v_and_b32_e32 v32, 0xffff, v43
	;;#ASMSTART
	v_cvt_f32_f16 v27, v27;
	;;#ASMEND
	;;#ASMSTART
	v_cvt_f32_f16 v30, v30;
	;;#ASMEND
	;;#ASMSTART
	v_cvt_f32_f16 v31, v31;
	;;#ASMEND
	;;#ASMSTART
	v_cvt_f32_f16 v32, v32;
	;;#ASMEND
	ds_read_b32 v43, v12 offset:40
	v_fmac_f32_e32 v26, v60, v34
	v_fmac_f32_e32 v24, v61, v33
	v_fmac_f32_e32 v26, v62, v36
	;; [unrolled: 22-line block ×4, first 2 shown]
	v_and_b32_e32 v27, 0xffff, v50
	s_waitcnt lgkmcnt(0)
	v_lshrrev_b32_e32 v25, 16, v43
	v_and_b32_e32 v23, 0xffff, v43
	v_and_b32_e32 v9, 0xffff, v9
	v_fmac_f32_e32 v24, v30, v32
	;;#ASMSTART
	v_cvt_f32_f16 v23, v23;
	;;#ASMEND
	;;#ASMSTART
	v_cvt_f32_f16 v25, v25;
	;;#ASMEND
	;; [unrolled: 3-line block ×4, first 2 shown]
	ds_read_b32 v30, v12 offset:52
	v_and_b32_e32 v8, 0xffff, v8
	v_and_b32_e32 v2, 0xffff, v2
	v_fmac_f32_e32 v26, v33, v35
	v_fmac_f32_e32 v24, v34, v36
	s_waitcnt lgkmcnt(0)
	v_lshrrev_b32_e32 v31, 16, v30
	v_and_b32_e32 v30, 0xffff, v30
	;;#ASMSTART
	v_cvt_f32_f16 v30, v30;
	;;#ASMEND
	;;#ASMSTART
	v_cvt_f32_f16 v31, v31;
	;;#ASMEND
	;; [unrolled: 3-line block ×4, first 2 shown]
	ds_read_b32 v32, v12 offset:56
	v_fmac_f32_e32 v26, v37, v39
	v_fmac_f32_e32 v24, v38, v40
	;; [unrolled: 1-line block ×6, first 2 shown]
	s_waitcnt lgkmcnt(0)
	v_lshrrev_b32_e32 v8, 16, v32
	v_and_b32_e32 v2, 0xffff, v32
	;;#ASMSTART
	v_cvt_f32_f16 v2, v2;
	;;#ASMEND
	;;#ASMSTART
	v_cvt_f32_f16 v8, v8;
	;;#ASMEND
	v_and_b32_e32 v9, 0xffff, v52
	v_and_b32_e32 v22, 0xffff, v22
	;;#ASMSTART
	v_cvt_f32_f16 v9, v9;
	;;#ASMEND
	;;#ASMSTART
	v_cvt_f32_f16 v22, v22;
	;;#ASMEND
	s_nop 0
	v_fmac_f32_e32 v24, v8, v22
	v_and_b32_e32 v8, 64, v20
	v_fmac_f32_e32 v26, v2, v9
	v_add_u32_e32 v8, 64, v8
	v_xor_b32_e32 v9, 2, v20
	v_cmp_lt_i32_e64 s[0:1], v9, v8
	v_add_f32_e32 v2, v26, v24
	s_nop 0
	v_cndmask_b32_e64 v9, v20, v9, s[0:1]
	v_lshlrev_b32_e32 v9, 2, v9
	ds_bpermute_b32 v9, v9, v2
	s_waitcnt lgkmcnt(0)
	v_add_f32_e32 v2, v2, v9
	v_xor_b32_e32 v9, 1, v20
	v_cmp_lt_i32_e64 s[0:1], v9, v8
	s_nop 1
	v_cndmask_b32_e64 v8, v20, v9, s[0:1]
	v_lshlrev_b32_e32 v8, 2, v8
	ds_bpermute_b32 v8, v8, v2
	s_and_saveexec_b64 s[40:41], vcc
	s_cbranch_execz .LBB239_11
; %bb.199:                              ;   in Loop: Header=BB239_13 Depth=1
	v_add_u32_e32 v9, v16, v15
	v_cvt_f32_i32_e32 v9, v9
	s_waitcnt lgkmcnt(0)
	v_add_f32_e32 v2, v2, v8
	v_add_u32_e32 v22, v11, v15
	v_cmp_gt_i32_e64 s[0:1], s33, v22
	v_mul_f32_e32 v8, s49, v9
	v_cndmask_b32_e64 v8, 0, v8, s[2:3]
	v_fmac_f32_e32 v8, s37, v2
	v_cndmask_b32_e64 v2, 0, v8, s[0:1]
	ds_write_b32 v17, v2
	v_max_f32_e32 v2, v13, v13
	v_max_f32_e32 v2, v2, v8
	v_cndmask_b32_e64 v13, v13, v2, s[0:1]
	s_branch .LBB239_11
.LBB239_200:
	s_or_b64 exec, exec, s[38:39]
.LBB239_201:
	s_or_b64 exec, exec, s[18:19]
	v_mbcnt_hi_u32_b32 v2, -1, v10
	v_and_b32_e32 v11, 64, v2
	v_add_u32_e32 v3, 64, v11
	v_xor_b32_e32 v4, 32, v2
	v_cmp_lt_i32_e32 vcc, v4, v3
	v_xor_b32_e32 v7, 16, v2
	v_max_f32_e32 v6, v13, v13
	v_cndmask_b32_e32 v4, v2, v4, vcc
	v_lshlrev_b32_e32 v5, 2, v4
	ds_bpermute_b32 v4, v5, v13
	v_cmp_lt_i32_e32 vcc, v7, v3
	s_waitcnt lgkmcnt(1)
	v_xor_b32_e32 v8, 8, v2
	v_xor_b32_e32 v10, 4, v2
	s_waitcnt lgkmcnt(0)
	v_max_f32_e32 v4, v4, v4
	v_max_f32_e32 v4, v6, v4
	v_cndmask_b32_e32 v6, v2, v7, vcc
	v_lshlrev_b32_e32 v6, 2, v6
	ds_bpermute_b32 v7, v6, v4
	v_cmp_lt_i32_e32 vcc, v8, v3
	s_waitcnt lgkmcnt(0)
	v_max_f32_e32 v7, v7, v7
	v_max_f32_e32 v4, v4, v7
	v_cndmask_b32_e32 v7, v2, v8, vcc
	v_lshlrev_b32_e32 v9, 2, v7
	ds_bpermute_b32 v7, v9, v4
	v_cmp_lt_i32_e32 vcc, v10, v3
	s_waitcnt lgkmcnt(0)
	v_max_f32_e32 v7, v7, v7
	v_max_f32_e32 v8, v4, v7
	v_cndmask_b32_e32 v4, v2, v10, vcc
	v_lshlrev_b32_e32 v10, 2, v4
	ds_bpermute_b32 v12, v10, v8
	v_and_b32_e32 v4, 63, v0
	v_cmp_eq_u32_e32 vcc, 0, v4
	v_lshlrev_b32_e32 v7, 2, v28
	s_and_saveexec_b64 s[0:1], vcc
	s_cbranch_execz .LBB239_203
; %bb.202:
	s_waitcnt lgkmcnt(0)
	v_max_f32_e32 v12, v12, v12
	v_max_f32_e32 v8, v8, v8
	;; [unrolled: 1-line block ×3, first 2 shown]
	ds_write_b32 v7, v8 offset:240
.LBB239_203:
	s_or_b64 exec, exec, s[0:1]
	v_cmp_gt_u32_e64 s[0:1], 2, v4
	s_waitcnt lgkmcnt(0)
	v_mov_b32_e32 v12, 0xff7fffff
	v_lshlrev_b32_e32 v8, 2, v4
	s_barrier
	s_and_saveexec_b64 s[2:3], s[0:1]
; %bb.204:
	ds_read_b32 v12, v8 offset:240
; %bb.205:
	s_or_b64 exec, exec, s[2:3]
	v_xor_b32_e32 v13, 1, v2
	v_cmp_lt_i32_e64 s[2:3], v13, v3
	v_lshlrev_b32_e32 v11, 2, v11
	s_nop 0
	v_cndmask_b32_e64 v13, v2, v13, s[2:3]
	v_lshlrev_b32_e32 v30, 2, v13
	s_waitcnt lgkmcnt(0)
	ds_bpermute_b32 v13, v30, v12
	v_max_f32_e32 v12, v12, v12
	s_lshl_b32 s2, s48, 4
	s_min_i32 s23, s2, s33
	v_cmp_gt_i32_e64 s[2:3], s23, v0
	s_waitcnt lgkmcnt(0)
	v_max_f32_e32 v13, v13, v13
	v_max_f32_e32 v12, v12, v13
	ds_bpermute_b32 v12, v11, v12
	v_mov_b32_e32 v11, 0
	s_and_saveexec_b64 s[12:13], s[2:3]
	s_cbranch_execz .LBB239_209
; %bb.206:
	v_mov_b32_e32 v11, 0x100
	v_lshl_add_u32 v13, v0, 2, v11
	v_mov_b32_e32 v11, 0
	s_mov_b64 s[18:19], 0
	v_mov_b32_e32 v14, v0
.LBB239_207:                            ; =>This Inner Loop Header: Depth=1
	ds_read_b32 v15, v13
	v_add_u32_e32 v14, 0x80, v14
	v_cmp_le_i32_e64 s[8:9], s23, v14
	s_or_b64 s[18:19], s[8:9], s[18:19]
	s_waitcnt lgkmcnt(0)
	v_sub_f32_e32 v15, v15, v12
	v_mul_f32_e32 v15, 0x3fb8aa3b, v15
	v_exp_f32_e32 v15, v15
	ds_write_b32 v13, v15
	v_add_f32_e32 v11, v11, v15
	v_add_u32_e32 v13, 0x200, v13
	s_andn2_b64 exec, exec, s[18:19]
	s_cbranch_execnz .LBB239_207
; %bb.208:
	s_or_b64 exec, exec, s[18:19]
.LBB239_209:
	s_or_b64 exec, exec, s[12:13]
	ds_bpermute_b32 v5, v5, v11
	s_waitcnt lgkmcnt(0)
	v_add_f32_e32 v5, v11, v5
	ds_bpermute_b32 v6, v6, v5
	s_waitcnt lgkmcnt(0)
	v_add_f32_e32 v5, v5, v6
	ds_bpermute_b32 v6, v9, v5
	v_xor_b32_e32 v9, 2, v2
	v_cmp_lt_i32_e64 s[8:9], v9, v3
	s_waitcnt lgkmcnt(0)
	v_add_f32_e32 v5, v5, v6
	ds_bpermute_b32 v6, v10, v5
	v_cndmask_b32_e64 v3, v2, v9, s[8:9]
	v_lshlrev_b32_e32 v3, 2, v3
	s_waitcnt lgkmcnt(0)
	v_add_f32_e32 v5, v5, v6
	ds_bpermute_b32 v3, v3, v5
	s_waitcnt lgkmcnt(0)
	v_add_f32_e32 v3, v5, v3
	ds_bpermute_b32 v5, v30, v3
	s_waitcnt lgkmcnt(0)
	v_add_f32_e32 v3, v3, v5
	s_and_saveexec_b64 s[8:9], vcc
; %bb.210:
	ds_write_b32 v7, v3 offset:248
; %bb.211:
	s_or_b64 exec, exec, s[8:9]
	s_waitcnt lgkmcnt(0)
	s_barrier
	s_and_saveexec_b64 s[8:9], s[0:1]
; %bb.212:
	ds_read_b32 v3, v8 offset:248
; %bb.213:
	s_or_b64 exec, exec, s[8:9]
	s_waitcnt lgkmcnt(0)
	ds_bpermute_b32 v5, v30, v3
	v_lshlrev_b32_e32 v2, 2, v2
	v_and_b32_e32 v2, 0x100, v2
	s_waitcnt lgkmcnt(0)
	v_add_f32_e32 v3, v3, v5
	ds_bpermute_b32 v2, v2, v3
	s_and_saveexec_b64 s[0:1], s[2:3]
	s_cbranch_execz .LBB239_226
; %bb.214:
	s_waitcnt lgkmcnt(0)
	v_add_f32_e32 v2, 0x358637bd, v2
	v_div_scale_f32 v3, s[2:3], v2, v2, 1.0
	v_rcp_f32_e32 v5, v3
	v_div_scale_f32 v6, vcc, 1.0, v2, 1.0
	s_movk_i32 s2, 0x7f
	v_fma_f32 v7, -v3, v5, 1.0
	v_fmac_f32_e32 v5, v7, v5
	v_mul_f32_e32 v7, v6, v5
	v_fma_f32 v8, -v3, v7, v6
	v_fmac_f32_e32 v7, v8, v5
	v_fma_f32 v3, -v3, v7, v6
	v_div_fmas_f32 v3, v3, v5, v7
	v_xad_u32 v5, v0, -1, s23
	v_div_fixup_f32 v2, v3, v2, 1.0
	v_cmp_lt_u32_e32 vcc, s2, v5
	s_mov_b64 s[8:9], -1
	v_mov_b32_e32 v3, v0
	s_and_saveexec_b64 s[2:3], vcc
	s_cbranch_execz .LBB239_223
; %bb.215:
	v_lshrrev_b32_e32 v5, 7, v5
	v_add_u32_e32 v7, -1, v5
	v_lshrrev_b32_e32 v6, 1, v7
	v_mov_b32_e32 v3, v2
	v_add_u32_e32 v6, 1, v6
	v_cmp_lt_u32_e32 vcc, 13, v7
	v_mov_b32_e32 v9, 0
	s_and_saveexec_b64 s[8:9], vcc
	s_cbranch_execz .LBB239_219
; %bb.216:
	v_mov_b32_e32 v8, 0x100
	v_and_b32_e32 v7, -8, v6
	v_lshl_add_u32 v8, v0, 2, v8
	s_mov_b32 s18, 0
	s_mov_b64 s[12:13], 0
.LBB239_217:                            ; =>This Inner Loop Header: Depth=1
	ds_read2st64_b32 v[10:11], v8 offset1:2
	ds_read2st64_b32 v[12:13], v8 offset0:4 offset1:6
	ds_read2st64_b32 v[14:15], v8 offset0:8 offset1:10
	;; [unrolled: 1-line block ×3, first 2 shown]
	v_add_u32_e32 v7, -8, v7
	s_waitcnt lgkmcnt(3)
	v_pk_mul_f32 v[10:11], v[2:3], v[10:11]
	s_waitcnt lgkmcnt(2)
	v_pk_mul_f32 v[12:13], v[2:3], v[12:13]
	ds_write2st64_b32 v8, v10, v11 offset1:2
	ds_write2st64_b32 v8, v12, v13 offset0:4 offset1:6
	ds_read2st64_b32 v[12:13], v8 offset0:16 offset1:18
	s_waitcnt lgkmcnt(4)
	v_pk_mul_f32 v[10:11], v[2:3], v[14:15]
	ds_write2st64_b32 v8, v10, v11 offset0:8 offset1:10
	s_waitcnt lgkmcnt(4)
	v_pk_mul_f32 v[10:11], v[2:3], v[16:17]
	ds_write2st64_b32 v8, v10, v11 offset0:12 offset1:14
	ds_read2st64_b32 v[10:11], v8 offset0:20 offset1:22
	s_waitcnt lgkmcnt(3)
	v_pk_mul_f32 v[12:13], v[2:3], v[12:13]
	ds_read2st64_b32 v[14:15], v8 offset0:24 offset1:26
	ds_write2st64_b32 v8, v12, v13 offset0:16 offset1:18
	ds_read2st64_b32 v[12:13], v8 offset0:28 offset1:30
	s_waitcnt lgkmcnt(3)
	v_pk_mul_f32 v[10:11], v[2:3], v[10:11]
	ds_write2st64_b32 v8, v10, v11 offset0:20 offset1:22
	s_waitcnt lgkmcnt(3)
	v_pk_mul_f32 v[10:11], v[2:3], v[14:15]
	ds_write2st64_b32 v8, v10, v11 offset0:24 offset1:26
	s_waitcnt lgkmcnt(2)
	v_pk_mul_f32 v[10:11], v[2:3], v[12:13]
	s_add_i32 s18, s18, 16
	v_cmp_eq_u32_e32 vcc, 0, v7
	ds_write2st64_b32 v8, v10, v11 offset0:28 offset1:30
	v_add_u32_e32 v8, 0x2000, v8
	s_or_b64 s[12:13], vcc, s[12:13]
	v_mov_b32_e32 v9, s18
	s_andn2_b64 exec, exec, s[12:13]
	s_cbranch_execnz .LBB239_217
; %bb.218:
	s_or_b64 exec, exec, s[12:13]
.LBB239_219:
	s_or_b64 exec, exec, s[8:9]
	v_and_b32_e32 v6, 7, v6
	v_cmp_ne_u32_e32 vcc, 0, v6
	s_and_saveexec_b64 s[8:9], vcc
	s_cbranch_execz .LBB239_222
; %bb.220:
	v_lshlrev_b32_e32 v7, 9, v9
	v_lshlrev_b32_e32 v8, 2, v0
	s_movk_i32 s12, 0x100
	v_add3_u32 v7, v7, v8, s12
	s_mov_b64 s[12:13], 0
.LBB239_221:                            ; =>This Inner Loop Header: Depth=1
	ds_read2st64_b32 v[8:9], v7 offset1:2
	v_add_u32_e32 v6, -1, v6
	v_cmp_eq_u32_e32 vcc, 0, v6
	s_or_b64 s[12:13], vcc, s[12:13]
	s_waitcnt lgkmcnt(0)
	v_pk_mul_f32 v[8:9], v[2:3], v[8:9]
	ds_write2st64_b32 v7, v8, v9 offset1:2
	v_add_u32_e32 v7, 0x400, v7
	s_andn2_b64 exec, exec, s[12:13]
	s_cbranch_execnz .LBB239_221
.LBB239_222:
	s_or_b64 exec, exec, s[8:9]
	v_add_u32_e32 v5, 1, v5
	v_and_b32_e32 v6, 0x3fffffe, v5
	v_cmp_ne_u32_e32 vcc, v5, v6
	v_lshl_add_u32 v3, v6, 7, v0
	s_orn2_b64 s[8:9], vcc, exec
.LBB239_223:
	s_or_b64 exec, exec, s[2:3]
	s_and_b64 exec, exec, s[8:9]
	s_cbranch_execz .LBB239_226
; %bb.224:
	v_mov_b32_e32 v5, 0x100
	v_lshl_add_u32 v5, v3, 2, v5
	s_mov_b64 s[2:3], 0
.LBB239_225:                            ; =>This Inner Loop Header: Depth=1
	ds_read_b32 v6, v5
	v_add_u32_e32 v3, 0x80, v3
	v_cmp_le_i32_e32 vcc, s23, v3
	s_or_b64 s[2:3], vcc, s[2:3]
	s_waitcnt lgkmcnt(0)
	v_mul_f32_e32 v6, v2, v6
	ds_write_b32 v5, v6
	v_add_u32_e32 v5, 0x200, v5
	s_andn2_b64 exec, exec, s[2:3]
	s_cbranch_execnz .LBB239_225
.LBB239_226:
	s_or_b64 exec, exec, s[0:1]
	v_lshrrev_b32_e32 v31, 1, v4
	s_waitcnt lgkmcnt(0)
	s_barrier
	s_and_saveexec_b64 s[0:1], s[6:7]
	s_xor_b64 s[0:1], exec, s[0:1]
; %bb.227:
	v_lshrrev_b32_e32 v31, 1, v4
                                        ; implicit-def: $vgpr29
                                        ; implicit-def: $vgpr28
                                        ; implicit-def: $vgpr1
; %bb.228:
	s_or_saveexec_b64 s[6:7], s[0:1]
	v_mov_b32_e32 v5, 0
	v_and_b32_e32 v32, 1, v0
	v_mov_b32_e32 v4, 0
	v_mov_b32_e32 v9, 0
	;; [unrolled: 1-line block ×3, first 2 shown]
	s_xor_b64 exec, exec, s[6:7]
	s_cbranch_execz .LBB239_436
; %bb.229:
	s_sub_i32 s37, s16, s21
	s_ashr_i32 s0, s20, 31
	s_add_u32 s8, s34, s20
	s_addc_u32 s9, s35, s0
	s_abs_i32 s35, s22
	v_cvt_f32_u32_e32 v4, s35
	v_lshlrev_b32_e32 v2, 3, v0
	v_or_b32_e32 v5, 0x60, v31
	s_movk_i32 s0, 0x78
	v_rcp_iflag_f32_e32 v4, v4
	v_and_b32_e32 v33, 8, v2
	v_cmp_gt_u32_e32 vcc, s0, v5
	s_sub_i32 s0, 0, s35
	v_mul_f32_e32 v4, 0x4f7ffffe, v4
	v_cvt_u32_f32_e32 v4, v4
	s_add_i32 s34, s48, -1
	v_lshl_or_b32 v10, v5, 4, v33
	v_and_b32_e32 v6, 60, v1
	v_mul_lo_u32 v5, s0, v4
	s_lshl_b64 s[0:1], s[30:31], 2
	s_add_u32 s0, s28, s0
	v_lshlrev_b32_e32 v1, 5, v32
	s_mov_b32 s12, -1
	v_mov_b32_e32 v7, 0
	v_mul_hi_u32 v5, v4, v5
	s_addc_u32 s1, s29, s1
	v_lshl_or_b32 v1, v28, 6, v1
	s_mov_b32 s38, s17
	s_mov_b32 s13, 0xffffff
	v_lshl_or_b32 v2, v31, 4, v33
	v_mov_b32_e32 v3, v7
	v_mov_b32_e32 v11, v7
	s_mov_b32 s39, s33
	v_add_u32_e32 v34, v4, v5
	v_lshl_add_u64 v[12:13], s[0:1], 0, v[6:7]
	v_add_u32_e32 v35, 0x100, v1
	s_mov_b64 s[16:17], 0
	s_movk_i32 s40, 0x80
	s_movk_i32 s41, 0x7f
	s_mov_b32 s42, 0x8000
	v_mov_b32_e32 v36, 0x2000
	v_mov_b32_e32 v8, 0
	;; [unrolled: 1-line block ×5, first 2 shown]
	s_branch .LBB239_233
.LBB239_230:                            ;   in Loop: Header=BB239_233 Depth=1
	s_or_b64 exec, exec, s[2:3]
	;;#ASMSTART
	v_pk_mul_f16 v1, v43, v1;

	;;#ASMEND
	;;#ASMSTART
	v_pk_mul_f16 v6, v42, v16;

	;;#ASMEND
	;; [unrolled: 4-line block ×4, first 2 shown]
	s_nop 0
	;;#ASMSTART
	v_pk_add_f16 v1, v1, v6;

	;;#ASMEND
	s_nop 0
	;;#ASMSTART
	v_pk_add_f16 v1, v1, v14;

	;;#ASMEND
	;; [unrolled: 5-line block ×3, first 2 shown]
	s_nop 0
	v_lshrrev_b32_e32 v6, 16, v1
	v_and_b32_e32 v1, 0xffff, v1
	;;#ASMSTART
	v_cvt_f32_f16 v1, v1;
	;;#ASMEND
	;;#ASMSTART
	v_cvt_f32_f16 v6, v6;
	;;#ASMEND
	s_nop 0
	v_add_f32_e32 v1, v1, v6
	v_add_f32_e32 v5, v5, v1
.LBB239_231:                            ;   in Loop: Header=BB239_233 Depth=1
	s_or_b64 exec, exec, s[20:21]
	v_add_f32_e32 v1, v26, v27
	v_add_f32_e32 v9, v9, v1
	;; [unrolled: 1-line block ×6, first 2 shown]
.LBB239_232:                            ;   in Loop: Header=BB239_233 Depth=1
	s_or_b64 exec, exec, s[18:19]
	v_add_u32_e32 v28, 2, v28
	v_cmp_le_i32_e64 s[0:1], s48, v28
	v_lshl_add_u64 v[12:13], v[12:13], 0, 8
	v_add_u32_e32 v29, 32, v29
	s_or_b64 s[16:17], s[0:1], s[16:17]
	v_add_u32_e32 v35, 0x80, v35
	s_andn2_b64 exec, exec, s[16:17]
	s_cbranch_execz .LBB239_435
.LBB239_233:                            ; =>This Inner Loop Header: Depth=1
	v_mul_hi_u32 v1, v29, s46
	v_mul_lo_u32 v6, v1, s25
	v_sub_u32_e32 v6, v29, v6
	v_add_u32_e32 v14, 1, v1
	v_cmp_le_u32_e64 s[0:1], s25, v6
	s_nop 1
	v_cndmask_b32_e64 v1, v1, v14, s[0:1]
	v_subrev_u32_e32 v14, s25, v6
	v_cndmask_b32_e64 v6, v6, v14, s[0:1]
	v_add_u32_e32 v14, 1, v1
	v_cmp_le_u32_e64 s[0:1], s25, v6
	s_nop 1
	v_cndmask_b32_e64 v1, v1, v14, s[0:1]
	v_xor_b32_e32 v1, s47, v1
	v_subrev_u32_e32 v1, s47, v1
	v_add_u32_e32 v6, s36, v1
	v_sub_u32_e32 v15, 0, v6
	v_ashrrev_i32_e32 v14, 31, v6
	v_max_i32_e32 v6, v6, v15
	v_mul_hi_u32 v15, v6, v34
	v_mul_lo_u32 v15, v15, s35
	v_sub_u32_e32 v6, v6, v15
	v_subrev_u32_e32 v15, s35, v6
	v_cmp_le_u32_e64 s[0:1], s35, v6
	v_cmp_lt_i32_e64 s[2:3], s37, v1
	s_nop 0
	v_cndmask_b32_e64 v6, v6, v15, s[0:1]
	v_subrev_u32_e32 v15, s35, v6
	v_cmp_le_u32_e64 s[0:1], s35, v6
	s_nop 1
	v_cndmask_b32_e64 v6, v6, v15, s[0:1]
	v_xor_b32_e32 v6, v6, v14
	v_sub_u32_e32 v6, v6, v14
	v_cmp_eq_u32_e64 s[0:1], 0, v6
	s_or_b64 s[0:1], s[0:1], s[2:3]
	s_and_saveexec_b64 s[18:19], s[0:1]
	s_cbranch_execz .LBB239_232
; %bb.234:                              ;   in Loop: Header=BB239_233 Depth=1
	global_load_dword v1, v[12:13], off
	ds_read2_b64 v[14:17], v35 offset1:1
	ds_read2_b64 v[18:21], v35 offset0:2 offset1:3
	v_mov_b64_e32 v[22:23], s[8:9]
	s_waitcnt lgkmcnt(1)
	;;#ASMSTART
	v_cvt_f16_f32 v38, v14;

	;;#ASMEND
	;;#ASMSTART
	v_cvt_f16_f32 v39, v15;

	;;#ASMEND
	;; [unrolled: 4-line block ×4, first 2 shown]
	s_waitcnt lgkmcnt(0)
	;;#ASMSTART
	v_cvt_f16_f32 v44, v18;

	;;#ASMEND
	;;#ASMSTART
	v_cvt_f16_f32 v45, v19;

	;;#ASMEND
	;; [unrolled: 4-line block ×4, first 2 shown]
	v_mov_b32_e32 v19, 0
	s_waitcnt vmcnt(0)
	v_mad_i64_i32 v[14:15], s[0:1], v1, s38, v[22:23]
	v_lshl_add_u64 v[16:17], v[14:15], 0, v[2:3]
	global_load_dwordx2 v[20:21], v[16:17], off
	v_mov_b32_e32 v1, 0
	global_load_dword v18, v1, s[14:15]
	s_waitcnt vmcnt(1)
	v_cmp_ne_u16_sdwa s[0:1], v20, v7 src0_sel:BYTE_0 src1_sel:DWORD
	s_and_saveexec_b64 s[2:3], s[0:1]
	s_cbranch_execz .LBB239_240
; %bb.235:                              ;   in Loop: Header=BB239_233 Depth=1
	v_cmp_ne_u16_sdwa s[0:1], v20, s40 src0_sel:BYTE_0 src1_sel:DWORD
	v_mov_b32_e32 v19, 0x8000
	s_and_saveexec_b64 s[20:21], s[0:1]
	s_cbranch_execz .LBB239_239
; %bb.236:                              ;   in Loop: Header=BB239_233 Depth=1
	v_and_b32_e32 v6, 0x7f, v20
	v_cmp_ne_u32_e64 s[0:1], s41, v6
	v_mov_b32_e32 v19, 0x7c01
	s_and_saveexec_b64 s[22:23], s[0:1]
	s_cbranch_execz .LBB239_238
; %bb.237:                              ;   in Loop: Header=BB239_233 Depth=1
	v_and_b32_e32 v19, 7, v20
	v_ffbh_u32_e32 v22, v19
	v_min_u32_e32 v25, 32, v22
	v_subrev_u32_e32 v22, 28, v25
	v_lshlrev_b64 v[22:23], v22, v[20:21]
	v_lshrrev_b32_e32 v24, 3, v6
	v_sub_u32_e32 v23, 29, v25
	v_cmp_gt_u32_e64 s[0:1], 8, v6
	v_and_b32_e32 v22, 7, v22
	s_nop 0
	v_cndmask_b32_e64 v6, v24, v23, s[0:1]
	v_lshl_add_u32 v6, v6, 10, v36
	v_lshlrev_b32_e32 v23, 8, v20
	v_and_b32_e32 v6, 0xfc00, v6
	v_cndmask_b32_e64 v19, v19, v22, s[0:1]
	v_and_or_b32 v6, v23, s42, v6
	v_lshl_or_b32 v19, v19, 7, v6
.LBB239_238:                            ;   in Loop: Header=BB239_233 Depth=1
	s_or_b64 exec, exec, s[22:23]
.LBB239_239:                            ;   in Loop: Header=BB239_233 Depth=1
	s_or_b64 exec, exec, s[20:21]
.LBB239_240:                            ;   in Loop: Header=BB239_233 Depth=1
	s_or_b64 exec, exec, s[2:3]
	v_lshrrev_b16_e32 v6, 8, v20
	v_cmp_ne_u16_e64 s[0:1], 0, v6
	s_and_saveexec_b64 s[2:3], s[0:1]
	s_cbranch_execz .LBB239_246
; %bb.241:                              ;   in Loop: Header=BB239_233 Depth=1
	v_cmp_ne_u16_e64 s[0:1], s40, v6
	v_bfrev_b32_e32 v1, 1
	s_and_saveexec_b64 s[20:21], s[0:1]
	s_cbranch_execz .LBB239_245
; %bb.242:                              ;   in Loop: Header=BB239_233 Depth=1
	v_and_b32_e32 v22, 0x7f, v6
	v_cmp_ne_u32_e64 s[0:1], s41, v22
	v_mov_b32_e32 v1, 0x7c010000
	s_and_saveexec_b64 s[22:23], s[0:1]
	s_cbranch_execz .LBB239_244
; %bb.243:                              ;   in Loop: Header=BB239_233 Depth=1
	v_and_b32_e32 v1, 7, v6
	v_ffbh_u32_e32 v24, v1
	v_min_u32_e32 v26, 32, v24
	v_subrev_u32_e32 v24, 28, v26
	v_lshlrev_b64 v[24:25], v24, v[6:7]
	v_lshrrev_b32_e32 v23, 3, v22
	v_sub_u32_e32 v25, 29, v26
	v_cmp_gt_u32_e64 s[0:1], 8, v22
	v_lshlrev_b32_e32 v6, 8, v6
	s_nop 0
	v_cndmask_b32_e64 v22, v23, v25, s[0:1]
	v_lshl_add_u32 v22, v22, 10, v36
	v_and_b32_e32 v23, 7, v24
	v_and_or_b32 v6, v6, s42, v22
	v_cndmask_b32_e64 v1, v1, v23, s[0:1]
	v_lshlrev_b32_e32 v6, 16, v6
	v_lshl_or_b32 v1, v1, 23, v6
.LBB239_244:                            ;   in Loop: Header=BB239_233 Depth=1
	s_or_b64 exec, exec, s[22:23]
.LBB239_245:                            ;   in Loop: Header=BB239_233 Depth=1
	s_or_b64 exec, exec, s[20:21]
.LBB239_246:                            ;   in Loop: Header=BB239_233 Depth=1
	s_or_b64 exec, exec, s[2:3]
	v_lshrrev_b32_e32 v6, 16, v20
	v_cmp_ne_u16_sdwa s[0:1], v6, v7 src0_sel:BYTE_0 src1_sel:DWORD
	v_mov_b32_e32 v23, 0
	v_mov_b32_e32 v22, 0
	s_and_saveexec_b64 s[2:3], s[0:1]
	s_cbranch_execz .LBB239_252
; %bb.247:                              ;   in Loop: Header=BB239_233 Depth=1
	v_cmp_ne_u16_sdwa s[0:1], v6, s40 src0_sel:BYTE_0 src1_sel:DWORD
	v_mov_b32_e32 v22, 0x8000
	s_and_saveexec_b64 s[20:21], s[0:1]
	s_cbranch_execz .LBB239_251
; %bb.248:                              ;   in Loop: Header=BB239_233 Depth=1
	v_bfe_u32 v24, v20, 16, 7
	v_cmp_ne_u32_e64 s[0:1], s41, v24
	v_mov_b32_e32 v22, 0x7c01
	s_and_saveexec_b64 s[22:23], s[0:1]
	s_cbranch_execz .LBB239_250
; %bb.249:                              ;   in Loop: Header=BB239_233 Depth=1
	v_and_b32_e32 v22, 7, v6
	v_ffbh_u32_e32 v26, v22
	v_min_u32_e32 v37, 32, v26
	v_subrev_u32_e32 v26, 28, v37
	v_lshlrev_b64 v[26:27], v26, v[6:7]
	v_lshrrev_b32_e32 v25, 3, v24
	v_sub_u32_e32 v27, 29, v37
	v_cmp_gt_u32_e64 s[0:1], 8, v24
	v_lshlrev_b32_e32 v6, 8, v6
	s_nop 0
	v_cndmask_b32_e64 v24, v25, v27, s[0:1]
	v_lshl_add_u32 v24, v24, 10, v36
	v_and_b32_e32 v25, 7, v26
	v_and_b32_e32 v24, 0xfc00, v24
	v_cndmask_b32_e64 v22, v22, v25, s[0:1]
	v_and_or_b32 v6, v6, s42, v24
	v_lshl_or_b32 v22, v22, 7, v6
.LBB239_250:                            ;   in Loop: Header=BB239_233 Depth=1
	s_or_b64 exec, exec, s[22:23]
.LBB239_251:                            ;   in Loop: Header=BB239_233 Depth=1
	s_or_b64 exec, exec, s[20:21]
.LBB239_252:                            ;   in Loop: Header=BB239_233 Depth=1
	s_or_b64 exec, exec, s[2:3]
	v_cmp_lt_u32_e64 s[0:1], s13, v20
	s_and_saveexec_b64 s[2:3], s[0:1]
	s_cbranch_execz .LBB239_258
; %bb.253:                              ;   in Loop: Header=BB239_233 Depth=1
	v_lshrrev_b32_e32 v6, 24, v20
	v_cmp_ne_u32_e64 s[0:1], s40, v6
	v_bfrev_b32_e32 v23, 1
	s_and_saveexec_b64 s[20:21], s[0:1]
	s_cbranch_execz .LBB239_257
; %bb.254:                              ;   in Loop: Header=BB239_233 Depth=1
	v_and_b32_e32 v24, 0x7f, v6
	v_cmp_ne_u32_e64 s[0:1], s41, v24
	v_mov_b32_e32 v23, 0x7c010000
	s_and_saveexec_b64 s[22:23], s[0:1]
	s_cbranch_execz .LBB239_256
; %bb.255:                              ;   in Loop: Header=BB239_233 Depth=1
	v_and_b32_e32 v23, 7, v6
	v_ffbh_u32_e32 v26, v23
	v_min_u32_e32 v37, 32, v26
	v_subrev_u32_e32 v26, 28, v37
	v_lshlrev_b64 v[26:27], v26, v[6:7]
	v_lshrrev_b32_e32 v25, 3, v24
	v_sub_u32_e32 v27, 29, v37
	v_cmp_gt_u32_e64 s[0:1], 8, v24
	v_lshlrev_b32_e32 v6, 8, v6
	s_nop 0
	v_cndmask_b32_e64 v24, v25, v27, s[0:1]
	v_lshl_add_u32 v24, v24, 10, v36
	v_and_b32_e32 v25, 7, v26
	v_and_or_b32 v6, v6, s42, v24
	v_cndmask_b32_e64 v23, v23, v25, s[0:1]
	v_lshlrev_b32_e32 v6, 16, v6
	v_lshl_or_b32 v23, v23, 23, v6
.LBB239_256:                            ;   in Loop: Header=BB239_233 Depth=1
	s_or_b64 exec, exec, s[22:23]
.LBB239_257:                            ;   in Loop: Header=BB239_233 Depth=1
	s_or_b64 exec, exec, s[20:21]
.LBB239_258:                            ;   in Loop: Header=BB239_233 Depth=1
	s_or_b64 exec, exec, s[2:3]
	v_mov_b32_e32 v6, v21
	v_cmp_ne_u16_sdwa s[0:1], v21, v7 src0_sel:BYTE_0 src1_sel:DWORD
	v_mov_b32_e32 v24, 0
	v_mov_b32_e32 v25, 0
	s_and_saveexec_b64 s[2:3], s[0:1]
	s_cbranch_execz .LBB239_264
; %bb.259:                              ;   in Loop: Header=BB239_233 Depth=1
	v_cmp_ne_u16_sdwa s[0:1], v21, s40 src0_sel:BYTE_0 src1_sel:DWORD
	v_mov_b32_e32 v25, 0x8000
	s_and_saveexec_b64 s[20:21], s[0:1]
	s_cbranch_execz .LBB239_263
; %bb.260:                              ;   in Loop: Header=BB239_233 Depth=1
	v_and_b32_e32 v26, 0x7f, v21
	v_cmp_ne_u32_e64 s[0:1], s41, v26
	v_mov_b32_e32 v25, 0x7c01
	s_and_saveexec_b64 s[22:23], s[0:1]
	s_cbranch_execz .LBB239_262
; %bb.261:                              ;   in Loop: Header=BB239_233 Depth=1
	v_and_b32_e32 v25, 7, v21
	v_ffbh_u32_e32 v37, v25
	v_min_u32_e32 v37, 32, v37
	v_lshrrev_b32_e32 v27, 3, v26
	v_subrev_u32_e32 v42, 28, v37
	v_sub_u32_e32 v37, 29, v37
	v_cmp_gt_u32_e64 s[0:1], 8, v26
	v_lshlrev_b64 v[42:43], v42, v[6:7]
	s_nop 0
	v_cndmask_b32_e64 v26, v27, v37, s[0:1]
	v_lshl_add_u32 v26, v26, 10, v36
	v_lshlrev_b32_e32 v27, 8, v21
	v_and_b32_e32 v37, 7, v42
	v_and_b32_e32 v26, 0xfc00, v26
	v_cndmask_b32_e64 v25, v25, v37, s[0:1]
	v_and_or_b32 v26, v27, s42, v26
	v_lshl_or_b32 v25, v25, 7, v26
.LBB239_262:                            ;   in Loop: Header=BB239_233 Depth=1
	s_or_b64 exec, exec, s[22:23]
.LBB239_263:                            ;   in Loop: Header=BB239_233 Depth=1
	s_or_b64 exec, exec, s[20:21]
.LBB239_264:                            ;   in Loop: Header=BB239_233 Depth=1
	s_or_b64 exec, exec, s[2:3]
	v_lshrrev_b16_e32 v6, 8, v6
	v_cmp_ne_u16_e64 s[0:1], 0, v6
	v_mov_b32_e32 v26, 0
	s_and_saveexec_b64 s[2:3], s[0:1]
	s_cbranch_execz .LBB239_270
; %bb.265:                              ;   in Loop: Header=BB239_233 Depth=1
	v_cmp_ne_u16_e64 s[0:1], s40, v6
	v_bfrev_b32_e32 v26, 1
	s_and_saveexec_b64 s[20:21], s[0:1]
	s_cbranch_execz .LBB239_269
; %bb.266:                              ;   in Loop: Header=BB239_233 Depth=1
	v_and_b32_e32 v27, 0x7f, v6
	v_cmp_ne_u32_e64 s[0:1], s41, v27
	v_mov_b32_e32 v26, 0x7c010000
	s_and_saveexec_b64 s[22:23], s[0:1]
	s_cbranch_execz .LBB239_268
; %bb.267:                              ;   in Loop: Header=BB239_233 Depth=1
	v_and_b32_e32 v26, 7, v6
	v_ffbh_u32_e32 v42, v26
	v_min_u32_e32 v48, 32, v42
	v_subrev_u32_e32 v42, 28, v48
	v_lshlrev_b64 v[42:43], v42, v[6:7]
	v_lshrrev_b32_e32 v37, 3, v27
	v_sub_u32_e32 v43, 29, v48
	v_cmp_gt_u32_e64 s[0:1], 8, v27
	v_lshlrev_b32_e32 v6, 8, v6
	s_nop 0
	v_cndmask_b32_e64 v27, v37, v43, s[0:1]
	v_lshl_add_u32 v27, v27, 10, v36
	v_and_b32_e32 v37, 7, v42
	v_and_or_b32 v6, v6, s42, v27
	v_cndmask_b32_e64 v26, v26, v37, s[0:1]
	v_lshlrev_b32_e32 v6, 16, v6
	v_lshl_or_b32 v26, v26, 23, v6
.LBB239_268:                            ;   in Loop: Header=BB239_233 Depth=1
	s_or_b64 exec, exec, s[22:23]
.LBB239_269:                            ;   in Loop: Header=BB239_233 Depth=1
	s_or_b64 exec, exec, s[20:21]
.LBB239_270:                            ;   in Loop: Header=BB239_233 Depth=1
	s_or_b64 exec, exec, s[2:3]
	v_lshrrev_b32_e32 v6, 16, v21
	v_cmp_ne_u16_sdwa s[0:1], v6, v7 src0_sel:BYTE_0 src1_sel:DWORD
	s_and_saveexec_b64 s[2:3], s[0:1]
	s_cbranch_execz .LBB239_276
; %bb.271:                              ;   in Loop: Header=BB239_233 Depth=1
	v_cmp_ne_u16_sdwa s[0:1], v6, s40 src0_sel:BYTE_0 src1_sel:DWORD
	v_mov_b32_e32 v24, 0x8000
	s_and_saveexec_b64 s[20:21], s[0:1]
	s_cbranch_execz .LBB239_275
; %bb.272:                              ;   in Loop: Header=BB239_233 Depth=1
	v_bfe_u32 v27, v21, 16, 7
	v_cmp_ne_u32_e64 s[0:1], s41, v27
	v_mov_b32_e32 v24, 0x7c01
	s_and_saveexec_b64 s[22:23], s[0:1]
	s_cbranch_execz .LBB239_274
; %bb.273:                              ;   in Loop: Header=BB239_233 Depth=1
	v_and_b32_e32 v24, 7, v6
	v_ffbh_u32_e32 v42, v24
	v_min_u32_e32 v48, 32, v42
	v_subrev_u32_e32 v42, 28, v48
	v_lshlrev_b64 v[42:43], v42, v[6:7]
	v_lshrrev_b32_e32 v37, 3, v27
	v_sub_u32_e32 v43, 29, v48
	v_cmp_gt_u32_e64 s[0:1], 8, v27
	v_lshlrev_b32_e32 v6, 8, v6
	s_nop 0
	v_cndmask_b32_e64 v27, v37, v43, s[0:1]
	v_lshl_add_u32 v27, v27, 10, v36
	v_and_b32_e32 v37, 7, v42
	v_and_b32_e32 v27, 0xfc00, v27
	v_cndmask_b32_e64 v24, v24, v37, s[0:1]
	v_and_or_b32 v6, v6, s42, v27
	v_lshl_or_b32 v24, v24, 7, v6
.LBB239_274:                            ;   in Loop: Header=BB239_233 Depth=1
	s_or_b64 exec, exec, s[22:23]
.LBB239_275:                            ;   in Loop: Header=BB239_233 Depth=1
	s_or_b64 exec, exec, s[20:21]
.LBB239_276:                            ;   in Loop: Header=BB239_233 Depth=1
	s_or_b64 exec, exec, s[2:3]
	v_cmp_lt_u64_e64 s[0:1], s[12:13], v[20:21]
	v_mov_b32_e32 v27, 0
	s_and_saveexec_b64 s[2:3], s[0:1]
	s_cbranch_execz .LBB239_282
; %bb.277:                              ;   in Loop: Header=BB239_233 Depth=1
	v_lshrrev_b32_e32 v6, 24, v21
	v_cmp_ne_u32_e64 s[0:1], s40, v6
	v_bfrev_b32_e32 v27, 1
	s_and_saveexec_b64 s[20:21], s[0:1]
	s_cbranch_execz .LBB239_281
; %bb.278:                              ;   in Loop: Header=BB239_233 Depth=1
	v_and_b32_e32 v20, 0x7f, v6
	v_cmp_ne_u32_e64 s[0:1], s41, v20
	v_mov_b32_e32 v27, 0x7c010000
	s_and_saveexec_b64 s[22:23], s[0:1]
	s_cbranch_execz .LBB239_280
; %bb.279:                              ;   in Loop: Header=BB239_233 Depth=1
	v_and_b32_e32 v21, 7, v6
	v_ffbh_u32_e32 v37, v21
	v_min_u32_e32 v37, 32, v37
	v_lshrrev_b32_e32 v27, 3, v20
	v_subrev_u32_e32 v42, 28, v37
	v_sub_u32_e32 v37, 29, v37
	v_cmp_gt_u32_e64 s[0:1], 8, v20
	v_lshlrev_b64 v[42:43], v42, v[6:7]
	v_lshlrev_b32_e32 v6, 8, v6
	v_cndmask_b32_e64 v20, v27, v37, s[0:1]
	v_lshl_add_u32 v20, v20, 10, v36
	v_and_b32_e32 v27, 7, v42
	v_and_or_b32 v6, v6, s42, v20
	v_cndmask_b32_e64 v21, v21, v27, s[0:1]
	v_lshlrev_b32_e32 v6, 16, v6
	v_lshl_or_b32 v27, v21, 23, v6
.LBB239_280:                            ;   in Loop: Header=BB239_233 Depth=1
	s_or_b64 exec, exec, s[22:23]
.LBB239_281:                            ;   in Loop: Header=BB239_233 Depth=1
	s_or_b64 exec, exec, s[20:21]
.LBB239_282:                            ;   in Loop: Header=BB239_233 Depth=1
	s_or_b64 exec, exec, s[2:3]
	v_cvt_f32_f16_sdwa v21, v1 dst_sel:DWORD dst_unused:UNUSED_PAD src0_sel:WORD_1
	v_cvt_f32_f16_sdwa v20, v23 dst_sel:DWORD dst_unused:UNUSED_PAD src0_sel:WORD_1
	v_or_b32_e32 v1, v1, v19
	v_or_b32_e32 v6, v23, v22
	v_cvt_f32_f16_e32 v22, v6
	v_cvt_f32_f16_e32 v23, v1
	s_waitcnt vmcnt(0)
	v_pk_mul_f32 v[20:21], v[18:19], v[20:21] op_sel_hi:[0,1]
	v_cvt_pk_f16_f32 v1, v20, v21
	v_and_b32_e32 v19, 0xffff0000, v1
	v_pk_mul_f32 v[22:23], v[18:19], v[22:23] op_sel_hi:[0,1]
	v_lshlrev_b32_e32 v20, 16, v1
	v_cvt_pk_f16_f32 v1, v22, v23
	v_or_b32_e32 v6, v26, v25
	v_or_b32_e32 v23, v27, v24
	v_cvt_f32_f16_e32 v24, v23
	v_cvt_f32_f16_e32 v25, v6
	v_cvt_f32_f16_sdwa v43, v26 dst_sel:DWORD dst_unused:UNUSED_PAD src0_sel:WORD_1
	v_cvt_f32_f16_sdwa v42, v27 dst_sel:DWORD dst_unused:UNUSED_PAD src0_sel:WORD_1
	v_lshrrev_b32_e32 v21, 16, v1
	v_pk_mul_f32 v[24:25], v[18:19], v[24:25] op_sel_hi:[0,1]
	v_cvt_pk_f16_f32 v26, v24, v25
	v_pk_mul_f32 v[24:25], v[18:19], v[42:43] op_sel_hi:[0,1]
	v_cvt_pk_f16_f32 v18, v24, v25
	v_and_b32_e32 v22, 0xffff, v1
	v_and_b32_e32 v23, 0xffff0000, v18
	v_lshlrev_b32_e32 v18, 16, v18
	v_lshrrev_b32_e32 v25, 16, v26
	v_and_b32_e32 v24, 0xffff, v26
	v_add_u32_e32 v37, v33, v29
	v_cmp_eq_u32_e64 s[0:1], s34, v28
	v_or_b32_e32 v1, v19, v21
	v_or_b32_e32 v6, v20, v22
	v_or_b32_e32 v27, v23, v25
	v_or_b32_e32 v26, v18, v24
	s_and_saveexec_b64 s[20:21], s[0:1]
	s_cbranch_execz .LBB239_284
; %bb.283:                              ;   in Loop: Header=BB239_233 Depth=1
	v_add_u32_e32 v26, 2, v37
	v_cmp_gt_i32_e64 s[2:3], s39, v37
	v_or_b32_e32 v1, 1, v37
	v_or_b32_e32 v6, 3, v37
	v_cndmask_b32_e64 v21, 0, v21, s[2:3]
	v_cmp_gt_i32_e64 s[2:3], s33, v26
	s_nop 1
	v_cndmask_b32_e64 v22, 0, v22, s[2:3]
	v_cmp_gt_i32_e64 s[2:3], s39, v1
	s_nop 1
	v_cndmask_b32_e64 v1, 0, v19, s[2:3]
	v_cmp_gt_i32_e64 s[2:3], s33, v6
	v_or_b32_e32 v19, 4, v37
	v_or_b32_e32 v1, v1, v21
	v_cndmask_b32_e64 v6, 0, v20, s[2:3]
	v_or_b32_e32 v20, 6, v37
	v_cmp_gt_i32_e64 s[2:3], s39, v19
	v_or_b32_e32 v21, 5, v37
	v_or_b32_e32 v6, v6, v22
	v_cndmask_b32_e64 v19, 0, v25, s[2:3]
	v_cmp_gt_i32_e64 s[2:3], s33, v20
	v_or_b32_e32 v22, 7, v37
	s_nop 0
	v_cndmask_b32_e64 v20, 0, v24, s[2:3]
	v_cmp_gt_i32_e64 s[2:3], s39, v21
	s_nop 1
	v_cndmask_b32_e64 v21, 0, v23, s[2:3]
	v_cmp_gt_i32_e64 s[2:3], s33, v22
	v_or_b32_e32 v27, v21, v19
	s_nop 0
	v_cndmask_b32_e64 v18, 0, v18, s[2:3]
	v_or_b32_e32 v26, v18, v20
.LBB239_284:                            ;   in Loop: Header=BB239_233 Depth=1
	s_or_b64 exec, exec, s[20:21]
	v_and_b32_e32 v18, 0xffff, v38
	v_lshl_or_b32 v43, v39, 16, v18
	v_and_b32_e32 v18, 0xffff, v40
	v_lshl_or_b32 v42, v41, 16, v18
	;; [unrolled: 2-line block ×3, first 2 shown]
	v_and_b32_e32 v18, 0xffff, v46
	;;#ASMSTART
	v_pk_mul_f16 v1, v43, v1;

	;;#ASMEND
	v_lshl_or_b32 v40, v47, 16, v18
	;;#ASMSTART
	v_pk_mul_f16 v6, v42, v6;

	;;#ASMEND
	;;#ASMSTART
	v_pk_mul_f16 v18, v41, v27;

	;;#ASMEND
	;; [unrolled: 4-line block ×3, first 2 shown]
	s_nop 0
	;;#ASMSTART
	v_pk_add_f16 v1, v1, v6;

	;;#ASMEND
	s_nop 0
	;;#ASMSTART
	v_pk_add_f16 v1, v1, v18;

	;;#ASMEND
	;; [unrolled: 5-line block ×3, first 2 shown]
	v_mov_b32_e32 v19, 0
	v_lshrrev_b32_e32 v6, 16, v1
	v_and_b32_e32 v1, 0xffff, v1
	;;#ASMSTART
	v_cvt_f32_f16 v38, v1;
	;;#ASMEND
	;;#ASMSTART
	v_cvt_f32_f16 v39, v6;
	;;#ASMEND
	global_load_dwordx2 v[20:21], v[16:17], off offset:512
	v_mov_b32_e32 v1, 0
	global_load_dword v18, v1, s[14:15]
	s_waitcnt vmcnt(1)
	v_cmp_ne_u16_sdwa s[2:3], v20, v7 src0_sel:BYTE_0 src1_sel:DWORD
	s_and_saveexec_b64 s[20:21], s[2:3]
	s_cbranch_execz .LBB239_290
; %bb.285:                              ;   in Loop: Header=BB239_233 Depth=1
	v_cmp_ne_u16_sdwa s[2:3], v20, s40 src0_sel:BYTE_0 src1_sel:DWORD
	v_mov_b32_e32 v19, 0x8000
	s_and_saveexec_b64 s[22:23], s[2:3]
	s_cbranch_execz .LBB239_289
; %bb.286:                              ;   in Loop: Header=BB239_233 Depth=1
	v_and_b32_e32 v6, 0x7f, v20
	v_cmp_ne_u32_e64 s[2:3], s41, v6
	v_mov_b32_e32 v19, 0x7c01
	s_and_saveexec_b64 s[28:29], s[2:3]
	s_cbranch_execz .LBB239_288
; %bb.287:                              ;   in Loop: Header=BB239_233 Depth=1
	v_and_b32_e32 v19, 7, v20
	v_ffbh_u32_e32 v22, v19
	v_min_u32_e32 v25, 32, v22
	v_subrev_u32_e32 v22, 28, v25
	v_lshlrev_b64 v[22:23], v22, v[20:21]
	v_lshrrev_b32_e32 v24, 3, v6
	v_sub_u32_e32 v23, 29, v25
	v_cmp_gt_u32_e64 s[2:3], 8, v6
	v_and_b32_e32 v22, 7, v22
	s_nop 0
	v_cndmask_b32_e64 v6, v24, v23, s[2:3]
	v_lshl_add_u32 v6, v6, 10, v36
	v_lshlrev_b32_e32 v23, 8, v20
	v_and_b32_e32 v6, 0xfc00, v6
	v_cndmask_b32_e64 v19, v19, v22, s[2:3]
	v_and_or_b32 v6, v23, s42, v6
	v_lshl_or_b32 v19, v19, 7, v6
.LBB239_288:                            ;   in Loop: Header=BB239_233 Depth=1
	s_or_b64 exec, exec, s[28:29]
.LBB239_289:                            ;   in Loop: Header=BB239_233 Depth=1
	s_or_b64 exec, exec, s[22:23]
.LBB239_290:                            ;   in Loop: Header=BB239_233 Depth=1
	s_or_b64 exec, exec, s[20:21]
	v_lshrrev_b16_e32 v6, 8, v20
	v_cmp_ne_u16_e64 s[2:3], 0, v6
	s_and_saveexec_b64 s[20:21], s[2:3]
	s_cbranch_execz .LBB239_296
; %bb.291:                              ;   in Loop: Header=BB239_233 Depth=1
	v_cmp_ne_u16_e64 s[2:3], s40, v6
	v_bfrev_b32_e32 v1, 1
	s_and_saveexec_b64 s[22:23], s[2:3]
	s_cbranch_execz .LBB239_295
; %bb.292:                              ;   in Loop: Header=BB239_233 Depth=1
	v_and_b32_e32 v22, 0x7f, v6
	v_cmp_ne_u32_e64 s[2:3], s41, v22
	v_mov_b32_e32 v1, 0x7c010000
	s_and_saveexec_b64 s[28:29], s[2:3]
	s_cbranch_execz .LBB239_294
; %bb.293:                              ;   in Loop: Header=BB239_233 Depth=1
	v_and_b32_e32 v1, 7, v6
	v_ffbh_u32_e32 v24, v1
	v_min_u32_e32 v26, 32, v24
	v_subrev_u32_e32 v24, 28, v26
	v_lshlrev_b64 v[24:25], v24, v[6:7]
	v_lshrrev_b32_e32 v23, 3, v22
	v_sub_u32_e32 v25, 29, v26
	v_cmp_gt_u32_e64 s[2:3], 8, v22
	v_lshlrev_b32_e32 v6, 8, v6
	s_nop 0
	v_cndmask_b32_e64 v22, v23, v25, s[2:3]
	v_lshl_add_u32 v22, v22, 10, v36
	v_and_b32_e32 v23, 7, v24
	v_and_or_b32 v6, v6, s42, v22
	v_cndmask_b32_e64 v1, v1, v23, s[2:3]
	v_lshlrev_b32_e32 v6, 16, v6
	v_lshl_or_b32 v1, v1, 23, v6
.LBB239_294:                            ;   in Loop: Header=BB239_233 Depth=1
	s_or_b64 exec, exec, s[28:29]
.LBB239_295:                            ;   in Loop: Header=BB239_233 Depth=1
	s_or_b64 exec, exec, s[22:23]
.LBB239_296:                            ;   in Loop: Header=BB239_233 Depth=1
	s_or_b64 exec, exec, s[20:21]
	v_lshrrev_b32_e32 v6, 16, v20
	v_cmp_ne_u16_sdwa s[2:3], v6, v7 src0_sel:BYTE_0 src1_sel:DWORD
	v_mov_b32_e32 v23, 0
	v_mov_b32_e32 v22, 0
	s_and_saveexec_b64 s[20:21], s[2:3]
	s_cbranch_execz .LBB239_302
; %bb.297:                              ;   in Loop: Header=BB239_233 Depth=1
	v_cmp_ne_u16_sdwa s[2:3], v6, s40 src0_sel:BYTE_0 src1_sel:DWORD
	v_mov_b32_e32 v22, 0x8000
	s_and_saveexec_b64 s[22:23], s[2:3]
	s_cbranch_execz .LBB239_301
; %bb.298:                              ;   in Loop: Header=BB239_233 Depth=1
	v_bfe_u32 v24, v20, 16, 7
	v_cmp_ne_u32_e64 s[2:3], s41, v24
	v_mov_b32_e32 v22, 0x7c01
	s_and_saveexec_b64 s[28:29], s[2:3]
	s_cbranch_execz .LBB239_300
; %bb.299:                              ;   in Loop: Header=BB239_233 Depth=1
	v_and_b32_e32 v22, 7, v6
	v_ffbh_u32_e32 v26, v22
	v_min_u32_e32 v44, 32, v26
	v_subrev_u32_e32 v26, 28, v44
	v_lshlrev_b64 v[26:27], v26, v[6:7]
	v_lshrrev_b32_e32 v25, 3, v24
	v_sub_u32_e32 v27, 29, v44
	v_cmp_gt_u32_e64 s[2:3], 8, v24
	v_lshlrev_b32_e32 v6, 8, v6
	s_nop 0
	v_cndmask_b32_e64 v24, v25, v27, s[2:3]
	v_lshl_add_u32 v24, v24, 10, v36
	v_and_b32_e32 v25, 7, v26
	v_and_b32_e32 v24, 0xfc00, v24
	v_cndmask_b32_e64 v22, v22, v25, s[2:3]
	v_and_or_b32 v6, v6, s42, v24
	v_lshl_or_b32 v22, v22, 7, v6
.LBB239_300:                            ;   in Loop: Header=BB239_233 Depth=1
	s_or_b64 exec, exec, s[28:29]
.LBB239_301:                            ;   in Loop: Header=BB239_233 Depth=1
	s_or_b64 exec, exec, s[22:23]
.LBB239_302:                            ;   in Loop: Header=BB239_233 Depth=1
	s_or_b64 exec, exec, s[20:21]
	v_cmp_lt_u32_e64 s[2:3], s13, v20
	s_and_saveexec_b64 s[20:21], s[2:3]
	s_cbranch_execz .LBB239_308
; %bb.303:                              ;   in Loop: Header=BB239_233 Depth=1
	v_lshrrev_b32_e32 v6, 24, v20
	v_cmp_ne_u32_e64 s[2:3], s40, v6
	v_bfrev_b32_e32 v23, 1
	s_and_saveexec_b64 s[22:23], s[2:3]
	s_cbranch_execz .LBB239_307
; %bb.304:                              ;   in Loop: Header=BB239_233 Depth=1
	v_and_b32_e32 v24, 0x7f, v6
	v_cmp_ne_u32_e64 s[2:3], s41, v24
	v_mov_b32_e32 v23, 0x7c010000
	s_and_saveexec_b64 s[28:29], s[2:3]
	s_cbranch_execz .LBB239_306
; %bb.305:                              ;   in Loop: Header=BB239_233 Depth=1
	v_and_b32_e32 v23, 7, v6
	v_ffbh_u32_e32 v26, v23
	v_min_u32_e32 v44, 32, v26
	v_subrev_u32_e32 v26, 28, v44
	v_lshlrev_b64 v[26:27], v26, v[6:7]
	v_lshrrev_b32_e32 v25, 3, v24
	v_sub_u32_e32 v27, 29, v44
	v_cmp_gt_u32_e64 s[2:3], 8, v24
	v_lshlrev_b32_e32 v6, 8, v6
	s_nop 0
	v_cndmask_b32_e64 v24, v25, v27, s[2:3]
	v_lshl_add_u32 v24, v24, 10, v36
	v_and_b32_e32 v25, 7, v26
	v_and_or_b32 v6, v6, s42, v24
	v_cndmask_b32_e64 v23, v23, v25, s[2:3]
	v_lshlrev_b32_e32 v6, 16, v6
	v_lshl_or_b32 v23, v23, 23, v6
.LBB239_306:                            ;   in Loop: Header=BB239_233 Depth=1
	s_or_b64 exec, exec, s[28:29]
.LBB239_307:                            ;   in Loop: Header=BB239_233 Depth=1
	s_or_b64 exec, exec, s[22:23]
.LBB239_308:                            ;   in Loop: Header=BB239_233 Depth=1
	s_or_b64 exec, exec, s[20:21]
	v_mov_b32_e32 v6, v21
	v_cmp_ne_u16_sdwa s[2:3], v21, v7 src0_sel:BYTE_0 src1_sel:DWORD
	v_mov_b32_e32 v24, 0
	v_mov_b32_e32 v25, 0
	s_and_saveexec_b64 s[20:21], s[2:3]
	s_cbranch_execz .LBB239_314
; %bb.309:                              ;   in Loop: Header=BB239_233 Depth=1
	v_cmp_ne_u16_sdwa s[2:3], v21, s40 src0_sel:BYTE_0 src1_sel:DWORD
	v_mov_b32_e32 v25, 0x8000
	s_and_saveexec_b64 s[22:23], s[2:3]
	s_cbranch_execz .LBB239_313
; %bb.310:                              ;   in Loop: Header=BB239_233 Depth=1
	v_and_b32_e32 v26, 0x7f, v21
	v_cmp_ne_u32_e64 s[2:3], s41, v26
	v_mov_b32_e32 v25, 0x7c01
	s_and_saveexec_b64 s[28:29], s[2:3]
	s_cbranch_execz .LBB239_312
; %bb.311:                              ;   in Loop: Header=BB239_233 Depth=1
	v_and_b32_e32 v25, 7, v21
	v_ffbh_u32_e32 v44, v25
	v_min_u32_e32 v46, 32, v44
	v_subrev_u32_e32 v44, 28, v46
	v_lshlrev_b64 v[44:45], v44, v[6:7]
	v_lshrrev_b32_e32 v27, 3, v26
	v_sub_u32_e32 v45, 29, v46
	v_cmp_gt_u32_e64 s[2:3], 8, v26
	v_and_b32_e32 v44, 7, v44
	s_nop 0
	v_cndmask_b32_e64 v26, v27, v45, s[2:3]
	v_lshl_add_u32 v26, v26, 10, v36
	v_lshlrev_b32_e32 v27, 8, v21
	v_and_b32_e32 v26, 0xfc00, v26
	v_cndmask_b32_e64 v25, v25, v44, s[2:3]
	v_and_or_b32 v26, v27, s42, v26
	v_lshl_or_b32 v25, v25, 7, v26
.LBB239_312:                            ;   in Loop: Header=BB239_233 Depth=1
	s_or_b64 exec, exec, s[28:29]
.LBB239_313:                            ;   in Loop: Header=BB239_233 Depth=1
	s_or_b64 exec, exec, s[22:23]
.LBB239_314:                            ;   in Loop: Header=BB239_233 Depth=1
	s_or_b64 exec, exec, s[20:21]
	v_lshrrev_b16_e32 v6, 8, v6
	v_cmp_ne_u16_e64 s[2:3], 0, v6
	v_mov_b32_e32 v26, 0
	s_and_saveexec_b64 s[20:21], s[2:3]
	s_cbranch_execz .LBB239_320
; %bb.315:                              ;   in Loop: Header=BB239_233 Depth=1
	v_cmp_ne_u16_e64 s[2:3], s40, v6
	v_bfrev_b32_e32 v26, 1
	s_and_saveexec_b64 s[22:23], s[2:3]
	s_cbranch_execz .LBB239_319
; %bb.316:                              ;   in Loop: Header=BB239_233 Depth=1
	v_and_b32_e32 v27, 0x7f, v6
	v_cmp_ne_u32_e64 s[2:3], s41, v27
	v_mov_b32_e32 v26, 0x7c010000
	s_and_saveexec_b64 s[28:29], s[2:3]
	s_cbranch_execz .LBB239_318
; %bb.317:                              ;   in Loop: Header=BB239_233 Depth=1
	v_and_b32_e32 v26, 7, v6
	v_ffbh_u32_e32 v44, v26
	v_min_u32_e32 v47, 32, v44
	v_subrev_u32_e32 v44, 28, v47
	v_lshlrev_b64 v[44:45], v44, v[6:7]
	v_lshrrev_b32_e32 v46, 3, v27
	v_sub_u32_e32 v45, 29, v47
	v_cmp_gt_u32_e64 s[2:3], 8, v27
	v_lshlrev_b32_e32 v6, 8, v6
	v_and_b32_e32 v44, 7, v44
	v_cndmask_b32_e64 v27, v46, v45, s[2:3]
	v_lshl_add_u32 v27, v27, 10, v36
	v_and_or_b32 v6, v6, s42, v27
	v_cndmask_b32_e64 v26, v26, v44, s[2:3]
	v_lshlrev_b32_e32 v6, 16, v6
	v_lshl_or_b32 v26, v26, 23, v6
.LBB239_318:                            ;   in Loop: Header=BB239_233 Depth=1
	s_or_b64 exec, exec, s[28:29]
.LBB239_319:                            ;   in Loop: Header=BB239_233 Depth=1
	s_or_b64 exec, exec, s[22:23]
.LBB239_320:                            ;   in Loop: Header=BB239_233 Depth=1
	s_or_b64 exec, exec, s[20:21]
	v_lshrrev_b32_e32 v6, 16, v21
	v_cmp_ne_u16_sdwa s[2:3], v6, v7 src0_sel:BYTE_0 src1_sel:DWORD
	s_and_saveexec_b64 s[20:21], s[2:3]
	s_cbranch_execz .LBB239_326
; %bb.321:                              ;   in Loop: Header=BB239_233 Depth=1
	v_cmp_ne_u16_sdwa s[2:3], v6, s40 src0_sel:BYTE_0 src1_sel:DWORD
	v_mov_b32_e32 v24, 0x8000
	s_and_saveexec_b64 s[22:23], s[2:3]
	s_cbranch_execz .LBB239_325
; %bb.322:                              ;   in Loop: Header=BB239_233 Depth=1
	v_bfe_u32 v27, v21, 16, 7
	v_cmp_ne_u32_e64 s[2:3], s41, v27
	v_mov_b32_e32 v24, 0x7c01
	s_and_saveexec_b64 s[28:29], s[2:3]
	s_cbranch_execz .LBB239_324
; %bb.323:                              ;   in Loop: Header=BB239_233 Depth=1
	v_and_b32_e32 v24, 7, v6
	v_ffbh_u32_e32 v44, v24
	v_min_u32_e32 v47, 32, v44
	v_subrev_u32_e32 v44, 28, v47
	v_lshlrev_b64 v[44:45], v44, v[6:7]
	v_lshrrev_b32_e32 v46, 3, v27
	v_sub_u32_e32 v45, 29, v47
	v_cmp_gt_u32_e64 s[2:3], 8, v27
	v_lshlrev_b32_e32 v6, 8, v6
	v_and_b32_e32 v44, 7, v44
	v_cndmask_b32_e64 v27, v46, v45, s[2:3]
	v_lshl_add_u32 v27, v27, 10, v36
	v_and_b32_e32 v27, 0xfc00, v27
	v_cndmask_b32_e64 v24, v24, v44, s[2:3]
	v_and_or_b32 v6, v6, s42, v27
	v_lshl_or_b32 v24, v24, 7, v6
.LBB239_324:                            ;   in Loop: Header=BB239_233 Depth=1
	s_or_b64 exec, exec, s[28:29]
.LBB239_325:                            ;   in Loop: Header=BB239_233 Depth=1
	s_or_b64 exec, exec, s[22:23]
.LBB239_326:                            ;   in Loop: Header=BB239_233 Depth=1
	s_or_b64 exec, exec, s[20:21]
	v_cmp_lt_u64_e64 s[2:3], s[12:13], v[20:21]
	v_mov_b32_e32 v20, 0
	s_and_saveexec_b64 s[20:21], s[2:3]
	s_cbranch_execz .LBB239_332
; %bb.327:                              ;   in Loop: Header=BB239_233 Depth=1
	v_lshrrev_b32_e32 v6, 24, v21
	v_cmp_ne_u32_e64 s[2:3], s40, v6
	v_bfrev_b32_e32 v20, 1
	s_and_saveexec_b64 s[22:23], s[2:3]
	s_cbranch_execz .LBB239_331
; %bb.328:                              ;   in Loop: Header=BB239_233 Depth=1
	v_and_b32_e32 v21, 0x7f, v6
	v_cmp_ne_u32_e64 s[2:3], s41, v21
	v_mov_b32_e32 v20, 0x7c010000
	s_and_saveexec_b64 s[28:29], s[2:3]
	s_cbranch_execz .LBB239_330
; %bb.329:                              ;   in Loop: Header=BB239_233 Depth=1
	v_and_b32_e32 v20, 7, v6
	v_ffbh_u32_e32 v44, v20
	v_min_u32_e32 v46, 32, v44
	v_subrev_u32_e32 v44, 28, v46
	v_lshlrev_b64 v[44:45], v44, v[6:7]
	v_lshrrev_b32_e32 v27, 3, v21
	v_sub_u32_e32 v45, 29, v46
	v_cmp_gt_u32_e64 s[2:3], 8, v21
	v_lshlrev_b32_e32 v6, 8, v6
	s_nop 0
	v_cndmask_b32_e64 v21, v27, v45, s[2:3]
	v_lshl_add_u32 v21, v21, 10, v36
	v_and_b32_e32 v27, 7, v44
	v_and_or_b32 v6, v6, s42, v21
	v_cndmask_b32_e64 v20, v20, v27, s[2:3]
	v_lshlrev_b32_e32 v6, 16, v6
	v_lshl_or_b32 v20, v20, 23, v6
.LBB239_330:                            ;   in Loop: Header=BB239_233 Depth=1
	s_or_b64 exec, exec, s[28:29]
.LBB239_331:                            ;   in Loop: Header=BB239_233 Depth=1
	s_or_b64 exec, exec, s[22:23]
.LBB239_332:                            ;   in Loop: Header=BB239_233 Depth=1
	s_or_b64 exec, exec, s[20:21]
	v_cvt_f32_f16_sdwa v45, v1 dst_sel:DWORD dst_unused:UNUSED_PAD src0_sel:WORD_1
	v_cvt_f32_f16_sdwa v44, v23 dst_sel:DWORD dst_unused:UNUSED_PAD src0_sel:WORD_1
	v_or_b32_e32 v1, v1, v19
	v_or_b32_e32 v6, v23, v22
	;; [unrolled: 1-line block ×3, first 2 shown]
	s_waitcnt vmcnt(0)
	v_pk_mul_f32 v[22:23], v[18:19], v[44:45] op_sel_hi:[0,1]
	v_cvt_f32_f16_e32 v44, v6
	v_cvt_f32_f16_e32 v45, v1
	v_cvt_pk_f16_f32 v1, v22, v23
	v_and_b32_e32 v19, 0xffff0000, v1
	v_lshlrev_b32_e32 v6, 16, v1
	v_pk_mul_f32 v[22:23], v[18:19], v[44:45] op_sel_hi:[0,1]
	v_cvt_pk_f16_f32 v1, v22, v23
	v_or_b32_e32 v23, v26, v25
	v_cvt_f32_f16_e32 v24, v24
	v_cvt_f32_f16_e32 v25, v23
	v_cvt_f32_f16_sdwa v27, v26 dst_sel:DWORD dst_unused:UNUSED_PAD src0_sel:WORD_1
	v_cvt_f32_f16_sdwa v26, v20 dst_sel:DWORD dst_unused:UNUSED_PAD src0_sel:WORD_1
	v_lshrrev_b32_e32 v21, 16, v1
	v_pk_mul_f32 v[24:25], v[18:19], v[24:25] op_sel_hi:[0,1]
	v_cvt_pk_f16_f32 v44, v24, v25
	v_pk_mul_f32 v[24:25], v[18:19], v[26:27] op_sel_hi:[0,1]
	v_cvt_pk_f16_f32 v18, v24, v25
	v_and_b32_e32 v22, 0xffff, v1
	v_and_b32_e32 v23, 0xffff0000, v18
	v_lshlrev_b32_e32 v18, 16, v18
	v_lshrrev_b32_e32 v25, 16, v44
	v_and_b32_e32 v24, 0xffff, v44
	v_or_b32_e32 v1, v19, v21
	v_or_b32_e32 v20, v6, v22
	;; [unrolled: 1-line block ×4, first 2 shown]
	s_and_saveexec_b64 s[20:21], s[0:1]
	s_cbranch_execz .LBB239_334
; %bb.333:                              ;   in Loop: Header=BB239_233 Depth=1
	v_add_u32_e32 v26, 2, v37
	v_cmp_gt_i32_e64 s[2:3], s39, v37
	v_or_b32_e32 v1, 1, v37
	v_or_b32_e32 v20, 3, v37
	v_cndmask_b32_e64 v21, 0, v21, s[2:3]
	v_cmp_gt_i32_e64 s[2:3], s33, v26
	s_nop 1
	v_cndmask_b32_e64 v22, 0, v22, s[2:3]
	v_cmp_gt_i32_e64 s[2:3], s39, v1
	s_nop 1
	v_cndmask_b32_e64 v1, 0, v19, s[2:3]
	v_cmp_gt_i32_e64 s[2:3], s33, v20
	v_or_b32_e32 v19, 6, v37
	v_or_b32_e32 v1, v1, v21
	v_cndmask_b32_e64 v6, 0, v6, s[2:3]
	v_or_b32_e32 v20, v6, v22
	v_or_b32_e32 v6, 4, v37
	v_cmp_gt_i32_e64 s[2:3], s39, v6
	v_or_b32_e32 v21, 5, v37
	v_or_b32_e32 v22, 7, v37
	v_cndmask_b32_e64 v6, 0, v25, s[2:3]
	v_cmp_gt_i32_e64 s[2:3], s33, v19
	s_nop 1
	v_cndmask_b32_e64 v19, 0, v24, s[2:3]
	v_cmp_gt_i32_e64 s[2:3], s39, v21
	s_nop 1
	v_cndmask_b32_e64 v21, 0, v23, s[2:3]
	v_cmp_gt_i32_e64 s[2:3], s33, v22
	v_or_b32_e32 v27, v21, v6
	s_nop 0
	v_cndmask_b32_e64 v18, 0, v18, s[2:3]
	v_or_b32_e32 v26, v18, v19
.LBB239_334:                            ;   in Loop: Header=BB239_233 Depth=1
	s_or_b64 exec, exec, s[20:21]
	;;#ASMSTART
	v_pk_mul_f16 v1, v43, v1;

	;;#ASMEND
	;;#ASMSTART
	v_pk_mul_f16 v6, v42, v20;

	;;#ASMEND
	;;#ASMSTART
	v_pk_mul_f16 v18, v41, v27;

	;;#ASMEND
	;;#ASMSTART
	v_pk_mul_f16 v19, v40, v26;

	;;#ASMEND
	s_nop 0
	;;#ASMSTART
	v_pk_add_f16 v1, v1, v6;

	;;#ASMEND
	s_nop 0
	;;#ASMSTART
	v_pk_add_f16 v1, v1, v18;

	;;#ASMEND
	;; [unrolled: 5-line block ×3, first 2 shown]
	s_nop 0
	v_lshrrev_b32_e32 v6, 16, v1
	v_and_b32_e32 v1, 0xffff, v1
	;;#ASMSTART
	v_cvt_f32_f16 v26, v1;
	;;#ASMEND
	;;#ASMSTART
	v_cvt_f32_f16 v27, v6;
	;;#ASMEND
	global_load_dwordx2 v[18:19], v[16:17], off offset:1024
	v_mov_b32_e32 v1, 0
	global_load_dword v16, v1, s[14:15]
	v_mov_b32_e32 v17, 0
	s_waitcnt vmcnt(1)
	v_cmp_ne_u16_sdwa s[2:3], v18, v7 src0_sel:BYTE_0 src1_sel:DWORD
	s_and_saveexec_b64 s[20:21], s[2:3]
	s_cbranch_execz .LBB239_340
; %bb.335:                              ;   in Loop: Header=BB239_233 Depth=1
	v_cmp_ne_u16_sdwa s[2:3], v18, s40 src0_sel:BYTE_0 src1_sel:DWORD
	v_mov_b32_e32 v17, 0x8000
	s_and_saveexec_b64 s[22:23], s[2:3]
	s_cbranch_execz .LBB239_339
; %bb.336:                              ;   in Loop: Header=BB239_233 Depth=1
	v_and_b32_e32 v6, 0x7f, v18
	v_cmp_ne_u32_e64 s[2:3], s41, v6
	v_mov_b32_e32 v17, 0x7c01
	s_and_saveexec_b64 s[28:29], s[2:3]
	s_cbranch_execz .LBB239_338
; %bb.337:                              ;   in Loop: Header=BB239_233 Depth=1
	v_and_b32_e32 v17, 7, v18
	v_ffbh_u32_e32 v20, v17
	v_min_u32_e32 v23, 32, v20
	v_subrev_u32_e32 v20, 28, v23
	v_lshlrev_b64 v[20:21], v20, v[18:19]
	v_lshrrev_b32_e32 v22, 3, v6
	v_sub_u32_e32 v21, 29, v23
	v_cmp_gt_u32_e64 s[2:3], 8, v6
	v_and_b32_e32 v20, 7, v20
	s_nop 0
	v_cndmask_b32_e64 v6, v22, v21, s[2:3]
	v_lshl_add_u32 v6, v6, 10, v36
	v_lshlrev_b32_e32 v21, 8, v18
	v_and_b32_e32 v6, 0xfc00, v6
	v_cndmask_b32_e64 v17, v17, v20, s[2:3]
	v_and_or_b32 v6, v21, s42, v6
	v_lshl_or_b32 v17, v17, 7, v6
.LBB239_338:                            ;   in Loop: Header=BB239_233 Depth=1
	s_or_b64 exec, exec, s[28:29]
.LBB239_339:                            ;   in Loop: Header=BB239_233 Depth=1
	s_or_b64 exec, exec, s[22:23]
.LBB239_340:                            ;   in Loop: Header=BB239_233 Depth=1
	s_or_b64 exec, exec, s[20:21]
	v_lshrrev_b16_e32 v6, 8, v18
	v_cmp_ne_u16_e64 s[2:3], 0, v6
	s_and_saveexec_b64 s[20:21], s[2:3]
	s_cbranch_execz .LBB239_346
; %bb.341:                              ;   in Loop: Header=BB239_233 Depth=1
	v_cmp_ne_u16_e64 s[2:3], s40, v6
	v_bfrev_b32_e32 v1, 1
	s_and_saveexec_b64 s[22:23], s[2:3]
	s_cbranch_execz .LBB239_345
; %bb.342:                              ;   in Loop: Header=BB239_233 Depth=1
	v_and_b32_e32 v20, 0x7f, v6
	v_cmp_ne_u32_e64 s[2:3], s41, v20
	v_mov_b32_e32 v1, 0x7c010000
	s_and_saveexec_b64 s[28:29], s[2:3]
	s_cbranch_execz .LBB239_344
; %bb.343:                              ;   in Loop: Header=BB239_233 Depth=1
	v_and_b32_e32 v1, 7, v6
	v_ffbh_u32_e32 v22, v1
	v_min_u32_e32 v24, 32, v22
	v_subrev_u32_e32 v22, 28, v24
	v_lshlrev_b64 v[22:23], v22, v[6:7]
	v_lshrrev_b32_e32 v21, 3, v20
	v_sub_u32_e32 v23, 29, v24
	v_cmp_gt_u32_e64 s[2:3], 8, v20
	v_lshlrev_b32_e32 v6, 8, v6
	s_nop 0
	v_cndmask_b32_e64 v20, v21, v23, s[2:3]
	v_lshl_add_u32 v20, v20, 10, v36
	v_and_b32_e32 v21, 7, v22
	v_and_or_b32 v6, v6, s42, v20
	v_cndmask_b32_e64 v1, v1, v21, s[2:3]
	v_lshlrev_b32_e32 v6, 16, v6
	v_lshl_or_b32 v1, v1, 23, v6
.LBB239_344:                            ;   in Loop: Header=BB239_233 Depth=1
	s_or_b64 exec, exec, s[28:29]
.LBB239_345:                            ;   in Loop: Header=BB239_233 Depth=1
	s_or_b64 exec, exec, s[22:23]
.LBB239_346:                            ;   in Loop: Header=BB239_233 Depth=1
	s_or_b64 exec, exec, s[20:21]
	v_lshrrev_b32_e32 v6, 16, v18
	v_cmp_ne_u16_sdwa s[2:3], v6, v7 src0_sel:BYTE_0 src1_sel:DWORD
	v_mov_b32_e32 v21, 0
	v_mov_b32_e32 v20, 0
	s_and_saveexec_b64 s[20:21], s[2:3]
	s_cbranch_execz .LBB239_352
; %bb.347:                              ;   in Loop: Header=BB239_233 Depth=1
	v_cmp_ne_u16_sdwa s[2:3], v6, s40 src0_sel:BYTE_0 src1_sel:DWORD
	v_mov_b32_e32 v20, 0x8000
	s_and_saveexec_b64 s[22:23], s[2:3]
	s_cbranch_execz .LBB239_351
; %bb.348:                              ;   in Loop: Header=BB239_233 Depth=1
	v_bfe_u32 v22, v18, 16, 7
	v_cmp_ne_u32_e64 s[2:3], s41, v22
	v_mov_b32_e32 v20, 0x7c01
	s_and_saveexec_b64 s[28:29], s[2:3]
	s_cbranch_execz .LBB239_350
; %bb.349:                              ;   in Loop: Header=BB239_233 Depth=1
	v_and_b32_e32 v20, 7, v6
	v_ffbh_u32_e32 v24, v20
	v_min_u32_e32 v44, 32, v24
	v_subrev_u32_e32 v24, 28, v44
	v_lshlrev_b64 v[24:25], v24, v[6:7]
	v_lshrrev_b32_e32 v23, 3, v22
	v_sub_u32_e32 v25, 29, v44
	v_cmp_gt_u32_e64 s[2:3], 8, v22
	v_lshlrev_b32_e32 v6, 8, v6
	s_nop 0
	v_cndmask_b32_e64 v22, v23, v25, s[2:3]
	v_lshl_add_u32 v22, v22, 10, v36
	v_and_b32_e32 v23, 7, v24
	v_and_b32_e32 v22, 0xfc00, v22
	v_cndmask_b32_e64 v20, v20, v23, s[2:3]
	v_and_or_b32 v6, v6, s42, v22
	v_lshl_or_b32 v20, v20, 7, v6
.LBB239_350:                            ;   in Loop: Header=BB239_233 Depth=1
	s_or_b64 exec, exec, s[28:29]
.LBB239_351:                            ;   in Loop: Header=BB239_233 Depth=1
	s_or_b64 exec, exec, s[22:23]
.LBB239_352:                            ;   in Loop: Header=BB239_233 Depth=1
	s_or_b64 exec, exec, s[20:21]
	v_cmp_lt_u32_e64 s[2:3], s13, v18
	s_and_saveexec_b64 s[20:21], s[2:3]
	s_cbranch_execz .LBB239_358
; %bb.353:                              ;   in Loop: Header=BB239_233 Depth=1
	v_lshrrev_b32_e32 v6, 24, v18
	v_cmp_ne_u32_e64 s[2:3], s40, v6
	v_bfrev_b32_e32 v21, 1
	s_and_saveexec_b64 s[22:23], s[2:3]
	s_cbranch_execz .LBB239_357
; %bb.354:                              ;   in Loop: Header=BB239_233 Depth=1
	v_and_b32_e32 v22, 0x7f, v6
	v_cmp_ne_u32_e64 s[2:3], s41, v22
	v_mov_b32_e32 v21, 0x7c010000
	s_and_saveexec_b64 s[28:29], s[2:3]
	s_cbranch_execz .LBB239_356
; %bb.355:                              ;   in Loop: Header=BB239_233 Depth=1
	v_and_b32_e32 v21, 7, v6
	v_ffbh_u32_e32 v24, v21
	v_min_u32_e32 v44, 32, v24
	v_subrev_u32_e32 v24, 28, v44
	v_lshlrev_b64 v[24:25], v24, v[6:7]
	v_lshrrev_b32_e32 v23, 3, v22
	v_sub_u32_e32 v25, 29, v44
	v_cmp_gt_u32_e64 s[2:3], 8, v22
	v_lshlrev_b32_e32 v6, 8, v6
	s_nop 0
	v_cndmask_b32_e64 v22, v23, v25, s[2:3]
	v_lshl_add_u32 v22, v22, 10, v36
	v_and_b32_e32 v23, 7, v24
	v_and_or_b32 v6, v6, s42, v22
	v_cndmask_b32_e64 v21, v21, v23, s[2:3]
	v_lshlrev_b32_e32 v6, 16, v6
	v_lshl_or_b32 v21, v21, 23, v6
.LBB239_356:                            ;   in Loop: Header=BB239_233 Depth=1
	s_or_b64 exec, exec, s[28:29]
.LBB239_357:                            ;   in Loop: Header=BB239_233 Depth=1
	s_or_b64 exec, exec, s[22:23]
.LBB239_358:                            ;   in Loop: Header=BB239_233 Depth=1
	s_or_b64 exec, exec, s[20:21]
	v_mov_b32_e32 v6, v19
	v_cmp_ne_u16_sdwa s[2:3], v19, v7 src0_sel:BYTE_0 src1_sel:DWORD
	v_mov_b32_e32 v22, 0
	v_mov_b32_e32 v23, 0
	s_and_saveexec_b64 s[20:21], s[2:3]
	s_cbranch_execz .LBB239_364
; %bb.359:                              ;   in Loop: Header=BB239_233 Depth=1
	v_cmp_ne_u16_sdwa s[2:3], v19, s40 src0_sel:BYTE_0 src1_sel:DWORD
	v_mov_b32_e32 v23, 0x8000
	s_and_saveexec_b64 s[22:23], s[2:3]
	s_cbranch_execz .LBB239_363
; %bb.360:                              ;   in Loop: Header=BB239_233 Depth=1
	v_and_b32_e32 v24, 0x7f, v19
	v_cmp_ne_u32_e64 s[2:3], s41, v24
	v_mov_b32_e32 v23, 0x7c01
	s_and_saveexec_b64 s[28:29], s[2:3]
	s_cbranch_execz .LBB239_362
; %bb.361:                              ;   in Loop: Header=BB239_233 Depth=1
	v_and_b32_e32 v23, 7, v19
	v_ffbh_u32_e32 v44, v23
	v_min_u32_e32 v46, 32, v44
	v_subrev_u32_e32 v44, 28, v46
	v_lshlrev_b64 v[44:45], v44, v[6:7]
	v_lshrrev_b32_e32 v25, 3, v24
	v_sub_u32_e32 v45, 29, v46
	v_cmp_gt_u32_e64 s[2:3], 8, v24
	v_and_b32_e32 v44, 7, v44
	s_nop 0
	v_cndmask_b32_e64 v24, v25, v45, s[2:3]
	v_lshl_add_u32 v24, v24, 10, v36
	v_lshlrev_b32_e32 v25, 8, v19
	v_and_b32_e32 v24, 0xfc00, v24
	v_cndmask_b32_e64 v23, v23, v44, s[2:3]
	v_and_or_b32 v24, v25, s42, v24
	v_lshl_or_b32 v23, v23, 7, v24
.LBB239_362:                            ;   in Loop: Header=BB239_233 Depth=1
	s_or_b64 exec, exec, s[28:29]
.LBB239_363:                            ;   in Loop: Header=BB239_233 Depth=1
	s_or_b64 exec, exec, s[22:23]
.LBB239_364:                            ;   in Loop: Header=BB239_233 Depth=1
	s_or_b64 exec, exec, s[20:21]
	v_lshrrev_b16_e32 v6, 8, v6
	v_cmp_ne_u16_e64 s[2:3], 0, v6
	v_mov_b32_e32 v24, 0
	s_and_saveexec_b64 s[20:21], s[2:3]
	s_cbranch_execz .LBB239_370
; %bb.365:                              ;   in Loop: Header=BB239_233 Depth=1
	v_cmp_ne_u16_e64 s[2:3], s40, v6
	v_bfrev_b32_e32 v24, 1
	s_and_saveexec_b64 s[22:23], s[2:3]
	s_cbranch_execz .LBB239_369
; %bb.366:                              ;   in Loop: Header=BB239_233 Depth=1
	v_and_b32_e32 v25, 0x7f, v6
	v_cmp_ne_u32_e64 s[2:3], s41, v25
	v_mov_b32_e32 v24, 0x7c010000
	s_and_saveexec_b64 s[28:29], s[2:3]
	s_cbranch_execz .LBB239_368
; %bb.367:                              ;   in Loop: Header=BB239_233 Depth=1
	v_and_b32_e32 v24, 7, v6
	v_ffbh_u32_e32 v44, v24
	v_min_u32_e32 v47, 32, v44
	v_subrev_u32_e32 v44, 28, v47
	v_lshlrev_b64 v[44:45], v44, v[6:7]
	v_lshrrev_b32_e32 v46, 3, v25
	v_sub_u32_e32 v45, 29, v47
	v_cmp_gt_u32_e64 s[2:3], 8, v25
	v_lshlrev_b32_e32 v6, 8, v6
	v_and_b32_e32 v44, 7, v44
	v_cndmask_b32_e64 v25, v46, v45, s[2:3]
	v_lshl_add_u32 v25, v25, 10, v36
	v_and_or_b32 v6, v6, s42, v25
	v_cndmask_b32_e64 v24, v24, v44, s[2:3]
	v_lshlrev_b32_e32 v6, 16, v6
	v_lshl_or_b32 v24, v24, 23, v6
.LBB239_368:                            ;   in Loop: Header=BB239_233 Depth=1
	s_or_b64 exec, exec, s[28:29]
.LBB239_369:                            ;   in Loop: Header=BB239_233 Depth=1
	s_or_b64 exec, exec, s[22:23]
.LBB239_370:                            ;   in Loop: Header=BB239_233 Depth=1
	s_or_b64 exec, exec, s[20:21]
	v_lshrrev_b32_e32 v6, 16, v19
	v_cmp_ne_u16_sdwa s[2:3], v6, v7 src0_sel:BYTE_0 src1_sel:DWORD
	s_and_saveexec_b64 s[20:21], s[2:3]
	s_cbranch_execz .LBB239_376
; %bb.371:                              ;   in Loop: Header=BB239_233 Depth=1
	v_cmp_ne_u16_sdwa s[2:3], v6, s40 src0_sel:BYTE_0 src1_sel:DWORD
	v_mov_b32_e32 v22, 0x8000
	s_and_saveexec_b64 s[22:23], s[2:3]
	s_cbranch_execz .LBB239_375
; %bb.372:                              ;   in Loop: Header=BB239_233 Depth=1
	v_bfe_u32 v25, v19, 16, 7
	v_cmp_ne_u32_e64 s[2:3], s41, v25
	v_mov_b32_e32 v22, 0x7c01
	s_and_saveexec_b64 s[28:29], s[2:3]
	s_cbranch_execz .LBB239_374
; %bb.373:                              ;   in Loop: Header=BB239_233 Depth=1
	v_and_b32_e32 v22, 7, v6
	v_ffbh_u32_e32 v44, v22
	v_min_u32_e32 v47, 32, v44
	v_subrev_u32_e32 v44, 28, v47
	v_lshlrev_b64 v[44:45], v44, v[6:7]
	v_lshrrev_b32_e32 v46, 3, v25
	v_sub_u32_e32 v45, 29, v47
	v_cmp_gt_u32_e64 s[2:3], 8, v25
	v_lshlrev_b32_e32 v6, 8, v6
	v_and_b32_e32 v44, 7, v44
	v_cndmask_b32_e64 v25, v46, v45, s[2:3]
	v_lshl_add_u32 v25, v25, 10, v36
	v_and_b32_e32 v25, 0xfc00, v25
	v_cndmask_b32_e64 v22, v22, v44, s[2:3]
	v_and_or_b32 v6, v6, s42, v25
	v_lshl_or_b32 v22, v22, 7, v6
.LBB239_374:                            ;   in Loop: Header=BB239_233 Depth=1
	s_or_b64 exec, exec, s[28:29]
.LBB239_375:                            ;   in Loop: Header=BB239_233 Depth=1
	s_or_b64 exec, exec, s[22:23]
.LBB239_376:                            ;   in Loop: Header=BB239_233 Depth=1
	s_or_b64 exec, exec, s[20:21]
	v_cmp_lt_u64_e64 s[2:3], s[12:13], v[18:19]
	v_mov_b32_e32 v18, 0
	s_and_saveexec_b64 s[20:21], s[2:3]
	s_cbranch_execz .LBB239_382
; %bb.377:                              ;   in Loop: Header=BB239_233 Depth=1
	v_lshrrev_b32_e32 v6, 24, v19
	v_cmp_ne_u32_e64 s[2:3], s40, v6
	v_bfrev_b32_e32 v18, 1
	s_and_saveexec_b64 s[22:23], s[2:3]
	s_cbranch_execz .LBB239_381
; %bb.378:                              ;   in Loop: Header=BB239_233 Depth=1
	v_and_b32_e32 v19, 0x7f, v6
	v_cmp_ne_u32_e64 s[2:3], s41, v19
	v_mov_b32_e32 v18, 0x7c010000
	s_and_saveexec_b64 s[28:29], s[2:3]
	s_cbranch_execz .LBB239_380
; %bb.379:                              ;   in Loop: Header=BB239_233 Depth=1
	v_and_b32_e32 v18, 7, v6
	v_ffbh_u32_e32 v44, v18
	v_min_u32_e32 v46, 32, v44
	v_subrev_u32_e32 v44, 28, v46
	v_lshlrev_b64 v[44:45], v44, v[6:7]
	v_lshrrev_b32_e32 v25, 3, v19
	v_sub_u32_e32 v45, 29, v46
	v_cmp_gt_u32_e64 s[2:3], 8, v19
	v_lshlrev_b32_e32 v6, 8, v6
	s_nop 0
	v_cndmask_b32_e64 v19, v25, v45, s[2:3]
	v_lshl_add_u32 v19, v19, 10, v36
	v_and_b32_e32 v25, 7, v44
	v_and_or_b32 v6, v6, s42, v19
	v_cndmask_b32_e64 v18, v18, v25, s[2:3]
	v_lshlrev_b32_e32 v6, 16, v6
	v_lshl_or_b32 v18, v18, 23, v6
.LBB239_380:                            ;   in Loop: Header=BB239_233 Depth=1
	s_or_b64 exec, exec, s[28:29]
.LBB239_381:                            ;   in Loop: Header=BB239_233 Depth=1
	s_or_b64 exec, exec, s[22:23]
.LBB239_382:                            ;   in Loop: Header=BB239_233 Depth=1
	s_or_b64 exec, exec, s[20:21]
	v_cvt_f32_f16_sdwa v45, v1 dst_sel:DWORD dst_unused:UNUSED_PAD src0_sel:WORD_1
	v_cvt_f32_f16_sdwa v44, v21 dst_sel:DWORD dst_unused:UNUSED_PAD src0_sel:WORD_1
	v_or_b32_e32 v1, v1, v17
	v_or_b32_e32 v6, v21, v20
	;; [unrolled: 1-line block ×3, first 2 shown]
	s_waitcnt vmcnt(0)
	v_pk_mul_f32 v[20:21], v[16:17], v[44:45] op_sel_hi:[0,1]
	v_cvt_f32_f16_e32 v44, v6
	v_cvt_f32_f16_e32 v45, v1
	v_cvt_pk_f16_f32 v1, v20, v21
	v_and_b32_e32 v17, 0xffff0000, v1
	v_lshlrev_b32_e32 v6, 16, v1
	v_pk_mul_f32 v[20:21], v[16:17], v[44:45] op_sel_hi:[0,1]
	v_cvt_pk_f16_f32 v1, v20, v21
	v_or_b32_e32 v21, v24, v23
	v_cvt_f32_f16_e32 v22, v22
	v_cvt_f32_f16_e32 v23, v21
	v_cvt_f32_f16_sdwa v25, v24 dst_sel:DWORD dst_unused:UNUSED_PAD src0_sel:WORD_1
	v_cvt_f32_f16_sdwa v24, v18 dst_sel:DWORD dst_unused:UNUSED_PAD src0_sel:WORD_1
	v_lshrrev_b32_e32 v19, 16, v1
	v_pk_mul_f32 v[22:23], v[16:17], v[22:23] op_sel_hi:[0,1]
	v_cvt_pk_f16_f32 v44, v22, v23
	v_pk_mul_f32 v[22:23], v[16:17], v[24:25] op_sel_hi:[0,1]
	v_cvt_pk_f16_f32 v16, v22, v23
	v_and_b32_e32 v20, 0xffff, v1
	v_and_b32_e32 v21, 0xffff0000, v16
	v_lshlrev_b32_e32 v16, 16, v16
	v_lshrrev_b32_e32 v23, 16, v44
	v_and_b32_e32 v22, 0xffff, v44
	v_or_b32_e32 v1, v17, v19
	v_or_b32_e32 v18, v6, v20
	;; [unrolled: 1-line block ×4, first 2 shown]
	s_and_saveexec_b64 s[20:21], s[0:1]
	s_cbranch_execz .LBB239_384
; %bb.383:                              ;   in Loop: Header=BB239_233 Depth=1
	v_add_u32_e32 v24, 2, v37
	v_cmp_gt_i32_e64 s[2:3], s39, v37
	v_or_b32_e32 v1, 1, v37
	v_or_b32_e32 v18, 3, v37
	v_cndmask_b32_e64 v19, 0, v19, s[2:3]
	v_cmp_gt_i32_e64 s[2:3], s33, v24
	s_nop 1
	v_cndmask_b32_e64 v20, 0, v20, s[2:3]
	v_cmp_gt_i32_e64 s[2:3], s39, v1
	s_nop 1
	v_cndmask_b32_e64 v1, 0, v17, s[2:3]
	v_cmp_gt_i32_e64 s[2:3], s33, v18
	v_or_b32_e32 v17, 6, v37
	v_or_b32_e32 v1, v1, v19
	v_cndmask_b32_e64 v6, 0, v6, s[2:3]
	v_or_b32_e32 v18, v6, v20
	v_or_b32_e32 v6, 4, v37
	v_cmp_gt_i32_e64 s[2:3], s39, v6
	v_or_b32_e32 v19, 5, v37
	v_or_b32_e32 v20, 7, v37
	v_cndmask_b32_e64 v6, 0, v23, s[2:3]
	v_cmp_gt_i32_e64 s[2:3], s33, v17
	s_nop 1
	v_cndmask_b32_e64 v17, 0, v22, s[2:3]
	v_cmp_gt_i32_e64 s[2:3], s39, v19
	s_nop 1
	v_cndmask_b32_e64 v19, 0, v21, s[2:3]
	v_cmp_gt_i32_e64 s[2:3], s33, v20
	v_or_b32_e32 v25, v19, v6
	s_nop 0
	v_cndmask_b32_e64 v16, 0, v16, s[2:3]
	v_or_b32_e32 v24, v16, v17
.LBB239_384:                            ;   in Loop: Header=BB239_233 Depth=1
	s_or_b64 exec, exec, s[20:21]
	;;#ASMSTART
	v_pk_mul_f16 v1, v43, v1;

	;;#ASMEND
	;;#ASMSTART
	v_pk_mul_f16 v6, v42, v18;

	;;#ASMEND
	;; [unrolled: 4-line block ×4, first 2 shown]
	s_nop 0
	;;#ASMSTART
	v_pk_add_f16 v1, v1, v6;

	;;#ASMEND
	s_nop 0
	;;#ASMSTART
	v_pk_add_f16 v1, v1, v16;

	;;#ASMEND
	;; [unrolled: 5-line block ×3, first 2 shown]
	s_nop 0
	v_lshrrev_b32_e32 v6, 16, v1
	v_and_b32_e32 v1, 0xffff, v1
	;;#ASMSTART
	v_cvt_f32_f16 v24, v1;
	;;#ASMEND
	;;#ASMSTART
	v_cvt_f32_f16 v25, v6;
	;;#ASMEND
	s_and_saveexec_b64 s[20:21], vcc
	s_cbranch_execz .LBB239_231
; %bb.385:                              ;   in Loop: Header=BB239_233 Depth=1
	v_lshl_add_u64 v[14:15], v[14:15], 0, v[10:11]
	global_load_dwordx2 v[16:17], v[14:15], off
	v_mov_b32_e32 v1, 0
	global_load_dword v14, v1, s[14:15]
	v_mov_b32_e32 v15, 0
	s_waitcnt vmcnt(1)
	v_cmp_ne_u16_sdwa s[2:3], v16, v7 src0_sel:BYTE_0 src1_sel:DWORD
	s_and_saveexec_b64 s[22:23], s[2:3]
	s_cbranch_execz .LBB239_391
; %bb.386:                              ;   in Loop: Header=BB239_233 Depth=1
	v_cmp_ne_u16_sdwa s[2:3], v16, s40 src0_sel:BYTE_0 src1_sel:DWORD
	v_mov_b32_e32 v15, 0x8000
	s_and_saveexec_b64 s[28:29], s[2:3]
	s_cbranch_execz .LBB239_390
; %bb.387:                              ;   in Loop: Header=BB239_233 Depth=1
	v_and_b32_e32 v6, 0x7f, v16
	v_cmp_ne_u32_e64 s[2:3], s41, v6
	v_mov_b32_e32 v15, 0x7c01
	s_and_saveexec_b64 s[30:31], s[2:3]
	s_cbranch_execz .LBB239_389
; %bb.388:                              ;   in Loop: Header=BB239_233 Depth=1
	v_and_b32_e32 v15, 7, v16
	v_ffbh_u32_e32 v18, v15
	v_min_u32_e32 v21, 32, v18
	v_subrev_u32_e32 v18, 28, v21
	v_lshlrev_b64 v[18:19], v18, v[16:17]
	v_lshrrev_b32_e32 v20, 3, v6
	v_sub_u32_e32 v19, 29, v21
	v_cmp_gt_u32_e64 s[2:3], 8, v6
	v_and_b32_e32 v18, 7, v18
	s_nop 0
	v_cndmask_b32_e64 v6, v20, v19, s[2:3]
	v_lshl_add_u32 v6, v6, 10, v36
	v_lshlrev_b32_e32 v19, 8, v16
	v_and_b32_e32 v6, 0xfc00, v6
	v_cndmask_b32_e64 v15, v15, v18, s[2:3]
	v_and_or_b32 v6, v19, s42, v6
	v_lshl_or_b32 v15, v15, 7, v6
.LBB239_389:                            ;   in Loop: Header=BB239_233 Depth=1
	s_or_b64 exec, exec, s[30:31]
.LBB239_390:                            ;   in Loop: Header=BB239_233 Depth=1
	s_or_b64 exec, exec, s[28:29]
.LBB239_391:                            ;   in Loop: Header=BB239_233 Depth=1
	s_or_b64 exec, exec, s[22:23]
	v_lshrrev_b16_e32 v6, 8, v16
	v_cmp_ne_u16_e64 s[2:3], 0, v6
	s_and_saveexec_b64 s[22:23], s[2:3]
	s_cbranch_execz .LBB239_397
; %bb.392:                              ;   in Loop: Header=BB239_233 Depth=1
	v_cmp_ne_u16_e64 s[2:3], s40, v6
	v_bfrev_b32_e32 v1, 1
	s_and_saveexec_b64 s[28:29], s[2:3]
	s_cbranch_execz .LBB239_396
; %bb.393:                              ;   in Loop: Header=BB239_233 Depth=1
	v_and_b32_e32 v18, 0x7f, v6
	v_cmp_ne_u32_e64 s[2:3], s41, v18
	v_mov_b32_e32 v1, 0x7c010000
	s_and_saveexec_b64 s[30:31], s[2:3]
	s_cbranch_execz .LBB239_395
; %bb.394:                              ;   in Loop: Header=BB239_233 Depth=1
	v_and_b32_e32 v1, 7, v6
	v_ffbh_u32_e32 v20, v1
	v_min_u32_e32 v22, 32, v20
	v_subrev_u32_e32 v20, 28, v22
	v_lshlrev_b64 v[20:21], v20, v[6:7]
	v_lshrrev_b32_e32 v19, 3, v18
	v_sub_u32_e32 v21, 29, v22
	v_cmp_gt_u32_e64 s[2:3], 8, v18
	v_lshlrev_b32_e32 v6, 8, v6
	s_nop 0
	v_cndmask_b32_e64 v18, v19, v21, s[2:3]
	v_lshl_add_u32 v18, v18, 10, v36
	v_and_b32_e32 v19, 7, v20
	v_and_or_b32 v6, v6, s42, v18
	v_cndmask_b32_e64 v1, v1, v19, s[2:3]
	v_lshlrev_b32_e32 v6, 16, v6
	v_lshl_or_b32 v1, v1, 23, v6
.LBB239_395:                            ;   in Loop: Header=BB239_233 Depth=1
	s_or_b64 exec, exec, s[30:31]
.LBB239_396:                            ;   in Loop: Header=BB239_233 Depth=1
	s_or_b64 exec, exec, s[28:29]
.LBB239_397:                            ;   in Loop: Header=BB239_233 Depth=1
	s_or_b64 exec, exec, s[22:23]
	v_lshrrev_b32_e32 v6, 16, v16
	v_cmp_ne_u16_sdwa s[2:3], v6, v7 src0_sel:BYTE_0 src1_sel:DWORD
	v_mov_b32_e32 v19, 0
	v_mov_b32_e32 v18, 0
	s_and_saveexec_b64 s[22:23], s[2:3]
	s_cbranch_execz .LBB239_403
; %bb.398:                              ;   in Loop: Header=BB239_233 Depth=1
	v_cmp_ne_u16_sdwa s[2:3], v6, s40 src0_sel:BYTE_0 src1_sel:DWORD
	v_mov_b32_e32 v18, 0x8000
	s_and_saveexec_b64 s[28:29], s[2:3]
	s_cbranch_execz .LBB239_402
; %bb.399:                              ;   in Loop: Header=BB239_233 Depth=1
	v_bfe_u32 v20, v16, 16, 7
	v_cmp_ne_u32_e64 s[2:3], s41, v20
	v_mov_b32_e32 v18, 0x7c01
	s_and_saveexec_b64 s[30:31], s[2:3]
	s_cbranch_execz .LBB239_401
; %bb.400:                              ;   in Loop: Header=BB239_233 Depth=1
	v_and_b32_e32 v18, 7, v6
	v_ffbh_u32_e32 v22, v18
	v_min_u32_e32 v44, 32, v22
	v_subrev_u32_e32 v22, 28, v44
	v_lshlrev_b64 v[22:23], v22, v[6:7]
	v_lshrrev_b32_e32 v21, 3, v20
	v_sub_u32_e32 v23, 29, v44
	v_cmp_gt_u32_e64 s[2:3], 8, v20
	v_lshlrev_b32_e32 v6, 8, v6
	s_nop 0
	v_cndmask_b32_e64 v20, v21, v23, s[2:3]
	v_lshl_add_u32 v20, v20, 10, v36
	v_and_b32_e32 v21, 7, v22
	v_and_b32_e32 v20, 0xfc00, v20
	v_cndmask_b32_e64 v18, v18, v21, s[2:3]
	v_and_or_b32 v6, v6, s42, v20
	v_lshl_or_b32 v18, v18, 7, v6
.LBB239_401:                            ;   in Loop: Header=BB239_233 Depth=1
	s_or_b64 exec, exec, s[30:31]
.LBB239_402:                            ;   in Loop: Header=BB239_233 Depth=1
	s_or_b64 exec, exec, s[28:29]
.LBB239_403:                            ;   in Loop: Header=BB239_233 Depth=1
	s_or_b64 exec, exec, s[22:23]
	v_cmp_lt_u32_e64 s[2:3], s13, v16
	s_and_saveexec_b64 s[22:23], s[2:3]
	s_cbranch_execz .LBB239_409
; %bb.404:                              ;   in Loop: Header=BB239_233 Depth=1
	v_lshrrev_b32_e32 v6, 24, v16
	v_cmp_ne_u32_e64 s[2:3], s40, v6
	v_bfrev_b32_e32 v19, 1
	s_and_saveexec_b64 s[28:29], s[2:3]
	s_cbranch_execz .LBB239_408
; %bb.405:                              ;   in Loop: Header=BB239_233 Depth=1
	v_and_b32_e32 v20, 0x7f, v6
	v_cmp_ne_u32_e64 s[2:3], s41, v20
	v_mov_b32_e32 v19, 0x7c010000
	s_and_saveexec_b64 s[30:31], s[2:3]
	s_cbranch_execz .LBB239_407
; %bb.406:                              ;   in Loop: Header=BB239_233 Depth=1
	v_and_b32_e32 v19, 7, v6
	v_ffbh_u32_e32 v22, v19
	v_min_u32_e32 v44, 32, v22
	v_subrev_u32_e32 v22, 28, v44
	v_lshlrev_b64 v[22:23], v22, v[6:7]
	v_lshrrev_b32_e32 v21, 3, v20
	v_sub_u32_e32 v23, 29, v44
	v_cmp_gt_u32_e64 s[2:3], 8, v20
	v_lshlrev_b32_e32 v6, 8, v6
	s_nop 0
	v_cndmask_b32_e64 v20, v21, v23, s[2:3]
	v_lshl_add_u32 v20, v20, 10, v36
	v_and_b32_e32 v21, 7, v22
	v_and_or_b32 v6, v6, s42, v20
	v_cndmask_b32_e64 v19, v19, v21, s[2:3]
	v_lshlrev_b32_e32 v6, 16, v6
	v_lshl_or_b32 v19, v19, 23, v6
.LBB239_407:                            ;   in Loop: Header=BB239_233 Depth=1
	s_or_b64 exec, exec, s[30:31]
.LBB239_408:                            ;   in Loop: Header=BB239_233 Depth=1
	s_or_b64 exec, exec, s[28:29]
.LBB239_409:                            ;   in Loop: Header=BB239_233 Depth=1
	s_or_b64 exec, exec, s[22:23]
	v_mov_b32_e32 v6, v17
	v_cmp_ne_u16_sdwa s[2:3], v17, v7 src0_sel:BYTE_0 src1_sel:DWORD
	v_mov_b32_e32 v20, 0
	v_mov_b32_e32 v21, 0
	s_and_saveexec_b64 s[22:23], s[2:3]
	s_cbranch_execz .LBB239_415
; %bb.410:                              ;   in Loop: Header=BB239_233 Depth=1
	v_cmp_ne_u16_sdwa s[2:3], v17, s40 src0_sel:BYTE_0 src1_sel:DWORD
	v_mov_b32_e32 v21, 0x8000
	s_and_saveexec_b64 s[28:29], s[2:3]
	s_cbranch_execz .LBB239_414
; %bb.411:                              ;   in Loop: Header=BB239_233 Depth=1
	v_and_b32_e32 v22, 0x7f, v17
	v_cmp_ne_u32_e64 s[2:3], s41, v22
	v_mov_b32_e32 v21, 0x7c01
	s_and_saveexec_b64 s[30:31], s[2:3]
	s_cbranch_execz .LBB239_413
; %bb.412:                              ;   in Loop: Header=BB239_233 Depth=1
	v_and_b32_e32 v21, 7, v17
	v_ffbh_u32_e32 v44, v21
	v_min_u32_e32 v46, 32, v44
	v_subrev_u32_e32 v44, 28, v46
	v_lshlrev_b64 v[44:45], v44, v[6:7]
	v_lshrrev_b32_e32 v23, 3, v22
	v_sub_u32_e32 v45, 29, v46
	v_cmp_gt_u32_e64 s[2:3], 8, v22
	v_and_b32_e32 v44, 7, v44
	s_nop 0
	v_cndmask_b32_e64 v22, v23, v45, s[2:3]
	v_lshl_add_u32 v22, v22, 10, v36
	v_lshlrev_b32_e32 v23, 8, v17
	v_and_b32_e32 v22, 0xfc00, v22
	v_cndmask_b32_e64 v21, v21, v44, s[2:3]
	v_and_or_b32 v22, v23, s42, v22
	v_lshl_or_b32 v21, v21, 7, v22
.LBB239_413:                            ;   in Loop: Header=BB239_233 Depth=1
	s_or_b64 exec, exec, s[30:31]
.LBB239_414:                            ;   in Loop: Header=BB239_233 Depth=1
	s_or_b64 exec, exec, s[28:29]
.LBB239_415:                            ;   in Loop: Header=BB239_233 Depth=1
	s_or_b64 exec, exec, s[22:23]
	v_lshrrev_b16_e32 v6, 8, v6
	v_cmp_ne_u16_e64 s[2:3], 0, v6
	v_mov_b32_e32 v22, 0
	s_and_saveexec_b64 s[22:23], s[2:3]
	s_cbranch_execz .LBB239_421
; %bb.416:                              ;   in Loop: Header=BB239_233 Depth=1
	v_cmp_ne_u16_e64 s[2:3], s40, v6
	v_bfrev_b32_e32 v22, 1
	s_and_saveexec_b64 s[28:29], s[2:3]
	s_cbranch_execz .LBB239_420
; %bb.417:                              ;   in Loop: Header=BB239_233 Depth=1
	v_and_b32_e32 v23, 0x7f, v6
	v_cmp_ne_u32_e64 s[2:3], s41, v23
	v_mov_b32_e32 v22, 0x7c010000
	s_and_saveexec_b64 s[30:31], s[2:3]
	s_cbranch_execz .LBB239_419
; %bb.418:                              ;   in Loop: Header=BB239_233 Depth=1
	v_and_b32_e32 v22, 7, v6
	v_ffbh_u32_e32 v44, v22
	v_min_u32_e32 v47, 32, v44
	v_subrev_u32_e32 v44, 28, v47
	v_lshlrev_b64 v[44:45], v44, v[6:7]
	v_lshrrev_b32_e32 v46, 3, v23
	v_sub_u32_e32 v45, 29, v47
	v_cmp_gt_u32_e64 s[2:3], 8, v23
	v_lshlrev_b32_e32 v6, 8, v6
	v_and_b32_e32 v44, 7, v44
	v_cndmask_b32_e64 v23, v46, v45, s[2:3]
	v_lshl_add_u32 v23, v23, 10, v36
	v_and_or_b32 v6, v6, s42, v23
	v_cndmask_b32_e64 v22, v22, v44, s[2:3]
	v_lshlrev_b32_e32 v6, 16, v6
	v_lshl_or_b32 v22, v22, 23, v6
.LBB239_419:                            ;   in Loop: Header=BB239_233 Depth=1
	s_or_b64 exec, exec, s[30:31]
.LBB239_420:                            ;   in Loop: Header=BB239_233 Depth=1
	s_or_b64 exec, exec, s[28:29]
.LBB239_421:                            ;   in Loop: Header=BB239_233 Depth=1
	s_or_b64 exec, exec, s[22:23]
	v_lshrrev_b32_e32 v6, 16, v17
	v_cmp_ne_u16_sdwa s[2:3], v6, v7 src0_sel:BYTE_0 src1_sel:DWORD
	s_and_saveexec_b64 s[22:23], s[2:3]
	s_cbranch_execz .LBB239_427
; %bb.422:                              ;   in Loop: Header=BB239_233 Depth=1
	v_cmp_ne_u16_sdwa s[2:3], v6, s40 src0_sel:BYTE_0 src1_sel:DWORD
	v_mov_b32_e32 v20, 0x8000
	s_and_saveexec_b64 s[28:29], s[2:3]
	s_cbranch_execz .LBB239_426
; %bb.423:                              ;   in Loop: Header=BB239_233 Depth=1
	v_bfe_u32 v23, v17, 16, 7
	v_cmp_ne_u32_e64 s[2:3], s41, v23
	v_mov_b32_e32 v20, 0x7c01
	s_and_saveexec_b64 s[30:31], s[2:3]
	s_cbranch_execz .LBB239_425
; %bb.424:                              ;   in Loop: Header=BB239_233 Depth=1
	v_and_b32_e32 v20, 7, v6
	v_ffbh_u32_e32 v44, v20
	v_min_u32_e32 v47, 32, v44
	v_subrev_u32_e32 v44, 28, v47
	v_lshlrev_b64 v[44:45], v44, v[6:7]
	v_lshrrev_b32_e32 v46, 3, v23
	v_sub_u32_e32 v45, 29, v47
	v_cmp_gt_u32_e64 s[2:3], 8, v23
	v_lshlrev_b32_e32 v6, 8, v6
	v_and_b32_e32 v44, 7, v44
	v_cndmask_b32_e64 v23, v46, v45, s[2:3]
	v_lshl_add_u32 v23, v23, 10, v36
	v_and_b32_e32 v23, 0xfc00, v23
	v_cndmask_b32_e64 v20, v20, v44, s[2:3]
	v_and_or_b32 v6, v6, s42, v23
	v_lshl_or_b32 v20, v20, 7, v6
.LBB239_425:                            ;   in Loop: Header=BB239_233 Depth=1
	s_or_b64 exec, exec, s[30:31]
.LBB239_426:                            ;   in Loop: Header=BB239_233 Depth=1
	s_or_b64 exec, exec, s[28:29]
.LBB239_427:                            ;   in Loop: Header=BB239_233 Depth=1
	s_or_b64 exec, exec, s[22:23]
	v_cmp_lt_u64_e64 s[2:3], s[12:13], v[16:17]
	v_mov_b32_e32 v16, 0
	s_and_saveexec_b64 s[22:23], s[2:3]
	s_cbranch_execz .LBB239_433
; %bb.428:                              ;   in Loop: Header=BB239_233 Depth=1
	v_lshrrev_b32_e32 v6, 24, v17
	v_cmp_ne_u32_e64 s[2:3], s40, v6
	v_bfrev_b32_e32 v16, 1
	s_and_saveexec_b64 s[28:29], s[2:3]
	s_cbranch_execz .LBB239_432
; %bb.429:                              ;   in Loop: Header=BB239_233 Depth=1
	v_and_b32_e32 v17, 0x7f, v6
	v_cmp_ne_u32_e64 s[2:3], s41, v17
	v_mov_b32_e32 v16, 0x7c010000
	s_and_saveexec_b64 s[30:31], s[2:3]
	s_cbranch_execz .LBB239_431
; %bb.430:                              ;   in Loop: Header=BB239_233 Depth=1
	v_and_b32_e32 v16, 7, v6
	v_ffbh_u32_e32 v44, v16
	v_min_u32_e32 v46, 32, v44
	v_subrev_u32_e32 v44, 28, v46
	v_lshlrev_b64 v[44:45], v44, v[6:7]
	v_lshrrev_b32_e32 v23, 3, v17
	v_sub_u32_e32 v45, 29, v46
	v_cmp_gt_u32_e64 s[2:3], 8, v17
	v_lshlrev_b32_e32 v6, 8, v6
	s_nop 0
	v_cndmask_b32_e64 v17, v23, v45, s[2:3]
	v_lshl_add_u32 v17, v17, 10, v36
	v_and_b32_e32 v23, 7, v44
	v_and_or_b32 v6, v6, s42, v17
	v_cndmask_b32_e64 v16, v16, v23, s[2:3]
	v_lshlrev_b32_e32 v6, 16, v6
	v_lshl_or_b32 v16, v16, 23, v6
.LBB239_431:                            ;   in Loop: Header=BB239_233 Depth=1
	s_or_b64 exec, exec, s[30:31]
.LBB239_432:                            ;   in Loop: Header=BB239_233 Depth=1
	s_or_b64 exec, exec, s[28:29]
.LBB239_433:                            ;   in Loop: Header=BB239_233 Depth=1
	s_or_b64 exec, exec, s[22:23]
	v_cvt_f32_f16_sdwa v45, v1 dst_sel:DWORD dst_unused:UNUSED_PAD src0_sel:WORD_1
	v_cvt_f32_f16_sdwa v44, v19 dst_sel:DWORD dst_unused:UNUSED_PAD src0_sel:WORD_1
	v_or_b32_e32 v1, v1, v15
	v_or_b32_e32 v6, v19, v18
	;; [unrolled: 1-line block ×3, first 2 shown]
	s_waitcnt vmcnt(0)
	v_pk_mul_f32 v[18:19], v[14:15], v[44:45] op_sel_hi:[0,1]
	v_cvt_f32_f16_e32 v44, v6
	v_cvt_f32_f16_e32 v45, v1
	v_cvt_pk_f16_f32 v1, v18, v19
	v_and_b32_e32 v15, 0xffff0000, v1
	v_lshlrev_b32_e32 v6, 16, v1
	v_pk_mul_f32 v[18:19], v[14:15], v[44:45] op_sel_hi:[0,1]
	v_cvt_pk_f16_f32 v1, v18, v19
	v_or_b32_e32 v19, v22, v21
	v_cvt_f32_f16_e32 v20, v20
	v_cvt_f32_f16_e32 v21, v19
	v_cvt_f32_f16_sdwa v23, v22 dst_sel:DWORD dst_unused:UNUSED_PAD src0_sel:WORD_1
	v_cvt_f32_f16_sdwa v22, v16 dst_sel:DWORD dst_unused:UNUSED_PAD src0_sel:WORD_1
	v_lshrrev_b32_e32 v17, 16, v1
	v_pk_mul_f32 v[20:21], v[14:15], v[20:21] op_sel_hi:[0,1]
	v_cvt_pk_f16_f32 v44, v20, v21
	v_pk_mul_f32 v[20:21], v[14:15], v[22:23] op_sel_hi:[0,1]
	v_cvt_pk_f16_f32 v14, v20, v21
	v_and_b32_e32 v18, 0xffff, v1
	v_and_b32_e32 v19, 0xffff0000, v14
	v_lshlrev_b32_e32 v14, 16, v14
	v_lshrrev_b32_e32 v21, 16, v44
	v_and_b32_e32 v20, 0xffff, v44
	v_or_b32_e32 v1, v15, v17
	v_or_b32_e32 v16, v6, v18
	;; [unrolled: 1-line block ×4, first 2 shown]
	s_and_saveexec_b64 s[2:3], s[0:1]
	s_cbranch_execz .LBB239_230
; %bb.434:                              ;   in Loop: Header=BB239_233 Depth=1
	v_add_u32_e32 v22, 2, v37
	v_cmp_gt_i32_e64 s[0:1], s39, v37
	v_or_b32_e32 v1, 1, v37
	v_or_b32_e32 v16, 3, v37
	v_cndmask_b32_e64 v17, 0, v17, s[0:1]
	v_cmp_gt_i32_e64 s[0:1], s33, v22
	s_nop 1
	v_cndmask_b32_e64 v18, 0, v18, s[0:1]
	v_cmp_gt_i32_e64 s[0:1], s39, v1
	s_nop 1
	v_cndmask_b32_e64 v1, 0, v15, s[0:1]
	v_cmp_gt_i32_e64 s[0:1], s33, v16
	v_or_b32_e32 v15, 6, v37
	v_or_b32_e32 v1, v1, v17
	v_cndmask_b32_e64 v6, 0, v6, s[0:1]
	v_or_b32_e32 v16, v6, v18
	v_or_b32_e32 v6, 4, v37
	v_cmp_gt_i32_e64 s[0:1], s39, v6
	v_or_b32_e32 v17, 5, v37
	v_or_b32_e32 v18, 7, v37
	v_cndmask_b32_e64 v6, 0, v21, s[0:1]
	v_cmp_gt_i32_e64 s[0:1], s33, v15
	s_nop 1
	v_cndmask_b32_e64 v15, 0, v20, s[0:1]
	v_cmp_gt_i32_e64 s[0:1], s39, v17
	s_nop 1
	v_cndmask_b32_e64 v17, 0, v19, s[0:1]
	v_cmp_gt_i32_e64 s[0:1], s33, v18
	v_or_b32_e32 v23, v17, v6
	s_nop 0
	v_cndmask_b32_e64 v14, 0, v14, s[0:1]
	v_or_b32_e32 v22, v14, v15
	s_branch .LBB239_230
.LBB239_435:
	s_or_b64 exec, exec, s[16:17]
.LBB239_436:
	s_or_b64 exec, exec, s[6:7]
	ds_bpermute_b32 v2, v30, v8
	ds_bpermute_b32 v3, v30, v9
	;; [unrolled: 1-line block ×4, first 2 shown]
	v_and_b32_e32 v1, 0x3c0, v0
	v_cmp_eq_u32_e64 s[0:1], 64, v1
	s_waitcnt lgkmcnt(2)
	v_pk_add_f32 v[6:7], v[8:9], v[2:3]
	v_cmp_eq_u32_e32 vcc, 0, v32
	s_waitcnt lgkmcnt(0)
	v_pk_add_f32 v[2:3], v[4:5], v[10:11]
	s_barrier
	s_and_saveexec_b64 s[2:3], s[0:1]
	s_cbranch_execz .LBB239_441
; %bb.437:
	s_and_saveexec_b64 s[0:1], vcc
	s_cbranch_execz .LBB239_439
; %bb.438:
	v_mov_b32_e32 v1, 0x100
	v_lshl_add_u32 v1, v31, 2, v1
	ds_write2_b32 v1, v6, v7 offset1:32
	ds_write_b32 v1, v2 offset:256
.LBB239_439:
	s_or_b64 exec, exec, s[0:1]
	v_or_b32_e32 v1, 0x60, v31
	s_movk_i32 s0, 0x78
	v_cmp_gt_u32_e64 s[0:1], s0, v1
	s_and_b64 s[0:1], vcc, s[0:1]
	s_and_b64 exec, exec, s[0:1]
; %bb.440:
	v_mov_b32_e32 v1, 0x100
	v_lshl_add_u32 v1, v31, 2, v1
	ds_write_b32 v1, v3 offset:384
.LBB239_441:
	s_or_b64 exec, exec, s[2:3]
	v_cmp_gt_u32_e64 s[0:1], 64, v0
	v_lshrrev_b32_e32 v0, 1, v0
	s_waitcnt lgkmcnt(0)
	s_barrier
	s_and_saveexec_b64 s[6:7], s[0:1]
	s_cbranch_execz .LBB239_451
; %bb.442:
	s_and_saveexec_b64 s[2:3], vcc
	s_cbranch_execz .LBB239_444
; %bb.443:
	v_mov_b32_e32 v1, 0x100
	v_lshl_add_u32 v1, v0, 2, v1
	ds_read_b32 v1, v1
	s_waitcnt lgkmcnt(0)
	v_add_f32_e32 v6, v6, v1
.LBB239_444:
	s_or_b64 exec, exec, s[2:3]
	v_or_b32_e32 v1, 32, v0
	s_movk_i32 s8, 0x78
	v_cmp_gt_u32_e64 s[2:3], s8, v1
	s_and_b64 s[12:13], vcc, s[2:3]
	s_and_saveexec_b64 s[2:3], s[12:13]
	s_cbranch_execz .LBB239_446
; %bb.445:
	v_mov_b32_e32 v1, 0x100
	v_lshl_add_u32 v1, v0, 2, v1
	ds_read_b32 v1, v1 offset:128
	s_waitcnt lgkmcnt(0)
	v_add_f32_e32 v7, v7, v1
.LBB239_446:
	s_or_b64 exec, exec, s[2:3]
	v_or_b32_e32 v1, 64, v0
	v_cmp_gt_u32_e64 s[2:3], s8, v1
	s_and_b64 s[8:9], vcc, s[2:3]
	s_and_saveexec_b64 s[2:3], s[8:9]
	s_cbranch_execz .LBB239_448
; %bb.447:
	v_mov_b32_e32 v1, 0x100
	v_lshl_add_u32 v1, v0, 2, v1
	ds_read_b32 v1, v1 offset:256
	s_waitcnt lgkmcnt(0)
	v_add_f32_e32 v2, v2, v1
.LBB239_448:
	s_or_b64 exec, exec, s[2:3]
	v_or_b32_e32 v1, 0x60, v0
	s_movk_i32 s2, 0x78
	v_cmp_gt_u32_e64 s[2:3], s2, v1
	s_and_b64 s[8:9], vcc, s[2:3]
	s_and_saveexec_b64 s[2:3], s[8:9]
	s_cbranch_execz .LBB239_450
; %bb.449:
	v_mov_b32_e32 v1, 0x100
	v_lshl_add_u32 v1, v0, 2, v1
	ds_read_b32 v1, v1 offset:384
	s_waitcnt lgkmcnt(0)
	v_add_f32_e32 v3, v3, v1
.LBB239_450:
	s_or_b64 exec, exec, s[2:3]
.LBB239_451:
	s_or_b64 exec, exec, s[6:7]
	s_barrier
	s_and_saveexec_b64 s[2:3], s[0:1]
	s_cbranch_execz .LBB239_460
; %bb.452:
	s_mul_i32 s0, s10, s11
	s_mul_i32 s0, s0, s5
	s_mulk_i32 s0, 0x78
	s_ashr_i32 s1, s0, 31
	s_lshl_b64 s[0:1], s[0:1], 1
	s_add_u32 s2, s26, s0
	s_mul_i32 s0, s11, s24
	s_addc_u32 s3, s27, s1
	s_ashr_i32 s1, s0, 31
	s_lshl_b64 s[0:1], s[0:1], 1
	s_add_u32 s2, s2, s0
	s_mul_i32 s0, s4, 0x78
	s_addc_u32 s3, s3, s1
	s_ashr_i32 s1, s0, 31
	s_lshl_b64 s[0:1], s[0:1], 1
	s_add_u32 s2, s2, s0
	s_movk_i32 s5, 0x78
	s_addc_u32 s3, s3, s1
	v_lshlrev_b32_e32 v1, 1, v0
	s_and_saveexec_b64 s[0:1], vcc
	s_cbranch_execz .LBB239_454
; %bb.453:
	;;#ASMSTART
	v_cvt_f16_f32 v4, v6;

	;;#ASMEND
	global_store_short v1, v4, s[2:3]
.LBB239_454:
	s_or_b64 exec, exec, s[0:1]
	v_or_b32_e32 v4, 32, v0
	v_cmp_gt_u32_e64 s[0:1], s5, v4
	s_and_b64 s[4:5], vcc, s[0:1]
	s_and_saveexec_b64 s[0:1], s[4:5]
	s_cbranch_execz .LBB239_456
; %bb.455:
	;;#ASMSTART
	v_cvt_f16_f32 v4, v7;

	;;#ASMEND
	global_store_short v1, v4, s[2:3] offset:64
.LBB239_456:
	s_or_b64 exec, exec, s[0:1]
	v_or_b32_e32 v4, 64, v0
	s_movk_i32 s4, 0x78
	v_cmp_gt_u32_e64 s[0:1], s4, v4
	s_and_b64 s[6:7], vcc, s[0:1]
	s_and_saveexec_b64 s[0:1], s[6:7]
	s_cbranch_execz .LBB239_458
; %bb.457:
	;;#ASMSTART
	v_cvt_f16_f32 v2, v2;

	;;#ASMEND
	global_store_short v1, v2, s[2:3] offset:128
.LBB239_458:
	s_or_b64 exec, exec, s[0:1]
	v_or_b32_e32 v0, 0x60, v0
	v_cmp_gt_u32_e64 s[0:1], s4, v0
	s_and_b64 s[0:1], vcc, s[0:1]
	s_and_b64 exec, exec, s[0:1]
	s_cbranch_execz .LBB239_460
; %bb.459:
	;;#ASMSTART
	v_cvt_f16_f32 v0, v3;

	;;#ASMEND
	global_store_short v1, v0, s[2:3] offset:192
.LBB239_460:
	s_endpgm
	.section	.rodata,"a",@progbits
	.p2align	6, 0x0
	.amdhsa_kernel _ZN4vllm25paged_attention_v1_kernelIthLi120ELi16ELi128ELNS_18Fp8KVCacheDataTypeE1ELb1EEEvPT_PKS2_PKT0_S8_ifPKiSA_iPKfiiiSC_SC_iiiii
		.amdhsa_group_segment_fixed_size 256
		.amdhsa_private_segment_fixed_size 0
		.amdhsa_kernarg_size 384
		.amdhsa_user_sgpr_count 2
		.amdhsa_user_sgpr_dispatch_ptr 0
		.amdhsa_user_sgpr_queue_ptr 0
		.amdhsa_user_sgpr_kernarg_segment_ptr 1
		.amdhsa_user_sgpr_dispatch_id 0
		.amdhsa_user_sgpr_kernarg_preload_length 0
		.amdhsa_user_sgpr_kernarg_preload_offset 0
		.amdhsa_user_sgpr_private_segment_size 0
		.amdhsa_uses_dynamic_stack 0
		.amdhsa_enable_private_segment 0
		.amdhsa_system_sgpr_workgroup_id_x 1
		.amdhsa_system_sgpr_workgroup_id_y 1
		.amdhsa_system_sgpr_workgroup_id_z 1
		.amdhsa_system_sgpr_workgroup_info 0
		.amdhsa_system_vgpr_workitem_id 0
		.amdhsa_next_free_vgpr 68
		.amdhsa_next_free_sgpr 55
		.amdhsa_accum_offset 68
		.amdhsa_reserve_vcc 1
		.amdhsa_float_round_mode_32 0
		.amdhsa_float_round_mode_16_64 0
		.amdhsa_float_denorm_mode_32 3
		.amdhsa_float_denorm_mode_16_64 3
		.amdhsa_dx10_clamp 1
		.amdhsa_ieee_mode 1
		.amdhsa_fp16_overflow 0
		.amdhsa_tg_split 0
		.amdhsa_exception_fp_ieee_invalid_op 0
		.amdhsa_exception_fp_denorm_src 0
		.amdhsa_exception_fp_ieee_div_zero 0
		.amdhsa_exception_fp_ieee_overflow 0
		.amdhsa_exception_fp_ieee_underflow 0
		.amdhsa_exception_fp_ieee_inexact 0
		.amdhsa_exception_int_div_zero 0
	.end_amdhsa_kernel
	.section	.text._ZN4vllm25paged_attention_v1_kernelIthLi120ELi16ELi128ELNS_18Fp8KVCacheDataTypeE1ELb1EEEvPT_PKS2_PKT0_S8_ifPKiSA_iPKfiiiSC_SC_iiiii,"axG",@progbits,_ZN4vllm25paged_attention_v1_kernelIthLi120ELi16ELi128ELNS_18Fp8KVCacheDataTypeE1ELb1EEEvPT_PKS2_PKT0_S8_ifPKiSA_iPKfiiiSC_SC_iiiii,comdat
.Lfunc_end239:
	.size	_ZN4vllm25paged_attention_v1_kernelIthLi120ELi16ELi128ELNS_18Fp8KVCacheDataTypeE1ELb1EEEvPT_PKS2_PKT0_S8_ifPKiSA_iPKfiiiSC_SC_iiiii, .Lfunc_end239-_ZN4vllm25paged_attention_v1_kernelIthLi120ELi16ELi128ELNS_18Fp8KVCacheDataTypeE1ELb1EEEvPT_PKS2_PKT0_S8_ifPKiSA_iPKfiiiSC_SC_iiiii
                                        ; -- End function
	.set _ZN4vllm25paged_attention_v1_kernelIthLi120ELi16ELi128ELNS_18Fp8KVCacheDataTypeE1ELb1EEEvPT_PKS2_PKT0_S8_ifPKiSA_iPKfiiiSC_SC_iiiii.num_vgpr, 68
	.set _ZN4vllm25paged_attention_v1_kernelIthLi120ELi16ELi128ELNS_18Fp8KVCacheDataTypeE1ELb1EEEvPT_PKS2_PKT0_S8_ifPKiSA_iPKfiiiSC_SC_iiiii.num_agpr, 0
	.set _ZN4vllm25paged_attention_v1_kernelIthLi120ELi16ELi128ELNS_18Fp8KVCacheDataTypeE1ELb1EEEvPT_PKS2_PKT0_S8_ifPKiSA_iPKfiiiSC_SC_iiiii.numbered_sgpr, 55
	.set _ZN4vllm25paged_attention_v1_kernelIthLi120ELi16ELi128ELNS_18Fp8KVCacheDataTypeE1ELb1EEEvPT_PKS2_PKT0_S8_ifPKiSA_iPKfiiiSC_SC_iiiii.num_named_barrier, 0
	.set _ZN4vllm25paged_attention_v1_kernelIthLi120ELi16ELi128ELNS_18Fp8KVCacheDataTypeE1ELb1EEEvPT_PKS2_PKT0_S8_ifPKiSA_iPKfiiiSC_SC_iiiii.private_seg_size, 0
	.set _ZN4vllm25paged_attention_v1_kernelIthLi120ELi16ELi128ELNS_18Fp8KVCacheDataTypeE1ELb1EEEvPT_PKS2_PKT0_S8_ifPKiSA_iPKfiiiSC_SC_iiiii.uses_vcc, 1
	.set _ZN4vllm25paged_attention_v1_kernelIthLi120ELi16ELi128ELNS_18Fp8KVCacheDataTypeE1ELb1EEEvPT_PKS2_PKT0_S8_ifPKiSA_iPKfiiiSC_SC_iiiii.uses_flat_scratch, 0
	.set _ZN4vllm25paged_attention_v1_kernelIthLi120ELi16ELi128ELNS_18Fp8KVCacheDataTypeE1ELb1EEEvPT_PKS2_PKT0_S8_ifPKiSA_iPKfiiiSC_SC_iiiii.has_dyn_sized_stack, 0
	.set _ZN4vllm25paged_attention_v1_kernelIthLi120ELi16ELi128ELNS_18Fp8KVCacheDataTypeE1ELb1EEEvPT_PKS2_PKT0_S8_ifPKiSA_iPKfiiiSC_SC_iiiii.has_recursion, 0
	.set _ZN4vllm25paged_attention_v1_kernelIthLi120ELi16ELi128ELNS_18Fp8KVCacheDataTypeE1ELb1EEEvPT_PKS2_PKT0_S8_ifPKiSA_iPKfiiiSC_SC_iiiii.has_indirect_call, 0
	.section	.AMDGPU.csdata,"",@progbits
; Kernel info:
; codeLenInByte = 20640
; TotalNumSgprs: 61
; NumVgprs: 68
; NumAgprs: 0
; TotalNumVgprs: 68
; ScratchSize: 0
; MemoryBound: 0
; FloatMode: 240
; IeeeMode: 1
; LDSByteSize: 256 bytes/workgroup (compile time only)
; SGPRBlocks: 7
; VGPRBlocks: 8
; NumSGPRsForWavesPerEU: 61
; NumVGPRsForWavesPerEU: 68
; AccumOffset: 68
; Occupancy: 7
; WaveLimiterHint : 1
; COMPUTE_PGM_RSRC2:SCRATCH_EN: 0
; COMPUTE_PGM_RSRC2:USER_SGPR: 2
; COMPUTE_PGM_RSRC2:TRAP_HANDLER: 0
; COMPUTE_PGM_RSRC2:TGID_X_EN: 1
; COMPUTE_PGM_RSRC2:TGID_Y_EN: 1
; COMPUTE_PGM_RSRC2:TGID_Z_EN: 1
; COMPUTE_PGM_RSRC2:TIDIG_COMP_CNT: 0
; COMPUTE_PGM_RSRC3_GFX90A:ACCUM_OFFSET: 16
; COMPUTE_PGM_RSRC3_GFX90A:TG_SPLIT: 0
	.section	.text._ZN4vllm25paged_attention_v1_kernelIthLi128ELi16ELi128ELNS_18Fp8KVCacheDataTypeE1ELb1EEEvPT_PKS2_PKT0_S8_ifPKiSA_iPKfiiiSC_SC_iiiii,"axG",@progbits,_ZN4vllm25paged_attention_v1_kernelIthLi128ELi16ELi128ELNS_18Fp8KVCacheDataTypeE1ELb1EEEvPT_PKS2_PKT0_S8_ifPKiSA_iPKfiiiSC_SC_iiiii,comdat
	.protected	_ZN4vllm25paged_attention_v1_kernelIthLi128ELi16ELi128ELNS_18Fp8KVCacheDataTypeE1ELb1EEEvPT_PKS2_PKT0_S8_ifPKiSA_iPKfiiiSC_SC_iiiii ; -- Begin function _ZN4vllm25paged_attention_v1_kernelIthLi128ELi16ELi128ELNS_18Fp8KVCacheDataTypeE1ELb1EEEvPT_PKS2_PKT0_S8_ifPKiSA_iPKfiiiSC_SC_iiiii
	.globl	_ZN4vllm25paged_attention_v1_kernelIthLi128ELi16ELi128ELNS_18Fp8KVCacheDataTypeE1ELb1EEEvPT_PKS2_PKT0_S8_ifPKiSA_iPKfiiiSC_SC_iiiii
	.p2align	8
	.type	_ZN4vllm25paged_attention_v1_kernelIthLi128ELi16ELi128ELNS_18Fp8KVCacheDataTypeE1ELb1EEEvPT_PKS2_PKT0_S8_ifPKiSA_iPKfiiiSC_SC_iiiii,@function
_ZN4vllm25paged_attention_v1_kernelIthLi128ELi16ELi128ELNS_18Fp8KVCacheDataTypeE1ELb1EEEvPT_PKS2_PKT0_S8_ifPKiSA_iPKfiiiSC_SC_iiiii: ; @_ZN4vllm25paged_attention_v1_kernelIthLi128ELi16ELi128ELNS_18Fp8KVCacheDataTypeE1ELb1EEEvPT_PKS2_PKT0_S8_ifPKiSA_iPKfiiiSC_SC_iiiii
; %bb.0:
	s_load_dword s5, s[0:1], 0x80
	s_load_dwordx2 s[6:7], s[0:1], 0x30
	s_load_dwordx2 s[38:39], s[0:1], 0x20
	s_mov_b32 s24, s3
	s_ashr_i32 s25, s3, 31
	s_lshl_b64 s[8:9], s[24:25], 2
	s_waitcnt lgkmcnt(0)
	s_add_u32 s6, s6, s8
	s_addc_u32 s7, s7, s9
	s_abs_i32 s3, s38
	v_cvt_f32_u32_e32 v1, s3
	s_sub_i32 s10, 0, s3
	s_abs_i32 s9, s5
	s_xor_b32 s8, s5, s38
	v_rcp_iflag_f32_e32 v1, v1
	s_ashr_i32 s8, s8, 31
	s_mov_b32 s50, 0
	v_mul_f32_e32 v1, 0x4f7ffffe, v1
	v_cvt_u32_f32_e32 v1, v1
	s_nop 0
	v_readfirstlane_b32 s11, v1
	s_mul_i32 s10, s10, s11
	s_mul_hi_u32 s10, s11, s10
	s_add_i32 s11, s11, s10
	s_mul_hi_u32 s10, s9, s11
	s_mul_i32 s11, s10, s3
	s_sub_i32 s9, s9, s11
	s_add_i32 s11, s10, 1
	s_sub_i32 s12, s9, s3
	s_cmp_ge_u32 s9, s3
	s_cselect_b32 s10, s11, s10
	s_cselect_b32 s9, s12, s9
	s_add_i32 s11, s10, 1
	s_cmp_ge_u32 s9, s3
	s_cselect_b32 s3, s11, s10
	s_xor_b32 s3, s3, s8
	s_sub_i32 s13, s3, s8
	s_abs_i32 s10, s13
	v_cvt_f32_u32_e32 v1, s10
	s_load_dwordx2 s[8:9], s[0:1], 0x40
	s_sub_i32 s3, 0, s10
	s_abs_i32 s11, s2
	v_rcp_iflag_f32_e32 v1, v1
	s_nop 0
	v_mul_f32_e32 v1, 0x4f7ffffe, v1
	v_cvt_u32_f32_e32 v1, v1
	s_nop 0
	v_readfirstlane_b32 s12, v1
	s_mul_i32 s3, s3, s12
	s_mul_hi_u32 s3, s12, s3
	s_add_i32 s12, s12, s3
	s_waitcnt lgkmcnt(0)
	s_cmp_eq_u64 s[8:9], 0
	s_mul_hi_u32 s12, s11, s12
	s_cbranch_scc1 .LBB240_2
; %bb.1:
	s_ashr_i32 s3, s2, 31
	s_lshl_b64 s[14:15], s[2:3], 2
	s_add_u32 s8, s8, s14
	s_addc_u32 s9, s9, s15
	s_load_dword s50, s[8:9], 0x0
.LBB240_2:
	s_load_dword s25, s[6:7], 0x0
	s_load_dwordx4 s[16:19], s[0:1], 0x48
	s_ashr_i32 s14, s2, 31
	s_ashr_i32 s13, s13, 31
	v_and_b32_e32 v4, 3, v0
	s_lshl_b32 s26, s2, 7
	v_cmp_gt_u32_e64 s[6:7], 64, v0
	s_and_saveexec_b64 s[8:9], s[6:7]
	s_cbranch_execz .LBB240_4
; %bb.3:
	s_load_dwordx2 s[20:21], s[0:1], 0x8
	s_waitcnt lgkmcnt(0)
	s_mul_i32 s22, s16, s24
	s_ashr_i32 s23, s22, 31
	s_lshl_b64 s[22:23], s[22:23], 1
	v_lshlrev_b32_e32 v1, 2, v0
	s_add_u32 s3, s20, s22
	s_addc_u32 s15, s21, s23
	s_ashr_i32 s27, s26, 31
	s_lshl_b64 s[20:21], s[26:27], 1
	s_add_u32 s20, s3, s20
	s_addc_u32 s21, s15, s21
	global_load_dword v1, v1, s[20:21]
	v_and_b32_e32 v2, 0x3fc, v0
	v_lshl_add_u32 v2, v4, 6, v2
	s_waitcnt vmcnt(0)
	ds_write_b32 v2, v1
.LBB240_4:
	s_or_b64 exec, exec, s[8:9]
	s_mul_i32 s9, s12, s10
	s_sub_i32 s9, s11, s9
	s_xor_b32 s8, s14, s13
	s_add_i32 s11, s12, 1
	s_sub_i32 s13, s9, s10
	s_load_dwordx4 s[20:23], s[0:1], 0x68
	s_load_dword s3, s[0:1], 0x78
	s_cmp_ge_u32 s9, s10
	s_cselect_b32 s11, s11, s12
	s_cselect_b32 s9, s13, s9
	s_add_i32 s12, s11, 1
	s_cmp_ge_u32 s9, s10
	s_cselect_b32 s9, s12, s11
	s_waitcnt lgkmcnt(0)
	s_abs_i32 s27, s23
	v_cvt_f32_u32_e32 v1, s27
	s_xor_b32 s9, s9, s8
	s_sub_i32 s10, s9, s8
	s_sub_i32 s8, 0, s27
	v_rcp_iflag_f32_e32 v1, v1
	s_add_i32 s12, s25, -1
	s_abs_i32 s11, s12
	v_mul_f32_e32 v1, 0x4f7ffffe, v1
	v_cvt_u32_f32_e32 v1, v1
	s_barrier
	v_readfirstlane_b32 s33, v1
	s_mul_i32 s8, s8, s33
	s_mul_hi_u32 s8, s33, s8
	s_add_i32 s33, s33, s8
	s_cmp_lt_i32 s3, 0
	s_mul_hi_u32 s16, s11, s33
	s_cbranch_scc0 .LBB240_6
; %bb.5:
	s_mul_i32 s8, s20, s38
	s_add_i32 s8, s10, s8
	s_mul_i32 s8, s8, s3
	s_sub_i32 s38, 1, s8
	s_mov_b64 s[8:9], 0
	s_branch .LBB240_7
.LBB240_6:
	s_mov_b64 s[8:9], -1
                                        ; implicit-def: $sgpr38
.LBB240_7:
	s_load_dwordx2 s[30:31], s[0:1], 0x28
	s_ashr_i32 s19, s12, 31
	s_andn2_b64 vcc, exec, s[8:9]
	s_ashr_i32 s48, s23, 31
	s_cbranch_vccnz .LBB240_9
; %bb.8:
	s_mul_i32 s8, s5, s20
	s_add_i32 s2, s8, s2
	s_mul_i32 s2, s2, s3
	s_add_i32 s38, s2, 1
.LBB240_9:
	s_load_dword s2, s[0:1], 0x38
	s_load_dwordx2 s[28:29], s[0:1], 0x0
	s_load_dwordx2 s[36:37], s[0:1], 0x18
	s_load_dword s23, s[0:1], 0x88
	s_load_dwordx4 s[12:15], s[0:1], 0x58
	s_mul_i32 s3, s16, s27
	s_waitcnt lgkmcnt(0)
	s_mul_i32 s34, s2, s24
	s_sub_i32 s3, s11, s3
	s_ashr_i32 s35, s34, 31
	s_xor_b32 s2, s19, s48
	s_add_i32 s8, s16, 1
	s_sub_i32 s9, s3, s27
	s_cmp_ge_u32 s3, s27
	s_cselect_b32 s8, s8, s16
	s_cselect_b32 s3, s9, s3
	s_add_i32 s9, s8, 1
	s_cmp_ge_u32 s3, s27
	s_cselect_b32 s3, s9, s8
	s_xor_b32 s3, s3, s2
	s_sub_i32 s16, s3, s2
	s_add_i32 s2, s25, 15
	s_ashr_i32 s3, s2, 31
	s_lshr_b32 s3, s3, 28
	s_add_i32 s2, s2, s3
	s_ashr_i32 s49, s2, 4
	v_lshrrev_b32_e32 v24, 6, v0
	v_cmp_gt_i32_e64 s[2:3], s49, v24
	v_mov_b32_e32 v13, 0xff7fffff
	s_mul_i32 s20, s10, s18
	v_lshrrev_b32_e32 v1, 4, v0
	v_lshlrev_b32_e32 v25, 4, v24
	v_mbcnt_lo_u32_b32 v10, -1, 0
	s_and_saveexec_b64 s[18:19], s[2:3]
	s_cbranch_execz .LBB240_213
; %bb.10:
	s_load_dwordx2 s[0:1], s[0:1], 0x10
	s_sub_i32 s51, s16, s21
	s_ashr_i32 s9, s20, 31
	v_bfe_u32 v11, v0, 2, 4
	v_mov_b32_e32 v3, 0
	s_waitcnt lgkmcnt(0)
	s_add_u32 s8, s0, s20
	s_addc_u32 s9, s1, s9
	s_abs_i32 s52, s22
	v_cvt_f32_u32_e32 v2, s52
	v_cmp_eq_u32_e32 vcc, 0, v4
	v_lshlrev_b32_e32 v12, 6, v4
	s_mov_b32 s53, s17
	v_rcp_iflag_f32_e32 v5, v2
	v_lshlrev_b32_e32 v2, 4, v11
	v_lshl_add_u64 v[6:7], s[8:9], 0, v[2:3]
	s_sub_i32 s8, 0, s52
	v_mul_f32_e32 v5, 0x4f7ffffe, v5
	v_cvt_u32_f32_e32 v5, v5
	v_lshlrev_b32_e32 v2, 1, v4
	v_cmp_neq_f32_e64 s[0:1], s50, 0
	v_lshlrev_b32_e32 v15, 4, v24
	v_mul_lo_u32 v4, s8, v5
	s_lshl_b64 s[8:9], s[34:35], 2
	v_mul_hi_u32 v4, v5, v4
	s_add_u32 s8, s30, s8
	v_add_u32_e32 v14, v5, v4
	v_lshl_add_u64 v[4:5], v[6:7], 0, v[2:3]
	v_and_b32_e32 v2, 60, v1
	s_addc_u32 s9, s31, s9
	v_lshl_add_u64 v[6:7], s[8:9], 0, v[2:3]
	v_subrev_u32_e32 v2, s25, v11
	v_add_u32_e32 v16, 1, v2
	v_lshlrev_b32_e32 v2, 2, v11
	v_lshl_or_b32 v2, v24, 6, v2
	v_add_u32_e32 v17, 0x110, v2
	v_mov_b32_e32 v18, 0xff7fffff
	s_mov_b64 s[40:41], 0
	s_movk_i32 s54, 0x80
	s_movk_i32 s55, 0x7f
	s_mov_b32 s56, 0x8000
	v_mov_b32_e32 v19, 0x2000
	v_mbcnt_hi_u32_b32 v20, -1, v10
	v_mov_b32_e32 v13, 0xff7fffff
	v_mov_b32_e32 v21, v24
	s_branch .LBB240_13
.LBB240_11:                             ;   in Loop: Header=BB240_13 Depth=1
	s_or_b64 exec, exec, s[42:43]
.LBB240_12:                             ;   in Loop: Header=BB240_13 Depth=1
	s_or_b64 exec, exec, s[10:11]
	v_add_u32_e32 v21, 2, v21
	v_cmp_le_i32_e64 s[8:9], s49, v21
	v_lshl_add_u64 v[6:7], v[6:7], 0, 8
	v_add_u32_e32 v15, 32, v15
	s_or_b64 s[40:41], s[8:9], s[40:41]
	v_add_u32_e32 v17, 0x80, v17
	s_andn2_b64 exec, exec, s[40:41]
	s_cbranch_execz .LBB240_212
.LBB240_13:                             ; =>This Inner Loop Header: Depth=1
	v_mul_hi_u32 v2, v15, s33
	s_waitcnt lgkmcnt(0)
	v_mul_lo_u32 v8, v2, s27
	v_sub_u32_e32 v8, v15, v8
	v_add_u32_e32 v9, 1, v2
	v_cmp_le_u32_e64 s[8:9], s27, v8
	s_nop 1
	v_cndmask_b32_e64 v2, v2, v9, s[8:9]
	v_subrev_u32_e32 v9, s27, v8
	v_cndmask_b32_e64 v8, v8, v9, s[8:9]
	v_add_u32_e32 v9, 1, v2
	v_cmp_le_u32_e64 s[8:9], s27, v8
	s_nop 1
	v_cndmask_b32_e64 v2, v2, v9, s[8:9]
	v_xor_b32_e32 v2, s48, v2
	v_subrev_u32_e32 v2, s48, v2
	v_add_u32_e32 v8, s38, v2
	v_sub_u32_e32 v22, 0, v8
	v_ashrrev_i32_e32 v9, 31, v8
	v_max_i32_e32 v8, v8, v22
	v_mul_hi_u32 v22, v8, v14
	v_mul_lo_u32 v22, v22, s52
	v_sub_u32_e32 v8, v8, v22
	v_subrev_u32_e32 v22, s52, v8
	v_cmp_le_u32_e64 s[8:9], s52, v8
	v_cmp_ge_i32_e64 s[10:11], s51, v2
	s_nop 0
	v_cndmask_b32_e64 v8, v8, v22, s[8:9]
	v_subrev_u32_e32 v22, s52, v8
	v_cmp_le_u32_e64 s[8:9], s52, v8
	s_nop 1
	v_cndmask_b32_e64 v8, v8, v22, s[8:9]
	v_xor_b32_e32 v8, v8, v9
	v_sub_u32_e32 v8, v8, v9
	v_cmp_ne_u32_e64 s[8:9], 0, v8
	s_and_b64 s[8:9], s[8:9], s[10:11]
	s_and_saveexec_b64 s[10:11], s[8:9]
	s_xor_b64 s[8:9], exec, s[10:11]
	s_cbranch_execz .LBB240_17
; %bb.14:                               ;   in Loop: Header=BB240_13 Depth=1
	s_and_saveexec_b64 s[10:11], vcc
; %bb.15:                               ;   in Loop: Header=BB240_13 Depth=1
	ds_write_b32 v17, v18
; %bb.16:                               ;   in Loop: Header=BB240_13 Depth=1
	s_or_b64 exec, exec, s[10:11]
.LBB240_17:                             ;   in Loop: Header=BB240_13 Depth=1
	s_andn2_saveexec_b64 s[10:11], s[8:9]
	s_cbranch_execz .LBB240_12
; %bb.18:                               ;   in Loop: Header=BB240_13 Depth=1
	global_load_dword v2, v[6:7], off
	v_mov_b32_e32 v23, 0
	global_load_dword v22, v23, s[12:13]
	s_waitcnt vmcnt(1)
	v_mad_i64_i32 v[8:9], s[8:9], v2, s53, v[4:5]
	global_load_ushort v26, v[8:9], off
	s_waitcnt vmcnt(0)
	v_and_b32_e32 v2, 0xffff, v26
	v_cmp_ne_u16_sdwa s[8:9], v26, v3 src0_sel:BYTE_0 src1_sel:DWORD
	v_mov_b32_e32 v26, 0
	s_and_saveexec_b64 s[42:43], s[8:9]
	s_cbranch_execz .LBB240_24
; %bb.19:                               ;   in Loop: Header=BB240_13 Depth=1
	v_cmp_ne_u16_sdwa s[8:9], v2, s54 src0_sel:BYTE_0 src1_sel:DWORD
	v_mov_b32_e32 v26, 0x8000
	s_and_saveexec_b64 s[44:45], s[8:9]
	s_cbranch_execz .LBB240_23
; %bb.20:                               ;   in Loop: Header=BB240_13 Depth=1
	v_and_b32_e32 v27, 0x7f, v2
	v_cmp_ne_u32_e64 s[8:9], s55, v27
	v_mov_b32_e32 v26, 0x7c01
	s_and_saveexec_b64 s[46:47], s[8:9]
	s_cbranch_execz .LBB240_22
; %bb.21:                               ;   in Loop: Header=BB240_13 Depth=1
	v_and_b32_e32 v26, 7, v2
	v_ffbh_u32_e32 v28, v26
	v_min_u32_e32 v31, 32, v28
	v_subrev_u32_e32 v28, 28, v31
	v_lshlrev_b64 v[28:29], v28, v[2:3]
	v_lshrrev_b32_e32 v30, 3, v27
	v_sub_u32_e32 v29, 29, v31
	v_cmp_gt_u32_e64 s[8:9], 8, v27
	v_and_b32_e32 v28, 7, v28
	s_nop 0
	v_cndmask_b32_e64 v27, v30, v29, s[8:9]
	v_lshl_add_u32 v27, v27, 10, v19
	v_lshlrev_b32_e32 v29, 8, v2
	v_and_b32_e32 v27, 0xfc00, v27
	v_cndmask_b32_e64 v26, v26, v28, s[8:9]
	v_and_or_b32 v27, v29, s56, v27
	v_lshl_or_b32 v26, v26, 7, v27
.LBB240_22:                             ;   in Loop: Header=BB240_13 Depth=1
	s_or_b64 exec, exec, s[46:47]
.LBB240_23:                             ;   in Loop: Header=BB240_13 Depth=1
	s_or_b64 exec, exec, s[44:45]
.LBB240_24:                             ;   in Loop: Header=BB240_13 Depth=1
	s_or_b64 exec, exec, s[42:43]
	v_lshrrev_b16_e32 v2, 8, v2
	v_cmp_ne_u16_e64 s[8:9], 0, v2
	s_and_saveexec_b64 s[42:43], s[8:9]
	s_cbranch_execz .LBB240_30
; %bb.25:                               ;   in Loop: Header=BB240_13 Depth=1
	v_cmp_ne_u16_e64 s[8:9], s54, v2
	v_bfrev_b32_e32 v23, 1
	s_and_saveexec_b64 s[44:45], s[8:9]
	s_cbranch_execz .LBB240_29
; %bb.26:                               ;   in Loop: Header=BB240_13 Depth=1
	v_and_b32_e32 v27, 0x7f, v2
	v_cmp_ne_u32_e64 s[8:9], s55, v27
	v_mov_b32_e32 v23, 0x7c010000
	s_and_saveexec_b64 s[46:47], s[8:9]
	s_cbranch_execz .LBB240_28
; %bb.27:                               ;   in Loop: Header=BB240_13 Depth=1
	v_and_b32_e32 v23, 7, v2
	v_ffbh_u32_e32 v28, v23
	v_min_u32_e32 v31, 32, v28
	v_subrev_u32_e32 v28, 28, v31
	v_lshlrev_b64 v[28:29], v28, v[2:3]
	v_lshrrev_b32_e32 v30, 3, v27
	v_sub_u32_e32 v29, 29, v31
	v_cmp_gt_u32_e64 s[8:9], 8, v27
	v_lshlrev_b32_e32 v2, 8, v2
	v_and_b32_e32 v28, 7, v28
	v_cndmask_b32_e64 v27, v30, v29, s[8:9]
	v_lshl_add_u32 v27, v27, 10, v19
	v_and_or_b32 v2, v2, s56, v27
	v_cndmask_b32_e64 v23, v23, v28, s[8:9]
	v_lshlrev_b32_e32 v2, 16, v2
	v_lshl_or_b32 v23, v23, 23, v2
.LBB240_28:                             ;   in Loop: Header=BB240_13 Depth=1
	s_or_b64 exec, exec, s[46:47]
.LBB240_29:                             ;   in Loop: Header=BB240_13 Depth=1
	s_or_b64 exec, exec, s[44:45]
.LBB240_30:                             ;   in Loop: Header=BB240_13 Depth=1
	s_or_b64 exec, exec, s[42:43]
	global_load_ushort v28, v[8:9], off offset:8
	v_mov_b32_e32 v27, 0
	s_waitcnt vmcnt(0)
	v_and_b32_e32 v2, 0xffff, v28
	v_cmp_ne_u16_sdwa s[8:9], v28, v3 src0_sel:BYTE_0 src1_sel:DWORD
	v_mov_b32_e32 v28, 0
	s_and_saveexec_b64 s[42:43], s[8:9]
	s_cbranch_execz .LBB240_36
; %bb.31:                               ;   in Loop: Header=BB240_13 Depth=1
	v_cmp_ne_u16_sdwa s[8:9], v2, s54 src0_sel:BYTE_0 src1_sel:DWORD
	v_mov_b32_e32 v28, 0x8000
	s_and_saveexec_b64 s[44:45], s[8:9]
	s_cbranch_execz .LBB240_35
; %bb.32:                               ;   in Loop: Header=BB240_13 Depth=1
	v_and_b32_e32 v29, 0x7f, v2
	v_cmp_ne_u32_e64 s[8:9], s55, v29
	v_mov_b32_e32 v28, 0x7c01
	s_and_saveexec_b64 s[46:47], s[8:9]
	s_cbranch_execz .LBB240_34
; %bb.33:                               ;   in Loop: Header=BB240_13 Depth=1
	v_and_b32_e32 v28, 7, v2
	v_ffbh_u32_e32 v30, v28
	v_min_u32_e32 v33, 32, v30
	v_subrev_u32_e32 v30, 28, v33
	v_lshlrev_b64 v[30:31], v30, v[2:3]
	v_lshrrev_b32_e32 v32, 3, v29
	v_sub_u32_e32 v31, 29, v33
	v_cmp_gt_u32_e64 s[8:9], 8, v29
	v_and_b32_e32 v30, 7, v30
	s_nop 0
	v_cndmask_b32_e64 v29, v32, v31, s[8:9]
	v_lshl_add_u32 v29, v29, 10, v19
	v_lshlrev_b32_e32 v31, 8, v2
	v_and_b32_e32 v29, 0xfc00, v29
	v_cndmask_b32_e64 v28, v28, v30, s[8:9]
	v_and_or_b32 v29, v31, s56, v29
	v_lshl_or_b32 v28, v28, 7, v29
.LBB240_34:                             ;   in Loop: Header=BB240_13 Depth=1
	s_or_b64 exec, exec, s[46:47]
.LBB240_35:                             ;   in Loop: Header=BB240_13 Depth=1
	s_or_b64 exec, exec, s[44:45]
.LBB240_36:                             ;   in Loop: Header=BB240_13 Depth=1
	s_or_b64 exec, exec, s[42:43]
	v_lshrrev_b16_e32 v2, 8, v2
	v_cmp_ne_u16_e64 s[8:9], 0, v2
	s_and_saveexec_b64 s[42:43], s[8:9]
	s_cbranch_execz .LBB240_42
; %bb.37:                               ;   in Loop: Header=BB240_13 Depth=1
	v_cmp_ne_u16_e64 s[8:9], s54, v2
	v_bfrev_b32_e32 v27, 1
	s_and_saveexec_b64 s[44:45], s[8:9]
	s_cbranch_execz .LBB240_41
; %bb.38:                               ;   in Loop: Header=BB240_13 Depth=1
	v_and_b32_e32 v29, 0x7f, v2
	v_cmp_ne_u32_e64 s[8:9], s55, v29
	v_mov_b32_e32 v27, 0x7c010000
	s_and_saveexec_b64 s[46:47], s[8:9]
	s_cbranch_execz .LBB240_40
; %bb.39:                               ;   in Loop: Header=BB240_13 Depth=1
	v_and_b32_e32 v27, 7, v2
	v_ffbh_u32_e32 v30, v27
	v_min_u32_e32 v33, 32, v30
	v_subrev_u32_e32 v30, 28, v33
	v_lshlrev_b64 v[30:31], v30, v[2:3]
	v_lshrrev_b32_e32 v32, 3, v29
	v_sub_u32_e32 v31, 29, v33
	v_cmp_gt_u32_e64 s[8:9], 8, v29
	v_lshlrev_b32_e32 v2, 8, v2
	v_and_b32_e32 v30, 7, v30
	v_cndmask_b32_e64 v29, v32, v31, s[8:9]
	v_lshl_add_u32 v29, v29, 10, v19
	v_and_or_b32 v2, v2, s56, v29
	v_cndmask_b32_e64 v27, v27, v30, s[8:9]
	v_lshlrev_b32_e32 v2, 16, v2
	v_lshl_or_b32 v27, v27, 23, v2
.LBB240_40:                             ;   in Loop: Header=BB240_13 Depth=1
	s_or_b64 exec, exec, s[46:47]
.LBB240_41:                             ;   in Loop: Header=BB240_13 Depth=1
	s_or_b64 exec, exec, s[44:45]
.LBB240_42:                             ;   in Loop: Header=BB240_13 Depth=1
	s_or_b64 exec, exec, s[42:43]
	global_load_ushort v30, v[8:9], off offset:256
	v_mov_b32_e32 v29, 0
	s_waitcnt vmcnt(0)
	v_and_b32_e32 v2, 0xffff, v30
	v_cmp_ne_u16_sdwa s[8:9], v30, v3 src0_sel:BYTE_0 src1_sel:DWORD
	v_mov_b32_e32 v30, 0
	s_and_saveexec_b64 s[42:43], s[8:9]
	s_cbranch_execz .LBB240_48
; %bb.43:                               ;   in Loop: Header=BB240_13 Depth=1
	v_cmp_ne_u16_sdwa s[8:9], v2, s54 src0_sel:BYTE_0 src1_sel:DWORD
	v_mov_b32_e32 v30, 0x8000
	s_and_saveexec_b64 s[44:45], s[8:9]
	s_cbranch_execz .LBB240_47
; %bb.44:                               ;   in Loop: Header=BB240_13 Depth=1
	v_and_b32_e32 v31, 0x7f, v2
	v_cmp_ne_u32_e64 s[8:9], s55, v31
	v_mov_b32_e32 v30, 0x7c01
	s_and_saveexec_b64 s[46:47], s[8:9]
	s_cbranch_execz .LBB240_46
; %bb.45:                               ;   in Loop: Header=BB240_13 Depth=1
	v_and_b32_e32 v30, 7, v2
	v_ffbh_u32_e32 v32, v30
	v_min_u32_e32 v35, 32, v32
	v_subrev_u32_e32 v32, 28, v35
	v_lshlrev_b64 v[32:33], v32, v[2:3]
	v_lshrrev_b32_e32 v34, 3, v31
	v_sub_u32_e32 v33, 29, v35
	v_cmp_gt_u32_e64 s[8:9], 8, v31
	v_and_b32_e32 v32, 7, v32
	s_nop 0
	v_cndmask_b32_e64 v31, v34, v33, s[8:9]
	v_lshl_add_u32 v31, v31, 10, v19
	v_lshlrev_b32_e32 v33, 8, v2
	v_and_b32_e32 v31, 0xfc00, v31
	v_cndmask_b32_e64 v30, v30, v32, s[8:9]
	v_and_or_b32 v31, v33, s56, v31
	v_lshl_or_b32 v30, v30, 7, v31
.LBB240_46:                             ;   in Loop: Header=BB240_13 Depth=1
	s_or_b64 exec, exec, s[46:47]
.LBB240_47:                             ;   in Loop: Header=BB240_13 Depth=1
	s_or_b64 exec, exec, s[44:45]
.LBB240_48:                             ;   in Loop: Header=BB240_13 Depth=1
	s_or_b64 exec, exec, s[42:43]
	v_lshrrev_b16_e32 v2, 8, v2
	v_cmp_ne_u16_e64 s[8:9], 0, v2
	s_and_saveexec_b64 s[42:43], s[8:9]
	s_cbranch_execz .LBB240_54
; %bb.49:                               ;   in Loop: Header=BB240_13 Depth=1
	v_cmp_ne_u16_e64 s[8:9], s54, v2
	v_bfrev_b32_e32 v29, 1
	s_and_saveexec_b64 s[44:45], s[8:9]
	s_cbranch_execz .LBB240_53
; %bb.50:                               ;   in Loop: Header=BB240_13 Depth=1
	v_and_b32_e32 v31, 0x7f, v2
	v_cmp_ne_u32_e64 s[8:9], s55, v31
	v_mov_b32_e32 v29, 0x7c010000
	s_and_saveexec_b64 s[46:47], s[8:9]
	s_cbranch_execz .LBB240_52
; %bb.51:                               ;   in Loop: Header=BB240_13 Depth=1
	v_and_b32_e32 v29, 7, v2
	v_ffbh_u32_e32 v32, v29
	v_min_u32_e32 v35, 32, v32
	v_subrev_u32_e32 v32, 28, v35
	v_lshlrev_b64 v[32:33], v32, v[2:3]
	v_lshrrev_b32_e32 v34, 3, v31
	v_sub_u32_e32 v33, 29, v35
	v_cmp_gt_u32_e64 s[8:9], 8, v31
	v_lshlrev_b32_e32 v2, 8, v2
	v_and_b32_e32 v32, 7, v32
	v_cndmask_b32_e64 v31, v34, v33, s[8:9]
	v_lshl_add_u32 v31, v31, 10, v19
	v_and_or_b32 v2, v2, s56, v31
	v_cndmask_b32_e64 v29, v29, v32, s[8:9]
	v_lshlrev_b32_e32 v2, 16, v2
	v_lshl_or_b32 v29, v29, 23, v2
.LBB240_52:                             ;   in Loop: Header=BB240_13 Depth=1
	s_or_b64 exec, exec, s[46:47]
.LBB240_53:                             ;   in Loop: Header=BB240_13 Depth=1
	s_or_b64 exec, exec, s[44:45]
.LBB240_54:                             ;   in Loop: Header=BB240_13 Depth=1
	s_or_b64 exec, exec, s[42:43]
	global_load_ushort v32, v[8:9], off offset:264
	v_mov_b32_e32 v31, 0
	s_waitcnt vmcnt(0)
	v_and_b32_e32 v2, 0xffff, v32
	v_cmp_ne_u16_sdwa s[8:9], v32, v3 src0_sel:BYTE_0 src1_sel:DWORD
	v_mov_b32_e32 v32, 0
	s_and_saveexec_b64 s[42:43], s[8:9]
	s_cbranch_execz .LBB240_60
; %bb.55:                               ;   in Loop: Header=BB240_13 Depth=1
	v_cmp_ne_u16_sdwa s[8:9], v2, s54 src0_sel:BYTE_0 src1_sel:DWORD
	v_mov_b32_e32 v32, 0x8000
	s_and_saveexec_b64 s[44:45], s[8:9]
	s_cbranch_execz .LBB240_59
; %bb.56:                               ;   in Loop: Header=BB240_13 Depth=1
	v_and_b32_e32 v33, 0x7f, v2
	v_cmp_ne_u32_e64 s[8:9], s55, v33
	v_mov_b32_e32 v32, 0x7c01
	s_and_saveexec_b64 s[46:47], s[8:9]
	s_cbranch_execz .LBB240_58
; %bb.57:                               ;   in Loop: Header=BB240_13 Depth=1
	v_and_b32_e32 v32, 7, v2
	v_ffbh_u32_e32 v34, v32
	v_min_u32_e32 v37, 32, v34
	v_subrev_u32_e32 v34, 28, v37
	v_lshlrev_b64 v[34:35], v34, v[2:3]
	v_lshrrev_b32_e32 v36, 3, v33
	v_sub_u32_e32 v35, 29, v37
	v_cmp_gt_u32_e64 s[8:9], 8, v33
	v_and_b32_e32 v34, 7, v34
	s_nop 0
	v_cndmask_b32_e64 v33, v36, v35, s[8:9]
	v_lshl_add_u32 v33, v33, 10, v19
	v_lshlrev_b32_e32 v35, 8, v2
	v_and_b32_e32 v33, 0xfc00, v33
	v_cndmask_b32_e64 v32, v32, v34, s[8:9]
	v_and_or_b32 v33, v35, s56, v33
	v_lshl_or_b32 v32, v32, 7, v33
.LBB240_58:                             ;   in Loop: Header=BB240_13 Depth=1
	s_or_b64 exec, exec, s[46:47]
.LBB240_59:                             ;   in Loop: Header=BB240_13 Depth=1
	s_or_b64 exec, exec, s[44:45]
.LBB240_60:                             ;   in Loop: Header=BB240_13 Depth=1
	s_or_b64 exec, exec, s[42:43]
	v_lshrrev_b16_e32 v2, 8, v2
	v_cmp_ne_u16_e64 s[8:9], 0, v2
	s_and_saveexec_b64 s[42:43], s[8:9]
	s_cbranch_execz .LBB240_66
; %bb.61:                               ;   in Loop: Header=BB240_13 Depth=1
	v_cmp_ne_u16_e64 s[8:9], s54, v2
	v_bfrev_b32_e32 v31, 1
	s_and_saveexec_b64 s[44:45], s[8:9]
	s_cbranch_execz .LBB240_65
; %bb.62:                               ;   in Loop: Header=BB240_13 Depth=1
	v_and_b32_e32 v33, 0x7f, v2
	v_cmp_ne_u32_e64 s[8:9], s55, v33
	v_mov_b32_e32 v31, 0x7c010000
	s_and_saveexec_b64 s[46:47], s[8:9]
	s_cbranch_execz .LBB240_64
; %bb.63:                               ;   in Loop: Header=BB240_13 Depth=1
	v_and_b32_e32 v31, 7, v2
	v_ffbh_u32_e32 v34, v31
	v_min_u32_e32 v37, 32, v34
	v_subrev_u32_e32 v34, 28, v37
	v_lshlrev_b64 v[34:35], v34, v[2:3]
	v_lshrrev_b32_e32 v36, 3, v33
	v_sub_u32_e32 v35, 29, v37
	v_cmp_gt_u32_e64 s[8:9], 8, v33
	v_lshlrev_b32_e32 v2, 8, v2
	v_and_b32_e32 v34, 7, v34
	v_cndmask_b32_e64 v33, v36, v35, s[8:9]
	v_lshl_add_u32 v33, v33, 10, v19
	v_and_or_b32 v2, v2, s56, v33
	v_cndmask_b32_e64 v31, v31, v34, s[8:9]
	v_lshlrev_b32_e32 v2, 16, v2
	v_lshl_or_b32 v31, v31, 23, v2
.LBB240_64:                             ;   in Loop: Header=BB240_13 Depth=1
	s_or_b64 exec, exec, s[46:47]
.LBB240_65:                             ;   in Loop: Header=BB240_13 Depth=1
	s_or_b64 exec, exec, s[44:45]
.LBB240_66:                             ;   in Loop: Header=BB240_13 Depth=1
	s_or_b64 exec, exec, s[42:43]
	global_load_ushort v34, v[8:9], off offset:512
	v_mov_b32_e32 v33, 0
	s_waitcnt vmcnt(0)
	v_and_b32_e32 v2, 0xffff, v34
	v_cmp_ne_u16_sdwa s[8:9], v34, v3 src0_sel:BYTE_0 src1_sel:DWORD
	v_mov_b32_e32 v34, 0
	s_and_saveexec_b64 s[42:43], s[8:9]
	s_cbranch_execz .LBB240_72
; %bb.67:                               ;   in Loop: Header=BB240_13 Depth=1
	v_cmp_ne_u16_sdwa s[8:9], v2, s54 src0_sel:BYTE_0 src1_sel:DWORD
	v_mov_b32_e32 v34, 0x8000
	s_and_saveexec_b64 s[44:45], s[8:9]
	s_cbranch_execz .LBB240_71
; %bb.68:                               ;   in Loop: Header=BB240_13 Depth=1
	v_and_b32_e32 v35, 0x7f, v2
	v_cmp_ne_u32_e64 s[8:9], s55, v35
	v_mov_b32_e32 v34, 0x7c01
	s_and_saveexec_b64 s[46:47], s[8:9]
	s_cbranch_execz .LBB240_70
; %bb.69:                               ;   in Loop: Header=BB240_13 Depth=1
	v_and_b32_e32 v34, 7, v2
	v_ffbh_u32_e32 v36, v34
	v_min_u32_e32 v39, 32, v36
	v_subrev_u32_e32 v36, 28, v39
	v_lshlrev_b64 v[36:37], v36, v[2:3]
	v_lshrrev_b32_e32 v38, 3, v35
	v_sub_u32_e32 v37, 29, v39
	v_cmp_gt_u32_e64 s[8:9], 8, v35
	v_and_b32_e32 v36, 7, v36
	s_nop 0
	v_cndmask_b32_e64 v35, v38, v37, s[8:9]
	v_lshl_add_u32 v35, v35, 10, v19
	v_lshlrev_b32_e32 v37, 8, v2
	v_and_b32_e32 v35, 0xfc00, v35
	v_cndmask_b32_e64 v34, v34, v36, s[8:9]
	v_and_or_b32 v35, v37, s56, v35
	v_lshl_or_b32 v34, v34, 7, v35
.LBB240_70:                             ;   in Loop: Header=BB240_13 Depth=1
	s_or_b64 exec, exec, s[46:47]
.LBB240_71:                             ;   in Loop: Header=BB240_13 Depth=1
	s_or_b64 exec, exec, s[44:45]
.LBB240_72:                             ;   in Loop: Header=BB240_13 Depth=1
	s_or_b64 exec, exec, s[42:43]
	v_lshrrev_b16_e32 v2, 8, v2
	v_cmp_ne_u16_e64 s[8:9], 0, v2
	s_and_saveexec_b64 s[42:43], s[8:9]
	s_cbranch_execz .LBB240_78
; %bb.73:                               ;   in Loop: Header=BB240_13 Depth=1
	v_cmp_ne_u16_e64 s[8:9], s54, v2
	v_bfrev_b32_e32 v33, 1
	s_and_saveexec_b64 s[44:45], s[8:9]
	s_cbranch_execz .LBB240_77
; %bb.74:                               ;   in Loop: Header=BB240_13 Depth=1
	v_and_b32_e32 v35, 0x7f, v2
	v_cmp_ne_u32_e64 s[8:9], s55, v35
	v_mov_b32_e32 v33, 0x7c010000
	s_and_saveexec_b64 s[46:47], s[8:9]
	s_cbranch_execz .LBB240_76
; %bb.75:                               ;   in Loop: Header=BB240_13 Depth=1
	v_and_b32_e32 v33, 7, v2
	v_ffbh_u32_e32 v36, v33
	v_min_u32_e32 v39, 32, v36
	v_subrev_u32_e32 v36, 28, v39
	v_lshlrev_b64 v[36:37], v36, v[2:3]
	v_lshrrev_b32_e32 v38, 3, v35
	v_sub_u32_e32 v37, 29, v39
	v_cmp_gt_u32_e64 s[8:9], 8, v35
	v_lshlrev_b32_e32 v2, 8, v2
	v_and_b32_e32 v36, 7, v36
	v_cndmask_b32_e64 v35, v38, v37, s[8:9]
	v_lshl_add_u32 v35, v35, 10, v19
	v_and_or_b32 v2, v2, s56, v35
	v_cndmask_b32_e64 v33, v33, v36, s[8:9]
	v_lshlrev_b32_e32 v2, 16, v2
	v_lshl_or_b32 v33, v33, 23, v2
.LBB240_76:                             ;   in Loop: Header=BB240_13 Depth=1
	s_or_b64 exec, exec, s[46:47]
.LBB240_77:                             ;   in Loop: Header=BB240_13 Depth=1
	s_or_b64 exec, exec, s[44:45]
.LBB240_78:                             ;   in Loop: Header=BB240_13 Depth=1
	s_or_b64 exec, exec, s[42:43]
	global_load_ushort v36, v[8:9], off offset:520
	v_mov_b32_e32 v35, 0
	s_waitcnt vmcnt(0)
	v_and_b32_e32 v2, 0xffff, v36
	v_cmp_ne_u16_sdwa s[8:9], v36, v3 src0_sel:BYTE_0 src1_sel:DWORD
	v_mov_b32_e32 v36, 0
	s_and_saveexec_b64 s[42:43], s[8:9]
	s_cbranch_execz .LBB240_84
; %bb.79:                               ;   in Loop: Header=BB240_13 Depth=1
	v_cmp_ne_u16_sdwa s[8:9], v2, s54 src0_sel:BYTE_0 src1_sel:DWORD
	v_mov_b32_e32 v36, 0x8000
	s_and_saveexec_b64 s[44:45], s[8:9]
	s_cbranch_execz .LBB240_83
; %bb.80:                               ;   in Loop: Header=BB240_13 Depth=1
	v_and_b32_e32 v37, 0x7f, v2
	v_cmp_ne_u32_e64 s[8:9], s55, v37
	v_mov_b32_e32 v36, 0x7c01
	s_and_saveexec_b64 s[46:47], s[8:9]
	s_cbranch_execz .LBB240_82
; %bb.81:                               ;   in Loop: Header=BB240_13 Depth=1
	v_and_b32_e32 v36, 7, v2
	v_ffbh_u32_e32 v38, v36
	v_min_u32_e32 v41, 32, v38
	v_subrev_u32_e32 v38, 28, v41
	v_lshlrev_b64 v[38:39], v38, v[2:3]
	v_lshrrev_b32_e32 v40, 3, v37
	v_sub_u32_e32 v39, 29, v41
	v_cmp_gt_u32_e64 s[8:9], 8, v37
	v_and_b32_e32 v38, 7, v38
	s_nop 0
	v_cndmask_b32_e64 v37, v40, v39, s[8:9]
	v_lshl_add_u32 v37, v37, 10, v19
	v_lshlrev_b32_e32 v39, 8, v2
	v_and_b32_e32 v37, 0xfc00, v37
	v_cndmask_b32_e64 v36, v36, v38, s[8:9]
	v_and_or_b32 v37, v39, s56, v37
	v_lshl_or_b32 v36, v36, 7, v37
.LBB240_82:                             ;   in Loop: Header=BB240_13 Depth=1
	s_or_b64 exec, exec, s[46:47]
.LBB240_83:                             ;   in Loop: Header=BB240_13 Depth=1
	s_or_b64 exec, exec, s[44:45]
.LBB240_84:                             ;   in Loop: Header=BB240_13 Depth=1
	s_or_b64 exec, exec, s[42:43]
	v_lshrrev_b16_e32 v2, 8, v2
	v_cmp_ne_u16_e64 s[8:9], 0, v2
	s_and_saveexec_b64 s[42:43], s[8:9]
	s_cbranch_execz .LBB240_90
; %bb.85:                               ;   in Loop: Header=BB240_13 Depth=1
	v_cmp_ne_u16_e64 s[8:9], s54, v2
	v_bfrev_b32_e32 v35, 1
	s_and_saveexec_b64 s[44:45], s[8:9]
	s_cbranch_execz .LBB240_89
; %bb.86:                               ;   in Loop: Header=BB240_13 Depth=1
	v_and_b32_e32 v37, 0x7f, v2
	v_cmp_ne_u32_e64 s[8:9], s55, v37
	v_mov_b32_e32 v35, 0x7c010000
	s_and_saveexec_b64 s[46:47], s[8:9]
	s_cbranch_execz .LBB240_88
; %bb.87:                               ;   in Loop: Header=BB240_13 Depth=1
	v_and_b32_e32 v35, 7, v2
	v_ffbh_u32_e32 v38, v35
	v_min_u32_e32 v41, 32, v38
	v_subrev_u32_e32 v38, 28, v41
	v_lshlrev_b64 v[38:39], v38, v[2:3]
	v_lshrrev_b32_e32 v40, 3, v37
	v_sub_u32_e32 v39, 29, v41
	v_cmp_gt_u32_e64 s[8:9], 8, v37
	v_lshlrev_b32_e32 v2, 8, v2
	v_and_b32_e32 v38, 7, v38
	v_cndmask_b32_e64 v37, v40, v39, s[8:9]
	v_lshl_add_u32 v37, v37, 10, v19
	v_and_or_b32 v2, v2, s56, v37
	v_cndmask_b32_e64 v35, v35, v38, s[8:9]
	v_lshlrev_b32_e32 v2, 16, v2
	v_lshl_or_b32 v35, v35, 23, v2
.LBB240_88:                             ;   in Loop: Header=BB240_13 Depth=1
	s_or_b64 exec, exec, s[46:47]
.LBB240_89:                             ;   in Loop: Header=BB240_13 Depth=1
	s_or_b64 exec, exec, s[44:45]
.LBB240_90:                             ;   in Loop: Header=BB240_13 Depth=1
	s_or_b64 exec, exec, s[42:43]
	global_load_ushort v38, v[8:9], off offset:768
	v_mov_b32_e32 v37, 0
	s_waitcnt vmcnt(0)
	v_and_b32_e32 v2, 0xffff, v38
	v_cmp_ne_u16_sdwa s[8:9], v38, v3 src0_sel:BYTE_0 src1_sel:DWORD
	v_mov_b32_e32 v38, 0
	s_and_saveexec_b64 s[42:43], s[8:9]
	s_cbranch_execz .LBB240_96
; %bb.91:                               ;   in Loop: Header=BB240_13 Depth=1
	v_cmp_ne_u16_sdwa s[8:9], v2, s54 src0_sel:BYTE_0 src1_sel:DWORD
	v_mov_b32_e32 v38, 0x8000
	s_and_saveexec_b64 s[44:45], s[8:9]
	s_cbranch_execz .LBB240_95
; %bb.92:                               ;   in Loop: Header=BB240_13 Depth=1
	v_and_b32_e32 v39, 0x7f, v2
	v_cmp_ne_u32_e64 s[8:9], s55, v39
	v_mov_b32_e32 v38, 0x7c01
	s_and_saveexec_b64 s[46:47], s[8:9]
	s_cbranch_execz .LBB240_94
; %bb.93:                               ;   in Loop: Header=BB240_13 Depth=1
	v_and_b32_e32 v38, 7, v2
	v_ffbh_u32_e32 v40, v38
	v_min_u32_e32 v43, 32, v40
	v_subrev_u32_e32 v40, 28, v43
	v_lshlrev_b64 v[40:41], v40, v[2:3]
	v_lshrrev_b32_e32 v42, 3, v39
	v_sub_u32_e32 v41, 29, v43
	v_cmp_gt_u32_e64 s[8:9], 8, v39
	v_and_b32_e32 v40, 7, v40
	s_nop 0
	v_cndmask_b32_e64 v39, v42, v41, s[8:9]
	v_lshl_add_u32 v39, v39, 10, v19
	v_lshlrev_b32_e32 v41, 8, v2
	v_and_b32_e32 v39, 0xfc00, v39
	v_cndmask_b32_e64 v38, v38, v40, s[8:9]
	v_and_or_b32 v39, v41, s56, v39
	v_lshl_or_b32 v38, v38, 7, v39
.LBB240_94:                             ;   in Loop: Header=BB240_13 Depth=1
	s_or_b64 exec, exec, s[46:47]
.LBB240_95:                             ;   in Loop: Header=BB240_13 Depth=1
	s_or_b64 exec, exec, s[44:45]
.LBB240_96:                             ;   in Loop: Header=BB240_13 Depth=1
	s_or_b64 exec, exec, s[42:43]
	v_lshrrev_b16_e32 v2, 8, v2
	v_cmp_ne_u16_e64 s[8:9], 0, v2
	s_and_saveexec_b64 s[42:43], s[8:9]
	s_cbranch_execz .LBB240_102
; %bb.97:                               ;   in Loop: Header=BB240_13 Depth=1
	v_cmp_ne_u16_e64 s[8:9], s54, v2
	v_bfrev_b32_e32 v37, 1
	s_and_saveexec_b64 s[44:45], s[8:9]
	s_cbranch_execz .LBB240_101
; %bb.98:                               ;   in Loop: Header=BB240_13 Depth=1
	v_and_b32_e32 v39, 0x7f, v2
	v_cmp_ne_u32_e64 s[8:9], s55, v39
	v_mov_b32_e32 v37, 0x7c010000
	s_and_saveexec_b64 s[46:47], s[8:9]
	s_cbranch_execz .LBB240_100
; %bb.99:                               ;   in Loop: Header=BB240_13 Depth=1
	v_and_b32_e32 v37, 7, v2
	v_ffbh_u32_e32 v40, v37
	v_min_u32_e32 v43, 32, v40
	v_subrev_u32_e32 v40, 28, v43
	v_lshlrev_b64 v[40:41], v40, v[2:3]
	v_lshrrev_b32_e32 v42, 3, v39
	v_sub_u32_e32 v41, 29, v43
	v_cmp_gt_u32_e64 s[8:9], 8, v39
	v_lshlrev_b32_e32 v2, 8, v2
	v_and_b32_e32 v40, 7, v40
	v_cndmask_b32_e64 v39, v42, v41, s[8:9]
	v_lshl_add_u32 v39, v39, 10, v19
	v_and_or_b32 v2, v2, s56, v39
	v_cndmask_b32_e64 v37, v37, v40, s[8:9]
	v_lshlrev_b32_e32 v2, 16, v2
	v_lshl_or_b32 v37, v37, 23, v2
.LBB240_100:                            ;   in Loop: Header=BB240_13 Depth=1
	s_or_b64 exec, exec, s[46:47]
.LBB240_101:                            ;   in Loop: Header=BB240_13 Depth=1
	s_or_b64 exec, exec, s[44:45]
.LBB240_102:                            ;   in Loop: Header=BB240_13 Depth=1
	s_or_b64 exec, exec, s[42:43]
	global_load_ushort v40, v[8:9], off offset:776
	v_mov_b32_e32 v39, 0
	s_waitcnt vmcnt(0)
	v_and_b32_e32 v2, 0xffff, v40
	v_cmp_ne_u16_sdwa s[8:9], v40, v3 src0_sel:BYTE_0 src1_sel:DWORD
	v_mov_b32_e32 v40, 0
	s_and_saveexec_b64 s[42:43], s[8:9]
	s_cbranch_execz .LBB240_108
; %bb.103:                              ;   in Loop: Header=BB240_13 Depth=1
	v_cmp_ne_u16_sdwa s[8:9], v2, s54 src0_sel:BYTE_0 src1_sel:DWORD
	v_mov_b32_e32 v40, 0x8000
	s_and_saveexec_b64 s[44:45], s[8:9]
	s_cbranch_execz .LBB240_107
; %bb.104:                              ;   in Loop: Header=BB240_13 Depth=1
	v_and_b32_e32 v41, 0x7f, v2
	v_cmp_ne_u32_e64 s[8:9], s55, v41
	v_mov_b32_e32 v40, 0x7c01
	s_and_saveexec_b64 s[46:47], s[8:9]
	s_cbranch_execz .LBB240_106
; %bb.105:                              ;   in Loop: Header=BB240_13 Depth=1
	v_and_b32_e32 v40, 7, v2
	v_ffbh_u32_e32 v42, v40
	v_min_u32_e32 v45, 32, v42
	v_subrev_u32_e32 v42, 28, v45
	v_lshlrev_b64 v[42:43], v42, v[2:3]
	v_lshrrev_b32_e32 v44, 3, v41
	v_sub_u32_e32 v43, 29, v45
	v_cmp_gt_u32_e64 s[8:9], 8, v41
	v_and_b32_e32 v42, 7, v42
	s_nop 0
	v_cndmask_b32_e64 v41, v44, v43, s[8:9]
	v_lshl_add_u32 v41, v41, 10, v19
	v_lshlrev_b32_e32 v43, 8, v2
	v_and_b32_e32 v41, 0xfc00, v41
	v_cndmask_b32_e64 v40, v40, v42, s[8:9]
	v_and_or_b32 v41, v43, s56, v41
	v_lshl_or_b32 v40, v40, 7, v41
.LBB240_106:                            ;   in Loop: Header=BB240_13 Depth=1
	s_or_b64 exec, exec, s[46:47]
.LBB240_107:                            ;   in Loop: Header=BB240_13 Depth=1
	s_or_b64 exec, exec, s[44:45]
.LBB240_108:                            ;   in Loop: Header=BB240_13 Depth=1
	s_or_b64 exec, exec, s[42:43]
	v_lshrrev_b16_e32 v2, 8, v2
	v_cmp_ne_u16_e64 s[8:9], 0, v2
	s_and_saveexec_b64 s[42:43], s[8:9]
	s_cbranch_execz .LBB240_114
; %bb.109:                              ;   in Loop: Header=BB240_13 Depth=1
	v_cmp_ne_u16_e64 s[8:9], s54, v2
	v_bfrev_b32_e32 v39, 1
	s_and_saveexec_b64 s[44:45], s[8:9]
	s_cbranch_execz .LBB240_113
; %bb.110:                              ;   in Loop: Header=BB240_13 Depth=1
	v_and_b32_e32 v41, 0x7f, v2
	v_cmp_ne_u32_e64 s[8:9], s55, v41
	v_mov_b32_e32 v39, 0x7c010000
	s_and_saveexec_b64 s[46:47], s[8:9]
	s_cbranch_execz .LBB240_112
; %bb.111:                              ;   in Loop: Header=BB240_13 Depth=1
	v_and_b32_e32 v39, 7, v2
	v_ffbh_u32_e32 v42, v39
	v_min_u32_e32 v45, 32, v42
	v_subrev_u32_e32 v42, 28, v45
	v_lshlrev_b64 v[42:43], v42, v[2:3]
	v_lshrrev_b32_e32 v44, 3, v41
	v_sub_u32_e32 v43, 29, v45
	v_cmp_gt_u32_e64 s[8:9], 8, v41
	v_lshlrev_b32_e32 v2, 8, v2
	v_and_b32_e32 v42, 7, v42
	v_cndmask_b32_e64 v41, v44, v43, s[8:9]
	v_lshl_add_u32 v41, v41, 10, v19
	v_and_or_b32 v2, v2, s56, v41
	v_cndmask_b32_e64 v39, v39, v42, s[8:9]
	v_lshlrev_b32_e32 v2, 16, v2
	v_lshl_or_b32 v39, v39, 23, v2
.LBB240_112:                            ;   in Loop: Header=BB240_13 Depth=1
	s_or_b64 exec, exec, s[46:47]
.LBB240_113:                            ;   in Loop: Header=BB240_13 Depth=1
	s_or_b64 exec, exec, s[44:45]
.LBB240_114:                            ;   in Loop: Header=BB240_13 Depth=1
	s_or_b64 exec, exec, s[42:43]
	global_load_ushort v42, v[8:9], off offset:1024
	v_mov_b32_e32 v41, 0
	s_waitcnt vmcnt(0)
	v_and_b32_e32 v2, 0xffff, v42
	v_cmp_ne_u16_sdwa s[8:9], v42, v3 src0_sel:BYTE_0 src1_sel:DWORD
	v_mov_b32_e32 v42, 0
	s_and_saveexec_b64 s[42:43], s[8:9]
	s_cbranch_execz .LBB240_120
; %bb.115:                              ;   in Loop: Header=BB240_13 Depth=1
	v_cmp_ne_u16_sdwa s[8:9], v2, s54 src0_sel:BYTE_0 src1_sel:DWORD
	v_mov_b32_e32 v42, 0x8000
	s_and_saveexec_b64 s[44:45], s[8:9]
	s_cbranch_execz .LBB240_119
; %bb.116:                              ;   in Loop: Header=BB240_13 Depth=1
	v_and_b32_e32 v43, 0x7f, v2
	v_cmp_ne_u32_e64 s[8:9], s55, v43
	v_mov_b32_e32 v42, 0x7c01
	s_and_saveexec_b64 s[46:47], s[8:9]
	s_cbranch_execz .LBB240_118
; %bb.117:                              ;   in Loop: Header=BB240_13 Depth=1
	v_and_b32_e32 v42, 7, v2
	v_ffbh_u32_e32 v44, v42
	v_min_u32_e32 v47, 32, v44
	v_subrev_u32_e32 v44, 28, v47
	v_lshlrev_b64 v[44:45], v44, v[2:3]
	v_lshrrev_b32_e32 v46, 3, v43
	v_sub_u32_e32 v45, 29, v47
	v_cmp_gt_u32_e64 s[8:9], 8, v43
	v_and_b32_e32 v44, 7, v44
	s_nop 0
	v_cndmask_b32_e64 v43, v46, v45, s[8:9]
	v_lshl_add_u32 v43, v43, 10, v19
	v_lshlrev_b32_e32 v45, 8, v2
	v_and_b32_e32 v43, 0xfc00, v43
	v_cndmask_b32_e64 v42, v42, v44, s[8:9]
	v_and_or_b32 v43, v45, s56, v43
	v_lshl_or_b32 v42, v42, 7, v43
.LBB240_118:                            ;   in Loop: Header=BB240_13 Depth=1
	s_or_b64 exec, exec, s[46:47]
.LBB240_119:                            ;   in Loop: Header=BB240_13 Depth=1
	s_or_b64 exec, exec, s[44:45]
.LBB240_120:                            ;   in Loop: Header=BB240_13 Depth=1
	s_or_b64 exec, exec, s[42:43]
	v_lshrrev_b16_e32 v2, 8, v2
	v_cmp_ne_u16_e64 s[8:9], 0, v2
	s_and_saveexec_b64 s[42:43], s[8:9]
	s_cbranch_execz .LBB240_126
; %bb.121:                              ;   in Loop: Header=BB240_13 Depth=1
	v_cmp_ne_u16_e64 s[8:9], s54, v2
	v_bfrev_b32_e32 v41, 1
	s_and_saveexec_b64 s[44:45], s[8:9]
	s_cbranch_execz .LBB240_125
; %bb.122:                              ;   in Loop: Header=BB240_13 Depth=1
	v_and_b32_e32 v43, 0x7f, v2
	v_cmp_ne_u32_e64 s[8:9], s55, v43
	v_mov_b32_e32 v41, 0x7c010000
	s_and_saveexec_b64 s[46:47], s[8:9]
	s_cbranch_execz .LBB240_124
; %bb.123:                              ;   in Loop: Header=BB240_13 Depth=1
	v_and_b32_e32 v41, 7, v2
	v_ffbh_u32_e32 v44, v41
	v_min_u32_e32 v47, 32, v44
	v_subrev_u32_e32 v44, 28, v47
	v_lshlrev_b64 v[44:45], v44, v[2:3]
	v_lshrrev_b32_e32 v46, 3, v43
	v_sub_u32_e32 v45, 29, v47
	v_cmp_gt_u32_e64 s[8:9], 8, v43
	v_lshlrev_b32_e32 v2, 8, v2
	v_and_b32_e32 v44, 7, v44
	v_cndmask_b32_e64 v43, v46, v45, s[8:9]
	v_lshl_add_u32 v43, v43, 10, v19
	v_and_or_b32 v2, v2, s56, v43
	v_cndmask_b32_e64 v41, v41, v44, s[8:9]
	v_lshlrev_b32_e32 v2, 16, v2
	v_lshl_or_b32 v41, v41, 23, v2
.LBB240_124:                            ;   in Loop: Header=BB240_13 Depth=1
	s_or_b64 exec, exec, s[46:47]
.LBB240_125:                            ;   in Loop: Header=BB240_13 Depth=1
	s_or_b64 exec, exec, s[44:45]
.LBB240_126:                            ;   in Loop: Header=BB240_13 Depth=1
	s_or_b64 exec, exec, s[42:43]
	global_load_ushort v44, v[8:9], off offset:1032
	v_mov_b32_e32 v43, 0
	s_waitcnt vmcnt(0)
	v_and_b32_e32 v2, 0xffff, v44
	v_cmp_ne_u16_sdwa s[8:9], v44, v3 src0_sel:BYTE_0 src1_sel:DWORD
	v_mov_b32_e32 v44, 0
	s_and_saveexec_b64 s[42:43], s[8:9]
	s_cbranch_execz .LBB240_132
; %bb.127:                              ;   in Loop: Header=BB240_13 Depth=1
	v_cmp_ne_u16_sdwa s[8:9], v2, s54 src0_sel:BYTE_0 src1_sel:DWORD
	v_mov_b32_e32 v44, 0x8000
	s_and_saveexec_b64 s[44:45], s[8:9]
	s_cbranch_execz .LBB240_131
; %bb.128:                              ;   in Loop: Header=BB240_13 Depth=1
	v_and_b32_e32 v45, 0x7f, v2
	v_cmp_ne_u32_e64 s[8:9], s55, v45
	v_mov_b32_e32 v44, 0x7c01
	s_and_saveexec_b64 s[46:47], s[8:9]
	s_cbranch_execz .LBB240_130
; %bb.129:                              ;   in Loop: Header=BB240_13 Depth=1
	v_and_b32_e32 v44, 7, v2
	v_ffbh_u32_e32 v46, v44
	v_min_u32_e32 v49, 32, v46
	v_subrev_u32_e32 v46, 28, v49
	v_lshlrev_b64 v[46:47], v46, v[2:3]
	v_lshrrev_b32_e32 v48, 3, v45
	v_sub_u32_e32 v47, 29, v49
	v_cmp_gt_u32_e64 s[8:9], 8, v45
	v_and_b32_e32 v46, 7, v46
	s_nop 0
	v_cndmask_b32_e64 v45, v48, v47, s[8:9]
	v_lshl_add_u32 v45, v45, 10, v19
	v_lshlrev_b32_e32 v47, 8, v2
	v_and_b32_e32 v45, 0xfc00, v45
	v_cndmask_b32_e64 v44, v44, v46, s[8:9]
	v_and_or_b32 v45, v47, s56, v45
	v_lshl_or_b32 v44, v44, 7, v45
.LBB240_130:                            ;   in Loop: Header=BB240_13 Depth=1
	s_or_b64 exec, exec, s[46:47]
.LBB240_131:                            ;   in Loop: Header=BB240_13 Depth=1
	s_or_b64 exec, exec, s[44:45]
.LBB240_132:                            ;   in Loop: Header=BB240_13 Depth=1
	s_or_b64 exec, exec, s[42:43]
	v_lshrrev_b16_e32 v2, 8, v2
	v_cmp_ne_u16_e64 s[8:9], 0, v2
	s_and_saveexec_b64 s[42:43], s[8:9]
	s_cbranch_execz .LBB240_138
; %bb.133:                              ;   in Loop: Header=BB240_13 Depth=1
	v_cmp_ne_u16_e64 s[8:9], s54, v2
	v_bfrev_b32_e32 v43, 1
	s_and_saveexec_b64 s[44:45], s[8:9]
	s_cbranch_execz .LBB240_137
; %bb.134:                              ;   in Loop: Header=BB240_13 Depth=1
	v_and_b32_e32 v45, 0x7f, v2
	v_cmp_ne_u32_e64 s[8:9], s55, v45
	v_mov_b32_e32 v43, 0x7c010000
	s_and_saveexec_b64 s[46:47], s[8:9]
	s_cbranch_execz .LBB240_136
; %bb.135:                              ;   in Loop: Header=BB240_13 Depth=1
	v_and_b32_e32 v43, 7, v2
	v_ffbh_u32_e32 v46, v43
	v_min_u32_e32 v49, 32, v46
	v_subrev_u32_e32 v46, 28, v49
	v_lshlrev_b64 v[46:47], v46, v[2:3]
	v_lshrrev_b32_e32 v48, 3, v45
	v_sub_u32_e32 v47, 29, v49
	v_cmp_gt_u32_e64 s[8:9], 8, v45
	v_lshlrev_b32_e32 v2, 8, v2
	v_and_b32_e32 v46, 7, v46
	v_cndmask_b32_e64 v45, v48, v47, s[8:9]
	v_lshl_add_u32 v45, v45, 10, v19
	v_and_or_b32 v2, v2, s56, v45
	v_cndmask_b32_e64 v43, v43, v46, s[8:9]
	v_lshlrev_b32_e32 v2, 16, v2
	v_lshl_or_b32 v43, v43, 23, v2
.LBB240_136:                            ;   in Loop: Header=BB240_13 Depth=1
	s_or_b64 exec, exec, s[46:47]
.LBB240_137:                            ;   in Loop: Header=BB240_13 Depth=1
	s_or_b64 exec, exec, s[44:45]
.LBB240_138:                            ;   in Loop: Header=BB240_13 Depth=1
	s_or_b64 exec, exec, s[42:43]
	global_load_ushort v46, v[8:9], off offset:1280
	v_mov_b32_e32 v45, 0
	s_waitcnt vmcnt(0)
	v_and_b32_e32 v2, 0xffff, v46
	v_cmp_ne_u16_sdwa s[8:9], v46, v3 src0_sel:BYTE_0 src1_sel:DWORD
	v_mov_b32_e32 v46, 0
	s_and_saveexec_b64 s[42:43], s[8:9]
	s_cbranch_execz .LBB240_144
; %bb.139:                              ;   in Loop: Header=BB240_13 Depth=1
	v_cmp_ne_u16_sdwa s[8:9], v2, s54 src0_sel:BYTE_0 src1_sel:DWORD
	v_mov_b32_e32 v46, 0x8000
	s_and_saveexec_b64 s[44:45], s[8:9]
	s_cbranch_execz .LBB240_143
; %bb.140:                              ;   in Loop: Header=BB240_13 Depth=1
	v_and_b32_e32 v47, 0x7f, v2
	v_cmp_ne_u32_e64 s[8:9], s55, v47
	v_mov_b32_e32 v46, 0x7c01
	s_and_saveexec_b64 s[46:47], s[8:9]
	s_cbranch_execz .LBB240_142
; %bb.141:                              ;   in Loop: Header=BB240_13 Depth=1
	v_and_b32_e32 v46, 7, v2
	v_ffbh_u32_e32 v48, v46
	v_min_u32_e32 v51, 32, v48
	v_subrev_u32_e32 v48, 28, v51
	v_lshlrev_b64 v[48:49], v48, v[2:3]
	v_lshrrev_b32_e32 v50, 3, v47
	v_sub_u32_e32 v49, 29, v51
	v_cmp_gt_u32_e64 s[8:9], 8, v47
	v_and_b32_e32 v48, 7, v48
	s_nop 0
	v_cndmask_b32_e64 v47, v50, v49, s[8:9]
	v_lshl_add_u32 v47, v47, 10, v19
	v_lshlrev_b32_e32 v49, 8, v2
	v_and_b32_e32 v47, 0xfc00, v47
	v_cndmask_b32_e64 v46, v46, v48, s[8:9]
	v_and_or_b32 v47, v49, s56, v47
	v_lshl_or_b32 v46, v46, 7, v47
.LBB240_142:                            ;   in Loop: Header=BB240_13 Depth=1
	s_or_b64 exec, exec, s[46:47]
.LBB240_143:                            ;   in Loop: Header=BB240_13 Depth=1
	s_or_b64 exec, exec, s[44:45]
.LBB240_144:                            ;   in Loop: Header=BB240_13 Depth=1
	s_or_b64 exec, exec, s[42:43]
	v_lshrrev_b16_e32 v2, 8, v2
	v_cmp_ne_u16_e64 s[8:9], 0, v2
	s_and_saveexec_b64 s[42:43], s[8:9]
	s_cbranch_execz .LBB240_150
; %bb.145:                              ;   in Loop: Header=BB240_13 Depth=1
	v_cmp_ne_u16_e64 s[8:9], s54, v2
	v_bfrev_b32_e32 v45, 1
	s_and_saveexec_b64 s[44:45], s[8:9]
	s_cbranch_execz .LBB240_149
; %bb.146:                              ;   in Loop: Header=BB240_13 Depth=1
	v_and_b32_e32 v47, 0x7f, v2
	v_cmp_ne_u32_e64 s[8:9], s55, v47
	v_mov_b32_e32 v45, 0x7c010000
	s_and_saveexec_b64 s[46:47], s[8:9]
	s_cbranch_execz .LBB240_148
; %bb.147:                              ;   in Loop: Header=BB240_13 Depth=1
	v_and_b32_e32 v45, 7, v2
	v_ffbh_u32_e32 v48, v45
	v_min_u32_e32 v51, 32, v48
	v_subrev_u32_e32 v48, 28, v51
	v_lshlrev_b64 v[48:49], v48, v[2:3]
	v_lshrrev_b32_e32 v50, 3, v47
	v_sub_u32_e32 v49, 29, v51
	v_cmp_gt_u32_e64 s[8:9], 8, v47
	v_lshlrev_b32_e32 v2, 8, v2
	v_and_b32_e32 v48, 7, v48
	v_cndmask_b32_e64 v47, v50, v49, s[8:9]
	v_lshl_add_u32 v47, v47, 10, v19
	v_and_or_b32 v2, v2, s56, v47
	v_cndmask_b32_e64 v45, v45, v48, s[8:9]
	v_lshlrev_b32_e32 v2, 16, v2
	v_lshl_or_b32 v45, v45, 23, v2
.LBB240_148:                            ;   in Loop: Header=BB240_13 Depth=1
	s_or_b64 exec, exec, s[46:47]
.LBB240_149:                            ;   in Loop: Header=BB240_13 Depth=1
	s_or_b64 exec, exec, s[44:45]
.LBB240_150:                            ;   in Loop: Header=BB240_13 Depth=1
	s_or_b64 exec, exec, s[42:43]
	global_load_ushort v48, v[8:9], off offset:1288
	v_mov_b32_e32 v47, 0
	s_waitcnt vmcnt(0)
	v_and_b32_e32 v2, 0xffff, v48
	v_cmp_ne_u16_sdwa s[8:9], v48, v3 src0_sel:BYTE_0 src1_sel:DWORD
	v_mov_b32_e32 v48, 0
	s_and_saveexec_b64 s[42:43], s[8:9]
	s_cbranch_execz .LBB240_156
; %bb.151:                              ;   in Loop: Header=BB240_13 Depth=1
	v_cmp_ne_u16_sdwa s[8:9], v2, s54 src0_sel:BYTE_0 src1_sel:DWORD
	v_mov_b32_e32 v48, 0x8000
	s_and_saveexec_b64 s[44:45], s[8:9]
	s_cbranch_execz .LBB240_155
; %bb.152:                              ;   in Loop: Header=BB240_13 Depth=1
	v_and_b32_e32 v49, 0x7f, v2
	v_cmp_ne_u32_e64 s[8:9], s55, v49
	v_mov_b32_e32 v48, 0x7c01
	s_and_saveexec_b64 s[46:47], s[8:9]
	s_cbranch_execz .LBB240_154
; %bb.153:                              ;   in Loop: Header=BB240_13 Depth=1
	v_and_b32_e32 v48, 7, v2
	v_ffbh_u32_e32 v50, v48
	v_min_u32_e32 v53, 32, v50
	v_subrev_u32_e32 v50, 28, v53
	v_lshlrev_b64 v[50:51], v50, v[2:3]
	v_lshrrev_b32_e32 v52, 3, v49
	v_sub_u32_e32 v51, 29, v53
	v_cmp_gt_u32_e64 s[8:9], 8, v49
	v_and_b32_e32 v50, 7, v50
	s_nop 0
	v_cndmask_b32_e64 v49, v52, v51, s[8:9]
	v_lshl_add_u32 v49, v49, 10, v19
	v_lshlrev_b32_e32 v51, 8, v2
	v_and_b32_e32 v49, 0xfc00, v49
	v_cndmask_b32_e64 v48, v48, v50, s[8:9]
	v_and_or_b32 v49, v51, s56, v49
	v_lshl_or_b32 v48, v48, 7, v49
.LBB240_154:                            ;   in Loop: Header=BB240_13 Depth=1
	s_or_b64 exec, exec, s[46:47]
.LBB240_155:                            ;   in Loop: Header=BB240_13 Depth=1
	s_or_b64 exec, exec, s[44:45]
.LBB240_156:                            ;   in Loop: Header=BB240_13 Depth=1
	s_or_b64 exec, exec, s[42:43]
	v_lshrrev_b16_e32 v2, 8, v2
	v_cmp_ne_u16_e64 s[8:9], 0, v2
	s_and_saveexec_b64 s[42:43], s[8:9]
	s_cbranch_execz .LBB240_162
; %bb.157:                              ;   in Loop: Header=BB240_13 Depth=1
	v_cmp_ne_u16_e64 s[8:9], s54, v2
	v_bfrev_b32_e32 v47, 1
	s_and_saveexec_b64 s[44:45], s[8:9]
	s_cbranch_execz .LBB240_161
; %bb.158:                              ;   in Loop: Header=BB240_13 Depth=1
	v_and_b32_e32 v49, 0x7f, v2
	v_cmp_ne_u32_e64 s[8:9], s55, v49
	v_mov_b32_e32 v47, 0x7c010000
	s_and_saveexec_b64 s[46:47], s[8:9]
	s_cbranch_execz .LBB240_160
; %bb.159:                              ;   in Loop: Header=BB240_13 Depth=1
	v_and_b32_e32 v47, 7, v2
	v_ffbh_u32_e32 v50, v47
	v_min_u32_e32 v53, 32, v50
	v_subrev_u32_e32 v50, 28, v53
	v_lshlrev_b64 v[50:51], v50, v[2:3]
	v_lshrrev_b32_e32 v52, 3, v49
	v_sub_u32_e32 v51, 29, v53
	v_cmp_gt_u32_e64 s[8:9], 8, v49
	v_lshlrev_b32_e32 v2, 8, v2
	v_and_b32_e32 v50, 7, v50
	v_cndmask_b32_e64 v49, v52, v51, s[8:9]
	v_lshl_add_u32 v49, v49, 10, v19
	v_and_or_b32 v2, v2, s56, v49
	v_cndmask_b32_e64 v47, v47, v50, s[8:9]
	v_lshlrev_b32_e32 v2, 16, v2
	v_lshl_or_b32 v47, v47, 23, v2
.LBB240_160:                            ;   in Loop: Header=BB240_13 Depth=1
	s_or_b64 exec, exec, s[46:47]
.LBB240_161:                            ;   in Loop: Header=BB240_13 Depth=1
	s_or_b64 exec, exec, s[44:45]
.LBB240_162:                            ;   in Loop: Header=BB240_13 Depth=1
	s_or_b64 exec, exec, s[42:43]
	global_load_ushort v50, v[8:9], off offset:1536
	v_mov_b32_e32 v49, 0
	s_waitcnt vmcnt(0)
	v_and_b32_e32 v2, 0xffff, v50
	v_cmp_ne_u16_sdwa s[8:9], v50, v3 src0_sel:BYTE_0 src1_sel:DWORD
	v_mov_b32_e32 v50, 0
	s_and_saveexec_b64 s[42:43], s[8:9]
	s_cbranch_execz .LBB240_168
; %bb.163:                              ;   in Loop: Header=BB240_13 Depth=1
	v_cmp_ne_u16_sdwa s[8:9], v2, s54 src0_sel:BYTE_0 src1_sel:DWORD
	v_mov_b32_e32 v50, 0x8000
	s_and_saveexec_b64 s[44:45], s[8:9]
	s_cbranch_execz .LBB240_167
; %bb.164:                              ;   in Loop: Header=BB240_13 Depth=1
	v_and_b32_e32 v51, 0x7f, v2
	v_cmp_ne_u32_e64 s[8:9], s55, v51
	v_mov_b32_e32 v50, 0x7c01
	s_and_saveexec_b64 s[46:47], s[8:9]
	s_cbranch_execz .LBB240_166
; %bb.165:                              ;   in Loop: Header=BB240_13 Depth=1
	v_and_b32_e32 v50, 7, v2
	v_ffbh_u32_e32 v52, v50
	v_min_u32_e32 v55, 32, v52
	v_subrev_u32_e32 v52, 28, v55
	v_lshlrev_b64 v[52:53], v52, v[2:3]
	v_lshrrev_b32_e32 v54, 3, v51
	v_sub_u32_e32 v53, 29, v55
	v_cmp_gt_u32_e64 s[8:9], 8, v51
	v_and_b32_e32 v52, 7, v52
	s_nop 0
	v_cndmask_b32_e64 v51, v54, v53, s[8:9]
	v_lshl_add_u32 v51, v51, 10, v19
	v_lshlrev_b32_e32 v53, 8, v2
	v_and_b32_e32 v51, 0xfc00, v51
	v_cndmask_b32_e64 v50, v50, v52, s[8:9]
	v_and_or_b32 v51, v53, s56, v51
	v_lshl_or_b32 v50, v50, 7, v51
.LBB240_166:                            ;   in Loop: Header=BB240_13 Depth=1
	s_or_b64 exec, exec, s[46:47]
.LBB240_167:                            ;   in Loop: Header=BB240_13 Depth=1
	s_or_b64 exec, exec, s[44:45]
.LBB240_168:                            ;   in Loop: Header=BB240_13 Depth=1
	s_or_b64 exec, exec, s[42:43]
	v_lshrrev_b16_e32 v2, 8, v2
	v_cmp_ne_u16_e64 s[8:9], 0, v2
	s_and_saveexec_b64 s[42:43], s[8:9]
	s_cbranch_execz .LBB240_174
; %bb.169:                              ;   in Loop: Header=BB240_13 Depth=1
	v_cmp_ne_u16_e64 s[8:9], s54, v2
	v_bfrev_b32_e32 v49, 1
	s_and_saveexec_b64 s[44:45], s[8:9]
	s_cbranch_execz .LBB240_173
; %bb.170:                              ;   in Loop: Header=BB240_13 Depth=1
	v_and_b32_e32 v51, 0x7f, v2
	v_cmp_ne_u32_e64 s[8:9], s55, v51
	v_mov_b32_e32 v49, 0x7c010000
	s_and_saveexec_b64 s[46:47], s[8:9]
	s_cbranch_execz .LBB240_172
; %bb.171:                              ;   in Loop: Header=BB240_13 Depth=1
	v_and_b32_e32 v49, 7, v2
	v_ffbh_u32_e32 v52, v49
	v_min_u32_e32 v55, 32, v52
	v_subrev_u32_e32 v52, 28, v55
	v_lshlrev_b64 v[52:53], v52, v[2:3]
	v_lshrrev_b32_e32 v54, 3, v51
	v_sub_u32_e32 v53, 29, v55
	v_cmp_gt_u32_e64 s[8:9], 8, v51
	v_lshlrev_b32_e32 v2, 8, v2
	v_and_b32_e32 v52, 7, v52
	v_cndmask_b32_e64 v51, v54, v53, s[8:9]
	v_lshl_add_u32 v51, v51, 10, v19
	v_and_or_b32 v2, v2, s56, v51
	v_cndmask_b32_e64 v49, v49, v52, s[8:9]
	v_lshlrev_b32_e32 v2, 16, v2
	v_lshl_or_b32 v49, v49, 23, v2
.LBB240_172:                            ;   in Loop: Header=BB240_13 Depth=1
	s_or_b64 exec, exec, s[46:47]
.LBB240_173:                            ;   in Loop: Header=BB240_13 Depth=1
	s_or_b64 exec, exec, s[44:45]
.LBB240_174:                            ;   in Loop: Header=BB240_13 Depth=1
	s_or_b64 exec, exec, s[42:43]
	global_load_ushort v52, v[8:9], off offset:1544
	v_mov_b32_e32 v51, 0
	s_waitcnt vmcnt(0)
	v_and_b32_e32 v2, 0xffff, v52
	v_cmp_ne_u16_sdwa s[8:9], v52, v3 src0_sel:BYTE_0 src1_sel:DWORD
	v_mov_b32_e32 v52, 0
	s_and_saveexec_b64 s[42:43], s[8:9]
	s_cbranch_execz .LBB240_180
; %bb.175:                              ;   in Loop: Header=BB240_13 Depth=1
	v_cmp_ne_u16_sdwa s[8:9], v2, s54 src0_sel:BYTE_0 src1_sel:DWORD
	v_mov_b32_e32 v52, 0x8000
	s_and_saveexec_b64 s[44:45], s[8:9]
	s_cbranch_execz .LBB240_179
; %bb.176:                              ;   in Loop: Header=BB240_13 Depth=1
	v_and_b32_e32 v53, 0x7f, v2
	v_cmp_ne_u32_e64 s[8:9], s55, v53
	v_mov_b32_e32 v52, 0x7c01
	s_and_saveexec_b64 s[46:47], s[8:9]
	s_cbranch_execz .LBB240_178
; %bb.177:                              ;   in Loop: Header=BB240_13 Depth=1
	v_and_b32_e32 v52, 7, v2
	v_ffbh_u32_e32 v54, v52
	v_min_u32_e32 v57, 32, v54
	v_subrev_u32_e32 v54, 28, v57
	v_lshlrev_b64 v[54:55], v54, v[2:3]
	v_lshrrev_b32_e32 v56, 3, v53
	v_sub_u32_e32 v55, 29, v57
	v_cmp_gt_u32_e64 s[8:9], 8, v53
	v_and_b32_e32 v54, 7, v54
	s_nop 0
	v_cndmask_b32_e64 v53, v56, v55, s[8:9]
	v_lshl_add_u32 v53, v53, 10, v19
	v_lshlrev_b32_e32 v55, 8, v2
	v_and_b32_e32 v53, 0xfc00, v53
	v_cndmask_b32_e64 v52, v52, v54, s[8:9]
	v_and_or_b32 v53, v55, s56, v53
	v_lshl_or_b32 v52, v52, 7, v53
.LBB240_178:                            ;   in Loop: Header=BB240_13 Depth=1
	s_or_b64 exec, exec, s[46:47]
.LBB240_179:                            ;   in Loop: Header=BB240_13 Depth=1
	s_or_b64 exec, exec, s[44:45]
.LBB240_180:                            ;   in Loop: Header=BB240_13 Depth=1
	s_or_b64 exec, exec, s[42:43]
	v_lshrrev_b16_e32 v2, 8, v2
	v_cmp_ne_u16_e64 s[8:9], 0, v2
	s_and_saveexec_b64 s[42:43], s[8:9]
	s_cbranch_execz .LBB240_186
; %bb.181:                              ;   in Loop: Header=BB240_13 Depth=1
	v_cmp_ne_u16_e64 s[8:9], s54, v2
	v_bfrev_b32_e32 v51, 1
	s_and_saveexec_b64 s[44:45], s[8:9]
	s_cbranch_execz .LBB240_185
; %bb.182:                              ;   in Loop: Header=BB240_13 Depth=1
	v_and_b32_e32 v53, 0x7f, v2
	v_cmp_ne_u32_e64 s[8:9], s55, v53
	v_mov_b32_e32 v51, 0x7c010000
	s_and_saveexec_b64 s[46:47], s[8:9]
	s_cbranch_execz .LBB240_184
; %bb.183:                              ;   in Loop: Header=BB240_13 Depth=1
	v_and_b32_e32 v51, 7, v2
	v_ffbh_u32_e32 v54, v51
	v_min_u32_e32 v57, 32, v54
	v_subrev_u32_e32 v54, 28, v57
	v_lshlrev_b64 v[54:55], v54, v[2:3]
	v_lshrrev_b32_e32 v56, 3, v53
	v_sub_u32_e32 v55, 29, v57
	v_cmp_gt_u32_e64 s[8:9], 8, v53
	v_lshlrev_b32_e32 v2, 8, v2
	v_and_b32_e32 v54, 7, v54
	v_cndmask_b32_e64 v53, v56, v55, s[8:9]
	v_lshl_add_u32 v53, v53, 10, v19
	v_and_or_b32 v2, v2, s56, v53
	v_cndmask_b32_e64 v51, v51, v54, s[8:9]
	v_lshlrev_b32_e32 v2, 16, v2
	v_lshl_or_b32 v51, v51, 23, v2
.LBB240_184:                            ;   in Loop: Header=BB240_13 Depth=1
	s_or_b64 exec, exec, s[46:47]
.LBB240_185:                            ;   in Loop: Header=BB240_13 Depth=1
	s_or_b64 exec, exec, s[44:45]
.LBB240_186:                            ;   in Loop: Header=BB240_13 Depth=1
	s_or_b64 exec, exec, s[42:43]
	global_load_ushort v53, v[8:9], off offset:1792
	v_mov_b32_e32 v55, 0
	v_mov_b32_e32 v56, 0
	s_waitcnt vmcnt(0)
	v_and_b32_e32 v2, 0xffff, v53
	v_cmp_ne_u16_sdwa s[8:9], v53, v3 src0_sel:BYTE_0 src1_sel:DWORD
	s_and_saveexec_b64 s[42:43], s[8:9]
	s_cbranch_execz .LBB240_192
; %bb.187:                              ;   in Loop: Header=BB240_13 Depth=1
	v_cmp_ne_u16_sdwa s[8:9], v2, s54 src0_sel:BYTE_0 src1_sel:DWORD
	v_mov_b32_e32 v56, 0x8000
	s_and_saveexec_b64 s[44:45], s[8:9]
	s_cbranch_execz .LBB240_191
; %bb.188:                              ;   in Loop: Header=BB240_13 Depth=1
	v_and_b32_e32 v53, 0x7f, v2
	v_cmp_ne_u32_e64 s[8:9], s55, v53
	v_mov_b32_e32 v56, 0x7c01
	s_and_saveexec_b64 s[46:47], s[8:9]
	s_cbranch_execz .LBB240_190
; %bb.189:                              ;   in Loop: Header=BB240_13 Depth=1
	v_and_b32_e32 v54, 7, v2
	v_ffbh_u32_e32 v56, v54
	v_min_u32_e32 v59, 32, v56
	v_subrev_u32_e32 v56, 28, v59
	v_lshlrev_b64 v[56:57], v56, v[2:3]
	v_lshrrev_b32_e32 v58, 3, v53
	v_sub_u32_e32 v57, 29, v59
	v_cmp_gt_u32_e64 s[8:9], 8, v53
	v_and_b32_e32 v56, 7, v56
	s_nop 0
	v_cndmask_b32_e64 v53, v58, v57, s[8:9]
	v_lshl_add_u32 v53, v53, 10, v19
	v_lshlrev_b32_e32 v57, 8, v2
	v_and_b32_e32 v53, 0xfc00, v53
	v_cndmask_b32_e64 v54, v54, v56, s[8:9]
	v_and_or_b32 v53, v57, s56, v53
	v_lshl_or_b32 v56, v54, 7, v53
.LBB240_190:                            ;   in Loop: Header=BB240_13 Depth=1
	s_or_b64 exec, exec, s[46:47]
.LBB240_191:                            ;   in Loop: Header=BB240_13 Depth=1
	s_or_b64 exec, exec, s[44:45]
.LBB240_192:                            ;   in Loop: Header=BB240_13 Depth=1
	s_or_b64 exec, exec, s[42:43]
	v_lshrrev_b16_e32 v2, 8, v2
	v_cmp_ne_u16_e64 s[8:9], 0, v2
	s_and_saveexec_b64 s[42:43], s[8:9]
	s_cbranch_execz .LBB240_198
; %bb.193:                              ;   in Loop: Header=BB240_13 Depth=1
	v_cmp_ne_u16_e64 s[8:9], s54, v2
	v_bfrev_b32_e32 v55, 1
	s_and_saveexec_b64 s[44:45], s[8:9]
	s_cbranch_execz .LBB240_197
; %bb.194:                              ;   in Loop: Header=BB240_13 Depth=1
	v_and_b32_e32 v53, 0x7f, v2
	v_cmp_ne_u32_e64 s[8:9], s55, v53
	v_mov_b32_e32 v55, 0x7c010000
	s_and_saveexec_b64 s[46:47], s[8:9]
	s_cbranch_execz .LBB240_196
; %bb.195:                              ;   in Loop: Header=BB240_13 Depth=1
	v_and_b32_e32 v57, 7, v2
	v_ffbh_u32_e32 v54, v57
	v_min_u32_e32 v59, 32, v54
	v_subrev_u32_e32 v54, 28, v59
	v_lshlrev_b64 v[54:55], v54, v[2:3]
	v_lshrrev_b32_e32 v58, 3, v53
	v_sub_u32_e32 v55, 29, v59
	v_cmp_gt_u32_e64 s[8:9], 8, v53
	v_lshlrev_b32_e32 v2, 8, v2
	v_and_b32_e32 v54, 7, v54
	v_cndmask_b32_e64 v53, v58, v55, s[8:9]
	v_lshl_add_u32 v53, v53, 10, v19
	v_and_or_b32 v2, v2, s56, v53
	v_cndmask_b32_e64 v54, v57, v54, s[8:9]
	v_lshlrev_b32_e32 v2, 16, v2
	v_lshl_or_b32 v55, v54, 23, v2
.LBB240_196:                            ;   in Loop: Header=BB240_13 Depth=1
	s_or_b64 exec, exec, s[46:47]
.LBB240_197:                            ;   in Loop: Header=BB240_13 Depth=1
	s_or_b64 exec, exec, s[44:45]
.LBB240_198:                            ;   in Loop: Header=BB240_13 Depth=1
	s_or_b64 exec, exec, s[42:43]
	global_load_ushort v8, v[8:9], off offset:1800
	v_mov_b32_e32 v53, 0
	v_mov_b32_e32 v54, 0
	s_waitcnt vmcnt(0)
	v_and_b32_e32 v2, 0xffff, v8
	v_cmp_ne_u16_sdwa s[8:9], v8, v3 src0_sel:BYTE_0 src1_sel:DWORD
	s_and_saveexec_b64 s[42:43], s[8:9]
	s_cbranch_execz .LBB240_204
; %bb.199:                              ;   in Loop: Header=BB240_13 Depth=1
	v_cmp_ne_u16_sdwa s[8:9], v2, s54 src0_sel:BYTE_0 src1_sel:DWORD
	v_mov_b32_e32 v54, 0x8000
	s_and_saveexec_b64 s[44:45], s[8:9]
	s_cbranch_execz .LBB240_203
; %bb.200:                              ;   in Loop: Header=BB240_13 Depth=1
	v_and_b32_e32 v8, 0x7f, v2
	v_cmp_ne_u32_e64 s[8:9], s55, v8
	v_mov_b32_e32 v54, 0x7c01
	s_and_saveexec_b64 s[46:47], s[8:9]
	s_cbranch_execz .LBB240_202
; %bb.201:                              ;   in Loop: Header=BB240_13 Depth=1
	v_and_b32_e32 v9, 7, v2
	v_ffbh_u32_e32 v57, v9
	v_min_u32_e32 v57, 32, v57
	v_lshrrev_b32_e32 v54, 3, v8
	v_subrev_u32_e32 v58, 28, v57
	v_sub_u32_e32 v57, 29, v57
	v_cmp_gt_u32_e64 s[8:9], 8, v8
	v_lshlrev_b64 v[58:59], v58, v[2:3]
	s_nop 0
	v_cndmask_b32_e64 v8, v54, v57, s[8:9]
	v_lshl_add_u32 v8, v8, 10, v19
	v_lshlrev_b32_e32 v54, 8, v2
	v_and_b32_e32 v57, 7, v58
	v_and_b32_e32 v8, 0xfc00, v8
	v_cndmask_b32_e64 v9, v9, v57, s[8:9]
	v_and_or_b32 v8, v54, s56, v8
	v_lshl_or_b32 v54, v9, 7, v8
.LBB240_202:                            ;   in Loop: Header=BB240_13 Depth=1
	s_or_b64 exec, exec, s[46:47]
.LBB240_203:                            ;   in Loop: Header=BB240_13 Depth=1
	s_or_b64 exec, exec, s[44:45]
.LBB240_204:                            ;   in Loop: Header=BB240_13 Depth=1
	s_or_b64 exec, exec, s[42:43]
	v_lshrrev_b16_e32 v2, 8, v2
	v_cmp_ne_u16_e64 s[8:9], 0, v2
	s_and_saveexec_b64 s[42:43], s[8:9]
	s_cbranch_execz .LBB240_210
; %bb.205:                              ;   in Loop: Header=BB240_13 Depth=1
	v_cmp_ne_u16_e64 s[8:9], s54, v2
	v_bfrev_b32_e32 v53, 1
	s_and_saveexec_b64 s[44:45], s[8:9]
	s_cbranch_execz .LBB240_209
; %bb.206:                              ;   in Loop: Header=BB240_13 Depth=1
	v_and_b32_e32 v8, 0x7f, v2
	v_cmp_ne_u32_e64 s[8:9], s55, v8
	v_mov_b32_e32 v53, 0x7c010000
	s_and_saveexec_b64 s[46:47], s[8:9]
	s_cbranch_execz .LBB240_208
; %bb.207:                              ;   in Loop: Header=BB240_13 Depth=1
	v_and_b32_e32 v9, 7, v2
	v_ffbh_u32_e32 v57, v9
	v_min_u32_e32 v57, 32, v57
	v_lshrrev_b32_e32 v53, 3, v8
	v_subrev_u32_e32 v58, 28, v57
	v_sub_u32_e32 v57, 29, v57
	v_cmp_gt_u32_e64 s[8:9], 8, v8
	v_lshlrev_b64 v[58:59], v58, v[2:3]
	v_lshlrev_b32_e32 v2, 8, v2
	v_cndmask_b32_e64 v8, v53, v57, s[8:9]
	v_lshl_add_u32 v8, v8, 10, v19
	v_and_b32_e32 v53, 7, v58
	v_and_or_b32 v2, v2, s56, v8
	v_cndmask_b32_e64 v9, v9, v53, s[8:9]
	v_lshlrev_b32_e32 v2, 16, v2
	v_lshl_or_b32 v53, v9, 23, v2
.LBB240_208:                            ;   in Loop: Header=BB240_13 Depth=1
	s_or_b64 exec, exec, s[46:47]
.LBB240_209:                            ;   in Loop: Header=BB240_13 Depth=1
	s_or_b64 exec, exec, s[44:45]
.LBB240_210:                            ;   in Loop: Header=BB240_13 Depth=1
	s_or_b64 exec, exec, s[42:43]
	v_or_b32_e32 v9, v51, v52
	v_fma_mixlo_f16 v52, v22, v9, 0 op_sel_hi:[0,1,0]
	v_fma_mixlo_f16 v9, v22, v51, 0 op_sel:[0,1,0] op_sel_hi:[0,1,0]
	ds_read_b32 v51, v12
	v_or_b32_e32 v26, v23, v26
	v_or_b32_e32 v2, v55, v56
	v_fma_mixlo_f16 v26, v22, v26, 0 op_sel_hi:[0,1,0]
	v_fma_mixlo_f16 v23, v22, v23, 0 op_sel:[0,1,0] op_sel_hi:[0,1,0]
	v_fma_mixlo_f16 v8, v22, v2, 0 op_sel_hi:[0,1,0]
	v_fma_mixlo_f16 v2, v22, v55, 0 op_sel:[0,1,0] op_sel_hi:[0,1,0]
	s_waitcnt lgkmcnt(0)
	v_lshrrev_b32_e32 v55, 16, v51
	v_and_b32_e32 v51, 0xffff, v51
	v_and_b32_e32 v26, 0xffff, v26
	v_and_b32_e32 v23, 0xffff, v23
	;;#ASMSTART
	v_cvt_f32_f16 v51, v51;
	;;#ASMEND
	;;#ASMSTART
	v_cvt_f32_f16 v55, v55;
	;;#ASMEND
	;;#ASMSTART
	v_cvt_f32_f16 v26, v26;
	;;#ASMEND
	;;#ASMSTART
	v_cvt_f32_f16 v23, v23;
	;;#ASMEND
	ds_read_b32 v56, v12 offset:4
	v_or_b32_e32 v28, v27, v28
	v_fma_mixlo_f16 v28, v22, v28, 0 op_sel_hi:[0,1,0]
	v_fma_mixlo_f16 v27, v22, v27, 0 op_sel:[0,1,0] op_sel_hi:[0,1,0]
	v_and_b32_e32 v28, 0xffff, v28
	s_waitcnt lgkmcnt(0)
	v_lshrrev_b32_e32 v57, 16, v56
	v_and_b32_e32 v56, 0xffff, v56
	v_and_b32_e32 v27, 0xffff, v27
	;;#ASMSTART
	v_cvt_f32_f16 v56, v56;
	;;#ASMEND
	;;#ASMSTART
	v_cvt_f32_f16 v57, v57;
	;;#ASMEND
	;;#ASMSTART
	v_cvt_f32_f16 v28, v28;
	;;#ASMEND
	;;#ASMSTART
	v_cvt_f32_f16 v27, v27;
	;;#ASMEND
	ds_read_b32 v58, v12 offset:8
	v_or_b32_e32 v30, v29, v30
	v_fma_mixlo_f16 v30, v22, v30, 0 op_sel_hi:[0,1,0]
	v_fma_mixlo_f16 v29, v22, v29, 0 op_sel:[0,1,0] op_sel_hi:[0,1,0]
	v_and_b32_e32 v30, 0xffff, v30
	s_waitcnt lgkmcnt(0)
	v_lshrrev_b32_e32 v59, 16, v58
	v_and_b32_e32 v58, 0xffff, v58
	v_and_b32_e32 v29, 0xffff, v29
	;; [unrolled: 21-line block ×7, first 2 shown]
	;;#ASMSTART
	v_cvt_f32_f16 v68, v68;
	;;#ASMEND
	;;#ASMSTART
	v_cvt_f32_f16 v69, v69;
	;;#ASMEND
	;; [unrolled: 3-line block ×4, first 2 shown]
	ds_read_b32 v70, v12 offset:32
	v_or_b32_e32 v42, v41, v42
	v_fma_mixlo_f16 v42, v22, v42, 0 op_sel_hi:[0,1,0]
	v_fma_mixlo_f16 v41, v22, v41, 0 op_sel:[0,1,0] op_sel_hi:[0,1,0]
	v_mul_f32_e32 v28, v56, v28
	v_or_b32_e32 v50, v49, v50
	v_or_b32_e32 v48, v47, v48
	;; [unrolled: 1-line block ×5, first 2 shown]
	v_fmac_f32_e32 v28, v51, v26
	s_waitcnt lgkmcnt(0)
	v_lshrrev_b32_e32 v51, 16, v70
	v_and_b32_e32 v26, 0xffff, v70
	v_and_b32_e32 v42, 0xffff, v42
	;; [unrolled: 1-line block ×3, first 2 shown]
	v_fma_mixlo_f16 v50, v22, v50, 0 op_sel_hi:[0,1,0]
	v_fma_mixlo_f16 v49, v22, v49, 0 op_sel:[0,1,0] op_sel_hi:[0,1,0]
	v_fma_mixlo_f16 v48, v22, v48, 0 op_sel_hi:[0,1,0]
	v_fma_mixlo_f16 v47, v22, v47, 0 op_sel:[0,1,0] op_sel_hi:[0,1,0]
	;; [unrolled: 2-line block ×5, first 2 shown]
	;;#ASMSTART
	v_cvt_f32_f16 v26, v26;
	;;#ASMEND
	;;#ASMSTART
	v_cvt_f32_f16 v51, v51;
	;;#ASMEND
	;; [unrolled: 3-line block ×4, first 2 shown]
	ds_read_b32 v53, v12 offset:36
	v_mul_f32_e32 v27, v57, v27
	v_fmac_f32_e32 v27, v55, v23
	v_fmac_f32_e32 v28, v58, v30
	v_fmac_f32_e32 v27, v59, v29
	s_waitcnt lgkmcnt(0)
	v_lshrrev_b32_e32 v29, 16, v53
	v_and_b32_e32 v23, 0xffff, v53
	v_and_b32_e32 v30, 0xffff, v44
	v_and_b32_e32 v43, 0xffff, v43
	;;#ASMSTART
	v_cvt_f32_f16 v23, v23;
	;;#ASMEND
	;;#ASMSTART
	v_cvt_f32_f16 v29, v29;
	;;#ASMEND
	;;#ASMSTART
	v_cvt_f32_f16 v30, v30;
	;;#ASMEND
	;;#ASMSTART
	v_cvt_f32_f16 v43, v43;
	;;#ASMEND
	ds_read_b32 v44, v12 offset:40
	v_fmac_f32_e32 v28, v60, v32
	v_fmac_f32_e32 v27, v61, v31
	v_fmac_f32_e32 v28, v62, v34
	v_fmac_f32_e32 v27, v63, v33
	s_waitcnt lgkmcnt(0)
	v_lshrrev_b32_e32 v32, 16, v44
	v_and_b32_e32 v31, 0xffff, v44
	v_and_b32_e32 v33, 0xffff, v46
	v_and_b32_e32 v34, 0xffff, v45
	;;#ASMSTART
	v_cvt_f32_f16 v31, v31;
	;;#ASMEND
	;;#ASMSTART
	v_cvt_f32_f16 v32, v32;
	;;#ASMEND
	;;#ASMSTART
	v_cvt_f32_f16 v33, v33;
	;;#ASMEND
	;;#ASMSTART
	v_cvt_f32_f16 v34, v34;
	;;#ASMEND
	ds_read_b32 v44, v12 offset:44
	v_fmac_f32_e32 v28, v64, v36
	;; [unrolled: 22-line block ×4, first 2 shown]
	v_fmac_f32_e32 v27, v29, v43
	v_and_b32_e32 v30, 0xffff, v52
	v_and_b32_e32 v9, 0xffff, v9
	s_waitcnt lgkmcnt(0)
	v_lshrrev_b32_e32 v29, 16, v42
	v_and_b32_e32 v23, 0xffff, v42
	v_fmac_f32_e32 v28, v31, v33
	;;#ASMSTART
	v_cvt_f32_f16 v23, v23;
	;;#ASMEND
	;;#ASMSTART
	v_cvt_f32_f16 v29, v29;
	;;#ASMEND
	;; [unrolled: 3-line block ×4, first 2 shown]
	ds_read_b32 v31, v12 offset:56
	v_fmac_f32_e32 v28, v35, v37
	v_fmac_f32_e32 v27, v32, v34
	;; [unrolled: 1-line block ×3, first 2 shown]
	v_and_b32_e32 v8, 0xffff, v8
	s_waitcnt lgkmcnt(0)
	v_lshrrev_b32_e32 v32, 16, v31
	v_and_b32_e32 v26, 0xffff, v31
	v_and_b32_e32 v2, 0xffff, v2
	;;#ASMSTART
	v_cvt_f32_f16 v26, v26;
	;;#ASMEND
	;;#ASMSTART
	v_cvt_f32_f16 v31, v32;
	;;#ASMEND
	;; [unrolled: 3-line block ×4, first 2 shown]
	ds_read_b32 v32, v12 offset:60
	v_fmac_f32_e32 v27, v36, v38
	v_fmac_f32_e32 v27, v39, v41
	;; [unrolled: 1-line block ×6, first 2 shown]
	s_waitcnt lgkmcnt(0)
	v_lshrrev_b32_e32 v8, 16, v32
	v_and_b32_e32 v2, 0xffff, v32
	;;#ASMSTART
	v_cvt_f32_f16 v2, v2;
	;;#ASMEND
	;;#ASMSTART
	v_cvt_f32_f16 v8, v8;
	;;#ASMEND
	v_and_b32_e32 v9, 0xffff, v54
	v_and_b32_e32 v22, 0xffff, v22
	;;#ASMSTART
	v_cvt_f32_f16 v9, v9;
	;;#ASMEND
	;;#ASMSTART
	v_cvt_f32_f16 v22, v22;
	;;#ASMEND
	s_nop 0
	v_fmac_f32_e32 v27, v8, v22
	v_and_b32_e32 v8, 64, v20
	v_fmac_f32_e32 v28, v2, v9
	v_add_u32_e32 v8, 64, v8
	v_xor_b32_e32 v9, 2, v20
	v_cmp_lt_i32_e64 s[8:9], v9, v8
	v_add_f32_e32 v2, v28, v27
	s_nop 0
	v_cndmask_b32_e64 v9, v20, v9, s[8:9]
	v_lshlrev_b32_e32 v9, 2, v9
	ds_bpermute_b32 v9, v9, v2
	s_waitcnt lgkmcnt(0)
	v_add_f32_e32 v2, v2, v9
	v_xor_b32_e32 v9, 1, v20
	v_cmp_lt_i32_e64 s[8:9], v9, v8
	s_nop 1
	v_cndmask_b32_e64 v8, v20, v9, s[8:9]
	v_lshlrev_b32_e32 v8, 2, v8
	ds_bpermute_b32 v8, v8, v2
	s_and_saveexec_b64 s[42:43], vcc
	s_cbranch_execz .LBB240_11
; %bb.211:                              ;   in Loop: Header=BB240_13 Depth=1
	v_add_u32_e32 v9, v16, v15
	v_cvt_f32_i32_e32 v9, v9
	s_waitcnt lgkmcnt(0)
	v_add_f32_e32 v2, v2, v8
	v_add_u32_e32 v22, v11, v15
	v_cmp_gt_i32_e64 s[8:9], s25, v22
	v_mul_f32_e32 v8, s50, v9
	v_cndmask_b32_e64 v8, 0, v8, s[0:1]
	v_fmac_f32_e32 v8, s39, v2
	v_cndmask_b32_e64 v2, 0, v8, s[8:9]
	ds_write_b32 v17, v2
	v_max_f32_e32 v2, v13, v13
	v_max_f32_e32 v2, v2, v8
	v_cndmask_b32_e64 v13, v13, v2, s[8:9]
	s_branch .LBB240_11
.LBB240_212:
	s_or_b64 exec, exec, s[40:41]
.LBB240_213:
	s_or_b64 exec, exec, s[18:19]
	v_mbcnt_hi_u32_b32 v2, -1, v10
	v_and_b32_e32 v10, 64, v2
	v_add_u32_e32 v3, 64, v10
	v_xor_b32_e32 v4, 32, v2
	v_cmp_lt_i32_e32 vcc, v4, v3
	v_xor_b32_e32 v7, 16, v2
	v_max_f32_e32 v6, v13, v13
	v_cndmask_b32_e32 v4, v2, v4, vcc
	v_lshlrev_b32_e32 v4, 2, v4
	ds_bpermute_b32 v5, v4, v13
	v_cmp_lt_i32_e32 vcc, v7, v3
	s_waitcnt lgkmcnt(1)
	v_xor_b32_e32 v8, 8, v2
	v_xor_b32_e32 v9, 4, v2
	v_and_b32_e32 v26, 63, v0
	s_waitcnt lgkmcnt(0)
	v_max_f32_e32 v5, v5, v5
	v_max_f32_e32 v6, v6, v5
	v_cndmask_b32_e32 v5, v2, v7, vcc
	v_lshlrev_b32_e32 v5, 2, v5
	ds_bpermute_b32 v7, v5, v6
	v_cmp_lt_i32_e32 vcc, v8, v3
	s_waitcnt lgkmcnt(0)
	v_max_f32_e32 v7, v7, v7
	v_max_f32_e32 v6, v6, v7
	v_cndmask_b32_e32 v7, v2, v8, vcc
	v_lshlrev_b32_e32 v8, 2, v7
	ds_bpermute_b32 v7, v8, v6
	v_cmp_lt_i32_e32 vcc, v9, v3
	s_waitcnt lgkmcnt(0)
	v_max_f32_e32 v7, v7, v7
	v_max_f32_e32 v7, v6, v7
	v_cndmask_b32_e32 v6, v2, v9, vcc
	v_lshlrev_b32_e32 v9, 2, v6
	ds_bpermute_b32 v11, v9, v7
	v_cmp_eq_u32_e32 vcc, 0, v26
	v_lshlrev_b32_e32 v6, 2, v24
	s_and_saveexec_b64 s[0:1], vcc
	s_cbranch_execz .LBB240_215
; %bb.214:
	s_waitcnt lgkmcnt(0)
	v_max_f32_e32 v11, v11, v11
	v_max_f32_e32 v7, v7, v7
	;; [unrolled: 1-line block ×3, first 2 shown]
	ds_write_b32 v6, v7 offset:256
.LBB240_215:
	s_or_b64 exec, exec, s[0:1]
	v_cmp_gt_u32_e64 s[0:1], 2, v26
	s_waitcnt lgkmcnt(0)
	v_mov_b32_e32 v11, 0xff7fffff
	v_lshlrev_b32_e32 v7, 2, v26
	s_barrier
	s_and_saveexec_b64 s[8:9], s[0:1]
; %bb.216:
	ds_read_b32 v11, v7 offset:256
; %bb.217:
	s_or_b64 exec, exec, s[8:9]
	v_xor_b32_e32 v12, 1, v2
	v_cmp_lt_i32_e64 s[8:9], v12, v3
	v_lshlrev_b32_e32 v10, 2, v10
	s_nop 0
	v_cndmask_b32_e64 v12, v2, v12, s[8:9]
	v_lshlrev_b32_e32 v27, 2, v12
	s_waitcnt lgkmcnt(0)
	ds_bpermute_b32 v12, v27, v11
	v_max_f32_e32 v11, v11, v11
	s_lshl_b32 s8, s49, 4
	s_min_i32 s39, s8, s25
	v_cmp_gt_i32_e64 s[8:9], s39, v0
	s_waitcnt lgkmcnt(0)
	v_max_f32_e32 v12, v12, v12
	v_max_f32_e32 v11, v11, v12
	ds_bpermute_b32 v11, v10, v11
	v_mov_b32_e32 v10, 0
	s_and_saveexec_b64 s[12:13], s[8:9]
	s_cbranch_execz .LBB240_221
; %bb.218:
	v_mov_b32_e32 v10, 0x110
	v_lshl_add_u32 v12, v0, 2, v10
	v_mov_b32_e32 v10, 0
	s_mov_b64 s[18:19], 0
	v_mov_b32_e32 v13, v0
.LBB240_219:                            ; =>This Inner Loop Header: Depth=1
	ds_read_b32 v14, v12
	v_add_u32_e32 v13, 0x80, v13
	v_cmp_le_i32_e64 s[10:11], s39, v13
	s_or_b64 s[18:19], s[10:11], s[18:19]
	s_waitcnt lgkmcnt(0)
	v_sub_f32_e32 v14, v14, v11
	v_mul_f32_e32 v14, 0x3fb8aa3b, v14
	v_exp_f32_e32 v14, v14
	ds_write_b32 v12, v14
	v_add_f32_e32 v10, v10, v14
	v_add_u32_e32 v12, 0x200, v12
	s_andn2_b64 exec, exec, s[18:19]
	s_cbranch_execnz .LBB240_219
; %bb.220:
	s_or_b64 exec, exec, s[18:19]
.LBB240_221:
	s_or_b64 exec, exec, s[12:13]
	ds_bpermute_b32 v4, v4, v10
	s_waitcnt lgkmcnt(0)
	v_add_f32_e32 v4, v10, v4
	ds_bpermute_b32 v5, v5, v4
	s_waitcnt lgkmcnt(0)
	v_add_f32_e32 v4, v4, v5
	ds_bpermute_b32 v5, v8, v4
	v_xor_b32_e32 v8, 2, v2
	v_cmp_lt_i32_e64 s[10:11], v8, v3
	s_waitcnt lgkmcnt(0)
	v_add_f32_e32 v4, v4, v5
	ds_bpermute_b32 v5, v9, v4
	v_cndmask_b32_e64 v3, v2, v8, s[10:11]
	v_lshlrev_b32_e32 v3, 2, v3
	s_waitcnt lgkmcnt(0)
	v_add_f32_e32 v4, v4, v5
	ds_bpermute_b32 v3, v3, v4
	s_waitcnt lgkmcnt(0)
	v_add_f32_e32 v3, v4, v3
	ds_bpermute_b32 v4, v27, v3
	s_waitcnt lgkmcnt(0)
	v_add_f32_e32 v3, v3, v4
	s_and_saveexec_b64 s[10:11], vcc
; %bb.222:
	ds_write_b32 v6, v3 offset:264
; %bb.223:
	s_or_b64 exec, exec, s[10:11]
	s_waitcnt lgkmcnt(0)
	s_barrier
	s_and_saveexec_b64 s[10:11], s[0:1]
; %bb.224:
	ds_read_b32 v3, v7 offset:264
; %bb.225:
	s_or_b64 exec, exec, s[10:11]
	s_waitcnt lgkmcnt(0)
	ds_bpermute_b32 v4, v27, v3
	v_lshlrev_b32_e32 v2, 2, v2
	v_and_b32_e32 v2, 0x100, v2
	s_waitcnt lgkmcnt(0)
	v_add_f32_e32 v3, v3, v4
	ds_bpermute_b32 v2, v2, v3
	s_and_saveexec_b64 s[0:1], s[8:9]
	s_cbranch_execz .LBB240_238
; %bb.226:
	s_waitcnt lgkmcnt(0)
	v_add_f32_e32 v2, 0x358637bd, v2
	v_div_scale_f32 v3, s[8:9], v2, v2, 1.0
	v_rcp_f32_e32 v4, v3
	v_div_scale_f32 v5, vcc, 1.0, v2, 1.0
	s_movk_i32 s8, 0x7f
	v_fma_f32 v6, -v3, v4, 1.0
	v_fmac_f32_e32 v4, v6, v4
	v_mul_f32_e32 v6, v5, v4
	v_fma_f32 v7, -v3, v6, v5
	v_fmac_f32_e32 v6, v7, v4
	v_fma_f32 v3, -v3, v6, v5
	v_div_fmas_f32 v3, v3, v4, v6
	v_xad_u32 v4, v0, -1, s39
	v_div_fixup_f32 v2, v3, v2, 1.0
	v_cmp_lt_u32_e32 vcc, s8, v4
	s_mov_b64 s[10:11], -1
	v_mov_b32_e32 v3, v0
	s_and_saveexec_b64 s[8:9], vcc
	s_cbranch_execz .LBB240_235
; %bb.227:
	v_lshrrev_b32_e32 v4, 7, v4
	v_add_u32_e32 v6, -1, v4
	v_lshrrev_b32_e32 v5, 1, v6
	v_mov_b32_e32 v3, v2
	v_add_u32_e32 v5, 1, v5
	v_cmp_lt_u32_e32 vcc, 13, v6
	v_mov_b32_e32 v8, 0
	s_and_saveexec_b64 s[10:11], vcc
	s_cbranch_execz .LBB240_231
; %bb.228:
	v_mov_b32_e32 v7, 0x110
	v_and_b32_e32 v6, -8, v5
	v_lshl_add_u32 v7, v0, 2, v7
	s_mov_b32 s18, 0
	s_mov_b64 s[12:13], 0
.LBB240_229:                            ; =>This Inner Loop Header: Depth=1
	ds_read2st64_b32 v[8:9], v7 offset1:2
	ds_read2st64_b32 v[10:11], v7 offset0:4 offset1:6
	ds_read2st64_b32 v[12:13], v7 offset0:8 offset1:10
	;; [unrolled: 1-line block ×3, first 2 shown]
	v_add_u32_e32 v6, -8, v6
	s_waitcnt lgkmcnt(3)
	v_pk_mul_f32 v[8:9], v[2:3], v[8:9]
	s_waitcnt lgkmcnt(2)
	v_pk_mul_f32 v[10:11], v[2:3], v[10:11]
	ds_write2st64_b32 v7, v8, v9 offset1:2
	ds_write2st64_b32 v7, v10, v11 offset0:4 offset1:6
	ds_read2st64_b32 v[10:11], v7 offset0:16 offset1:18
	s_waitcnt lgkmcnt(4)
	v_pk_mul_f32 v[8:9], v[2:3], v[12:13]
	ds_write2st64_b32 v7, v8, v9 offset0:8 offset1:10
	s_waitcnt lgkmcnt(4)
	v_pk_mul_f32 v[8:9], v[2:3], v[14:15]
	ds_write2st64_b32 v7, v8, v9 offset0:12 offset1:14
	ds_read2st64_b32 v[8:9], v7 offset0:20 offset1:22
	s_waitcnt lgkmcnt(3)
	v_pk_mul_f32 v[10:11], v[2:3], v[10:11]
	ds_read2st64_b32 v[12:13], v7 offset0:24 offset1:26
	ds_write2st64_b32 v7, v10, v11 offset0:16 offset1:18
	ds_read2st64_b32 v[10:11], v7 offset0:28 offset1:30
	s_waitcnt lgkmcnt(3)
	v_pk_mul_f32 v[8:9], v[2:3], v[8:9]
	ds_write2st64_b32 v7, v8, v9 offset0:20 offset1:22
	s_waitcnt lgkmcnt(3)
	v_pk_mul_f32 v[8:9], v[2:3], v[12:13]
	ds_write2st64_b32 v7, v8, v9 offset0:24 offset1:26
	s_waitcnt lgkmcnt(2)
	v_pk_mul_f32 v[8:9], v[2:3], v[10:11]
	s_add_i32 s18, s18, 16
	v_cmp_eq_u32_e32 vcc, 0, v6
	ds_write2st64_b32 v7, v8, v9 offset0:28 offset1:30
	v_add_u32_e32 v7, 0x2000, v7
	s_or_b64 s[12:13], vcc, s[12:13]
	v_mov_b32_e32 v8, s18
	s_andn2_b64 exec, exec, s[12:13]
	s_cbranch_execnz .LBB240_229
; %bb.230:
	s_or_b64 exec, exec, s[12:13]
.LBB240_231:
	s_or_b64 exec, exec, s[10:11]
	v_and_b32_e32 v5, 7, v5
	v_cmp_ne_u32_e32 vcc, 0, v5
	s_and_saveexec_b64 s[10:11], vcc
	s_cbranch_execz .LBB240_234
; %bb.232:
	v_lshlrev_b32_e32 v6, 9, v8
	v_lshlrev_b32_e32 v7, 2, v0
	s_movk_i32 s12, 0x110
	v_add3_u32 v6, v6, v7, s12
	s_mov_b64 s[12:13], 0
.LBB240_233:                            ; =>This Inner Loop Header: Depth=1
	ds_read2st64_b32 v[8:9], v6 offset1:2
	v_add_u32_e32 v5, -1, v5
	v_cmp_eq_u32_e32 vcc, 0, v5
	s_or_b64 s[12:13], vcc, s[12:13]
	s_waitcnt lgkmcnt(0)
	v_pk_mul_f32 v[8:9], v[2:3], v[8:9]
	ds_write2st64_b32 v6, v8, v9 offset1:2
	v_add_u32_e32 v6, 0x400, v6
	s_andn2_b64 exec, exec, s[12:13]
	s_cbranch_execnz .LBB240_233
.LBB240_234:
	s_or_b64 exec, exec, s[10:11]
	v_add_u32_e32 v4, 1, v4
	v_and_b32_e32 v5, 0x3fffffe, v4
	v_cmp_ne_u32_e32 vcc, v4, v5
	v_lshl_add_u32 v3, v5, 7, v0
	s_orn2_b64 s[10:11], vcc, exec
.LBB240_235:
	s_or_b64 exec, exec, s[8:9]
	s_and_b64 exec, exec, s[10:11]
	s_cbranch_execz .LBB240_238
; %bb.236:
	v_mov_b32_e32 v4, 0x110
	v_lshl_add_u32 v4, v3, 2, v4
	s_mov_b64 s[8:9], 0
.LBB240_237:                            ; =>This Inner Loop Header: Depth=1
	ds_read_b32 v5, v4
	v_add_u32_e32 v3, 0x80, v3
	v_cmp_le_i32_e32 vcc, s39, v3
	s_or_b64 s[8:9], vcc, s[8:9]
	s_waitcnt lgkmcnt(0)
	v_mul_f32_e32 v5, v2, v5
	ds_write_b32 v4, v5
	v_add_u32_e32 v4, 0x200, v4
	s_andn2_b64 exec, exec, s[8:9]
	s_cbranch_execnz .LBB240_237
.LBB240_238:
	s_or_b64 exec, exec, s[0:1]
	v_mov_b32_e32 v3, 0
	v_and_b32_e32 v28, 1, v0
	s_waitcnt lgkmcnt(0)
	v_mov_b32_e32 v2, v3
	v_mov_b32_e32 v7, v3
	;; [unrolled: 1-line block ×3, first 2 shown]
	s_barrier
	s_and_saveexec_b64 s[8:9], s[2:3]
	s_cbranch_execz .LBB240_444
; %bb.239:
	s_sub_i32 s39, s16, s21
	s_ashr_i32 s1, s20, 31
	s_add_u32 s0, s36, s20
	s_addc_u32 s1, s37, s1
	s_abs_i32 s22, s22
	v_cvt_f32_u32_e32 v3, s22
	v_lshlrev_b32_e32 v2, 3, v0
	v_and_b32_e32 v29, 8, v2
	v_and_b32_e32 v4, 0x1f8, v2
	v_rcp_iflag_f32_e32 v2, v3
	v_mov_b32_e32 v5, 0
	v_lshl_add_u64 v[8:9], s[0:1], 0, v[4:5]
	s_sub_i32 s0, 0, s22
	v_mul_f32_e32 v2, 0x4f7ffffe, v2
	v_cvt_u32_f32_e32 v2, v2
	s_add_i32 s37, s49, -1
	v_and_b32_e32 v4, 60, v1
	v_lshlrev_b32_e32 v1, 5, v28
	v_mul_lo_u32 v3, s0, v2
	s_lshl_b64 s[0:1], s[34:35], 2
	s_add_u32 s0, s30, s0
	s_mov_b32 s2, -1
	v_mul_hi_u32 v3, v2, v3
	s_addc_u32 s1, s31, s1
	v_lshl_or_b32 v1, v24, 6, v1
	s_mov_b32 s36, s17
	s_mov_b32 s3, 0xffffff
	;; [unrolled: 1-line block ×3, first 2 shown]
	v_add_u32_e32 v30, v2, v3
	v_lshl_add_u64 v[10:11], s[0:1], 0, v[4:5]
	v_add_u32_e32 v31, 0x110, v1
	s_mov_b64 s[10:11], 0
	s_movk_i32 s30, 0x80
	s_movk_i32 s31, 0x7f
	s_mov_b32 s34, 0x8000
	v_mov_b32_e32 v32, 0x2000
	v_mov_b32_e32 v6, 0
	;; [unrolled: 1-line block ×5, first 2 shown]
	s_branch .LBB240_242
.LBB240_240:                            ;   in Loop: Header=BB240_242 Depth=1
	s_or_b64 exec, exec, s[0:1]
	v_add_f32_e32 v12, v22, v23
	v_add_f32_e32 v2, v2, v12
	;; [unrolled: 1-line block ×5, first 2 shown]
	;;#ASMSTART
	v_pk_mul_f16 v1, v44, v1;

	;;#ASMEND
	v_add_f32_e32 v6, v6, v12
	;;#ASMSTART
	v_pk_mul_f16 v4, v43, v4;

	;;#ASMEND
	;;#ASMSTART
	v_pk_mul_f16 v12, v42, v19;

	;;#ASMEND
	;; [unrolled: 4-line block ×3, first 2 shown]
	s_nop 0
	;;#ASMSTART
	v_pk_add_f16 v1, v1, v4;

	;;#ASMEND
	s_nop 0
	;;#ASMSTART
	v_pk_add_f16 v1, v1, v12;

	;;#ASMEND
	;; [unrolled: 5-line block ×3, first 2 shown]
	s_nop 0
	v_lshrrev_b32_e32 v4, 16, v1
	v_and_b32_e32 v1, 0xffff, v1
	;;#ASMSTART
	v_cvt_f32_f16 v1, v1;
	;;#ASMEND
	;;#ASMSTART
	v_cvt_f32_f16 v4, v4;
	;;#ASMEND
	s_nop 0
	v_add_f32_e32 v1, v1, v4
	v_add_f32_e32 v3, v3, v1
.LBB240_241:                            ;   in Loop: Header=BB240_242 Depth=1
	s_or_b64 exec, exec, s[12:13]
	v_add_u32_e32 v24, 2, v24
	v_cmp_le_i32_e32 vcc, s49, v24
	v_lshl_add_u64 v[10:11], v[10:11], 0, 8
	v_add_u32_e32 v25, 32, v25
	s_or_b64 s[10:11], vcc, s[10:11]
	v_add_u32_e32 v31, 0x80, v31
	s_andn2_b64 exec, exec, s[10:11]
	s_cbranch_execz .LBB240_443
.LBB240_242:                            ; =>This Inner Loop Header: Depth=1
	v_mul_hi_u32 v1, v25, s33
	v_mul_lo_u32 v4, v1, s27
	v_sub_u32_e32 v4, v25, v4
	v_add_u32_e32 v12, 1, v1
	v_cmp_le_u32_e32 vcc, s27, v4
	s_nop 1
	v_cndmask_b32_e32 v1, v1, v12, vcc
	v_subrev_u32_e32 v12, s27, v4
	v_cndmask_b32_e32 v4, v4, v12, vcc
	v_add_u32_e32 v12, 1, v1
	v_cmp_le_u32_e32 vcc, s27, v4
	s_nop 1
	v_cndmask_b32_e32 v1, v1, v12, vcc
	v_xor_b32_e32 v1, s48, v1
	v_subrev_u32_e32 v1, s48, v1
	v_add_u32_e32 v4, s38, v1
	v_sub_u32_e32 v13, 0, v4
	v_ashrrev_i32_e32 v12, 31, v4
	v_max_i32_e32 v4, v4, v13
	v_mul_hi_u32 v13, v4, v30
	v_mul_lo_u32 v13, v13, s22
	v_sub_u32_e32 v4, v4, v13
	v_subrev_u32_e32 v13, s22, v4
	v_cmp_le_u32_e32 vcc, s22, v4
	v_cmp_lt_i32_e64 s[0:1], s39, v1
	s_nop 0
	v_cndmask_b32_e32 v4, v4, v13, vcc
	v_subrev_u32_e32 v13, s22, v4
	v_cmp_le_u32_e32 vcc, s22, v4
	s_nop 1
	v_cndmask_b32_e32 v4, v4, v13, vcc
	v_xor_b32_e32 v4, v4, v12
	v_sub_u32_e32 v4, v4, v12
	v_cmp_eq_u32_e32 vcc, 0, v4
	s_or_b64 s[0:1], vcc, s[0:1]
	s_and_saveexec_b64 s[12:13], s[0:1]
	s_cbranch_execz .LBB240_241
; %bb.243:                              ;   in Loop: Header=BB240_242 Depth=1
	global_load_dword v1, v[10:11], off
	ds_read2_b64 v[12:15], v31 offset1:1
	ds_read2_b64 v[16:19], v31 offset0:2 offset1:3
	s_waitcnt lgkmcnt(1)
	;;#ASMSTART
	v_cvt_f16_f32 v41, v12;

	;;#ASMEND
	;;#ASMSTART
	v_cvt_f16_f32 v42, v13;

	;;#ASMEND
	;; [unrolled: 4-line block ×4, first 2 shown]
	s_waitcnt lgkmcnt(0)
	;;#ASMSTART
	v_cvt_f16_f32 v46, v16;

	;;#ASMEND
	;;#ASMSTART
	v_cvt_f16_f32 v47, v17;

	;;#ASMEND
	;; [unrolled: 4-line block ×4, first 2 shown]
	v_mov_b32_e32 v15, 0
	s_waitcnt vmcnt(0)
	v_mad_i64_i32 v[12:13], s[0:1], v1, s36, v[8:9]
	global_load_dwordx2 v[16:17], v[12:13], off
	v_mov_b32_e32 v1, 0
	global_load_dword v14, v1, s[14:15]
	s_waitcnt vmcnt(1)
	v_cmp_ne_u16_sdwa s[16:17], v16, v5 src0_sel:BYTE_0 src1_sel:DWORD
	s_and_saveexec_b64 s[0:1], s[16:17]
	s_cbranch_execz .LBB240_249
; %bb.244:                              ;   in Loop: Header=BB240_242 Depth=1
	v_cmp_ne_u16_sdwa s[18:19], v16, s30 src0_sel:BYTE_0 src1_sel:DWORD
	v_mov_b32_e32 v15, 0x8000
	s_and_saveexec_b64 s[16:17], s[18:19]
	s_cbranch_execz .LBB240_248
; %bb.245:                              ;   in Loop: Header=BB240_242 Depth=1
	v_and_b32_e32 v4, 0x7f, v16
	v_cmp_ne_u32_e32 vcc, s31, v4
	v_mov_b32_e32 v15, 0x7c01
	s_and_saveexec_b64 s[18:19], vcc
	s_cbranch_execz .LBB240_247
; %bb.246:                              ;   in Loop: Header=BB240_242 Depth=1
	v_and_b32_e32 v15, 7, v16
	v_ffbh_u32_e32 v18, v15
	v_min_u32_e32 v21, 32, v18
	v_subrev_u32_e32 v18, 28, v21
	v_lshlrev_b64 v[18:19], v18, v[16:17]
	v_lshrrev_b32_e32 v20, 3, v4
	v_sub_u32_e32 v19, 29, v21
	v_cmp_gt_u32_e32 vcc, 8, v4
	v_and_b32_e32 v18, 7, v18
	s_nop 0
	v_cndmask_b32_e32 v4, v20, v19, vcc
	v_lshl_add_u32 v4, v4, 10, v32
	v_lshlrev_b32_e32 v19, 8, v16
	v_and_b32_e32 v4, 0xfc00, v4
	v_cndmask_b32_e32 v15, v15, v18, vcc
	v_and_or_b32 v4, v19, s34, v4
	v_lshl_or_b32 v15, v15, 7, v4
.LBB240_247:                            ;   in Loop: Header=BB240_242 Depth=1
	s_or_b64 exec, exec, s[18:19]
.LBB240_248:                            ;   in Loop: Header=BB240_242 Depth=1
	s_or_b64 exec, exec, s[16:17]
.LBB240_249:                            ;   in Loop: Header=BB240_242 Depth=1
	s_or_b64 exec, exec, s[0:1]
	v_lshrrev_b16_e32 v4, 8, v16
	v_cmp_ne_u16_e32 vcc, 0, v4
	s_and_saveexec_b64 s[0:1], vcc
	s_cbranch_execz .LBB240_255
; %bb.250:                              ;   in Loop: Header=BB240_242 Depth=1
	v_cmp_ne_u16_e32 vcc, s30, v4
	v_bfrev_b32_e32 v1, 1
	s_and_saveexec_b64 s[16:17], vcc
	s_cbranch_execz .LBB240_254
; %bb.251:                              ;   in Loop: Header=BB240_242 Depth=1
	v_and_b32_e32 v18, 0x7f, v4
	v_cmp_ne_u32_e32 vcc, s31, v18
	v_mov_b32_e32 v1, 0x7c010000
	s_and_saveexec_b64 s[18:19], vcc
	s_cbranch_execz .LBB240_253
; %bb.252:                              ;   in Loop: Header=BB240_242 Depth=1
	v_and_b32_e32 v1, 7, v4
	v_ffbh_u32_e32 v20, v1
	v_min_u32_e32 v22, 32, v20
	v_subrev_u32_e32 v20, 28, v22
	v_lshlrev_b64 v[20:21], v20, v[4:5]
	v_lshrrev_b32_e32 v19, 3, v18
	v_sub_u32_e32 v21, 29, v22
	v_cmp_gt_u32_e32 vcc, 8, v18
	v_lshlrev_b32_e32 v4, 8, v4
	s_nop 0
	v_cndmask_b32_e32 v18, v19, v21, vcc
	v_lshl_add_u32 v18, v18, 10, v32
	v_and_b32_e32 v19, 7, v20
	v_and_or_b32 v4, v4, s34, v18
	v_cndmask_b32_e32 v1, v1, v19, vcc
	v_lshlrev_b32_e32 v4, 16, v4
	v_lshl_or_b32 v1, v1, 23, v4
.LBB240_253:                            ;   in Loop: Header=BB240_242 Depth=1
	s_or_b64 exec, exec, s[18:19]
.LBB240_254:                            ;   in Loop: Header=BB240_242 Depth=1
	s_or_b64 exec, exec, s[16:17]
.LBB240_255:                            ;   in Loop: Header=BB240_242 Depth=1
	s_or_b64 exec, exec, s[0:1]
	v_lshrrev_b32_e32 v4, 16, v16
	v_cmp_ne_u16_sdwa s[16:17], v4, v5 src0_sel:BYTE_0 src1_sel:DWORD
	v_mov_b32_e32 v19, 0
	v_mov_b32_e32 v18, 0
	s_and_saveexec_b64 s[0:1], s[16:17]
	s_cbranch_execz .LBB240_261
; %bb.256:                              ;   in Loop: Header=BB240_242 Depth=1
	v_cmp_ne_u16_sdwa s[18:19], v4, s30 src0_sel:BYTE_0 src1_sel:DWORD
	v_mov_b32_e32 v18, 0x8000
	s_and_saveexec_b64 s[16:17], s[18:19]
	s_cbranch_execz .LBB240_260
; %bb.257:                              ;   in Loop: Header=BB240_242 Depth=1
	v_bfe_u32 v20, v16, 16, 7
	v_cmp_ne_u32_e32 vcc, s31, v20
	v_mov_b32_e32 v18, 0x7c01
	s_and_saveexec_b64 s[18:19], vcc
	s_cbranch_execz .LBB240_259
; %bb.258:                              ;   in Loop: Header=BB240_242 Depth=1
	v_and_b32_e32 v18, 7, v4
	v_ffbh_u32_e32 v22, v18
	v_min_u32_e32 v33, 32, v22
	v_subrev_u32_e32 v22, 28, v33
	v_lshlrev_b64 v[22:23], v22, v[4:5]
	v_lshrrev_b32_e32 v21, 3, v20
	v_sub_u32_e32 v23, 29, v33
	v_cmp_gt_u32_e32 vcc, 8, v20
	v_lshlrev_b32_e32 v4, 8, v4
	s_nop 0
	v_cndmask_b32_e32 v20, v21, v23, vcc
	v_lshl_add_u32 v20, v20, 10, v32
	v_and_b32_e32 v21, 7, v22
	v_and_b32_e32 v20, 0xfc00, v20
	v_cndmask_b32_e32 v18, v18, v21, vcc
	v_and_or_b32 v4, v4, s34, v20
	v_lshl_or_b32 v18, v18, 7, v4
.LBB240_259:                            ;   in Loop: Header=BB240_242 Depth=1
	s_or_b64 exec, exec, s[18:19]
.LBB240_260:                            ;   in Loop: Header=BB240_242 Depth=1
	s_or_b64 exec, exec, s[16:17]
.LBB240_261:                            ;   in Loop: Header=BB240_242 Depth=1
	s_or_b64 exec, exec, s[0:1]
	v_cmp_lt_u32_e32 vcc, s3, v16
	s_and_saveexec_b64 s[0:1], vcc
	s_cbranch_execz .LBB240_267
; %bb.262:                              ;   in Loop: Header=BB240_242 Depth=1
	v_lshrrev_b32_e32 v4, 24, v16
	v_cmp_ne_u32_e32 vcc, s30, v4
	v_bfrev_b32_e32 v19, 1
	s_and_saveexec_b64 s[16:17], vcc
	s_cbranch_execz .LBB240_266
; %bb.263:                              ;   in Loop: Header=BB240_242 Depth=1
	v_and_b32_e32 v20, 0x7f, v4
	v_cmp_ne_u32_e32 vcc, s31, v20
	v_mov_b32_e32 v19, 0x7c010000
	s_and_saveexec_b64 s[18:19], vcc
	s_cbranch_execz .LBB240_265
; %bb.264:                              ;   in Loop: Header=BB240_242 Depth=1
	v_and_b32_e32 v19, 7, v4
	v_ffbh_u32_e32 v22, v19
	v_min_u32_e32 v33, 32, v22
	v_subrev_u32_e32 v22, 28, v33
	v_lshlrev_b64 v[22:23], v22, v[4:5]
	v_lshrrev_b32_e32 v21, 3, v20
	v_sub_u32_e32 v23, 29, v33
	v_cmp_gt_u32_e32 vcc, 8, v20
	v_lshlrev_b32_e32 v4, 8, v4
	s_nop 0
	v_cndmask_b32_e32 v20, v21, v23, vcc
	v_lshl_add_u32 v20, v20, 10, v32
	v_and_b32_e32 v21, 7, v22
	v_and_or_b32 v4, v4, s34, v20
	v_cndmask_b32_e32 v19, v19, v21, vcc
	v_lshlrev_b32_e32 v4, 16, v4
	v_lshl_or_b32 v19, v19, 23, v4
.LBB240_265:                            ;   in Loop: Header=BB240_242 Depth=1
	s_or_b64 exec, exec, s[18:19]
.LBB240_266:                            ;   in Loop: Header=BB240_242 Depth=1
	s_or_b64 exec, exec, s[16:17]
.LBB240_267:                            ;   in Loop: Header=BB240_242 Depth=1
	s_or_b64 exec, exec, s[0:1]
	v_mov_b32_e32 v4, v17
	v_cmp_ne_u16_sdwa s[16:17], v17, v5 src0_sel:BYTE_0 src1_sel:DWORD
	v_mov_b32_e32 v20, 0
	v_mov_b32_e32 v21, 0
	s_and_saveexec_b64 s[0:1], s[16:17]
	s_cbranch_execz .LBB240_273
; %bb.268:                              ;   in Loop: Header=BB240_242 Depth=1
	v_cmp_ne_u16_sdwa s[18:19], v17, s30 src0_sel:BYTE_0 src1_sel:DWORD
	v_mov_b32_e32 v21, 0x8000
	s_and_saveexec_b64 s[16:17], s[18:19]
	s_cbranch_execz .LBB240_272
; %bb.269:                              ;   in Loop: Header=BB240_242 Depth=1
	v_and_b32_e32 v22, 0x7f, v17
	v_cmp_ne_u32_e32 vcc, s31, v22
	v_mov_b32_e32 v21, 0x7c01
	s_and_saveexec_b64 s[18:19], vcc
	s_cbranch_execz .LBB240_271
; %bb.270:                              ;   in Loop: Header=BB240_242 Depth=1
	v_and_b32_e32 v21, 7, v17
	v_ffbh_u32_e32 v33, v21
	v_min_u32_e32 v33, 32, v33
	v_lshrrev_b32_e32 v23, 3, v22
	v_subrev_u32_e32 v34, 28, v33
	v_sub_u32_e32 v33, 29, v33
	v_cmp_gt_u32_e32 vcc, 8, v22
	v_lshlrev_b64 v[34:35], v34, v[4:5]
	s_nop 0
	v_cndmask_b32_e32 v22, v23, v33, vcc
	v_lshl_add_u32 v22, v22, 10, v32
	v_lshlrev_b32_e32 v23, 8, v17
	v_and_b32_e32 v33, 7, v34
	v_and_b32_e32 v22, 0xfc00, v22
	v_cndmask_b32_e32 v21, v21, v33, vcc
	v_and_or_b32 v22, v23, s34, v22
	v_lshl_or_b32 v21, v21, 7, v22
.LBB240_271:                            ;   in Loop: Header=BB240_242 Depth=1
	s_or_b64 exec, exec, s[18:19]
.LBB240_272:                            ;   in Loop: Header=BB240_242 Depth=1
	s_or_b64 exec, exec, s[16:17]
.LBB240_273:                            ;   in Loop: Header=BB240_242 Depth=1
	s_or_b64 exec, exec, s[0:1]
	v_lshrrev_b16_e32 v4, 8, v4
	v_cmp_ne_u16_e32 vcc, 0, v4
	v_mov_b32_e32 v22, 0
	s_and_saveexec_b64 s[0:1], vcc
	s_cbranch_execz .LBB240_279
; %bb.274:                              ;   in Loop: Header=BB240_242 Depth=1
	v_cmp_ne_u16_e32 vcc, s30, v4
	v_bfrev_b32_e32 v22, 1
	s_and_saveexec_b64 s[16:17], vcc
	s_cbranch_execz .LBB240_278
; %bb.275:                              ;   in Loop: Header=BB240_242 Depth=1
	v_and_b32_e32 v23, 0x7f, v4
	v_cmp_ne_u32_e32 vcc, s31, v23
	v_mov_b32_e32 v22, 0x7c010000
	s_and_saveexec_b64 s[18:19], vcc
	s_cbranch_execz .LBB240_277
; %bb.276:                              ;   in Loop: Header=BB240_242 Depth=1
	v_and_b32_e32 v22, 7, v4
	v_ffbh_u32_e32 v34, v22
	v_min_u32_e32 v36, 32, v34
	v_subrev_u32_e32 v34, 28, v36
	v_lshlrev_b64 v[34:35], v34, v[4:5]
	v_lshrrev_b32_e32 v33, 3, v23
	v_sub_u32_e32 v35, 29, v36
	v_cmp_gt_u32_e32 vcc, 8, v23
	v_lshlrev_b32_e32 v4, 8, v4
	s_nop 0
	v_cndmask_b32_e32 v23, v33, v35, vcc
	v_lshl_add_u32 v23, v23, 10, v32
	v_and_b32_e32 v33, 7, v34
	v_and_or_b32 v4, v4, s34, v23
	v_cndmask_b32_e32 v22, v22, v33, vcc
	v_lshlrev_b32_e32 v4, 16, v4
	v_lshl_or_b32 v22, v22, 23, v4
.LBB240_277:                            ;   in Loop: Header=BB240_242 Depth=1
	s_or_b64 exec, exec, s[18:19]
.LBB240_278:                            ;   in Loop: Header=BB240_242 Depth=1
	s_or_b64 exec, exec, s[16:17]
.LBB240_279:                            ;   in Loop: Header=BB240_242 Depth=1
	s_or_b64 exec, exec, s[0:1]
	v_lshrrev_b32_e32 v4, 16, v17
	v_cmp_ne_u16_sdwa s[16:17], v4, v5 src0_sel:BYTE_0 src1_sel:DWORD
	s_and_saveexec_b64 s[0:1], s[16:17]
	s_cbranch_execz .LBB240_285
; %bb.280:                              ;   in Loop: Header=BB240_242 Depth=1
	v_cmp_ne_u16_sdwa s[18:19], v4, s30 src0_sel:BYTE_0 src1_sel:DWORD
	v_mov_b32_e32 v20, 0x8000
	s_and_saveexec_b64 s[16:17], s[18:19]
	s_cbranch_execz .LBB240_284
; %bb.281:                              ;   in Loop: Header=BB240_242 Depth=1
	v_bfe_u32 v23, v17, 16, 7
	v_cmp_ne_u32_e32 vcc, s31, v23
	v_mov_b32_e32 v20, 0x7c01
	s_and_saveexec_b64 s[18:19], vcc
	s_cbranch_execz .LBB240_283
; %bb.282:                              ;   in Loop: Header=BB240_242 Depth=1
	v_and_b32_e32 v20, 7, v4
	v_ffbh_u32_e32 v34, v20
	v_min_u32_e32 v36, 32, v34
	v_subrev_u32_e32 v34, 28, v36
	v_lshlrev_b64 v[34:35], v34, v[4:5]
	v_lshrrev_b32_e32 v33, 3, v23
	v_sub_u32_e32 v35, 29, v36
	v_cmp_gt_u32_e32 vcc, 8, v23
	v_lshlrev_b32_e32 v4, 8, v4
	s_nop 0
	v_cndmask_b32_e32 v23, v33, v35, vcc
	v_lshl_add_u32 v23, v23, 10, v32
	v_and_b32_e32 v33, 7, v34
	v_and_b32_e32 v23, 0xfc00, v23
	v_cndmask_b32_e32 v20, v20, v33, vcc
	v_and_or_b32 v4, v4, s34, v23
	v_lshl_or_b32 v20, v20, 7, v4
.LBB240_283:                            ;   in Loop: Header=BB240_242 Depth=1
	s_or_b64 exec, exec, s[18:19]
.LBB240_284:                            ;   in Loop: Header=BB240_242 Depth=1
	s_or_b64 exec, exec, s[16:17]
.LBB240_285:                            ;   in Loop: Header=BB240_242 Depth=1
	s_or_b64 exec, exec, s[0:1]
	v_cmp_lt_u64_e32 vcc, s[2:3], v[16:17]
	v_mov_b32_e32 v23, 0
	s_and_saveexec_b64 s[0:1], vcc
	s_cbranch_execz .LBB240_291
; %bb.286:                              ;   in Loop: Header=BB240_242 Depth=1
	v_lshrrev_b32_e32 v4, 24, v17
	v_cmp_ne_u32_e32 vcc, s30, v4
	v_bfrev_b32_e32 v23, 1
	s_and_saveexec_b64 s[16:17], vcc
	s_cbranch_execz .LBB240_290
; %bb.287:                              ;   in Loop: Header=BB240_242 Depth=1
	v_and_b32_e32 v16, 0x7f, v4
	v_cmp_ne_u32_e32 vcc, s31, v16
	v_mov_b32_e32 v23, 0x7c010000
	s_and_saveexec_b64 s[18:19], vcc
	s_cbranch_execz .LBB240_289
; %bb.288:                              ;   in Loop: Header=BB240_242 Depth=1
	v_and_b32_e32 v17, 7, v4
	v_ffbh_u32_e32 v33, v17
	v_min_u32_e32 v33, 32, v33
	v_lshrrev_b32_e32 v23, 3, v16
	v_subrev_u32_e32 v34, 28, v33
	v_sub_u32_e32 v33, 29, v33
	v_cmp_gt_u32_e32 vcc, 8, v16
	v_lshlrev_b64 v[34:35], v34, v[4:5]
	v_lshlrev_b32_e32 v4, 8, v4
	v_cndmask_b32_e32 v16, v23, v33, vcc
	v_lshl_add_u32 v16, v16, 10, v32
	v_and_b32_e32 v23, 7, v34
	v_and_or_b32 v4, v4, s34, v16
	v_cndmask_b32_e32 v17, v17, v23, vcc
	v_lshlrev_b32_e32 v4, 16, v4
	v_lshl_or_b32 v23, v17, 23, v4
.LBB240_289:                            ;   in Loop: Header=BB240_242 Depth=1
	s_or_b64 exec, exec, s[18:19]
.LBB240_290:                            ;   in Loop: Header=BB240_242 Depth=1
	s_or_b64 exec, exec, s[16:17]
.LBB240_291:                            ;   in Loop: Header=BB240_242 Depth=1
	s_or_b64 exec, exec, s[0:1]
	v_cvt_f32_f16_sdwa v17, v1 dst_sel:DWORD dst_unused:UNUSED_PAD src0_sel:WORD_1
	v_cvt_f32_f16_sdwa v16, v19 dst_sel:DWORD dst_unused:UNUSED_PAD src0_sel:WORD_1
	v_or_b32_e32 v1, v1, v15
	v_or_b32_e32 v4, v19, v18
	v_cvt_f32_f16_e32 v18, v4
	v_cvt_f32_f16_e32 v19, v1
	s_waitcnt vmcnt(0)
	v_pk_mul_f32 v[16:17], v[14:15], v[16:17] op_sel_hi:[0,1]
	v_cvt_pk_f16_f32 v1, v16, v17
	v_and_b32_e32 v15, 0xffff0000, v1
	v_pk_mul_f32 v[18:19], v[14:15], v[18:19] op_sel_hi:[0,1]
	v_lshlrev_b32_e32 v16, 16, v1
	v_cvt_pk_f16_f32 v1, v18, v19
	v_or_b32_e32 v4, v22, v21
	v_or_b32_e32 v19, v23, v20
	v_cvt_f32_f16_e32 v20, v19
	v_cvt_f32_f16_e32 v21, v4
	v_cvt_f32_f16_sdwa v35, v22 dst_sel:DWORD dst_unused:UNUSED_PAD src0_sel:WORD_1
	v_cvt_f32_f16_sdwa v34, v23 dst_sel:DWORD dst_unused:UNUSED_PAD src0_sel:WORD_1
	v_add_u32_e32 v33, v29, v25
	v_pk_mul_f32 v[20:21], v[14:15], v[20:21] op_sel_hi:[0,1]
	v_cvt_pk_f16_f32 v22, v20, v21
	v_pk_mul_f32 v[20:21], v[14:15], v[34:35] op_sel_hi:[0,1]
	v_cvt_pk_f16_f32 v14, v20, v21
	v_lshrrev_b32_e32 v17, 16, v1
	v_and_b32_e32 v18, 0xffff, v1
	v_and_b32_e32 v19, 0xffff0000, v14
	v_lshlrev_b32_e32 v14, 16, v14
	v_lshrrev_b32_e32 v23, 16, v22
	v_and_b32_e32 v22, 0xffff, v22
	v_cmp_eq_u32_e32 vcc, s37, v24
	v_or_b32_e32 v1, v15, v17
	v_or_b32_e32 v4, v16, v18
	;; [unrolled: 1-line block ×4, first 2 shown]
	v_add_u32_e32 v40, 2, v33
	v_or_b32_e32 v39, 1, v33
	v_or_b32_e32 v38, 3, v33
	;; [unrolled: 1-line block ×6, first 2 shown]
	s_and_saveexec_b64 s[16:17], vcc
	s_cbranch_execz .LBB240_293
; %bb.292:                              ;   in Loop: Header=BB240_242 Depth=1
	v_cmp_gt_i32_e64 s[0:1], s40, v33
	s_nop 1
	v_cndmask_b32_e64 v1, 0, v17, s[0:1]
	v_cmp_gt_i32_e64 s[0:1], s25, v40
	s_nop 1
	v_cndmask_b32_e64 v4, 0, v18, s[0:1]
	v_cmp_gt_i32_e64 s[0:1], s40, v39
	s_nop 1
	v_cndmask_b32_e64 v15, 0, v15, s[0:1]
	v_cmp_gt_i32_e64 s[0:1], s25, v38
	v_or_b32_e32 v1, v15, v1
	s_nop 0
	v_cndmask_b32_e64 v16, 0, v16, s[0:1]
	v_cmp_gt_i32_e64 s[0:1], s40, v37
	v_or_b32_e32 v4, v16, v4
	s_nop 0
	v_cndmask_b32_e64 v15, 0, v23, s[0:1]
	v_cmp_gt_i32_e64 s[0:1], s25, v36
	s_nop 1
	v_cndmask_b32_e64 v16, 0, v22, s[0:1]
	v_cmp_gt_i32_e64 s[0:1], s40, v35
	;; [unrolled: 3-line block ×3, first 2 shown]
	v_or_b32_e32 v21, v17, v15
	s_nop 0
	v_cndmask_b32_e64 v14, 0, v14, s[0:1]
	v_or_b32_e32 v20, v14, v16
.LBB240_293:                            ;   in Loop: Header=BB240_242 Depth=1
	s_or_b64 exec, exec, s[16:17]
	v_and_b32_e32 v14, 0xffff, v41
	v_lshl_or_b32 v44, v42, 16, v14
	v_and_b32_e32 v14, 0xffff, v43
	v_lshl_or_b32 v43, v45, 16, v14
	v_and_b32_e32 v14, 0xffff, v46
	v_lshl_or_b32 v42, v47, 16, v14
	v_and_b32_e32 v14, 0xffff, v48
	;;#ASMSTART
	v_pk_mul_f16 v1, v44, v1;

	;;#ASMEND
	v_lshl_or_b32 v41, v49, 16, v14
	;;#ASMSTART
	v_pk_mul_f16 v4, v43, v4;

	;;#ASMEND
	;;#ASMSTART
	v_pk_mul_f16 v14, v42, v21;

	;;#ASMEND
	;; [unrolled: 4-line block ×3, first 2 shown]
	s_nop 0
	;;#ASMSTART
	v_pk_add_f16 v1, v1, v4;

	;;#ASMEND
	s_nop 0
	;;#ASMSTART
	v_pk_add_f16 v1, v1, v14;

	;;#ASMEND
	;; [unrolled: 5-line block ×3, first 2 shown]
	v_mov_b32_e32 v15, 0
	v_lshrrev_b32_e32 v4, 16, v1
	v_and_b32_e32 v1, 0xffff, v1
	;;#ASMSTART
	v_cvt_f32_f16 v45, v1;
	;;#ASMEND
	;;#ASMSTART
	v_cvt_f32_f16 v46, v4;
	;;#ASMEND
	global_load_dwordx2 v[16:17], v[12:13], off offset:512
	v_mov_b32_e32 v1, 0
	global_load_dword v14, v1, s[14:15]
	s_waitcnt vmcnt(1)
	v_cmp_ne_u16_sdwa s[0:1], v16, v5 src0_sel:BYTE_0 src1_sel:DWORD
	s_and_saveexec_b64 s[16:17], s[0:1]
	s_cbranch_execz .LBB240_299
; %bb.294:                              ;   in Loop: Header=BB240_242 Depth=1
	v_cmp_ne_u16_sdwa s[0:1], v16, s30 src0_sel:BYTE_0 src1_sel:DWORD
	v_mov_b32_e32 v15, 0x8000
	s_and_saveexec_b64 s[18:19], s[0:1]
	s_cbranch_execz .LBB240_298
; %bb.295:                              ;   in Loop: Header=BB240_242 Depth=1
	v_and_b32_e32 v4, 0x7f, v16
	v_cmp_ne_u32_e64 s[0:1], s31, v4
	v_mov_b32_e32 v15, 0x7c01
	s_and_saveexec_b64 s[20:21], s[0:1]
	s_cbranch_execz .LBB240_297
; %bb.296:                              ;   in Loop: Header=BB240_242 Depth=1
	v_and_b32_e32 v15, 7, v16
	v_ffbh_u32_e32 v18, v15
	v_min_u32_e32 v21, 32, v18
	v_subrev_u32_e32 v18, 28, v21
	v_lshlrev_b64 v[18:19], v18, v[16:17]
	v_lshrrev_b32_e32 v20, 3, v4
	v_sub_u32_e32 v19, 29, v21
	v_cmp_gt_u32_e64 s[0:1], 8, v4
	v_and_b32_e32 v18, 7, v18
	s_nop 0
	v_cndmask_b32_e64 v4, v20, v19, s[0:1]
	v_lshl_add_u32 v4, v4, 10, v32
	v_lshlrev_b32_e32 v19, 8, v16
	v_and_b32_e32 v4, 0xfc00, v4
	v_cndmask_b32_e64 v15, v15, v18, s[0:1]
	v_and_or_b32 v4, v19, s34, v4
	v_lshl_or_b32 v15, v15, 7, v4
.LBB240_297:                            ;   in Loop: Header=BB240_242 Depth=1
	s_or_b64 exec, exec, s[20:21]
.LBB240_298:                            ;   in Loop: Header=BB240_242 Depth=1
	s_or_b64 exec, exec, s[18:19]
.LBB240_299:                            ;   in Loop: Header=BB240_242 Depth=1
	s_or_b64 exec, exec, s[16:17]
	v_lshrrev_b16_e32 v4, 8, v16
	v_cmp_ne_u16_e64 s[0:1], 0, v4
	s_and_saveexec_b64 s[16:17], s[0:1]
	s_cbranch_execz .LBB240_305
; %bb.300:                              ;   in Loop: Header=BB240_242 Depth=1
	v_cmp_ne_u16_e64 s[0:1], s30, v4
	v_bfrev_b32_e32 v1, 1
	s_and_saveexec_b64 s[18:19], s[0:1]
	s_cbranch_execz .LBB240_304
; %bb.301:                              ;   in Loop: Header=BB240_242 Depth=1
	v_and_b32_e32 v18, 0x7f, v4
	v_cmp_ne_u32_e64 s[0:1], s31, v18
	v_mov_b32_e32 v1, 0x7c010000
	s_and_saveexec_b64 s[20:21], s[0:1]
	s_cbranch_execz .LBB240_303
; %bb.302:                              ;   in Loop: Header=BB240_242 Depth=1
	v_and_b32_e32 v1, 7, v4
	v_ffbh_u32_e32 v20, v1
	v_min_u32_e32 v22, 32, v20
	v_subrev_u32_e32 v20, 28, v22
	v_lshlrev_b64 v[20:21], v20, v[4:5]
	v_lshrrev_b32_e32 v19, 3, v18
	v_sub_u32_e32 v21, 29, v22
	v_cmp_gt_u32_e64 s[0:1], 8, v18
	v_lshlrev_b32_e32 v4, 8, v4
	s_nop 0
	v_cndmask_b32_e64 v18, v19, v21, s[0:1]
	v_lshl_add_u32 v18, v18, 10, v32
	v_and_b32_e32 v19, 7, v20
	v_and_or_b32 v4, v4, s34, v18
	v_cndmask_b32_e64 v1, v1, v19, s[0:1]
	v_lshlrev_b32_e32 v4, 16, v4
	v_lshl_or_b32 v1, v1, 23, v4
.LBB240_303:                            ;   in Loop: Header=BB240_242 Depth=1
	s_or_b64 exec, exec, s[20:21]
.LBB240_304:                            ;   in Loop: Header=BB240_242 Depth=1
	s_or_b64 exec, exec, s[18:19]
.LBB240_305:                            ;   in Loop: Header=BB240_242 Depth=1
	s_or_b64 exec, exec, s[16:17]
	v_lshrrev_b32_e32 v4, 16, v16
	v_cmp_ne_u16_sdwa s[0:1], v4, v5 src0_sel:BYTE_0 src1_sel:DWORD
	v_mov_b32_e32 v19, 0
	v_mov_b32_e32 v18, 0
	s_and_saveexec_b64 s[16:17], s[0:1]
	s_cbranch_execz .LBB240_311
; %bb.306:                              ;   in Loop: Header=BB240_242 Depth=1
	v_cmp_ne_u16_sdwa s[0:1], v4, s30 src0_sel:BYTE_0 src1_sel:DWORD
	v_mov_b32_e32 v18, 0x8000
	s_and_saveexec_b64 s[18:19], s[0:1]
	s_cbranch_execz .LBB240_310
; %bb.307:                              ;   in Loop: Header=BB240_242 Depth=1
	v_bfe_u32 v20, v16, 16, 7
	v_cmp_ne_u32_e64 s[0:1], s31, v20
	v_mov_b32_e32 v18, 0x7c01
	s_and_saveexec_b64 s[20:21], s[0:1]
	s_cbranch_execz .LBB240_309
; %bb.308:                              ;   in Loop: Header=BB240_242 Depth=1
	v_and_b32_e32 v18, 7, v4
	v_ffbh_u32_e32 v22, v18
	v_min_u32_e32 v47, 32, v22
	v_subrev_u32_e32 v22, 28, v47
	v_lshlrev_b64 v[22:23], v22, v[4:5]
	v_lshrrev_b32_e32 v21, 3, v20
	v_sub_u32_e32 v23, 29, v47
	v_cmp_gt_u32_e64 s[0:1], 8, v20
	v_lshlrev_b32_e32 v4, 8, v4
	s_nop 0
	v_cndmask_b32_e64 v20, v21, v23, s[0:1]
	v_lshl_add_u32 v20, v20, 10, v32
	v_and_b32_e32 v21, 7, v22
	v_and_b32_e32 v20, 0xfc00, v20
	v_cndmask_b32_e64 v18, v18, v21, s[0:1]
	v_and_or_b32 v4, v4, s34, v20
	v_lshl_or_b32 v18, v18, 7, v4
.LBB240_309:                            ;   in Loop: Header=BB240_242 Depth=1
	s_or_b64 exec, exec, s[20:21]
.LBB240_310:                            ;   in Loop: Header=BB240_242 Depth=1
	s_or_b64 exec, exec, s[18:19]
.LBB240_311:                            ;   in Loop: Header=BB240_242 Depth=1
	s_or_b64 exec, exec, s[16:17]
	v_cmp_lt_u32_e64 s[0:1], s3, v16
	s_and_saveexec_b64 s[16:17], s[0:1]
	s_cbranch_execz .LBB240_317
; %bb.312:                              ;   in Loop: Header=BB240_242 Depth=1
	v_lshrrev_b32_e32 v4, 24, v16
	v_cmp_ne_u32_e64 s[0:1], s30, v4
	v_bfrev_b32_e32 v19, 1
	s_and_saveexec_b64 s[18:19], s[0:1]
	s_cbranch_execz .LBB240_316
; %bb.313:                              ;   in Loop: Header=BB240_242 Depth=1
	v_and_b32_e32 v20, 0x7f, v4
	v_cmp_ne_u32_e64 s[0:1], s31, v20
	v_mov_b32_e32 v19, 0x7c010000
	s_and_saveexec_b64 s[20:21], s[0:1]
	s_cbranch_execz .LBB240_315
; %bb.314:                              ;   in Loop: Header=BB240_242 Depth=1
	v_and_b32_e32 v19, 7, v4
	v_ffbh_u32_e32 v22, v19
	v_min_u32_e32 v47, 32, v22
	v_subrev_u32_e32 v22, 28, v47
	v_lshlrev_b64 v[22:23], v22, v[4:5]
	v_lshrrev_b32_e32 v21, 3, v20
	v_sub_u32_e32 v23, 29, v47
	v_cmp_gt_u32_e64 s[0:1], 8, v20
	v_lshlrev_b32_e32 v4, 8, v4
	s_nop 0
	v_cndmask_b32_e64 v20, v21, v23, s[0:1]
	v_lshl_add_u32 v20, v20, 10, v32
	v_and_b32_e32 v21, 7, v22
	v_and_or_b32 v4, v4, s34, v20
	v_cndmask_b32_e64 v19, v19, v21, s[0:1]
	v_lshlrev_b32_e32 v4, 16, v4
	v_lshl_or_b32 v19, v19, 23, v4
.LBB240_315:                            ;   in Loop: Header=BB240_242 Depth=1
	s_or_b64 exec, exec, s[20:21]
.LBB240_316:                            ;   in Loop: Header=BB240_242 Depth=1
	s_or_b64 exec, exec, s[18:19]
.LBB240_317:                            ;   in Loop: Header=BB240_242 Depth=1
	s_or_b64 exec, exec, s[16:17]
	v_mov_b32_e32 v4, v17
	v_cmp_ne_u16_sdwa s[0:1], v17, v5 src0_sel:BYTE_0 src1_sel:DWORD
	v_mov_b32_e32 v20, 0
	v_mov_b32_e32 v21, 0
	s_and_saveexec_b64 s[16:17], s[0:1]
	s_cbranch_execz .LBB240_323
; %bb.318:                              ;   in Loop: Header=BB240_242 Depth=1
	v_cmp_ne_u16_sdwa s[0:1], v17, s30 src0_sel:BYTE_0 src1_sel:DWORD
	v_mov_b32_e32 v21, 0x8000
	s_and_saveexec_b64 s[18:19], s[0:1]
	s_cbranch_execz .LBB240_322
; %bb.319:                              ;   in Loop: Header=BB240_242 Depth=1
	v_and_b32_e32 v22, 0x7f, v17
	v_cmp_ne_u32_e64 s[0:1], s31, v22
	v_mov_b32_e32 v21, 0x7c01
	s_and_saveexec_b64 s[20:21], s[0:1]
	s_cbranch_execz .LBB240_321
; %bb.320:                              ;   in Loop: Header=BB240_242 Depth=1
	v_and_b32_e32 v21, 7, v17
	v_ffbh_u32_e32 v47, v21
	v_min_u32_e32 v47, 32, v47
	v_lshrrev_b32_e32 v23, 3, v22
	v_subrev_u32_e32 v48, 28, v47
	v_sub_u32_e32 v47, 29, v47
	v_cmp_gt_u32_e64 s[0:1], 8, v22
	v_lshlrev_b64 v[48:49], v48, v[4:5]
	s_nop 0
	v_cndmask_b32_e64 v22, v23, v47, s[0:1]
	v_lshl_add_u32 v22, v22, 10, v32
	v_lshlrev_b32_e32 v23, 8, v17
	v_and_b32_e32 v47, 7, v48
	v_and_b32_e32 v22, 0xfc00, v22
	v_cndmask_b32_e64 v21, v21, v47, s[0:1]
	v_and_or_b32 v22, v23, s34, v22
	v_lshl_or_b32 v21, v21, 7, v22
.LBB240_321:                            ;   in Loop: Header=BB240_242 Depth=1
	s_or_b64 exec, exec, s[20:21]
.LBB240_322:                            ;   in Loop: Header=BB240_242 Depth=1
	s_or_b64 exec, exec, s[18:19]
.LBB240_323:                            ;   in Loop: Header=BB240_242 Depth=1
	s_or_b64 exec, exec, s[16:17]
	v_lshrrev_b16_e32 v4, 8, v4
	v_cmp_ne_u16_e64 s[0:1], 0, v4
	v_mov_b32_e32 v22, 0
	s_and_saveexec_b64 s[16:17], s[0:1]
	s_cbranch_execz .LBB240_329
; %bb.324:                              ;   in Loop: Header=BB240_242 Depth=1
	v_cmp_ne_u16_e64 s[0:1], s30, v4
	v_bfrev_b32_e32 v22, 1
	s_and_saveexec_b64 s[18:19], s[0:1]
	s_cbranch_execz .LBB240_328
; %bb.325:                              ;   in Loop: Header=BB240_242 Depth=1
	v_and_b32_e32 v23, 0x7f, v4
	v_cmp_ne_u32_e64 s[0:1], s31, v23
	v_mov_b32_e32 v22, 0x7c010000
	s_and_saveexec_b64 s[20:21], s[0:1]
	s_cbranch_execz .LBB240_327
; %bb.326:                              ;   in Loop: Header=BB240_242 Depth=1
	v_and_b32_e32 v22, 7, v4
	v_ffbh_u32_e32 v48, v22
	v_min_u32_e32 v50, 32, v48
	v_subrev_u32_e32 v48, 28, v50
	v_lshlrev_b64 v[48:49], v48, v[4:5]
	v_lshrrev_b32_e32 v47, 3, v23
	v_sub_u32_e32 v49, 29, v50
	v_cmp_gt_u32_e64 s[0:1], 8, v23
	v_lshlrev_b32_e32 v4, 8, v4
	s_nop 0
	v_cndmask_b32_e64 v23, v47, v49, s[0:1]
	v_lshl_add_u32 v23, v23, 10, v32
	v_and_b32_e32 v47, 7, v48
	v_and_or_b32 v4, v4, s34, v23
	v_cndmask_b32_e64 v22, v22, v47, s[0:1]
	v_lshlrev_b32_e32 v4, 16, v4
	v_lshl_or_b32 v22, v22, 23, v4
.LBB240_327:                            ;   in Loop: Header=BB240_242 Depth=1
	s_or_b64 exec, exec, s[20:21]
.LBB240_328:                            ;   in Loop: Header=BB240_242 Depth=1
	s_or_b64 exec, exec, s[18:19]
.LBB240_329:                            ;   in Loop: Header=BB240_242 Depth=1
	s_or_b64 exec, exec, s[16:17]
	v_lshrrev_b32_e32 v4, 16, v17
	v_cmp_ne_u16_sdwa s[0:1], v4, v5 src0_sel:BYTE_0 src1_sel:DWORD
	s_and_saveexec_b64 s[16:17], s[0:1]
	s_cbranch_execz .LBB240_335
; %bb.330:                              ;   in Loop: Header=BB240_242 Depth=1
	v_cmp_ne_u16_sdwa s[0:1], v4, s30 src0_sel:BYTE_0 src1_sel:DWORD
	v_mov_b32_e32 v20, 0x8000
	s_and_saveexec_b64 s[18:19], s[0:1]
	s_cbranch_execz .LBB240_334
; %bb.331:                              ;   in Loop: Header=BB240_242 Depth=1
	v_bfe_u32 v23, v17, 16, 7
	v_cmp_ne_u32_e64 s[0:1], s31, v23
	v_mov_b32_e32 v20, 0x7c01
	s_and_saveexec_b64 s[20:21], s[0:1]
	s_cbranch_execz .LBB240_333
; %bb.332:                              ;   in Loop: Header=BB240_242 Depth=1
	v_and_b32_e32 v20, 7, v4
	v_ffbh_u32_e32 v48, v20
	v_min_u32_e32 v50, 32, v48
	v_subrev_u32_e32 v48, 28, v50
	v_lshlrev_b64 v[48:49], v48, v[4:5]
	v_lshrrev_b32_e32 v47, 3, v23
	v_sub_u32_e32 v49, 29, v50
	v_cmp_gt_u32_e64 s[0:1], 8, v23
	v_lshlrev_b32_e32 v4, 8, v4
	s_nop 0
	v_cndmask_b32_e64 v23, v47, v49, s[0:1]
	v_lshl_add_u32 v23, v23, 10, v32
	v_and_b32_e32 v47, 7, v48
	v_and_b32_e32 v23, 0xfc00, v23
	v_cndmask_b32_e64 v20, v20, v47, s[0:1]
	v_and_or_b32 v4, v4, s34, v23
	v_lshl_or_b32 v20, v20, 7, v4
.LBB240_333:                            ;   in Loop: Header=BB240_242 Depth=1
	s_or_b64 exec, exec, s[20:21]
.LBB240_334:                            ;   in Loop: Header=BB240_242 Depth=1
	s_or_b64 exec, exec, s[18:19]
.LBB240_335:                            ;   in Loop: Header=BB240_242 Depth=1
	s_or_b64 exec, exec, s[16:17]
	v_cmp_lt_u64_e64 s[0:1], s[2:3], v[16:17]
	v_mov_b32_e32 v16, 0
	s_and_saveexec_b64 s[16:17], s[0:1]
	s_cbranch_execz .LBB240_341
; %bb.336:                              ;   in Loop: Header=BB240_242 Depth=1
	v_lshrrev_b32_e32 v4, 24, v17
	v_cmp_ne_u32_e64 s[0:1], s30, v4
	v_bfrev_b32_e32 v16, 1
	s_and_saveexec_b64 s[18:19], s[0:1]
	s_cbranch_execz .LBB240_340
; %bb.337:                              ;   in Loop: Header=BB240_242 Depth=1
	v_and_b32_e32 v17, 0x7f, v4
	v_cmp_ne_u32_e64 s[0:1], s31, v17
	v_mov_b32_e32 v16, 0x7c010000
	s_and_saveexec_b64 s[20:21], s[0:1]
	s_cbranch_execz .LBB240_339
; %bb.338:                              ;   in Loop: Header=BB240_242 Depth=1
	v_and_b32_e32 v16, 7, v4
	v_ffbh_u32_e32 v47, v16
	v_min_u32_e32 v47, 32, v47
	v_lshrrev_b32_e32 v23, 3, v17
	v_subrev_u32_e32 v48, 28, v47
	v_sub_u32_e32 v47, 29, v47
	v_cmp_gt_u32_e64 s[0:1], 8, v17
	v_lshlrev_b64 v[48:49], v48, v[4:5]
	v_lshlrev_b32_e32 v4, 8, v4
	v_cndmask_b32_e64 v17, v23, v47, s[0:1]
	v_lshl_add_u32 v17, v17, 10, v32
	v_and_b32_e32 v23, 7, v48
	v_and_or_b32 v4, v4, s34, v17
	v_cndmask_b32_e64 v16, v16, v23, s[0:1]
	v_lshlrev_b32_e32 v4, 16, v4
	v_lshl_or_b32 v16, v16, 23, v4
.LBB240_339:                            ;   in Loop: Header=BB240_242 Depth=1
	s_or_b64 exec, exec, s[20:21]
.LBB240_340:                            ;   in Loop: Header=BB240_242 Depth=1
	s_or_b64 exec, exec, s[18:19]
.LBB240_341:                            ;   in Loop: Header=BB240_242 Depth=1
	s_or_b64 exec, exec, s[16:17]
	v_cvt_f32_f16_sdwa v49, v1 dst_sel:DWORD dst_unused:UNUSED_PAD src0_sel:WORD_1
	v_cvt_f32_f16_sdwa v48, v19 dst_sel:DWORD dst_unused:UNUSED_PAD src0_sel:WORD_1
	v_or_b32_e32 v1, v1, v15
	v_or_b32_e32 v4, v19, v18
	;; [unrolled: 1-line block ×3, first 2 shown]
	s_waitcnt vmcnt(0)
	v_pk_mul_f32 v[18:19], v[14:15], v[48:49] op_sel_hi:[0,1]
	v_cvt_f32_f16_e32 v48, v4
	v_cvt_f32_f16_e32 v49, v1
	v_cvt_pk_f16_f32 v1, v18, v19
	v_and_b32_e32 v15, 0xffff0000, v1
	v_lshlrev_b32_e32 v4, 16, v1
	v_pk_mul_f32 v[18:19], v[14:15], v[48:49] op_sel_hi:[0,1]
	v_cvt_pk_f16_f32 v1, v18, v19
	v_or_b32_e32 v19, v22, v21
	v_cvt_f32_f16_e32 v20, v20
	v_cvt_f32_f16_e32 v21, v19
	v_cvt_f32_f16_sdwa v23, v22 dst_sel:DWORD dst_unused:UNUSED_PAD src0_sel:WORD_1
	v_cvt_f32_f16_sdwa v22, v16 dst_sel:DWORD dst_unused:UNUSED_PAD src0_sel:WORD_1
	v_lshrrev_b32_e32 v17, 16, v1
	v_pk_mul_f32 v[20:21], v[14:15], v[20:21] op_sel_hi:[0,1]
	v_cvt_pk_f16_f32 v47, v20, v21
	v_pk_mul_f32 v[20:21], v[14:15], v[22:23] op_sel_hi:[0,1]
	v_cvt_pk_f16_f32 v14, v20, v21
	v_and_b32_e32 v18, 0xffff, v1
	v_and_b32_e32 v19, 0xffff0000, v14
	v_lshlrev_b32_e32 v14, 16, v14
	v_lshrrev_b32_e32 v21, 16, v47
	v_and_b32_e32 v20, 0xffff, v47
	v_or_b32_e32 v1, v15, v17
	v_or_b32_e32 v16, v4, v18
	;; [unrolled: 1-line block ×4, first 2 shown]
	s_and_saveexec_b64 s[16:17], vcc
	s_cbranch_execz .LBB240_343
; %bb.342:                              ;   in Loop: Header=BB240_242 Depth=1
	v_cmp_gt_i32_e64 s[0:1], s40, v33
	s_nop 1
	v_cndmask_b32_e64 v1, 0, v17, s[0:1]
	v_cmp_gt_i32_e64 s[0:1], s25, v40
	s_nop 1
	v_cndmask_b32_e64 v16, 0, v18, s[0:1]
	;; [unrolled: 3-line block ×3, first 2 shown]
	v_cmp_gt_i32_e64 s[0:1], s25, v38
	v_or_b32_e32 v1, v15, v1
	s_nop 0
	v_cndmask_b32_e64 v4, 0, v4, s[0:1]
	v_cmp_gt_i32_e64 s[0:1], s40, v37
	v_or_b32_e32 v16, v4, v16
	s_nop 0
	v_cndmask_b32_e64 v4, 0, v21, s[0:1]
	v_cmp_gt_i32_e64 s[0:1], s25, v36
	s_nop 1
	v_cndmask_b32_e64 v15, 0, v20, s[0:1]
	v_cmp_gt_i32_e64 s[0:1], s40, v35
	;; [unrolled: 3-line block ×3, first 2 shown]
	v_or_b32_e32 v23, v17, v4
	s_nop 0
	v_cndmask_b32_e64 v14, 0, v14, s[0:1]
	v_or_b32_e32 v22, v14, v15
.LBB240_343:                            ;   in Loop: Header=BB240_242 Depth=1
	s_or_b64 exec, exec, s[16:17]
	;;#ASMSTART
	v_pk_mul_f16 v1, v44, v1;

	;;#ASMEND
	;;#ASMSTART
	v_pk_mul_f16 v4, v43, v16;

	;;#ASMEND
	;; [unrolled: 4-line block ×4, first 2 shown]
	s_nop 0
	;;#ASMSTART
	v_pk_add_f16 v1, v1, v4;

	;;#ASMEND
	s_nop 0
	;;#ASMSTART
	v_pk_add_f16 v1, v1, v14;

	;;#ASMEND
	;; [unrolled: 5-line block ×3, first 2 shown]
	v_mov_b32_e32 v15, 0
	v_lshrrev_b32_e32 v4, 16, v1
	v_and_b32_e32 v1, 0xffff, v1
	;;#ASMSTART
	v_cvt_f32_f16 v47, v1;
	;;#ASMEND
	;;#ASMSTART
	v_cvt_f32_f16 v48, v4;
	;;#ASMEND
	global_load_dwordx2 v[16:17], v[12:13], off offset:1024
	v_mov_b32_e32 v1, 0
	global_load_dword v14, v1, s[14:15]
	s_waitcnt vmcnt(1)
	v_cmp_ne_u16_sdwa s[0:1], v16, v5 src0_sel:BYTE_0 src1_sel:DWORD
	s_and_saveexec_b64 s[16:17], s[0:1]
	s_cbranch_execz .LBB240_349
; %bb.344:                              ;   in Loop: Header=BB240_242 Depth=1
	v_cmp_ne_u16_sdwa s[0:1], v16, s30 src0_sel:BYTE_0 src1_sel:DWORD
	v_mov_b32_e32 v15, 0x8000
	s_and_saveexec_b64 s[18:19], s[0:1]
	s_cbranch_execz .LBB240_348
; %bb.345:                              ;   in Loop: Header=BB240_242 Depth=1
	v_and_b32_e32 v4, 0x7f, v16
	v_cmp_ne_u32_e64 s[0:1], s31, v4
	v_mov_b32_e32 v15, 0x7c01
	s_and_saveexec_b64 s[20:21], s[0:1]
	s_cbranch_execz .LBB240_347
; %bb.346:                              ;   in Loop: Header=BB240_242 Depth=1
	v_and_b32_e32 v15, 7, v16
	v_ffbh_u32_e32 v18, v15
	v_min_u32_e32 v21, 32, v18
	v_subrev_u32_e32 v18, 28, v21
	v_lshlrev_b64 v[18:19], v18, v[16:17]
	v_lshrrev_b32_e32 v20, 3, v4
	v_sub_u32_e32 v19, 29, v21
	v_cmp_gt_u32_e64 s[0:1], 8, v4
	v_and_b32_e32 v18, 7, v18
	s_nop 0
	v_cndmask_b32_e64 v4, v20, v19, s[0:1]
	v_lshl_add_u32 v4, v4, 10, v32
	v_lshlrev_b32_e32 v19, 8, v16
	v_and_b32_e32 v4, 0xfc00, v4
	v_cndmask_b32_e64 v15, v15, v18, s[0:1]
	v_and_or_b32 v4, v19, s34, v4
	v_lshl_or_b32 v15, v15, 7, v4
.LBB240_347:                            ;   in Loop: Header=BB240_242 Depth=1
	s_or_b64 exec, exec, s[20:21]
.LBB240_348:                            ;   in Loop: Header=BB240_242 Depth=1
	s_or_b64 exec, exec, s[18:19]
.LBB240_349:                            ;   in Loop: Header=BB240_242 Depth=1
	s_or_b64 exec, exec, s[16:17]
	v_lshrrev_b16_e32 v4, 8, v16
	v_cmp_ne_u16_e64 s[0:1], 0, v4
	s_and_saveexec_b64 s[16:17], s[0:1]
	s_cbranch_execz .LBB240_355
; %bb.350:                              ;   in Loop: Header=BB240_242 Depth=1
	v_cmp_ne_u16_e64 s[0:1], s30, v4
	v_bfrev_b32_e32 v1, 1
	s_and_saveexec_b64 s[18:19], s[0:1]
	s_cbranch_execz .LBB240_354
; %bb.351:                              ;   in Loop: Header=BB240_242 Depth=1
	v_and_b32_e32 v18, 0x7f, v4
	v_cmp_ne_u32_e64 s[0:1], s31, v18
	v_mov_b32_e32 v1, 0x7c010000
	s_and_saveexec_b64 s[20:21], s[0:1]
	s_cbranch_execz .LBB240_353
; %bb.352:                              ;   in Loop: Header=BB240_242 Depth=1
	v_and_b32_e32 v1, 7, v4
	v_ffbh_u32_e32 v20, v1
	v_min_u32_e32 v22, 32, v20
	v_subrev_u32_e32 v20, 28, v22
	v_lshlrev_b64 v[20:21], v20, v[4:5]
	v_lshrrev_b32_e32 v19, 3, v18
	v_sub_u32_e32 v21, 29, v22
	v_cmp_gt_u32_e64 s[0:1], 8, v18
	v_lshlrev_b32_e32 v4, 8, v4
	s_nop 0
	v_cndmask_b32_e64 v18, v19, v21, s[0:1]
	v_lshl_add_u32 v18, v18, 10, v32
	v_and_b32_e32 v19, 7, v20
	v_and_or_b32 v4, v4, s34, v18
	v_cndmask_b32_e64 v1, v1, v19, s[0:1]
	v_lshlrev_b32_e32 v4, 16, v4
	v_lshl_or_b32 v1, v1, 23, v4
.LBB240_353:                            ;   in Loop: Header=BB240_242 Depth=1
	s_or_b64 exec, exec, s[20:21]
.LBB240_354:                            ;   in Loop: Header=BB240_242 Depth=1
	s_or_b64 exec, exec, s[18:19]
.LBB240_355:                            ;   in Loop: Header=BB240_242 Depth=1
	s_or_b64 exec, exec, s[16:17]
	v_lshrrev_b32_e32 v4, 16, v16
	v_cmp_ne_u16_sdwa s[0:1], v4, v5 src0_sel:BYTE_0 src1_sel:DWORD
	v_mov_b32_e32 v19, 0
	v_mov_b32_e32 v18, 0
	s_and_saveexec_b64 s[16:17], s[0:1]
	s_cbranch_execz .LBB240_361
; %bb.356:                              ;   in Loop: Header=BB240_242 Depth=1
	v_cmp_ne_u16_sdwa s[0:1], v4, s30 src0_sel:BYTE_0 src1_sel:DWORD
	v_mov_b32_e32 v18, 0x8000
	s_and_saveexec_b64 s[18:19], s[0:1]
	s_cbranch_execz .LBB240_360
; %bb.357:                              ;   in Loop: Header=BB240_242 Depth=1
	v_bfe_u32 v20, v16, 16, 7
	v_cmp_ne_u32_e64 s[0:1], s31, v20
	v_mov_b32_e32 v18, 0x7c01
	s_and_saveexec_b64 s[20:21], s[0:1]
	s_cbranch_execz .LBB240_359
; %bb.358:                              ;   in Loop: Header=BB240_242 Depth=1
	v_and_b32_e32 v18, 7, v4
	v_ffbh_u32_e32 v22, v18
	v_min_u32_e32 v49, 32, v22
	v_subrev_u32_e32 v22, 28, v49
	v_lshlrev_b64 v[22:23], v22, v[4:5]
	v_lshrrev_b32_e32 v21, 3, v20
	v_sub_u32_e32 v23, 29, v49
	v_cmp_gt_u32_e64 s[0:1], 8, v20
	v_lshlrev_b32_e32 v4, 8, v4
	s_nop 0
	v_cndmask_b32_e64 v20, v21, v23, s[0:1]
	v_lshl_add_u32 v20, v20, 10, v32
	v_and_b32_e32 v21, 7, v22
	v_and_b32_e32 v20, 0xfc00, v20
	v_cndmask_b32_e64 v18, v18, v21, s[0:1]
	v_and_or_b32 v4, v4, s34, v20
	v_lshl_or_b32 v18, v18, 7, v4
.LBB240_359:                            ;   in Loop: Header=BB240_242 Depth=1
	s_or_b64 exec, exec, s[20:21]
.LBB240_360:                            ;   in Loop: Header=BB240_242 Depth=1
	s_or_b64 exec, exec, s[18:19]
.LBB240_361:                            ;   in Loop: Header=BB240_242 Depth=1
	s_or_b64 exec, exec, s[16:17]
	v_cmp_lt_u32_e64 s[0:1], s3, v16
	s_and_saveexec_b64 s[16:17], s[0:1]
	s_cbranch_execz .LBB240_367
; %bb.362:                              ;   in Loop: Header=BB240_242 Depth=1
	v_lshrrev_b32_e32 v4, 24, v16
	v_cmp_ne_u32_e64 s[0:1], s30, v4
	v_bfrev_b32_e32 v19, 1
	s_and_saveexec_b64 s[18:19], s[0:1]
	s_cbranch_execz .LBB240_366
; %bb.363:                              ;   in Loop: Header=BB240_242 Depth=1
	v_and_b32_e32 v20, 0x7f, v4
	v_cmp_ne_u32_e64 s[0:1], s31, v20
	v_mov_b32_e32 v19, 0x7c010000
	s_and_saveexec_b64 s[20:21], s[0:1]
	s_cbranch_execz .LBB240_365
; %bb.364:                              ;   in Loop: Header=BB240_242 Depth=1
	v_and_b32_e32 v19, 7, v4
	v_ffbh_u32_e32 v22, v19
	v_min_u32_e32 v49, 32, v22
	v_subrev_u32_e32 v22, 28, v49
	v_lshlrev_b64 v[22:23], v22, v[4:5]
	v_lshrrev_b32_e32 v21, 3, v20
	v_sub_u32_e32 v23, 29, v49
	v_cmp_gt_u32_e64 s[0:1], 8, v20
	v_lshlrev_b32_e32 v4, 8, v4
	s_nop 0
	v_cndmask_b32_e64 v20, v21, v23, s[0:1]
	v_lshl_add_u32 v20, v20, 10, v32
	v_and_b32_e32 v21, 7, v22
	v_and_or_b32 v4, v4, s34, v20
	v_cndmask_b32_e64 v19, v19, v21, s[0:1]
	v_lshlrev_b32_e32 v4, 16, v4
	v_lshl_or_b32 v19, v19, 23, v4
.LBB240_365:                            ;   in Loop: Header=BB240_242 Depth=1
	s_or_b64 exec, exec, s[20:21]
.LBB240_366:                            ;   in Loop: Header=BB240_242 Depth=1
	s_or_b64 exec, exec, s[18:19]
.LBB240_367:                            ;   in Loop: Header=BB240_242 Depth=1
	s_or_b64 exec, exec, s[16:17]
	v_mov_b32_e32 v4, v17
	v_cmp_ne_u16_sdwa s[0:1], v17, v5 src0_sel:BYTE_0 src1_sel:DWORD
	v_mov_b32_e32 v20, 0
	v_mov_b32_e32 v21, 0
	s_and_saveexec_b64 s[16:17], s[0:1]
	s_cbranch_execz .LBB240_373
; %bb.368:                              ;   in Loop: Header=BB240_242 Depth=1
	v_cmp_ne_u16_sdwa s[0:1], v17, s30 src0_sel:BYTE_0 src1_sel:DWORD
	v_mov_b32_e32 v21, 0x8000
	s_and_saveexec_b64 s[18:19], s[0:1]
	s_cbranch_execz .LBB240_372
; %bb.369:                              ;   in Loop: Header=BB240_242 Depth=1
	v_and_b32_e32 v22, 0x7f, v17
	v_cmp_ne_u32_e64 s[0:1], s31, v22
	v_mov_b32_e32 v21, 0x7c01
	s_and_saveexec_b64 s[20:21], s[0:1]
	s_cbranch_execz .LBB240_371
; %bb.370:                              ;   in Loop: Header=BB240_242 Depth=1
	v_and_b32_e32 v21, 7, v17
	v_ffbh_u32_e32 v49, v21
	v_min_u32_e32 v49, 32, v49
	v_lshrrev_b32_e32 v23, 3, v22
	v_subrev_u32_e32 v50, 28, v49
	v_sub_u32_e32 v49, 29, v49
	v_cmp_gt_u32_e64 s[0:1], 8, v22
	v_lshlrev_b64 v[50:51], v50, v[4:5]
	s_nop 0
	v_cndmask_b32_e64 v22, v23, v49, s[0:1]
	v_lshl_add_u32 v22, v22, 10, v32
	v_lshlrev_b32_e32 v23, 8, v17
	v_and_b32_e32 v49, 7, v50
	v_and_b32_e32 v22, 0xfc00, v22
	v_cndmask_b32_e64 v21, v21, v49, s[0:1]
	v_and_or_b32 v22, v23, s34, v22
	v_lshl_or_b32 v21, v21, 7, v22
.LBB240_371:                            ;   in Loop: Header=BB240_242 Depth=1
	s_or_b64 exec, exec, s[20:21]
.LBB240_372:                            ;   in Loop: Header=BB240_242 Depth=1
	s_or_b64 exec, exec, s[18:19]
.LBB240_373:                            ;   in Loop: Header=BB240_242 Depth=1
	s_or_b64 exec, exec, s[16:17]
	v_lshrrev_b16_e32 v4, 8, v4
	v_cmp_ne_u16_e64 s[0:1], 0, v4
	v_mov_b32_e32 v22, 0
	s_and_saveexec_b64 s[16:17], s[0:1]
	s_cbranch_execz .LBB240_379
; %bb.374:                              ;   in Loop: Header=BB240_242 Depth=1
	v_cmp_ne_u16_e64 s[0:1], s30, v4
	v_bfrev_b32_e32 v22, 1
	s_and_saveexec_b64 s[18:19], s[0:1]
	s_cbranch_execz .LBB240_378
; %bb.375:                              ;   in Loop: Header=BB240_242 Depth=1
	v_and_b32_e32 v23, 0x7f, v4
	v_cmp_ne_u32_e64 s[0:1], s31, v23
	v_mov_b32_e32 v22, 0x7c010000
	s_and_saveexec_b64 s[20:21], s[0:1]
	s_cbranch_execz .LBB240_377
; %bb.376:                              ;   in Loop: Header=BB240_242 Depth=1
	v_and_b32_e32 v22, 7, v4
	v_ffbh_u32_e32 v50, v22
	v_min_u32_e32 v52, 32, v50
	v_subrev_u32_e32 v50, 28, v52
	v_lshlrev_b64 v[50:51], v50, v[4:5]
	v_lshrrev_b32_e32 v49, 3, v23
	v_sub_u32_e32 v51, 29, v52
	v_cmp_gt_u32_e64 s[0:1], 8, v23
	v_lshlrev_b32_e32 v4, 8, v4
	s_nop 0
	v_cndmask_b32_e64 v23, v49, v51, s[0:1]
	v_lshl_add_u32 v23, v23, 10, v32
	v_and_b32_e32 v49, 7, v50
	v_and_or_b32 v4, v4, s34, v23
	v_cndmask_b32_e64 v22, v22, v49, s[0:1]
	v_lshlrev_b32_e32 v4, 16, v4
	v_lshl_or_b32 v22, v22, 23, v4
.LBB240_377:                            ;   in Loop: Header=BB240_242 Depth=1
	s_or_b64 exec, exec, s[20:21]
.LBB240_378:                            ;   in Loop: Header=BB240_242 Depth=1
	s_or_b64 exec, exec, s[18:19]
.LBB240_379:                            ;   in Loop: Header=BB240_242 Depth=1
	s_or_b64 exec, exec, s[16:17]
	v_lshrrev_b32_e32 v4, 16, v17
	v_cmp_ne_u16_sdwa s[0:1], v4, v5 src0_sel:BYTE_0 src1_sel:DWORD
	s_and_saveexec_b64 s[16:17], s[0:1]
	s_cbranch_execz .LBB240_385
; %bb.380:                              ;   in Loop: Header=BB240_242 Depth=1
	v_cmp_ne_u16_sdwa s[0:1], v4, s30 src0_sel:BYTE_0 src1_sel:DWORD
	v_mov_b32_e32 v20, 0x8000
	s_and_saveexec_b64 s[18:19], s[0:1]
	s_cbranch_execz .LBB240_384
; %bb.381:                              ;   in Loop: Header=BB240_242 Depth=1
	v_bfe_u32 v23, v17, 16, 7
	v_cmp_ne_u32_e64 s[0:1], s31, v23
	v_mov_b32_e32 v20, 0x7c01
	s_and_saveexec_b64 s[20:21], s[0:1]
	s_cbranch_execz .LBB240_383
; %bb.382:                              ;   in Loop: Header=BB240_242 Depth=1
	v_and_b32_e32 v20, 7, v4
	v_ffbh_u32_e32 v50, v20
	v_min_u32_e32 v52, 32, v50
	v_subrev_u32_e32 v50, 28, v52
	v_lshlrev_b64 v[50:51], v50, v[4:5]
	v_lshrrev_b32_e32 v49, 3, v23
	v_sub_u32_e32 v51, 29, v52
	v_cmp_gt_u32_e64 s[0:1], 8, v23
	v_lshlrev_b32_e32 v4, 8, v4
	s_nop 0
	v_cndmask_b32_e64 v23, v49, v51, s[0:1]
	v_lshl_add_u32 v23, v23, 10, v32
	v_and_b32_e32 v49, 7, v50
	v_and_b32_e32 v23, 0xfc00, v23
	v_cndmask_b32_e64 v20, v20, v49, s[0:1]
	v_and_or_b32 v4, v4, s34, v23
	v_lshl_or_b32 v20, v20, 7, v4
.LBB240_383:                            ;   in Loop: Header=BB240_242 Depth=1
	s_or_b64 exec, exec, s[20:21]
.LBB240_384:                            ;   in Loop: Header=BB240_242 Depth=1
	s_or_b64 exec, exec, s[18:19]
.LBB240_385:                            ;   in Loop: Header=BB240_242 Depth=1
	s_or_b64 exec, exec, s[16:17]
	v_cmp_lt_u64_e64 s[0:1], s[2:3], v[16:17]
	v_mov_b32_e32 v16, 0
	s_and_saveexec_b64 s[16:17], s[0:1]
	s_cbranch_execz .LBB240_391
; %bb.386:                              ;   in Loop: Header=BB240_242 Depth=1
	v_lshrrev_b32_e32 v4, 24, v17
	v_cmp_ne_u32_e64 s[0:1], s30, v4
	v_bfrev_b32_e32 v16, 1
	s_and_saveexec_b64 s[18:19], s[0:1]
	s_cbranch_execz .LBB240_390
; %bb.387:                              ;   in Loop: Header=BB240_242 Depth=1
	v_and_b32_e32 v17, 0x7f, v4
	v_cmp_ne_u32_e64 s[0:1], s31, v17
	v_mov_b32_e32 v16, 0x7c010000
	s_and_saveexec_b64 s[20:21], s[0:1]
	s_cbranch_execz .LBB240_389
; %bb.388:                              ;   in Loop: Header=BB240_242 Depth=1
	v_and_b32_e32 v16, 7, v4
	v_ffbh_u32_e32 v49, v16
	v_min_u32_e32 v49, 32, v49
	v_lshrrev_b32_e32 v23, 3, v17
	v_subrev_u32_e32 v50, 28, v49
	v_sub_u32_e32 v49, 29, v49
	v_cmp_gt_u32_e64 s[0:1], 8, v17
	v_lshlrev_b64 v[50:51], v50, v[4:5]
	v_lshlrev_b32_e32 v4, 8, v4
	v_cndmask_b32_e64 v17, v23, v49, s[0:1]
	v_lshl_add_u32 v17, v17, 10, v32
	v_and_b32_e32 v23, 7, v50
	v_and_or_b32 v4, v4, s34, v17
	v_cndmask_b32_e64 v16, v16, v23, s[0:1]
	v_lshlrev_b32_e32 v4, 16, v4
	v_lshl_or_b32 v16, v16, 23, v4
.LBB240_389:                            ;   in Loop: Header=BB240_242 Depth=1
	s_or_b64 exec, exec, s[20:21]
.LBB240_390:                            ;   in Loop: Header=BB240_242 Depth=1
	s_or_b64 exec, exec, s[18:19]
.LBB240_391:                            ;   in Loop: Header=BB240_242 Depth=1
	s_or_b64 exec, exec, s[16:17]
	v_cvt_f32_f16_sdwa v51, v1 dst_sel:DWORD dst_unused:UNUSED_PAD src0_sel:WORD_1
	v_cvt_f32_f16_sdwa v50, v19 dst_sel:DWORD dst_unused:UNUSED_PAD src0_sel:WORD_1
	v_or_b32_e32 v1, v1, v15
	v_or_b32_e32 v4, v19, v18
	;; [unrolled: 1-line block ×3, first 2 shown]
	s_waitcnt vmcnt(0)
	v_pk_mul_f32 v[18:19], v[14:15], v[50:51] op_sel_hi:[0,1]
	v_cvt_f32_f16_e32 v50, v4
	v_cvt_f32_f16_e32 v51, v1
	v_cvt_pk_f16_f32 v1, v18, v19
	v_and_b32_e32 v15, 0xffff0000, v1
	v_lshlrev_b32_e32 v4, 16, v1
	v_pk_mul_f32 v[18:19], v[14:15], v[50:51] op_sel_hi:[0,1]
	v_cvt_pk_f16_f32 v1, v18, v19
	v_or_b32_e32 v19, v22, v21
	v_cvt_f32_f16_e32 v20, v20
	v_cvt_f32_f16_e32 v21, v19
	v_cvt_f32_f16_sdwa v23, v22 dst_sel:DWORD dst_unused:UNUSED_PAD src0_sel:WORD_1
	v_cvt_f32_f16_sdwa v22, v16 dst_sel:DWORD dst_unused:UNUSED_PAD src0_sel:WORD_1
	v_lshrrev_b32_e32 v17, 16, v1
	v_pk_mul_f32 v[20:21], v[14:15], v[20:21] op_sel_hi:[0,1]
	v_cvt_pk_f16_f32 v49, v20, v21
	v_pk_mul_f32 v[20:21], v[14:15], v[22:23] op_sel_hi:[0,1]
	v_cvt_pk_f16_f32 v14, v20, v21
	v_and_b32_e32 v18, 0xffff, v1
	v_and_b32_e32 v19, 0xffff0000, v14
	v_lshlrev_b32_e32 v14, 16, v14
	v_lshrrev_b32_e32 v21, 16, v49
	v_and_b32_e32 v20, 0xffff, v49
	v_or_b32_e32 v1, v15, v17
	v_or_b32_e32 v16, v4, v18
	;; [unrolled: 1-line block ×4, first 2 shown]
	s_and_saveexec_b64 s[16:17], vcc
	s_cbranch_execz .LBB240_393
; %bb.392:                              ;   in Loop: Header=BB240_242 Depth=1
	v_cmp_gt_i32_e64 s[0:1], s40, v33
	s_nop 1
	v_cndmask_b32_e64 v1, 0, v17, s[0:1]
	v_cmp_gt_i32_e64 s[0:1], s25, v40
	s_nop 1
	v_cndmask_b32_e64 v16, 0, v18, s[0:1]
	;; [unrolled: 3-line block ×3, first 2 shown]
	v_cmp_gt_i32_e64 s[0:1], s25, v38
	v_or_b32_e32 v1, v15, v1
	s_nop 0
	v_cndmask_b32_e64 v4, 0, v4, s[0:1]
	v_cmp_gt_i32_e64 s[0:1], s40, v37
	v_or_b32_e32 v16, v4, v16
	s_nop 0
	v_cndmask_b32_e64 v4, 0, v21, s[0:1]
	v_cmp_gt_i32_e64 s[0:1], s25, v36
	s_nop 1
	v_cndmask_b32_e64 v15, 0, v20, s[0:1]
	v_cmp_gt_i32_e64 s[0:1], s40, v35
	;; [unrolled: 3-line block ×3, first 2 shown]
	v_or_b32_e32 v23, v17, v4
	s_nop 0
	v_cndmask_b32_e64 v14, 0, v14, s[0:1]
	v_or_b32_e32 v22, v14, v15
.LBB240_393:                            ;   in Loop: Header=BB240_242 Depth=1
	s_or_b64 exec, exec, s[16:17]
	;;#ASMSTART
	v_pk_mul_f16 v1, v44, v1;

	;;#ASMEND
	;;#ASMSTART
	v_pk_mul_f16 v4, v43, v16;

	;;#ASMEND
	;; [unrolled: 4-line block ×4, first 2 shown]
	s_nop 0
	;;#ASMSTART
	v_pk_add_f16 v1, v1, v4;

	;;#ASMEND
	s_nop 0
	;;#ASMSTART
	v_pk_add_f16 v1, v1, v14;

	;;#ASMEND
	s_nop 0
	;;#ASMSTART
	v_pk_add_f16 v1, v1, v15;

	;;#ASMEND
	s_nop 0
	v_lshrrev_b32_e32 v4, 16, v1
	v_and_b32_e32 v1, 0xffff, v1
	;;#ASMSTART
	v_cvt_f32_f16 v22, v1;
	;;#ASMEND
	;;#ASMSTART
	v_cvt_f32_f16 v23, v4;
	;;#ASMEND
	global_load_dwordx2 v[14:15], v[12:13], off offset:1536
	v_mov_b32_e32 v1, 0
	global_load_dword v12, v1, s[14:15]
	v_mov_b32_e32 v13, 0
	s_waitcnt vmcnt(1)
	v_cmp_ne_u16_sdwa s[0:1], v14, v5 src0_sel:BYTE_0 src1_sel:DWORD
	s_and_saveexec_b64 s[16:17], s[0:1]
	s_cbranch_execz .LBB240_399
; %bb.394:                              ;   in Loop: Header=BB240_242 Depth=1
	v_cmp_ne_u16_sdwa s[0:1], v14, s30 src0_sel:BYTE_0 src1_sel:DWORD
	v_mov_b32_e32 v13, 0x8000
	s_and_saveexec_b64 s[18:19], s[0:1]
	s_cbranch_execz .LBB240_398
; %bb.395:                              ;   in Loop: Header=BB240_242 Depth=1
	v_and_b32_e32 v4, 0x7f, v14
	v_cmp_ne_u32_e64 s[0:1], s31, v4
	v_mov_b32_e32 v13, 0x7c01
	s_and_saveexec_b64 s[20:21], s[0:1]
	s_cbranch_execz .LBB240_397
; %bb.396:                              ;   in Loop: Header=BB240_242 Depth=1
	v_and_b32_e32 v13, 7, v14
	v_ffbh_u32_e32 v16, v13
	v_min_u32_e32 v19, 32, v16
	v_subrev_u32_e32 v16, 28, v19
	v_lshlrev_b64 v[16:17], v16, v[14:15]
	v_lshrrev_b32_e32 v18, 3, v4
	v_sub_u32_e32 v17, 29, v19
	v_cmp_gt_u32_e64 s[0:1], 8, v4
	v_and_b32_e32 v16, 7, v16
	s_nop 0
	v_cndmask_b32_e64 v4, v18, v17, s[0:1]
	v_lshl_add_u32 v4, v4, 10, v32
	v_lshlrev_b32_e32 v17, 8, v14
	v_and_b32_e32 v4, 0xfc00, v4
	v_cndmask_b32_e64 v13, v13, v16, s[0:1]
	v_and_or_b32 v4, v17, s34, v4
	v_lshl_or_b32 v13, v13, 7, v4
.LBB240_397:                            ;   in Loop: Header=BB240_242 Depth=1
	s_or_b64 exec, exec, s[20:21]
.LBB240_398:                            ;   in Loop: Header=BB240_242 Depth=1
	s_or_b64 exec, exec, s[18:19]
.LBB240_399:                            ;   in Loop: Header=BB240_242 Depth=1
	s_or_b64 exec, exec, s[16:17]
	v_lshrrev_b16_e32 v4, 8, v14
	v_cmp_ne_u16_e64 s[0:1], 0, v4
	s_and_saveexec_b64 s[16:17], s[0:1]
	s_cbranch_execz .LBB240_405
; %bb.400:                              ;   in Loop: Header=BB240_242 Depth=1
	v_cmp_ne_u16_e64 s[0:1], s30, v4
	v_bfrev_b32_e32 v1, 1
	s_and_saveexec_b64 s[18:19], s[0:1]
	s_cbranch_execz .LBB240_404
; %bb.401:                              ;   in Loop: Header=BB240_242 Depth=1
	v_and_b32_e32 v16, 0x7f, v4
	v_cmp_ne_u32_e64 s[0:1], s31, v16
	v_mov_b32_e32 v1, 0x7c010000
	s_and_saveexec_b64 s[20:21], s[0:1]
	s_cbranch_execz .LBB240_403
; %bb.402:                              ;   in Loop: Header=BB240_242 Depth=1
	v_and_b32_e32 v1, 7, v4
	v_ffbh_u32_e32 v18, v1
	v_min_u32_e32 v20, 32, v18
	v_subrev_u32_e32 v18, 28, v20
	v_lshlrev_b64 v[18:19], v18, v[4:5]
	v_lshrrev_b32_e32 v17, 3, v16
	v_sub_u32_e32 v19, 29, v20
	v_cmp_gt_u32_e64 s[0:1], 8, v16
	v_lshlrev_b32_e32 v4, 8, v4
	s_nop 0
	v_cndmask_b32_e64 v16, v17, v19, s[0:1]
	v_lshl_add_u32 v16, v16, 10, v32
	v_and_b32_e32 v17, 7, v18
	v_and_or_b32 v4, v4, s34, v16
	v_cndmask_b32_e64 v1, v1, v17, s[0:1]
	v_lshlrev_b32_e32 v4, 16, v4
	v_lshl_or_b32 v1, v1, 23, v4
.LBB240_403:                            ;   in Loop: Header=BB240_242 Depth=1
	s_or_b64 exec, exec, s[20:21]
.LBB240_404:                            ;   in Loop: Header=BB240_242 Depth=1
	s_or_b64 exec, exec, s[18:19]
.LBB240_405:                            ;   in Loop: Header=BB240_242 Depth=1
	s_or_b64 exec, exec, s[16:17]
	v_lshrrev_b32_e32 v4, 16, v14
	v_cmp_ne_u16_sdwa s[0:1], v4, v5 src0_sel:BYTE_0 src1_sel:DWORD
	v_mov_b32_e32 v17, 0
	v_mov_b32_e32 v16, 0
	s_and_saveexec_b64 s[16:17], s[0:1]
	s_cbranch_execz .LBB240_411
; %bb.406:                              ;   in Loop: Header=BB240_242 Depth=1
	v_cmp_ne_u16_sdwa s[0:1], v4, s30 src0_sel:BYTE_0 src1_sel:DWORD
	v_mov_b32_e32 v16, 0x8000
	s_and_saveexec_b64 s[18:19], s[0:1]
	s_cbranch_execz .LBB240_410
; %bb.407:                              ;   in Loop: Header=BB240_242 Depth=1
	v_bfe_u32 v18, v14, 16, 7
	v_cmp_ne_u32_e64 s[0:1], s31, v18
	v_mov_b32_e32 v16, 0x7c01
	s_and_saveexec_b64 s[20:21], s[0:1]
	s_cbranch_execz .LBB240_409
; %bb.408:                              ;   in Loop: Header=BB240_242 Depth=1
	v_and_b32_e32 v16, 7, v4
	v_ffbh_u32_e32 v20, v16
	v_min_u32_e32 v49, 32, v20
	v_subrev_u32_e32 v20, 28, v49
	v_lshlrev_b64 v[20:21], v20, v[4:5]
	v_lshrrev_b32_e32 v19, 3, v18
	v_sub_u32_e32 v21, 29, v49
	v_cmp_gt_u32_e64 s[0:1], 8, v18
	v_lshlrev_b32_e32 v4, 8, v4
	s_nop 0
	v_cndmask_b32_e64 v18, v19, v21, s[0:1]
	v_lshl_add_u32 v18, v18, 10, v32
	v_and_b32_e32 v19, 7, v20
	v_and_b32_e32 v18, 0xfc00, v18
	v_cndmask_b32_e64 v16, v16, v19, s[0:1]
	v_and_or_b32 v4, v4, s34, v18
	v_lshl_or_b32 v16, v16, 7, v4
.LBB240_409:                            ;   in Loop: Header=BB240_242 Depth=1
	s_or_b64 exec, exec, s[20:21]
.LBB240_410:                            ;   in Loop: Header=BB240_242 Depth=1
	s_or_b64 exec, exec, s[18:19]
.LBB240_411:                            ;   in Loop: Header=BB240_242 Depth=1
	s_or_b64 exec, exec, s[16:17]
	v_cmp_lt_u32_e64 s[0:1], s3, v14
	s_and_saveexec_b64 s[16:17], s[0:1]
	s_cbranch_execz .LBB240_417
; %bb.412:                              ;   in Loop: Header=BB240_242 Depth=1
	v_lshrrev_b32_e32 v4, 24, v14
	v_cmp_ne_u32_e64 s[0:1], s30, v4
	v_bfrev_b32_e32 v17, 1
	s_and_saveexec_b64 s[18:19], s[0:1]
	s_cbranch_execz .LBB240_416
; %bb.413:                              ;   in Loop: Header=BB240_242 Depth=1
	v_and_b32_e32 v18, 0x7f, v4
	v_cmp_ne_u32_e64 s[0:1], s31, v18
	v_mov_b32_e32 v17, 0x7c010000
	s_and_saveexec_b64 s[20:21], s[0:1]
	s_cbranch_execz .LBB240_415
; %bb.414:                              ;   in Loop: Header=BB240_242 Depth=1
	v_and_b32_e32 v17, 7, v4
	v_ffbh_u32_e32 v20, v17
	v_min_u32_e32 v49, 32, v20
	v_subrev_u32_e32 v20, 28, v49
	v_lshlrev_b64 v[20:21], v20, v[4:5]
	v_lshrrev_b32_e32 v19, 3, v18
	v_sub_u32_e32 v21, 29, v49
	v_cmp_gt_u32_e64 s[0:1], 8, v18
	v_lshlrev_b32_e32 v4, 8, v4
	s_nop 0
	v_cndmask_b32_e64 v18, v19, v21, s[0:1]
	v_lshl_add_u32 v18, v18, 10, v32
	v_and_b32_e32 v19, 7, v20
	v_and_or_b32 v4, v4, s34, v18
	v_cndmask_b32_e64 v17, v17, v19, s[0:1]
	v_lshlrev_b32_e32 v4, 16, v4
	v_lshl_or_b32 v17, v17, 23, v4
.LBB240_415:                            ;   in Loop: Header=BB240_242 Depth=1
	s_or_b64 exec, exec, s[20:21]
.LBB240_416:                            ;   in Loop: Header=BB240_242 Depth=1
	s_or_b64 exec, exec, s[18:19]
.LBB240_417:                            ;   in Loop: Header=BB240_242 Depth=1
	s_or_b64 exec, exec, s[16:17]
	v_mov_b32_e32 v4, v15
	v_cmp_ne_u16_sdwa s[0:1], v15, v5 src0_sel:BYTE_0 src1_sel:DWORD
	v_mov_b32_e32 v18, 0
	v_mov_b32_e32 v19, 0
	s_and_saveexec_b64 s[16:17], s[0:1]
	s_cbranch_execz .LBB240_423
; %bb.418:                              ;   in Loop: Header=BB240_242 Depth=1
	v_cmp_ne_u16_sdwa s[0:1], v15, s30 src0_sel:BYTE_0 src1_sel:DWORD
	v_mov_b32_e32 v19, 0x8000
	s_and_saveexec_b64 s[18:19], s[0:1]
	s_cbranch_execz .LBB240_422
; %bb.419:                              ;   in Loop: Header=BB240_242 Depth=1
	v_and_b32_e32 v20, 0x7f, v15
	v_cmp_ne_u32_e64 s[0:1], s31, v20
	v_mov_b32_e32 v19, 0x7c01
	s_and_saveexec_b64 s[20:21], s[0:1]
	s_cbranch_execz .LBB240_421
; %bb.420:                              ;   in Loop: Header=BB240_242 Depth=1
	v_and_b32_e32 v19, 7, v15
	v_ffbh_u32_e32 v49, v19
	v_min_u32_e32 v49, 32, v49
	v_lshrrev_b32_e32 v21, 3, v20
	v_subrev_u32_e32 v50, 28, v49
	v_sub_u32_e32 v49, 29, v49
	v_cmp_gt_u32_e64 s[0:1], 8, v20
	v_lshlrev_b64 v[50:51], v50, v[4:5]
	s_nop 0
	v_cndmask_b32_e64 v20, v21, v49, s[0:1]
	v_lshl_add_u32 v20, v20, 10, v32
	v_lshlrev_b32_e32 v21, 8, v15
	v_and_b32_e32 v49, 7, v50
	v_and_b32_e32 v20, 0xfc00, v20
	v_cndmask_b32_e64 v19, v19, v49, s[0:1]
	v_and_or_b32 v20, v21, s34, v20
	v_lshl_or_b32 v19, v19, 7, v20
.LBB240_421:                            ;   in Loop: Header=BB240_242 Depth=1
	s_or_b64 exec, exec, s[20:21]
.LBB240_422:                            ;   in Loop: Header=BB240_242 Depth=1
	s_or_b64 exec, exec, s[18:19]
.LBB240_423:                            ;   in Loop: Header=BB240_242 Depth=1
	s_or_b64 exec, exec, s[16:17]
	v_lshrrev_b16_e32 v4, 8, v4
	v_cmp_ne_u16_e64 s[0:1], 0, v4
	v_mov_b32_e32 v20, 0
	s_and_saveexec_b64 s[16:17], s[0:1]
	s_cbranch_execz .LBB240_429
; %bb.424:                              ;   in Loop: Header=BB240_242 Depth=1
	v_cmp_ne_u16_e64 s[0:1], s30, v4
	v_bfrev_b32_e32 v20, 1
	s_and_saveexec_b64 s[18:19], s[0:1]
	s_cbranch_execz .LBB240_428
; %bb.425:                              ;   in Loop: Header=BB240_242 Depth=1
	v_and_b32_e32 v21, 0x7f, v4
	v_cmp_ne_u32_e64 s[0:1], s31, v21
	v_mov_b32_e32 v20, 0x7c010000
	s_and_saveexec_b64 s[20:21], s[0:1]
	s_cbranch_execz .LBB240_427
; %bb.426:                              ;   in Loop: Header=BB240_242 Depth=1
	v_and_b32_e32 v20, 7, v4
	v_ffbh_u32_e32 v50, v20
	v_min_u32_e32 v52, 32, v50
	v_subrev_u32_e32 v50, 28, v52
	v_lshlrev_b64 v[50:51], v50, v[4:5]
	v_lshrrev_b32_e32 v49, 3, v21
	v_sub_u32_e32 v51, 29, v52
	v_cmp_gt_u32_e64 s[0:1], 8, v21
	v_lshlrev_b32_e32 v4, 8, v4
	s_nop 0
	v_cndmask_b32_e64 v21, v49, v51, s[0:1]
	v_lshl_add_u32 v21, v21, 10, v32
	v_and_b32_e32 v49, 7, v50
	v_and_or_b32 v4, v4, s34, v21
	v_cndmask_b32_e64 v20, v20, v49, s[0:1]
	v_lshlrev_b32_e32 v4, 16, v4
	v_lshl_or_b32 v20, v20, 23, v4
.LBB240_427:                            ;   in Loop: Header=BB240_242 Depth=1
	s_or_b64 exec, exec, s[20:21]
.LBB240_428:                            ;   in Loop: Header=BB240_242 Depth=1
	s_or_b64 exec, exec, s[18:19]
.LBB240_429:                            ;   in Loop: Header=BB240_242 Depth=1
	s_or_b64 exec, exec, s[16:17]
	v_lshrrev_b32_e32 v4, 16, v15
	v_cmp_ne_u16_sdwa s[0:1], v4, v5 src0_sel:BYTE_0 src1_sel:DWORD
	s_and_saveexec_b64 s[16:17], s[0:1]
	s_cbranch_execz .LBB240_435
; %bb.430:                              ;   in Loop: Header=BB240_242 Depth=1
	v_cmp_ne_u16_sdwa s[0:1], v4, s30 src0_sel:BYTE_0 src1_sel:DWORD
	v_mov_b32_e32 v18, 0x8000
	s_and_saveexec_b64 s[18:19], s[0:1]
	s_cbranch_execz .LBB240_434
; %bb.431:                              ;   in Loop: Header=BB240_242 Depth=1
	v_bfe_u32 v21, v15, 16, 7
	v_cmp_ne_u32_e64 s[0:1], s31, v21
	v_mov_b32_e32 v18, 0x7c01
	s_and_saveexec_b64 s[20:21], s[0:1]
	s_cbranch_execz .LBB240_433
; %bb.432:                              ;   in Loop: Header=BB240_242 Depth=1
	v_and_b32_e32 v18, 7, v4
	v_ffbh_u32_e32 v50, v18
	v_min_u32_e32 v52, 32, v50
	v_subrev_u32_e32 v50, 28, v52
	v_lshlrev_b64 v[50:51], v50, v[4:5]
	v_lshrrev_b32_e32 v49, 3, v21
	v_sub_u32_e32 v51, 29, v52
	v_cmp_gt_u32_e64 s[0:1], 8, v21
	v_lshlrev_b32_e32 v4, 8, v4
	s_nop 0
	v_cndmask_b32_e64 v21, v49, v51, s[0:1]
	v_lshl_add_u32 v21, v21, 10, v32
	v_and_b32_e32 v49, 7, v50
	v_and_b32_e32 v21, 0xfc00, v21
	v_cndmask_b32_e64 v18, v18, v49, s[0:1]
	v_and_or_b32 v4, v4, s34, v21
	v_lshl_or_b32 v18, v18, 7, v4
.LBB240_433:                            ;   in Loop: Header=BB240_242 Depth=1
	s_or_b64 exec, exec, s[20:21]
.LBB240_434:                            ;   in Loop: Header=BB240_242 Depth=1
	s_or_b64 exec, exec, s[18:19]
.LBB240_435:                            ;   in Loop: Header=BB240_242 Depth=1
	s_or_b64 exec, exec, s[16:17]
	v_cmp_lt_u64_e64 s[0:1], s[2:3], v[14:15]
	v_mov_b32_e32 v21, 0
	s_and_saveexec_b64 s[16:17], s[0:1]
	s_cbranch_execz .LBB240_441
; %bb.436:                              ;   in Loop: Header=BB240_242 Depth=1
	v_lshrrev_b32_e32 v4, 24, v15
	v_cmp_ne_u32_e64 s[0:1], s30, v4
	v_bfrev_b32_e32 v21, 1
	s_and_saveexec_b64 s[18:19], s[0:1]
	s_cbranch_execz .LBB240_440
; %bb.437:                              ;   in Loop: Header=BB240_242 Depth=1
	v_and_b32_e32 v14, 0x7f, v4
	v_cmp_ne_u32_e64 s[0:1], s31, v14
	v_mov_b32_e32 v21, 0x7c010000
	s_and_saveexec_b64 s[20:21], s[0:1]
	s_cbranch_execz .LBB240_439
; %bb.438:                              ;   in Loop: Header=BB240_242 Depth=1
	v_and_b32_e32 v15, 7, v4
	v_ffbh_u32_e32 v49, v15
	v_min_u32_e32 v49, 32, v49
	v_lshrrev_b32_e32 v21, 3, v14
	v_subrev_u32_e32 v50, 28, v49
	v_sub_u32_e32 v49, 29, v49
	v_cmp_gt_u32_e64 s[0:1], 8, v14
	v_lshlrev_b64 v[50:51], v50, v[4:5]
	v_lshlrev_b32_e32 v4, 8, v4
	v_cndmask_b32_e64 v14, v21, v49, s[0:1]
	v_lshl_add_u32 v14, v14, 10, v32
	v_and_b32_e32 v21, 7, v50
	v_and_or_b32 v4, v4, s34, v14
	v_cndmask_b32_e64 v15, v15, v21, s[0:1]
	v_lshlrev_b32_e32 v4, 16, v4
	v_lshl_or_b32 v21, v15, 23, v4
.LBB240_439:                            ;   in Loop: Header=BB240_242 Depth=1
	s_or_b64 exec, exec, s[20:21]
.LBB240_440:                            ;   in Loop: Header=BB240_242 Depth=1
	s_or_b64 exec, exec, s[18:19]
.LBB240_441:                            ;   in Loop: Header=BB240_242 Depth=1
	s_or_b64 exec, exec, s[16:17]
	v_cvt_f32_f16_sdwa v15, v1 dst_sel:DWORD dst_unused:UNUSED_PAD src0_sel:WORD_1
	v_cvt_f32_f16_sdwa v14, v17 dst_sel:DWORD dst_unused:UNUSED_PAD src0_sel:WORD_1
	v_or_b32_e32 v1, v1, v13
	v_or_b32_e32 v4, v17, v16
	v_cvt_f32_f16_e32 v16, v4
	v_cvt_f32_f16_e32 v17, v1
	s_waitcnt vmcnt(0)
	v_pk_mul_f32 v[14:15], v[12:13], v[14:15] op_sel_hi:[0,1]
	v_cvt_pk_f16_f32 v1, v14, v15
	v_and_b32_e32 v13, 0xffff0000, v1
	v_pk_mul_f32 v[16:17], v[12:13], v[16:17] op_sel_hi:[0,1]
	v_lshlrev_b32_e32 v14, 16, v1
	v_cvt_pk_f16_f32 v1, v16, v17
	v_or_b32_e32 v4, v20, v19
	v_or_b32_e32 v17, v21, v18
	v_cvt_f32_f16_e32 v18, v17
	v_cvt_f32_f16_e32 v19, v4
	v_cvt_f32_f16_sdwa v51, v20 dst_sel:DWORD dst_unused:UNUSED_PAD src0_sel:WORD_1
	v_cvt_f32_f16_sdwa v50, v21 dst_sel:DWORD dst_unused:UNUSED_PAD src0_sel:WORD_1
	v_lshrrev_b32_e32 v15, 16, v1
	v_pk_mul_f32 v[18:19], v[12:13], v[18:19] op_sel_hi:[0,1]
	v_cvt_pk_f16_f32 v20, v18, v19
	v_pk_mul_f32 v[18:19], v[12:13], v[50:51] op_sel_hi:[0,1]
	v_cvt_pk_f16_f32 v12, v18, v19
	v_and_b32_e32 v16, 0xffff, v1
	v_and_b32_e32 v17, 0xffff0000, v12
	v_lshlrev_b32_e32 v12, 16, v12
	v_lshrrev_b32_e32 v21, 16, v20
	v_and_b32_e32 v20, 0xffff, v20
	v_or_b32_e32 v1, v13, v15
	v_or_b32_e32 v4, v14, v16
	;; [unrolled: 1-line block ×4, first 2 shown]
	s_and_saveexec_b64 s[0:1], vcc
	s_cbranch_execz .LBB240_240
; %bb.442:                              ;   in Loop: Header=BB240_242 Depth=1
	v_cmp_gt_i32_e32 vcc, s40, v33
	s_nop 1
	v_cndmask_b32_e32 v1, 0, v15, vcc
	v_cmp_gt_i32_e32 vcc, s25, v40
	s_nop 1
	v_cndmask_b32_e32 v4, 0, v16, vcc
	;; [unrolled: 3-line block ×3, first 2 shown]
	v_cmp_gt_i32_e32 vcc, s25, v38
	v_or_b32_e32 v1, v13, v1
	s_nop 0
	v_cndmask_b32_e32 v14, 0, v14, vcc
	v_cmp_gt_i32_e32 vcc, s40, v37
	v_or_b32_e32 v4, v14, v4
	s_nop 0
	v_cndmask_b32_e32 v13, 0, v21, vcc
	v_cmp_gt_i32_e32 vcc, s25, v36
	s_nop 1
	v_cndmask_b32_e32 v14, 0, v20, vcc
	v_cmp_gt_i32_e32 vcc, s40, v35
	;; [unrolled: 3-line block ×3, first 2 shown]
	v_or_b32_e32 v19, v15, v13
	s_nop 0
	v_cndmask_b32_e32 v12, 0, v12, vcc
	v_or_b32_e32 v18, v12, v14
	s_branch .LBB240_240
.LBB240_443:
	s_or_b64 exec, exec, s[10:11]
.LBB240_444:
	s_or_b64 exec, exec, s[8:9]
	ds_bpermute_b32 v4, v27, v6
	ds_bpermute_b32 v5, v27, v7
	;; [unrolled: 1-line block ×4, first 2 shown]
	v_and_b32_e32 v1, 0x3c1, v0
	v_cmp_ne_u32_e32 vcc, 64, v1
	s_waitcnt lgkmcnt(2)
	v_pk_add_f32 v[4:5], v[6:7], v[4:5]
	s_waitcnt lgkmcnt(0)
	s_barrier
	s_and_saveexec_b64 s[0:1], vcc
	s_xor_b64 s[0:1], exec, s[0:1]
; %bb.445:
                                        ; implicit-def: $vgpr26
; %bb.446:
	s_or_saveexec_b64 s[0:1], s[0:1]
	v_pk_add_f32 v[2:3], v[2:3], v[8:9]
	s_xor_b64 exec, exec, s[0:1]
	s_cbranch_execz .LBB240_448
; %bb.447:
	v_mov_b32_e32 v6, 0x110
	v_lshl_add_u32 v6, v26, 1, v6
	ds_write2_b32 v6, v4, v5 offset1:32
	ds_write2_b32 v6, v2, v3 offset0:64 offset1:96
.LBB240_448:
	s_or_b64 exec, exec, s[0:1]
	v_lshrrev_b32_e32 v0, 1, v0
	s_waitcnt lgkmcnt(0)
	s_barrier
	s_and_saveexec_b64 s[0:1], s[6:7]
	s_cbranch_execz .LBB240_455
; %bb.449:
	v_mov_b32_e32 v6, 0x110
	v_cmp_eq_u32_e32 vcc, 0, v28
	v_lshl_add_u32 v6, v0, 2, v6
	s_and_saveexec_b64 s[2:3], vcc
	s_cbranch_execnz .LBB240_458
; %bb.450:
	s_or_b64 exec, exec, s[2:3]
	s_and_saveexec_b64 s[2:3], vcc
	s_cbranch_execnz .LBB240_459
.LBB240_451:
	s_or_b64 exec, exec, s[2:3]
	s_and_saveexec_b64 s[2:3], vcc
	s_cbranch_execnz .LBB240_460
.LBB240_452:
	s_or_b64 exec, exec, s[2:3]
	s_and_saveexec_b64 s[2:3], vcc
	s_cbranch_execz .LBB240_454
.LBB240_453:
	ds_read_b32 v6, v6 offset:384
	s_waitcnt lgkmcnt(0)
	v_add_f32_e32 v3, v3, v6
.LBB240_454:
	s_or_b64 exec, exec, s[2:3]
.LBB240_455:
	s_or_b64 exec, exec, s[0:1]
	v_cmp_eq_u32_e32 vcc, 0, v1
	s_barrier
	s_and_saveexec_b64 s[0:1], vcc
	s_cbranch_execz .LBB240_457
; %bb.456:
	s_mul_i32 s0, s24, s23
	s_mul_i32 s0, s0, s5
	s_lshl_b32 s0, s0, 7
	s_ashr_i32 s1, s0, 31
	s_lshl_b64 s[0:1], s[0:1], 1
	s_add_u32 s2, s28, s0
	s_mul_i32 s0, s23, s26
	s_addc_u32 s3, s29, s1
	s_ashr_i32 s1, s0, 31
	s_lshl_b64 s[0:1], s[0:1], 1
	s_add_u32 s2, s2, s0
	s_addc_u32 s3, s3, s1
	s_lshl_b32 s0, s4, 7
	s_ashr_i32 s1, s0, 31
	s_lshl_b64 s[0:1], s[0:1], 1
	s_add_u32 s0, s2, s0
	s_addc_u32 s1, s3, s1
	v_lshlrev_b32_e32 v0, 1, v0
	;;#ASMSTART
	v_cvt_f16_f32 v1, v4;

	;;#ASMEND
	global_store_short v0, v1, s[0:1]
	;;#ASMSTART
	v_cvt_f16_f32 v1, v5;

	;;#ASMEND
	global_store_short v0, v1, s[0:1] offset:64
	;;#ASMSTART
	v_cvt_f16_f32 v1, v2;

	;;#ASMEND
	global_store_short v0, v1, s[0:1] offset:128
	;;#ASMSTART
	v_cvt_f16_f32 v1, v3;

	;;#ASMEND
	global_store_short v0, v1, s[0:1] offset:192
.LBB240_457:
	s_endpgm
.LBB240_458:
	ds_read_b32 v7, v6
	s_waitcnt lgkmcnt(0)
	v_add_f32_e32 v4, v4, v7
	s_or_b64 exec, exec, s[2:3]
	s_and_saveexec_b64 s[2:3], vcc
	s_cbranch_execz .LBB240_451
.LBB240_459:
	ds_read_b32 v7, v6 offset:128
	s_waitcnt lgkmcnt(0)
	v_add_f32_e32 v5, v5, v7
	s_or_b64 exec, exec, s[2:3]
	s_and_saveexec_b64 s[2:3], vcc
	s_cbranch_execz .LBB240_452
.LBB240_460:
	ds_read_b32 v7, v6 offset:256
	s_waitcnt lgkmcnt(0)
	v_add_f32_e32 v2, v2, v7
	s_or_b64 exec, exec, s[2:3]
	s_and_saveexec_b64 s[2:3], vcc
	s_cbranch_execnz .LBB240_453
	s_branch .LBB240_454
	.section	.rodata,"a",@progbits
	.p2align	6, 0x0
	.amdhsa_kernel _ZN4vllm25paged_attention_v1_kernelIthLi128ELi16ELi128ELNS_18Fp8KVCacheDataTypeE1ELb1EEEvPT_PKS2_PKT0_S8_ifPKiSA_iPKfiiiSC_SC_iiiii
		.amdhsa_group_segment_fixed_size 272
		.amdhsa_private_segment_fixed_size 0
		.amdhsa_kernarg_size 384
		.amdhsa_user_sgpr_count 2
		.amdhsa_user_sgpr_dispatch_ptr 0
		.amdhsa_user_sgpr_queue_ptr 0
		.amdhsa_user_sgpr_kernarg_segment_ptr 1
		.amdhsa_user_sgpr_dispatch_id 0
		.amdhsa_user_sgpr_kernarg_preload_length 0
		.amdhsa_user_sgpr_kernarg_preload_offset 0
		.amdhsa_user_sgpr_private_segment_size 0
		.amdhsa_uses_dynamic_stack 0
		.amdhsa_enable_private_segment 0
		.amdhsa_system_sgpr_workgroup_id_x 1
		.amdhsa_system_sgpr_workgroup_id_y 1
		.amdhsa_system_sgpr_workgroup_id_z 1
		.amdhsa_system_sgpr_workgroup_info 0
		.amdhsa_system_vgpr_workitem_id 0
		.amdhsa_next_free_vgpr 71
		.amdhsa_next_free_sgpr 57
		.amdhsa_accum_offset 72
		.amdhsa_reserve_vcc 1
		.amdhsa_float_round_mode_32 0
		.amdhsa_float_round_mode_16_64 0
		.amdhsa_float_denorm_mode_32 3
		.amdhsa_float_denorm_mode_16_64 3
		.amdhsa_dx10_clamp 1
		.amdhsa_ieee_mode 1
		.amdhsa_fp16_overflow 0
		.amdhsa_tg_split 0
		.amdhsa_exception_fp_ieee_invalid_op 0
		.amdhsa_exception_fp_denorm_src 0
		.amdhsa_exception_fp_ieee_div_zero 0
		.amdhsa_exception_fp_ieee_overflow 0
		.amdhsa_exception_fp_ieee_underflow 0
		.amdhsa_exception_fp_ieee_inexact 0
		.amdhsa_exception_int_div_zero 0
	.end_amdhsa_kernel
	.section	.text._ZN4vllm25paged_attention_v1_kernelIthLi128ELi16ELi128ELNS_18Fp8KVCacheDataTypeE1ELb1EEEvPT_PKS2_PKT0_S8_ifPKiSA_iPKfiiiSC_SC_iiiii,"axG",@progbits,_ZN4vllm25paged_attention_v1_kernelIthLi128ELi16ELi128ELNS_18Fp8KVCacheDataTypeE1ELb1EEEvPT_PKS2_PKT0_S8_ifPKiSA_iPKfiiiSC_SC_iiiii,comdat
.Lfunc_end240:
	.size	_ZN4vllm25paged_attention_v1_kernelIthLi128ELi16ELi128ELNS_18Fp8KVCacheDataTypeE1ELb1EEEvPT_PKS2_PKT0_S8_ifPKiSA_iPKfiiiSC_SC_iiiii, .Lfunc_end240-_ZN4vllm25paged_attention_v1_kernelIthLi128ELi16ELi128ELNS_18Fp8KVCacheDataTypeE1ELb1EEEvPT_PKS2_PKT0_S8_ifPKiSA_iPKfiiiSC_SC_iiiii
                                        ; -- End function
	.set _ZN4vllm25paged_attention_v1_kernelIthLi128ELi16ELi128ELNS_18Fp8KVCacheDataTypeE1ELb1EEEvPT_PKS2_PKT0_S8_ifPKiSA_iPKfiiiSC_SC_iiiii.num_vgpr, 71
	.set _ZN4vllm25paged_attention_v1_kernelIthLi128ELi16ELi128ELNS_18Fp8KVCacheDataTypeE1ELb1EEEvPT_PKS2_PKT0_S8_ifPKiSA_iPKfiiiSC_SC_iiiii.num_agpr, 0
	.set _ZN4vllm25paged_attention_v1_kernelIthLi128ELi16ELi128ELNS_18Fp8KVCacheDataTypeE1ELb1EEEvPT_PKS2_PKT0_S8_ifPKiSA_iPKfiiiSC_SC_iiiii.numbered_sgpr, 57
	.set _ZN4vllm25paged_attention_v1_kernelIthLi128ELi16ELi128ELNS_18Fp8KVCacheDataTypeE1ELb1EEEvPT_PKS2_PKT0_S8_ifPKiSA_iPKfiiiSC_SC_iiiii.num_named_barrier, 0
	.set _ZN4vllm25paged_attention_v1_kernelIthLi128ELi16ELi128ELNS_18Fp8KVCacheDataTypeE1ELb1EEEvPT_PKS2_PKT0_S8_ifPKiSA_iPKfiiiSC_SC_iiiii.private_seg_size, 0
	.set _ZN4vllm25paged_attention_v1_kernelIthLi128ELi16ELi128ELNS_18Fp8KVCacheDataTypeE1ELb1EEEvPT_PKS2_PKT0_S8_ifPKiSA_iPKfiiiSC_SC_iiiii.uses_vcc, 1
	.set _ZN4vllm25paged_attention_v1_kernelIthLi128ELi16ELi128ELNS_18Fp8KVCacheDataTypeE1ELb1EEEvPT_PKS2_PKT0_S8_ifPKiSA_iPKfiiiSC_SC_iiiii.uses_flat_scratch, 0
	.set _ZN4vllm25paged_attention_v1_kernelIthLi128ELi16ELi128ELNS_18Fp8KVCacheDataTypeE1ELb1EEEvPT_PKS2_PKT0_S8_ifPKiSA_iPKfiiiSC_SC_iiiii.has_dyn_sized_stack, 0
	.set _ZN4vllm25paged_attention_v1_kernelIthLi128ELi16ELi128ELNS_18Fp8KVCacheDataTypeE1ELb1EEEvPT_PKS2_PKT0_S8_ifPKiSA_iPKfiiiSC_SC_iiiii.has_recursion, 0
	.set _ZN4vllm25paged_attention_v1_kernelIthLi128ELi16ELi128ELNS_18Fp8KVCacheDataTypeE1ELb1EEEvPT_PKS2_PKT0_S8_ifPKiSA_iPKfiiiSC_SC_iiiii.has_indirect_call, 0
	.section	.AMDGPU.csdata,"",@progbits
; Kernel info:
; codeLenInByte = 20544
; TotalNumSgprs: 63
; NumVgprs: 71
; NumAgprs: 0
; TotalNumVgprs: 71
; ScratchSize: 0
; MemoryBound: 0
; FloatMode: 240
; IeeeMode: 1
; LDSByteSize: 272 bytes/workgroup (compile time only)
; SGPRBlocks: 7
; VGPRBlocks: 8
; NumSGPRsForWavesPerEU: 63
; NumVGPRsForWavesPerEU: 71
; AccumOffset: 72
; Occupancy: 7
; WaveLimiterHint : 1
; COMPUTE_PGM_RSRC2:SCRATCH_EN: 0
; COMPUTE_PGM_RSRC2:USER_SGPR: 2
; COMPUTE_PGM_RSRC2:TRAP_HANDLER: 0
; COMPUTE_PGM_RSRC2:TGID_X_EN: 1
; COMPUTE_PGM_RSRC2:TGID_Y_EN: 1
; COMPUTE_PGM_RSRC2:TGID_Z_EN: 1
; COMPUTE_PGM_RSRC2:TIDIG_COMP_CNT: 0
; COMPUTE_PGM_RSRC3_GFX90A:ACCUM_OFFSET: 17
; COMPUTE_PGM_RSRC3_GFX90A:TG_SPLIT: 0
	.section	.text._ZN4vllm25paged_attention_v1_kernelIthLi192ELi16ELi128ELNS_18Fp8KVCacheDataTypeE1ELb1EEEvPT_PKS2_PKT0_S8_ifPKiSA_iPKfiiiSC_SC_iiiii,"axG",@progbits,_ZN4vllm25paged_attention_v1_kernelIthLi192ELi16ELi128ELNS_18Fp8KVCacheDataTypeE1ELb1EEEvPT_PKS2_PKT0_S8_ifPKiSA_iPKfiiiSC_SC_iiiii,comdat
	.protected	_ZN4vllm25paged_attention_v1_kernelIthLi192ELi16ELi128ELNS_18Fp8KVCacheDataTypeE1ELb1EEEvPT_PKS2_PKT0_S8_ifPKiSA_iPKfiiiSC_SC_iiiii ; -- Begin function _ZN4vllm25paged_attention_v1_kernelIthLi192ELi16ELi128ELNS_18Fp8KVCacheDataTypeE1ELb1EEEvPT_PKS2_PKT0_S8_ifPKiSA_iPKfiiiSC_SC_iiiii
	.globl	_ZN4vllm25paged_attention_v1_kernelIthLi192ELi16ELi128ELNS_18Fp8KVCacheDataTypeE1ELb1EEEvPT_PKS2_PKT0_S8_ifPKiSA_iPKfiiiSC_SC_iiiii
	.p2align	8
	.type	_ZN4vllm25paged_attention_v1_kernelIthLi192ELi16ELi128ELNS_18Fp8KVCacheDataTypeE1ELb1EEEvPT_PKS2_PKT0_S8_ifPKiSA_iPKfiiiSC_SC_iiiii,@function
_ZN4vllm25paged_attention_v1_kernelIthLi192ELi16ELi128ELNS_18Fp8KVCacheDataTypeE1ELb1EEEvPT_PKS2_PKT0_S8_ifPKiSA_iPKfiiiSC_SC_iiiii: ; @_ZN4vllm25paged_attention_v1_kernelIthLi192ELi16ELi128ELNS_18Fp8KVCacheDataTypeE1ELb1EEEvPT_PKS2_PKT0_S8_ifPKiSA_iPKfiiiSC_SC_iiiii
; %bb.0:
	s_load_dword s5, s[0:1], 0x80
	s_load_dwordx2 s[6:7], s[0:1], 0x30
	s_load_dwordx2 s[36:37], s[0:1], 0x20
	s_mov_b32 s10, s3
	s_ashr_i32 s11, s3, 31
	s_lshl_b64 s[8:9], s[10:11], 2
	s_waitcnt lgkmcnt(0)
	s_add_u32 s6, s6, s8
	s_addc_u32 s7, s7, s9
	s_abs_i32 s3, s36
	v_cvt_f32_u32_e32 v1, s3
	s_sub_i32 s11, 0, s3
	s_abs_i32 s9, s5
	s_xor_b32 s8, s5, s36
	v_rcp_iflag_f32_e32 v1, v1
	s_ashr_i32 s8, s8, 31
	s_mov_b32 s48, 0
	v_mul_f32_e32 v1, 0x4f7ffffe, v1
	v_cvt_u32_f32_e32 v1, v1
	s_nop 0
	v_readfirstlane_b32 s12, v1
	s_mul_i32 s11, s11, s12
	s_mul_hi_u32 s11, s12, s11
	s_add_i32 s12, s12, s11
	s_mul_hi_u32 s11, s9, s12
	s_mul_i32 s12, s11, s3
	s_sub_i32 s9, s9, s12
	s_add_i32 s12, s11, 1
	s_sub_i32 s13, s9, s3
	s_cmp_ge_u32 s9, s3
	s_cselect_b32 s11, s12, s11
	s_cselect_b32 s9, s13, s9
	s_add_i32 s12, s11, 1
	s_cmp_ge_u32 s9, s3
	s_cselect_b32 s3, s12, s11
	s_xor_b32 s3, s3, s8
	s_sub_i32 s14, s3, s8
	s_abs_i32 s11, s14
	v_cvt_f32_u32_e32 v1, s11
	s_load_dwordx2 s[8:9], s[0:1], 0x40
	s_sub_i32 s3, 0, s11
	s_abs_i32 s12, s2
	v_rcp_iflag_f32_e32 v1, v1
	s_nop 0
	v_mul_f32_e32 v1, 0x4f7ffffe, v1
	v_cvt_u32_f32_e32 v1, v1
	s_nop 0
	v_readfirstlane_b32 s13, v1
	s_mul_i32 s3, s3, s13
	s_mul_hi_u32 s3, s13, s3
	s_add_i32 s13, s13, s3
	s_waitcnt lgkmcnt(0)
	s_cmp_eq_u64 s[8:9], 0
	s_mul_hi_u32 s13, s12, s13
	s_cbranch_scc1 .LBB241_2
; %bb.1:
	s_ashr_i32 s3, s2, 31
	s_lshl_b64 s[16:17], s[2:3], 2
	s_add_u32 s8, s8, s16
	s_addc_u32 s9, s9, s17
	s_load_dword s48, s[8:9], 0x0
.LBB241_2:
	s_load_dword s33, s[6:7], 0x0
	s_load_dwordx4 s[16:19], s[0:1], 0x48
	s_movk_i32 s8, 0x60
	s_ashr_i32 s3, s2, 31
	s_ashr_i32 s9, s14, 31
	v_and_b32_e32 v4, 3, v0
	s_mul_i32 s24, s2, 0xc0
	v_cmp_gt_u32_e32 vcc, s8, v0
	s_and_saveexec_b64 s[6:7], vcc
	s_cbranch_execz .LBB241_4
; %bb.3:
	s_load_dwordx2 s[14:15], s[0:1], 0x8
	s_waitcnt lgkmcnt(0)
	s_mul_i32 s20, s16, s10
	s_ashr_i32 s21, s20, 31
	s_lshl_b64 s[20:21], s[20:21], 1
	v_lshlrev_b32_e32 v1, 2, v0
	s_add_u32 s16, s14, s20
	s_addc_u32 s19, s15, s21
	s_ashr_i32 s25, s24, 31
	s_lshl_b64 s[14:15], s[24:25], 1
	s_add_u32 s14, s16, s14
	s_addc_u32 s15, s19, s15
	global_load_dword v1, v1, s[14:15]
	v_and_b32_e32 v2, 0x3fc, v0
	v_mad_u32_u24 v2, v4, s8, v2
	s_waitcnt vmcnt(0)
	ds_write_b32 v2, v1
.LBB241_4:
	s_or_b64 exec, exec, s[6:7]
	s_mul_i32 s6, s13, s11
	s_sub_i32 s6, s12, s6
	s_xor_b32 s3, s3, s9
	s_add_i32 s7, s13, 1
	s_sub_i32 s9, s6, s11
	s_load_dwordx4 s[20:23], s[0:1], 0x68
	s_load_dword s8, s[0:1], 0x78
	s_cmp_ge_u32 s6, s11
	s_cselect_b32 s7, s7, s13
	s_cselect_b32 s6, s9, s6
	s_add_i32 s9, s7, 1
	s_cmp_ge_u32 s6, s11
	s_cselect_b32 s6, s9, s7
	s_waitcnt lgkmcnt(0)
	s_abs_i32 s25, s23
	v_cvt_f32_u32_e32 v1, s25
	s_xor_b32 s6, s6, s3
	s_sub_i32 s3, s6, s3
	s_sub_i32 s6, 0, s25
	v_rcp_iflag_f32_e32 v1, v1
	s_add_i32 s11, s33, -1
	s_abs_i32 s9, s11
	v_mul_f32_e32 v1, 0x4f7ffffe, v1
	v_cvt_u32_f32_e32 v1, v1
	s_barrier
	v_readfirstlane_b32 s46, v1
	s_mul_i32 s6, s6, s46
	s_mul_hi_u32 s6, s46, s6
	s_add_i32 s46, s46, s6
	s_cmp_lt_i32 s8, 0
	s_mul_hi_u32 s16, s9, s46
	s_cbranch_scc0 .LBB241_6
; %bb.5:
	s_mul_i32 s6, s20, s36
	s_add_i32 s6, s3, s6
	s_mul_i32 s6, s6, s8
	s_sub_i32 s36, 1, s6
	s_mov_b64 s[6:7], 0
	s_branch .LBB241_7
.LBB241_6:
	s_mov_b64 s[6:7], -1
                                        ; implicit-def: $sgpr36
.LBB241_7:
	s_load_dwordx2 s[28:29], s[0:1], 0x28
	s_ashr_i32 s19, s11, 31
	s_andn2_b64 vcc, exec, s[6:7]
	s_ashr_i32 s23, s23, 31
	s_cbranch_vccnz .LBB241_9
; %bb.8:
	s_mul_i32 s6, s5, s20
	s_add_i32 s2, s6, s2
	s_mul_i32 s2, s2, s8
	s_add_i32 s36, s2, 1
.LBB241_9:
	s_load_dword s2, s[0:1], 0x38
	s_load_dwordx2 s[26:27], s[0:1], 0x0
	s_load_dwordx2 s[34:35], s[0:1], 0x18
	s_load_dword s11, s[0:1], 0x88
	s_load_dwordx4 s[12:15], s[0:1], 0x58
	s_mul_i32 s6, s16, s25
	s_waitcnt lgkmcnt(0)
	s_mul_i32 s30, s2, s10
	s_sub_i32 s6, s9, s6
	s_ashr_i32 s31, s30, 31
	s_xor_b32 s2, s19, s23
	s_add_i32 s7, s16, 1
	s_sub_i32 s8, s6, s25
	s_cmp_ge_u32 s6, s25
	s_cselect_b32 s7, s7, s16
	s_cselect_b32 s6, s8, s6
	s_add_i32 s8, s7, 1
	s_cmp_ge_u32 s6, s25
	s_cselect_b32 s6, s8, s7
	s_xor_b32 s6, s6, s2
	s_sub_i32 s16, s6, s2
	s_add_i32 s2, s33, 15
	s_ashr_i32 s6, s2, 31
	s_lshr_b32 s6, s6, 28
	s_add_i32 s2, s2, s6
	s_ashr_i32 s47, s2, 4
	v_lshrrev_b32_e32 v26, 6, v0
	v_cmp_gt_i32_e64 s[6:7], s47, v26
	v_mov_b32_e32 v13, 0xff7fffff
	s_mul_i32 s20, s3, s18
	v_lshrrev_b32_e32 v1, 4, v0
	v_lshlrev_b32_e32 v27, 4, v26
	v_mbcnt_lo_u32_b32 v10, -1, 0
	s_and_saveexec_b64 s[18:19], s[6:7]
	s_cbranch_execz .LBB241_309
; %bb.10:
	s_load_dwordx2 s[0:1], s[0:1], 0x10
	s_sub_i32 s49, s16, s21
	s_ashr_i32 s2, s20, 31
	v_bfe_u32 v11, v0, 2, 4
	v_mov_b32_e32 v3, 0
	s_waitcnt lgkmcnt(0)
	s_add_u32 s0, s0, s20
	s_addc_u32 s1, s1, s2
	s_abs_i32 s50, s22
	v_cvt_f32_u32_e32 v2, s50
	v_cmp_eq_u32_e32 vcc, 0, v4
	v_mul_u32_u24_e32 v12, 0x60, v4
	s_mov_b32 s51, s17
	v_rcp_iflag_f32_e32 v5, v2
	v_lshlrev_b32_e32 v2, 4, v11
	v_lshl_add_u64 v[6:7], s[0:1], 0, v[2:3]
	s_sub_i32 s0, 0, s50
	v_mul_f32_e32 v5, 0x4f7ffffe, v5
	v_cvt_u32_f32_e32 v5, v5
	v_lshlrev_b32_e32 v2, 1, v4
	v_cmp_neq_f32_e64 s[2:3], s48, 0
	v_lshlrev_b32_e32 v15, 4, v26
	v_mul_lo_u32 v4, s0, v5
	s_lshl_b64 s[0:1], s[30:31], 2
	v_mul_hi_u32 v4, v5, v4
	s_add_u32 s0, s28, s0
	v_add_u32_e32 v14, v5, v4
	v_lshl_add_u64 v[4:5], v[6:7], 0, v[2:3]
	v_and_b32_e32 v2, 60, v1
	s_addc_u32 s1, s29, s1
	v_lshl_add_u64 v[6:7], s[0:1], 0, v[2:3]
	v_subrev_u32_e32 v2, s33, v11
	v_add_u32_e32 v16, 1, v2
	v_lshlrev_b32_e32 v2, 2, v11
	v_lshl_or_b32 v2, v26, 6, v2
	v_add_u32_e32 v17, 0x190, v2
	v_mov_b32_e32 v18, 0xff7fffff
	s_mov_b64 s[38:39], 0
	s_movk_i32 s52, 0x80
	s_movk_i32 s53, 0x7f
	s_mov_b32 s54, 0x8000
	v_mov_b32_e32 v19, 0x2000
	v_mbcnt_hi_u32_b32 v20, -1, v10
	v_mov_b32_e32 v13, 0xff7fffff
	v_mov_b32_e32 v21, v26
	s_branch .LBB241_13
.LBB241_11:                             ;   in Loop: Header=BB241_13 Depth=1
	s_or_b64 exec, exec, s[40:41]
.LBB241_12:                             ;   in Loop: Header=BB241_13 Depth=1
	s_or_b64 exec, exec, s[8:9]
	v_add_u32_e32 v21, 2, v21
	v_cmp_le_i32_e64 s[0:1], s47, v21
	v_lshl_add_u64 v[6:7], v[6:7], 0, 8
	v_add_u32_e32 v15, 32, v15
	s_or_b64 s[38:39], s[0:1], s[38:39]
	v_add_u32_e32 v17, 0x80, v17
	s_andn2_b64 exec, exec, s[38:39]
	s_cbranch_execz .LBB241_308
.LBB241_13:                             ; =>This Inner Loop Header: Depth=1
	v_mul_hi_u32 v2, v15, s46
	s_waitcnt lgkmcnt(0)
	v_mul_lo_u32 v8, v2, s25
	v_sub_u32_e32 v8, v15, v8
	v_add_u32_e32 v9, 1, v2
	v_cmp_le_u32_e64 s[0:1], s25, v8
	s_nop 1
	v_cndmask_b32_e64 v2, v2, v9, s[0:1]
	v_subrev_u32_e32 v9, s25, v8
	v_cndmask_b32_e64 v8, v8, v9, s[0:1]
	v_add_u32_e32 v9, 1, v2
	v_cmp_le_u32_e64 s[0:1], s25, v8
	s_nop 1
	v_cndmask_b32_e64 v2, v2, v9, s[0:1]
	v_xor_b32_e32 v2, s23, v2
	v_subrev_u32_e32 v2, s23, v2
	v_add_u32_e32 v8, s36, v2
	v_sub_u32_e32 v22, 0, v8
	v_ashrrev_i32_e32 v9, 31, v8
	v_max_i32_e32 v8, v8, v22
	v_mul_hi_u32 v22, v8, v14
	v_mul_lo_u32 v22, v22, s50
	v_sub_u32_e32 v8, v8, v22
	v_subrev_u32_e32 v22, s50, v8
	v_cmp_le_u32_e64 s[0:1], s50, v8
	v_cmp_ge_i32_e64 s[8:9], s49, v2
	s_nop 0
	v_cndmask_b32_e64 v8, v8, v22, s[0:1]
	v_subrev_u32_e32 v22, s50, v8
	v_cmp_le_u32_e64 s[0:1], s50, v8
	s_nop 1
	v_cndmask_b32_e64 v8, v8, v22, s[0:1]
	v_xor_b32_e32 v8, v8, v9
	v_sub_u32_e32 v8, v8, v9
	v_cmp_ne_u32_e64 s[0:1], 0, v8
	s_and_b64 s[0:1], s[0:1], s[8:9]
	s_and_saveexec_b64 s[8:9], s[0:1]
	s_xor_b64 s[0:1], exec, s[8:9]
	s_cbranch_execz .LBB241_17
; %bb.14:                               ;   in Loop: Header=BB241_13 Depth=1
	s_and_saveexec_b64 s[8:9], vcc
; %bb.15:                               ;   in Loop: Header=BB241_13 Depth=1
	ds_write_b32 v17, v18
; %bb.16:                               ;   in Loop: Header=BB241_13 Depth=1
	s_or_b64 exec, exec, s[8:9]
.LBB241_17:                             ;   in Loop: Header=BB241_13 Depth=1
	s_andn2_saveexec_b64 s[8:9], s[0:1]
	s_cbranch_execz .LBB241_12
; %bb.18:                               ;   in Loop: Header=BB241_13 Depth=1
	global_load_dword v2, v[6:7], off
	v_mov_b32_e32 v23, 0
	global_load_dword v22, v23, s[12:13]
	s_waitcnt vmcnt(1)
	v_mad_i64_i32 v[8:9], s[0:1], v2, s51, v[4:5]
	global_load_ushort v24, v[8:9], off
	s_waitcnt vmcnt(0)
	v_and_b32_e32 v2, 0xffff, v24
	v_cmp_ne_u16_sdwa s[0:1], v24, v3 src0_sel:BYTE_0 src1_sel:DWORD
	v_mov_b32_e32 v24, 0
	s_and_saveexec_b64 s[40:41], s[0:1]
	s_cbranch_execz .LBB241_24
; %bb.19:                               ;   in Loop: Header=BB241_13 Depth=1
	v_cmp_ne_u16_sdwa s[0:1], v2, s52 src0_sel:BYTE_0 src1_sel:DWORD
	v_mov_b32_e32 v24, 0x8000
	s_and_saveexec_b64 s[42:43], s[0:1]
	s_cbranch_execz .LBB241_23
; %bb.20:                               ;   in Loop: Header=BB241_13 Depth=1
	v_and_b32_e32 v25, 0x7f, v2
	v_cmp_ne_u32_e64 s[0:1], s53, v25
	v_mov_b32_e32 v24, 0x7c01
	s_and_saveexec_b64 s[44:45], s[0:1]
	s_cbranch_execz .LBB241_22
; %bb.21:                               ;   in Loop: Header=BB241_13 Depth=1
	v_and_b32_e32 v24, 7, v2
	v_ffbh_u32_e32 v28, v24
	v_min_u32_e32 v31, 32, v28
	v_subrev_u32_e32 v28, 28, v31
	v_lshlrev_b64 v[28:29], v28, v[2:3]
	v_lshrrev_b32_e32 v30, 3, v25
	v_sub_u32_e32 v29, 29, v31
	v_cmp_gt_u32_e64 s[0:1], 8, v25
	v_and_b32_e32 v28, 7, v28
	s_nop 0
	v_cndmask_b32_e64 v25, v30, v29, s[0:1]
	v_lshl_add_u32 v25, v25, 10, v19
	v_lshlrev_b32_e32 v29, 8, v2
	v_and_b32_e32 v25, 0xfc00, v25
	v_cndmask_b32_e64 v24, v24, v28, s[0:1]
	v_and_or_b32 v25, v29, s54, v25
	v_lshl_or_b32 v24, v24, 7, v25
.LBB241_22:                             ;   in Loop: Header=BB241_13 Depth=1
	s_or_b64 exec, exec, s[44:45]
.LBB241_23:                             ;   in Loop: Header=BB241_13 Depth=1
	s_or_b64 exec, exec, s[42:43]
.LBB241_24:                             ;   in Loop: Header=BB241_13 Depth=1
	s_or_b64 exec, exec, s[40:41]
	v_lshrrev_b16_e32 v2, 8, v2
	v_cmp_ne_u16_e64 s[0:1], 0, v2
	s_and_saveexec_b64 s[40:41], s[0:1]
	s_cbranch_execz .LBB241_30
; %bb.25:                               ;   in Loop: Header=BB241_13 Depth=1
	v_cmp_ne_u16_e64 s[0:1], s52, v2
	v_bfrev_b32_e32 v23, 1
	s_and_saveexec_b64 s[42:43], s[0:1]
	s_cbranch_execz .LBB241_29
; %bb.26:                               ;   in Loop: Header=BB241_13 Depth=1
	v_and_b32_e32 v25, 0x7f, v2
	v_cmp_ne_u32_e64 s[0:1], s53, v25
	v_mov_b32_e32 v23, 0x7c010000
	s_and_saveexec_b64 s[44:45], s[0:1]
	s_cbranch_execz .LBB241_28
; %bb.27:                               ;   in Loop: Header=BB241_13 Depth=1
	v_and_b32_e32 v23, 7, v2
	v_ffbh_u32_e32 v28, v23
	v_min_u32_e32 v31, 32, v28
	v_subrev_u32_e32 v28, 28, v31
	v_lshlrev_b64 v[28:29], v28, v[2:3]
	v_lshrrev_b32_e32 v30, 3, v25
	v_sub_u32_e32 v29, 29, v31
	v_cmp_gt_u32_e64 s[0:1], 8, v25
	v_lshlrev_b32_e32 v2, 8, v2
	v_and_b32_e32 v28, 7, v28
	v_cndmask_b32_e64 v25, v30, v29, s[0:1]
	v_lshl_add_u32 v25, v25, 10, v19
	v_and_or_b32 v2, v2, s54, v25
	v_cndmask_b32_e64 v23, v23, v28, s[0:1]
	v_lshlrev_b32_e32 v2, 16, v2
	v_lshl_or_b32 v23, v23, 23, v2
.LBB241_28:                             ;   in Loop: Header=BB241_13 Depth=1
	s_or_b64 exec, exec, s[44:45]
.LBB241_29:                             ;   in Loop: Header=BB241_13 Depth=1
	s_or_b64 exec, exec, s[42:43]
.LBB241_30:                             ;   in Loop: Header=BB241_13 Depth=1
	s_or_b64 exec, exec, s[40:41]
	global_load_ushort v28, v[8:9], off offset:8
	v_mov_b32_e32 v25, 0
	s_waitcnt vmcnt(0)
	v_and_b32_e32 v2, 0xffff, v28
	v_cmp_ne_u16_sdwa s[0:1], v28, v3 src0_sel:BYTE_0 src1_sel:DWORD
	v_mov_b32_e32 v28, 0
	s_and_saveexec_b64 s[40:41], s[0:1]
	s_cbranch_execz .LBB241_36
; %bb.31:                               ;   in Loop: Header=BB241_13 Depth=1
	v_cmp_ne_u16_sdwa s[0:1], v2, s52 src0_sel:BYTE_0 src1_sel:DWORD
	v_mov_b32_e32 v28, 0x8000
	s_and_saveexec_b64 s[42:43], s[0:1]
	s_cbranch_execz .LBB241_35
; %bb.32:                               ;   in Loop: Header=BB241_13 Depth=1
	v_and_b32_e32 v29, 0x7f, v2
	v_cmp_ne_u32_e64 s[0:1], s53, v29
	v_mov_b32_e32 v28, 0x7c01
	s_and_saveexec_b64 s[44:45], s[0:1]
	s_cbranch_execz .LBB241_34
; %bb.33:                               ;   in Loop: Header=BB241_13 Depth=1
	v_and_b32_e32 v28, 7, v2
	v_ffbh_u32_e32 v30, v28
	v_min_u32_e32 v33, 32, v30
	v_subrev_u32_e32 v30, 28, v33
	v_lshlrev_b64 v[30:31], v30, v[2:3]
	v_lshrrev_b32_e32 v32, 3, v29
	v_sub_u32_e32 v31, 29, v33
	v_cmp_gt_u32_e64 s[0:1], 8, v29
	v_and_b32_e32 v30, 7, v30
	s_nop 0
	v_cndmask_b32_e64 v29, v32, v31, s[0:1]
	v_lshl_add_u32 v29, v29, 10, v19
	v_lshlrev_b32_e32 v31, 8, v2
	v_and_b32_e32 v29, 0xfc00, v29
	v_cndmask_b32_e64 v28, v28, v30, s[0:1]
	v_and_or_b32 v29, v31, s54, v29
	v_lshl_or_b32 v28, v28, 7, v29
.LBB241_34:                             ;   in Loop: Header=BB241_13 Depth=1
	s_or_b64 exec, exec, s[44:45]
.LBB241_35:                             ;   in Loop: Header=BB241_13 Depth=1
	s_or_b64 exec, exec, s[42:43]
.LBB241_36:                             ;   in Loop: Header=BB241_13 Depth=1
	s_or_b64 exec, exec, s[40:41]
	v_lshrrev_b16_e32 v2, 8, v2
	v_cmp_ne_u16_e64 s[0:1], 0, v2
	s_and_saveexec_b64 s[40:41], s[0:1]
	s_cbranch_execz .LBB241_42
; %bb.37:                               ;   in Loop: Header=BB241_13 Depth=1
	v_cmp_ne_u16_e64 s[0:1], s52, v2
	v_bfrev_b32_e32 v25, 1
	s_and_saveexec_b64 s[42:43], s[0:1]
	s_cbranch_execz .LBB241_41
; %bb.38:                               ;   in Loop: Header=BB241_13 Depth=1
	v_and_b32_e32 v29, 0x7f, v2
	v_cmp_ne_u32_e64 s[0:1], s53, v29
	v_mov_b32_e32 v25, 0x7c010000
	s_and_saveexec_b64 s[44:45], s[0:1]
	s_cbranch_execz .LBB241_40
; %bb.39:                               ;   in Loop: Header=BB241_13 Depth=1
	v_and_b32_e32 v25, 7, v2
	v_ffbh_u32_e32 v30, v25
	v_min_u32_e32 v33, 32, v30
	v_subrev_u32_e32 v30, 28, v33
	v_lshlrev_b64 v[30:31], v30, v[2:3]
	v_lshrrev_b32_e32 v32, 3, v29
	v_sub_u32_e32 v31, 29, v33
	v_cmp_gt_u32_e64 s[0:1], 8, v29
	v_lshlrev_b32_e32 v2, 8, v2
	v_and_b32_e32 v30, 7, v30
	v_cndmask_b32_e64 v29, v32, v31, s[0:1]
	v_lshl_add_u32 v29, v29, 10, v19
	v_and_or_b32 v2, v2, s54, v29
	v_cndmask_b32_e64 v25, v25, v30, s[0:1]
	v_lshlrev_b32_e32 v2, 16, v2
	v_lshl_or_b32 v25, v25, 23, v2
.LBB241_40:                             ;   in Loop: Header=BB241_13 Depth=1
	s_or_b64 exec, exec, s[44:45]
.LBB241_41:                             ;   in Loop: Header=BB241_13 Depth=1
	s_or_b64 exec, exec, s[42:43]
.LBB241_42:                             ;   in Loop: Header=BB241_13 Depth=1
	s_or_b64 exec, exec, s[40:41]
	global_load_ushort v30, v[8:9], off offset:256
	v_mov_b32_e32 v29, 0
	s_waitcnt vmcnt(0)
	v_and_b32_e32 v2, 0xffff, v30
	v_cmp_ne_u16_sdwa s[0:1], v30, v3 src0_sel:BYTE_0 src1_sel:DWORD
	v_mov_b32_e32 v30, 0
	s_and_saveexec_b64 s[40:41], s[0:1]
	s_cbranch_execz .LBB241_48
; %bb.43:                               ;   in Loop: Header=BB241_13 Depth=1
	v_cmp_ne_u16_sdwa s[0:1], v2, s52 src0_sel:BYTE_0 src1_sel:DWORD
	v_mov_b32_e32 v30, 0x8000
	s_and_saveexec_b64 s[42:43], s[0:1]
	s_cbranch_execz .LBB241_47
; %bb.44:                               ;   in Loop: Header=BB241_13 Depth=1
	v_and_b32_e32 v31, 0x7f, v2
	v_cmp_ne_u32_e64 s[0:1], s53, v31
	v_mov_b32_e32 v30, 0x7c01
	s_and_saveexec_b64 s[44:45], s[0:1]
	s_cbranch_execz .LBB241_46
; %bb.45:                               ;   in Loop: Header=BB241_13 Depth=1
	v_and_b32_e32 v30, 7, v2
	v_ffbh_u32_e32 v32, v30
	v_min_u32_e32 v35, 32, v32
	v_subrev_u32_e32 v32, 28, v35
	v_lshlrev_b64 v[32:33], v32, v[2:3]
	v_lshrrev_b32_e32 v34, 3, v31
	v_sub_u32_e32 v33, 29, v35
	v_cmp_gt_u32_e64 s[0:1], 8, v31
	v_and_b32_e32 v32, 7, v32
	s_nop 0
	v_cndmask_b32_e64 v31, v34, v33, s[0:1]
	v_lshl_add_u32 v31, v31, 10, v19
	v_lshlrev_b32_e32 v33, 8, v2
	v_and_b32_e32 v31, 0xfc00, v31
	v_cndmask_b32_e64 v30, v30, v32, s[0:1]
	v_and_or_b32 v31, v33, s54, v31
	v_lshl_or_b32 v30, v30, 7, v31
.LBB241_46:                             ;   in Loop: Header=BB241_13 Depth=1
	s_or_b64 exec, exec, s[44:45]
.LBB241_47:                             ;   in Loop: Header=BB241_13 Depth=1
	s_or_b64 exec, exec, s[42:43]
.LBB241_48:                             ;   in Loop: Header=BB241_13 Depth=1
	s_or_b64 exec, exec, s[40:41]
	v_lshrrev_b16_e32 v2, 8, v2
	v_cmp_ne_u16_e64 s[0:1], 0, v2
	s_and_saveexec_b64 s[40:41], s[0:1]
	s_cbranch_execz .LBB241_54
; %bb.49:                               ;   in Loop: Header=BB241_13 Depth=1
	v_cmp_ne_u16_e64 s[0:1], s52, v2
	v_bfrev_b32_e32 v29, 1
	s_and_saveexec_b64 s[42:43], s[0:1]
	s_cbranch_execz .LBB241_53
; %bb.50:                               ;   in Loop: Header=BB241_13 Depth=1
	v_and_b32_e32 v31, 0x7f, v2
	v_cmp_ne_u32_e64 s[0:1], s53, v31
	v_mov_b32_e32 v29, 0x7c010000
	s_and_saveexec_b64 s[44:45], s[0:1]
	s_cbranch_execz .LBB241_52
; %bb.51:                               ;   in Loop: Header=BB241_13 Depth=1
	v_and_b32_e32 v29, 7, v2
	v_ffbh_u32_e32 v32, v29
	v_min_u32_e32 v35, 32, v32
	v_subrev_u32_e32 v32, 28, v35
	v_lshlrev_b64 v[32:33], v32, v[2:3]
	v_lshrrev_b32_e32 v34, 3, v31
	v_sub_u32_e32 v33, 29, v35
	v_cmp_gt_u32_e64 s[0:1], 8, v31
	v_lshlrev_b32_e32 v2, 8, v2
	v_and_b32_e32 v32, 7, v32
	v_cndmask_b32_e64 v31, v34, v33, s[0:1]
	v_lshl_add_u32 v31, v31, 10, v19
	v_and_or_b32 v2, v2, s54, v31
	v_cndmask_b32_e64 v29, v29, v32, s[0:1]
	v_lshlrev_b32_e32 v2, 16, v2
	v_lshl_or_b32 v29, v29, 23, v2
.LBB241_52:                             ;   in Loop: Header=BB241_13 Depth=1
	s_or_b64 exec, exec, s[44:45]
.LBB241_53:                             ;   in Loop: Header=BB241_13 Depth=1
	s_or_b64 exec, exec, s[42:43]
.LBB241_54:                             ;   in Loop: Header=BB241_13 Depth=1
	s_or_b64 exec, exec, s[40:41]
	global_load_ushort v32, v[8:9], off offset:264
	v_mov_b32_e32 v31, 0
	s_waitcnt vmcnt(0)
	v_and_b32_e32 v2, 0xffff, v32
	v_cmp_ne_u16_sdwa s[0:1], v32, v3 src0_sel:BYTE_0 src1_sel:DWORD
	v_mov_b32_e32 v32, 0
	s_and_saveexec_b64 s[40:41], s[0:1]
	s_cbranch_execz .LBB241_60
; %bb.55:                               ;   in Loop: Header=BB241_13 Depth=1
	v_cmp_ne_u16_sdwa s[0:1], v2, s52 src0_sel:BYTE_0 src1_sel:DWORD
	v_mov_b32_e32 v32, 0x8000
	s_and_saveexec_b64 s[42:43], s[0:1]
	s_cbranch_execz .LBB241_59
; %bb.56:                               ;   in Loop: Header=BB241_13 Depth=1
	v_and_b32_e32 v33, 0x7f, v2
	v_cmp_ne_u32_e64 s[0:1], s53, v33
	v_mov_b32_e32 v32, 0x7c01
	s_and_saveexec_b64 s[44:45], s[0:1]
	s_cbranch_execz .LBB241_58
; %bb.57:                               ;   in Loop: Header=BB241_13 Depth=1
	v_and_b32_e32 v32, 7, v2
	v_ffbh_u32_e32 v34, v32
	v_min_u32_e32 v37, 32, v34
	v_subrev_u32_e32 v34, 28, v37
	v_lshlrev_b64 v[34:35], v34, v[2:3]
	v_lshrrev_b32_e32 v36, 3, v33
	v_sub_u32_e32 v35, 29, v37
	v_cmp_gt_u32_e64 s[0:1], 8, v33
	v_and_b32_e32 v34, 7, v34
	s_nop 0
	v_cndmask_b32_e64 v33, v36, v35, s[0:1]
	v_lshl_add_u32 v33, v33, 10, v19
	v_lshlrev_b32_e32 v35, 8, v2
	v_and_b32_e32 v33, 0xfc00, v33
	v_cndmask_b32_e64 v32, v32, v34, s[0:1]
	v_and_or_b32 v33, v35, s54, v33
	v_lshl_or_b32 v32, v32, 7, v33
.LBB241_58:                             ;   in Loop: Header=BB241_13 Depth=1
	s_or_b64 exec, exec, s[44:45]
.LBB241_59:                             ;   in Loop: Header=BB241_13 Depth=1
	s_or_b64 exec, exec, s[42:43]
.LBB241_60:                             ;   in Loop: Header=BB241_13 Depth=1
	s_or_b64 exec, exec, s[40:41]
	v_lshrrev_b16_e32 v2, 8, v2
	v_cmp_ne_u16_e64 s[0:1], 0, v2
	s_and_saveexec_b64 s[40:41], s[0:1]
	s_cbranch_execz .LBB241_66
; %bb.61:                               ;   in Loop: Header=BB241_13 Depth=1
	v_cmp_ne_u16_e64 s[0:1], s52, v2
	v_bfrev_b32_e32 v31, 1
	s_and_saveexec_b64 s[42:43], s[0:1]
	s_cbranch_execz .LBB241_65
; %bb.62:                               ;   in Loop: Header=BB241_13 Depth=1
	v_and_b32_e32 v33, 0x7f, v2
	v_cmp_ne_u32_e64 s[0:1], s53, v33
	v_mov_b32_e32 v31, 0x7c010000
	s_and_saveexec_b64 s[44:45], s[0:1]
	s_cbranch_execz .LBB241_64
; %bb.63:                               ;   in Loop: Header=BB241_13 Depth=1
	v_and_b32_e32 v31, 7, v2
	v_ffbh_u32_e32 v34, v31
	v_min_u32_e32 v37, 32, v34
	v_subrev_u32_e32 v34, 28, v37
	v_lshlrev_b64 v[34:35], v34, v[2:3]
	v_lshrrev_b32_e32 v36, 3, v33
	v_sub_u32_e32 v35, 29, v37
	v_cmp_gt_u32_e64 s[0:1], 8, v33
	v_lshlrev_b32_e32 v2, 8, v2
	v_and_b32_e32 v34, 7, v34
	v_cndmask_b32_e64 v33, v36, v35, s[0:1]
	v_lshl_add_u32 v33, v33, 10, v19
	v_and_or_b32 v2, v2, s54, v33
	v_cndmask_b32_e64 v31, v31, v34, s[0:1]
	v_lshlrev_b32_e32 v2, 16, v2
	v_lshl_or_b32 v31, v31, 23, v2
.LBB241_64:                             ;   in Loop: Header=BB241_13 Depth=1
	s_or_b64 exec, exec, s[44:45]
.LBB241_65:                             ;   in Loop: Header=BB241_13 Depth=1
	s_or_b64 exec, exec, s[42:43]
.LBB241_66:                             ;   in Loop: Header=BB241_13 Depth=1
	s_or_b64 exec, exec, s[40:41]
	global_load_ushort v34, v[8:9], off offset:512
	v_mov_b32_e32 v33, 0
	s_waitcnt vmcnt(0)
	v_and_b32_e32 v2, 0xffff, v34
	v_cmp_ne_u16_sdwa s[0:1], v34, v3 src0_sel:BYTE_0 src1_sel:DWORD
	v_mov_b32_e32 v34, 0
	s_and_saveexec_b64 s[40:41], s[0:1]
	s_cbranch_execz .LBB241_72
; %bb.67:                               ;   in Loop: Header=BB241_13 Depth=1
	v_cmp_ne_u16_sdwa s[0:1], v2, s52 src0_sel:BYTE_0 src1_sel:DWORD
	v_mov_b32_e32 v34, 0x8000
	s_and_saveexec_b64 s[42:43], s[0:1]
	s_cbranch_execz .LBB241_71
; %bb.68:                               ;   in Loop: Header=BB241_13 Depth=1
	v_and_b32_e32 v35, 0x7f, v2
	v_cmp_ne_u32_e64 s[0:1], s53, v35
	v_mov_b32_e32 v34, 0x7c01
	s_and_saveexec_b64 s[44:45], s[0:1]
	s_cbranch_execz .LBB241_70
; %bb.69:                               ;   in Loop: Header=BB241_13 Depth=1
	v_and_b32_e32 v34, 7, v2
	v_ffbh_u32_e32 v36, v34
	v_min_u32_e32 v39, 32, v36
	v_subrev_u32_e32 v36, 28, v39
	v_lshlrev_b64 v[36:37], v36, v[2:3]
	v_lshrrev_b32_e32 v38, 3, v35
	v_sub_u32_e32 v37, 29, v39
	v_cmp_gt_u32_e64 s[0:1], 8, v35
	v_and_b32_e32 v36, 7, v36
	s_nop 0
	v_cndmask_b32_e64 v35, v38, v37, s[0:1]
	v_lshl_add_u32 v35, v35, 10, v19
	v_lshlrev_b32_e32 v37, 8, v2
	v_and_b32_e32 v35, 0xfc00, v35
	v_cndmask_b32_e64 v34, v34, v36, s[0:1]
	v_and_or_b32 v35, v37, s54, v35
	v_lshl_or_b32 v34, v34, 7, v35
.LBB241_70:                             ;   in Loop: Header=BB241_13 Depth=1
	s_or_b64 exec, exec, s[44:45]
.LBB241_71:                             ;   in Loop: Header=BB241_13 Depth=1
	s_or_b64 exec, exec, s[42:43]
.LBB241_72:                             ;   in Loop: Header=BB241_13 Depth=1
	s_or_b64 exec, exec, s[40:41]
	v_lshrrev_b16_e32 v2, 8, v2
	v_cmp_ne_u16_e64 s[0:1], 0, v2
	s_and_saveexec_b64 s[40:41], s[0:1]
	s_cbranch_execz .LBB241_78
; %bb.73:                               ;   in Loop: Header=BB241_13 Depth=1
	v_cmp_ne_u16_e64 s[0:1], s52, v2
	v_bfrev_b32_e32 v33, 1
	s_and_saveexec_b64 s[42:43], s[0:1]
	s_cbranch_execz .LBB241_77
; %bb.74:                               ;   in Loop: Header=BB241_13 Depth=1
	v_and_b32_e32 v35, 0x7f, v2
	v_cmp_ne_u32_e64 s[0:1], s53, v35
	v_mov_b32_e32 v33, 0x7c010000
	s_and_saveexec_b64 s[44:45], s[0:1]
	s_cbranch_execz .LBB241_76
; %bb.75:                               ;   in Loop: Header=BB241_13 Depth=1
	v_and_b32_e32 v33, 7, v2
	v_ffbh_u32_e32 v36, v33
	v_min_u32_e32 v39, 32, v36
	v_subrev_u32_e32 v36, 28, v39
	v_lshlrev_b64 v[36:37], v36, v[2:3]
	v_lshrrev_b32_e32 v38, 3, v35
	v_sub_u32_e32 v37, 29, v39
	v_cmp_gt_u32_e64 s[0:1], 8, v35
	v_lshlrev_b32_e32 v2, 8, v2
	v_and_b32_e32 v36, 7, v36
	v_cndmask_b32_e64 v35, v38, v37, s[0:1]
	v_lshl_add_u32 v35, v35, 10, v19
	v_and_or_b32 v2, v2, s54, v35
	v_cndmask_b32_e64 v33, v33, v36, s[0:1]
	v_lshlrev_b32_e32 v2, 16, v2
	v_lshl_or_b32 v33, v33, 23, v2
.LBB241_76:                             ;   in Loop: Header=BB241_13 Depth=1
	s_or_b64 exec, exec, s[44:45]
.LBB241_77:                             ;   in Loop: Header=BB241_13 Depth=1
	s_or_b64 exec, exec, s[42:43]
.LBB241_78:                             ;   in Loop: Header=BB241_13 Depth=1
	s_or_b64 exec, exec, s[40:41]
	global_load_ushort v36, v[8:9], off offset:520
	v_mov_b32_e32 v35, 0
	s_waitcnt vmcnt(0)
	v_and_b32_e32 v2, 0xffff, v36
	v_cmp_ne_u16_sdwa s[0:1], v36, v3 src0_sel:BYTE_0 src1_sel:DWORD
	v_mov_b32_e32 v36, 0
	s_and_saveexec_b64 s[40:41], s[0:1]
	s_cbranch_execz .LBB241_84
; %bb.79:                               ;   in Loop: Header=BB241_13 Depth=1
	v_cmp_ne_u16_sdwa s[0:1], v2, s52 src0_sel:BYTE_0 src1_sel:DWORD
	v_mov_b32_e32 v36, 0x8000
	s_and_saveexec_b64 s[42:43], s[0:1]
	s_cbranch_execz .LBB241_83
; %bb.80:                               ;   in Loop: Header=BB241_13 Depth=1
	v_and_b32_e32 v37, 0x7f, v2
	v_cmp_ne_u32_e64 s[0:1], s53, v37
	v_mov_b32_e32 v36, 0x7c01
	s_and_saveexec_b64 s[44:45], s[0:1]
	s_cbranch_execz .LBB241_82
; %bb.81:                               ;   in Loop: Header=BB241_13 Depth=1
	v_and_b32_e32 v36, 7, v2
	v_ffbh_u32_e32 v38, v36
	v_min_u32_e32 v41, 32, v38
	v_subrev_u32_e32 v38, 28, v41
	v_lshlrev_b64 v[38:39], v38, v[2:3]
	v_lshrrev_b32_e32 v40, 3, v37
	v_sub_u32_e32 v39, 29, v41
	v_cmp_gt_u32_e64 s[0:1], 8, v37
	v_and_b32_e32 v38, 7, v38
	s_nop 0
	v_cndmask_b32_e64 v37, v40, v39, s[0:1]
	v_lshl_add_u32 v37, v37, 10, v19
	v_lshlrev_b32_e32 v39, 8, v2
	v_and_b32_e32 v37, 0xfc00, v37
	v_cndmask_b32_e64 v36, v36, v38, s[0:1]
	v_and_or_b32 v37, v39, s54, v37
	v_lshl_or_b32 v36, v36, 7, v37
.LBB241_82:                             ;   in Loop: Header=BB241_13 Depth=1
	s_or_b64 exec, exec, s[44:45]
.LBB241_83:                             ;   in Loop: Header=BB241_13 Depth=1
	s_or_b64 exec, exec, s[42:43]
.LBB241_84:                             ;   in Loop: Header=BB241_13 Depth=1
	s_or_b64 exec, exec, s[40:41]
	v_lshrrev_b16_e32 v2, 8, v2
	v_cmp_ne_u16_e64 s[0:1], 0, v2
	s_and_saveexec_b64 s[40:41], s[0:1]
	s_cbranch_execz .LBB241_90
; %bb.85:                               ;   in Loop: Header=BB241_13 Depth=1
	v_cmp_ne_u16_e64 s[0:1], s52, v2
	v_bfrev_b32_e32 v35, 1
	s_and_saveexec_b64 s[42:43], s[0:1]
	s_cbranch_execz .LBB241_89
; %bb.86:                               ;   in Loop: Header=BB241_13 Depth=1
	v_and_b32_e32 v37, 0x7f, v2
	v_cmp_ne_u32_e64 s[0:1], s53, v37
	v_mov_b32_e32 v35, 0x7c010000
	s_and_saveexec_b64 s[44:45], s[0:1]
	s_cbranch_execz .LBB241_88
; %bb.87:                               ;   in Loop: Header=BB241_13 Depth=1
	v_and_b32_e32 v35, 7, v2
	v_ffbh_u32_e32 v38, v35
	v_min_u32_e32 v41, 32, v38
	v_subrev_u32_e32 v38, 28, v41
	v_lshlrev_b64 v[38:39], v38, v[2:3]
	v_lshrrev_b32_e32 v40, 3, v37
	v_sub_u32_e32 v39, 29, v41
	v_cmp_gt_u32_e64 s[0:1], 8, v37
	v_lshlrev_b32_e32 v2, 8, v2
	v_and_b32_e32 v38, 7, v38
	v_cndmask_b32_e64 v37, v40, v39, s[0:1]
	v_lshl_add_u32 v37, v37, 10, v19
	v_and_or_b32 v2, v2, s54, v37
	v_cndmask_b32_e64 v35, v35, v38, s[0:1]
	v_lshlrev_b32_e32 v2, 16, v2
	v_lshl_or_b32 v35, v35, 23, v2
.LBB241_88:                             ;   in Loop: Header=BB241_13 Depth=1
	s_or_b64 exec, exec, s[44:45]
.LBB241_89:                             ;   in Loop: Header=BB241_13 Depth=1
	s_or_b64 exec, exec, s[42:43]
.LBB241_90:                             ;   in Loop: Header=BB241_13 Depth=1
	s_or_b64 exec, exec, s[40:41]
	global_load_ushort v38, v[8:9], off offset:768
	v_mov_b32_e32 v37, 0
	s_waitcnt vmcnt(0)
	v_and_b32_e32 v2, 0xffff, v38
	v_cmp_ne_u16_sdwa s[0:1], v38, v3 src0_sel:BYTE_0 src1_sel:DWORD
	v_mov_b32_e32 v38, 0
	s_and_saveexec_b64 s[40:41], s[0:1]
	s_cbranch_execz .LBB241_96
; %bb.91:                               ;   in Loop: Header=BB241_13 Depth=1
	v_cmp_ne_u16_sdwa s[0:1], v2, s52 src0_sel:BYTE_0 src1_sel:DWORD
	v_mov_b32_e32 v38, 0x8000
	s_and_saveexec_b64 s[42:43], s[0:1]
	s_cbranch_execz .LBB241_95
; %bb.92:                               ;   in Loop: Header=BB241_13 Depth=1
	v_and_b32_e32 v39, 0x7f, v2
	v_cmp_ne_u32_e64 s[0:1], s53, v39
	v_mov_b32_e32 v38, 0x7c01
	s_and_saveexec_b64 s[44:45], s[0:1]
	s_cbranch_execz .LBB241_94
; %bb.93:                               ;   in Loop: Header=BB241_13 Depth=1
	v_and_b32_e32 v38, 7, v2
	v_ffbh_u32_e32 v40, v38
	v_min_u32_e32 v43, 32, v40
	v_subrev_u32_e32 v40, 28, v43
	v_lshlrev_b64 v[40:41], v40, v[2:3]
	v_lshrrev_b32_e32 v42, 3, v39
	v_sub_u32_e32 v41, 29, v43
	v_cmp_gt_u32_e64 s[0:1], 8, v39
	v_and_b32_e32 v40, 7, v40
	s_nop 0
	v_cndmask_b32_e64 v39, v42, v41, s[0:1]
	v_lshl_add_u32 v39, v39, 10, v19
	v_lshlrev_b32_e32 v41, 8, v2
	v_and_b32_e32 v39, 0xfc00, v39
	v_cndmask_b32_e64 v38, v38, v40, s[0:1]
	v_and_or_b32 v39, v41, s54, v39
	v_lshl_or_b32 v38, v38, 7, v39
.LBB241_94:                             ;   in Loop: Header=BB241_13 Depth=1
	s_or_b64 exec, exec, s[44:45]
.LBB241_95:                             ;   in Loop: Header=BB241_13 Depth=1
	s_or_b64 exec, exec, s[42:43]
.LBB241_96:                             ;   in Loop: Header=BB241_13 Depth=1
	s_or_b64 exec, exec, s[40:41]
	v_lshrrev_b16_e32 v2, 8, v2
	v_cmp_ne_u16_e64 s[0:1], 0, v2
	s_and_saveexec_b64 s[40:41], s[0:1]
	s_cbranch_execz .LBB241_102
; %bb.97:                               ;   in Loop: Header=BB241_13 Depth=1
	v_cmp_ne_u16_e64 s[0:1], s52, v2
	v_bfrev_b32_e32 v37, 1
	s_and_saveexec_b64 s[42:43], s[0:1]
	s_cbranch_execz .LBB241_101
; %bb.98:                               ;   in Loop: Header=BB241_13 Depth=1
	v_and_b32_e32 v39, 0x7f, v2
	v_cmp_ne_u32_e64 s[0:1], s53, v39
	v_mov_b32_e32 v37, 0x7c010000
	s_and_saveexec_b64 s[44:45], s[0:1]
	s_cbranch_execz .LBB241_100
; %bb.99:                               ;   in Loop: Header=BB241_13 Depth=1
	v_and_b32_e32 v37, 7, v2
	v_ffbh_u32_e32 v40, v37
	v_min_u32_e32 v43, 32, v40
	v_subrev_u32_e32 v40, 28, v43
	v_lshlrev_b64 v[40:41], v40, v[2:3]
	v_lshrrev_b32_e32 v42, 3, v39
	v_sub_u32_e32 v41, 29, v43
	v_cmp_gt_u32_e64 s[0:1], 8, v39
	v_lshlrev_b32_e32 v2, 8, v2
	v_and_b32_e32 v40, 7, v40
	v_cndmask_b32_e64 v39, v42, v41, s[0:1]
	v_lshl_add_u32 v39, v39, 10, v19
	v_and_or_b32 v2, v2, s54, v39
	v_cndmask_b32_e64 v37, v37, v40, s[0:1]
	v_lshlrev_b32_e32 v2, 16, v2
	v_lshl_or_b32 v37, v37, 23, v2
.LBB241_100:                            ;   in Loop: Header=BB241_13 Depth=1
	s_or_b64 exec, exec, s[44:45]
.LBB241_101:                            ;   in Loop: Header=BB241_13 Depth=1
	s_or_b64 exec, exec, s[42:43]
.LBB241_102:                            ;   in Loop: Header=BB241_13 Depth=1
	s_or_b64 exec, exec, s[40:41]
	global_load_ushort v40, v[8:9], off offset:776
	v_mov_b32_e32 v39, 0
	s_waitcnt vmcnt(0)
	v_and_b32_e32 v2, 0xffff, v40
	v_cmp_ne_u16_sdwa s[0:1], v40, v3 src0_sel:BYTE_0 src1_sel:DWORD
	v_mov_b32_e32 v40, 0
	s_and_saveexec_b64 s[40:41], s[0:1]
	s_cbranch_execz .LBB241_108
; %bb.103:                              ;   in Loop: Header=BB241_13 Depth=1
	v_cmp_ne_u16_sdwa s[0:1], v2, s52 src0_sel:BYTE_0 src1_sel:DWORD
	v_mov_b32_e32 v40, 0x8000
	s_and_saveexec_b64 s[42:43], s[0:1]
	s_cbranch_execz .LBB241_107
; %bb.104:                              ;   in Loop: Header=BB241_13 Depth=1
	v_and_b32_e32 v41, 0x7f, v2
	v_cmp_ne_u32_e64 s[0:1], s53, v41
	v_mov_b32_e32 v40, 0x7c01
	s_and_saveexec_b64 s[44:45], s[0:1]
	s_cbranch_execz .LBB241_106
; %bb.105:                              ;   in Loop: Header=BB241_13 Depth=1
	v_and_b32_e32 v40, 7, v2
	v_ffbh_u32_e32 v42, v40
	v_min_u32_e32 v45, 32, v42
	v_subrev_u32_e32 v42, 28, v45
	v_lshlrev_b64 v[42:43], v42, v[2:3]
	v_lshrrev_b32_e32 v44, 3, v41
	v_sub_u32_e32 v43, 29, v45
	v_cmp_gt_u32_e64 s[0:1], 8, v41
	v_and_b32_e32 v42, 7, v42
	s_nop 0
	v_cndmask_b32_e64 v41, v44, v43, s[0:1]
	v_lshl_add_u32 v41, v41, 10, v19
	v_lshlrev_b32_e32 v43, 8, v2
	v_and_b32_e32 v41, 0xfc00, v41
	v_cndmask_b32_e64 v40, v40, v42, s[0:1]
	v_and_or_b32 v41, v43, s54, v41
	v_lshl_or_b32 v40, v40, 7, v41
.LBB241_106:                            ;   in Loop: Header=BB241_13 Depth=1
	s_or_b64 exec, exec, s[44:45]
.LBB241_107:                            ;   in Loop: Header=BB241_13 Depth=1
	s_or_b64 exec, exec, s[42:43]
.LBB241_108:                            ;   in Loop: Header=BB241_13 Depth=1
	s_or_b64 exec, exec, s[40:41]
	v_lshrrev_b16_e32 v2, 8, v2
	v_cmp_ne_u16_e64 s[0:1], 0, v2
	s_and_saveexec_b64 s[40:41], s[0:1]
	s_cbranch_execz .LBB241_114
; %bb.109:                              ;   in Loop: Header=BB241_13 Depth=1
	v_cmp_ne_u16_e64 s[0:1], s52, v2
	v_bfrev_b32_e32 v39, 1
	s_and_saveexec_b64 s[42:43], s[0:1]
	s_cbranch_execz .LBB241_113
; %bb.110:                              ;   in Loop: Header=BB241_13 Depth=1
	v_and_b32_e32 v41, 0x7f, v2
	v_cmp_ne_u32_e64 s[0:1], s53, v41
	v_mov_b32_e32 v39, 0x7c010000
	s_and_saveexec_b64 s[44:45], s[0:1]
	s_cbranch_execz .LBB241_112
; %bb.111:                              ;   in Loop: Header=BB241_13 Depth=1
	v_and_b32_e32 v39, 7, v2
	v_ffbh_u32_e32 v42, v39
	v_min_u32_e32 v45, 32, v42
	v_subrev_u32_e32 v42, 28, v45
	v_lshlrev_b64 v[42:43], v42, v[2:3]
	v_lshrrev_b32_e32 v44, 3, v41
	v_sub_u32_e32 v43, 29, v45
	v_cmp_gt_u32_e64 s[0:1], 8, v41
	v_lshlrev_b32_e32 v2, 8, v2
	v_and_b32_e32 v42, 7, v42
	v_cndmask_b32_e64 v41, v44, v43, s[0:1]
	v_lshl_add_u32 v41, v41, 10, v19
	v_and_or_b32 v2, v2, s54, v41
	v_cndmask_b32_e64 v39, v39, v42, s[0:1]
	v_lshlrev_b32_e32 v2, 16, v2
	v_lshl_or_b32 v39, v39, 23, v2
.LBB241_112:                            ;   in Loop: Header=BB241_13 Depth=1
	s_or_b64 exec, exec, s[44:45]
.LBB241_113:                            ;   in Loop: Header=BB241_13 Depth=1
	s_or_b64 exec, exec, s[42:43]
.LBB241_114:                            ;   in Loop: Header=BB241_13 Depth=1
	s_or_b64 exec, exec, s[40:41]
	global_load_ushort v42, v[8:9], off offset:1024
	v_mov_b32_e32 v41, 0
	s_waitcnt vmcnt(0)
	v_and_b32_e32 v2, 0xffff, v42
	v_cmp_ne_u16_sdwa s[0:1], v42, v3 src0_sel:BYTE_0 src1_sel:DWORD
	v_mov_b32_e32 v42, 0
	s_and_saveexec_b64 s[40:41], s[0:1]
	s_cbranch_execz .LBB241_120
; %bb.115:                              ;   in Loop: Header=BB241_13 Depth=1
	v_cmp_ne_u16_sdwa s[0:1], v2, s52 src0_sel:BYTE_0 src1_sel:DWORD
	v_mov_b32_e32 v42, 0x8000
	s_and_saveexec_b64 s[42:43], s[0:1]
	s_cbranch_execz .LBB241_119
; %bb.116:                              ;   in Loop: Header=BB241_13 Depth=1
	v_and_b32_e32 v43, 0x7f, v2
	v_cmp_ne_u32_e64 s[0:1], s53, v43
	v_mov_b32_e32 v42, 0x7c01
	s_and_saveexec_b64 s[44:45], s[0:1]
	s_cbranch_execz .LBB241_118
; %bb.117:                              ;   in Loop: Header=BB241_13 Depth=1
	v_and_b32_e32 v42, 7, v2
	v_ffbh_u32_e32 v44, v42
	v_min_u32_e32 v47, 32, v44
	v_subrev_u32_e32 v44, 28, v47
	v_lshlrev_b64 v[44:45], v44, v[2:3]
	v_lshrrev_b32_e32 v46, 3, v43
	v_sub_u32_e32 v45, 29, v47
	v_cmp_gt_u32_e64 s[0:1], 8, v43
	v_and_b32_e32 v44, 7, v44
	s_nop 0
	v_cndmask_b32_e64 v43, v46, v45, s[0:1]
	v_lshl_add_u32 v43, v43, 10, v19
	v_lshlrev_b32_e32 v45, 8, v2
	v_and_b32_e32 v43, 0xfc00, v43
	v_cndmask_b32_e64 v42, v42, v44, s[0:1]
	v_and_or_b32 v43, v45, s54, v43
	v_lshl_or_b32 v42, v42, 7, v43
.LBB241_118:                            ;   in Loop: Header=BB241_13 Depth=1
	s_or_b64 exec, exec, s[44:45]
.LBB241_119:                            ;   in Loop: Header=BB241_13 Depth=1
	s_or_b64 exec, exec, s[42:43]
.LBB241_120:                            ;   in Loop: Header=BB241_13 Depth=1
	s_or_b64 exec, exec, s[40:41]
	v_lshrrev_b16_e32 v2, 8, v2
	v_cmp_ne_u16_e64 s[0:1], 0, v2
	s_and_saveexec_b64 s[40:41], s[0:1]
	s_cbranch_execz .LBB241_126
; %bb.121:                              ;   in Loop: Header=BB241_13 Depth=1
	v_cmp_ne_u16_e64 s[0:1], s52, v2
	v_bfrev_b32_e32 v41, 1
	s_and_saveexec_b64 s[42:43], s[0:1]
	s_cbranch_execz .LBB241_125
; %bb.122:                              ;   in Loop: Header=BB241_13 Depth=1
	v_and_b32_e32 v43, 0x7f, v2
	v_cmp_ne_u32_e64 s[0:1], s53, v43
	v_mov_b32_e32 v41, 0x7c010000
	s_and_saveexec_b64 s[44:45], s[0:1]
	s_cbranch_execz .LBB241_124
; %bb.123:                              ;   in Loop: Header=BB241_13 Depth=1
	v_and_b32_e32 v41, 7, v2
	v_ffbh_u32_e32 v44, v41
	v_min_u32_e32 v47, 32, v44
	v_subrev_u32_e32 v44, 28, v47
	v_lshlrev_b64 v[44:45], v44, v[2:3]
	v_lshrrev_b32_e32 v46, 3, v43
	v_sub_u32_e32 v45, 29, v47
	v_cmp_gt_u32_e64 s[0:1], 8, v43
	v_lshlrev_b32_e32 v2, 8, v2
	v_and_b32_e32 v44, 7, v44
	v_cndmask_b32_e64 v43, v46, v45, s[0:1]
	v_lshl_add_u32 v43, v43, 10, v19
	v_and_or_b32 v2, v2, s54, v43
	v_cndmask_b32_e64 v41, v41, v44, s[0:1]
	v_lshlrev_b32_e32 v2, 16, v2
	v_lshl_or_b32 v41, v41, 23, v2
.LBB241_124:                            ;   in Loop: Header=BB241_13 Depth=1
	s_or_b64 exec, exec, s[44:45]
.LBB241_125:                            ;   in Loop: Header=BB241_13 Depth=1
	s_or_b64 exec, exec, s[42:43]
.LBB241_126:                            ;   in Loop: Header=BB241_13 Depth=1
	s_or_b64 exec, exec, s[40:41]
	global_load_ushort v44, v[8:9], off offset:1032
	v_mov_b32_e32 v43, 0
	s_waitcnt vmcnt(0)
	v_and_b32_e32 v2, 0xffff, v44
	v_cmp_ne_u16_sdwa s[0:1], v44, v3 src0_sel:BYTE_0 src1_sel:DWORD
	v_mov_b32_e32 v44, 0
	s_and_saveexec_b64 s[40:41], s[0:1]
	s_cbranch_execz .LBB241_132
; %bb.127:                              ;   in Loop: Header=BB241_13 Depth=1
	v_cmp_ne_u16_sdwa s[0:1], v2, s52 src0_sel:BYTE_0 src1_sel:DWORD
	v_mov_b32_e32 v44, 0x8000
	s_and_saveexec_b64 s[42:43], s[0:1]
	s_cbranch_execz .LBB241_131
; %bb.128:                              ;   in Loop: Header=BB241_13 Depth=1
	v_and_b32_e32 v45, 0x7f, v2
	v_cmp_ne_u32_e64 s[0:1], s53, v45
	v_mov_b32_e32 v44, 0x7c01
	s_and_saveexec_b64 s[44:45], s[0:1]
	s_cbranch_execz .LBB241_130
; %bb.129:                              ;   in Loop: Header=BB241_13 Depth=1
	v_and_b32_e32 v44, 7, v2
	v_ffbh_u32_e32 v46, v44
	v_min_u32_e32 v49, 32, v46
	v_subrev_u32_e32 v46, 28, v49
	v_lshlrev_b64 v[46:47], v46, v[2:3]
	v_lshrrev_b32_e32 v48, 3, v45
	v_sub_u32_e32 v47, 29, v49
	v_cmp_gt_u32_e64 s[0:1], 8, v45
	v_and_b32_e32 v46, 7, v46
	s_nop 0
	v_cndmask_b32_e64 v45, v48, v47, s[0:1]
	v_lshl_add_u32 v45, v45, 10, v19
	v_lshlrev_b32_e32 v47, 8, v2
	v_and_b32_e32 v45, 0xfc00, v45
	v_cndmask_b32_e64 v44, v44, v46, s[0:1]
	v_and_or_b32 v45, v47, s54, v45
	v_lshl_or_b32 v44, v44, 7, v45
.LBB241_130:                            ;   in Loop: Header=BB241_13 Depth=1
	s_or_b64 exec, exec, s[44:45]
.LBB241_131:                            ;   in Loop: Header=BB241_13 Depth=1
	s_or_b64 exec, exec, s[42:43]
.LBB241_132:                            ;   in Loop: Header=BB241_13 Depth=1
	s_or_b64 exec, exec, s[40:41]
	v_lshrrev_b16_e32 v2, 8, v2
	v_cmp_ne_u16_e64 s[0:1], 0, v2
	s_and_saveexec_b64 s[40:41], s[0:1]
	s_cbranch_execz .LBB241_138
; %bb.133:                              ;   in Loop: Header=BB241_13 Depth=1
	v_cmp_ne_u16_e64 s[0:1], s52, v2
	v_bfrev_b32_e32 v43, 1
	s_and_saveexec_b64 s[42:43], s[0:1]
	s_cbranch_execz .LBB241_137
; %bb.134:                              ;   in Loop: Header=BB241_13 Depth=1
	v_and_b32_e32 v45, 0x7f, v2
	v_cmp_ne_u32_e64 s[0:1], s53, v45
	v_mov_b32_e32 v43, 0x7c010000
	s_and_saveexec_b64 s[44:45], s[0:1]
	s_cbranch_execz .LBB241_136
; %bb.135:                              ;   in Loop: Header=BB241_13 Depth=1
	v_and_b32_e32 v43, 7, v2
	v_ffbh_u32_e32 v46, v43
	v_min_u32_e32 v49, 32, v46
	v_subrev_u32_e32 v46, 28, v49
	v_lshlrev_b64 v[46:47], v46, v[2:3]
	v_lshrrev_b32_e32 v48, 3, v45
	v_sub_u32_e32 v47, 29, v49
	v_cmp_gt_u32_e64 s[0:1], 8, v45
	v_lshlrev_b32_e32 v2, 8, v2
	v_and_b32_e32 v46, 7, v46
	v_cndmask_b32_e64 v45, v48, v47, s[0:1]
	v_lshl_add_u32 v45, v45, 10, v19
	v_and_or_b32 v2, v2, s54, v45
	v_cndmask_b32_e64 v43, v43, v46, s[0:1]
	v_lshlrev_b32_e32 v2, 16, v2
	v_lshl_or_b32 v43, v43, 23, v2
.LBB241_136:                            ;   in Loop: Header=BB241_13 Depth=1
	s_or_b64 exec, exec, s[44:45]
.LBB241_137:                            ;   in Loop: Header=BB241_13 Depth=1
	s_or_b64 exec, exec, s[42:43]
.LBB241_138:                            ;   in Loop: Header=BB241_13 Depth=1
	s_or_b64 exec, exec, s[40:41]
	global_load_ushort v46, v[8:9], off offset:1280
	v_mov_b32_e32 v45, 0
	s_waitcnt vmcnt(0)
	v_and_b32_e32 v2, 0xffff, v46
	v_cmp_ne_u16_sdwa s[0:1], v46, v3 src0_sel:BYTE_0 src1_sel:DWORD
	v_mov_b32_e32 v46, 0
	s_and_saveexec_b64 s[40:41], s[0:1]
	s_cbranch_execz .LBB241_144
; %bb.139:                              ;   in Loop: Header=BB241_13 Depth=1
	v_cmp_ne_u16_sdwa s[0:1], v2, s52 src0_sel:BYTE_0 src1_sel:DWORD
	v_mov_b32_e32 v46, 0x8000
	s_and_saveexec_b64 s[42:43], s[0:1]
	s_cbranch_execz .LBB241_143
; %bb.140:                              ;   in Loop: Header=BB241_13 Depth=1
	v_and_b32_e32 v47, 0x7f, v2
	v_cmp_ne_u32_e64 s[0:1], s53, v47
	v_mov_b32_e32 v46, 0x7c01
	s_and_saveexec_b64 s[44:45], s[0:1]
	s_cbranch_execz .LBB241_142
; %bb.141:                              ;   in Loop: Header=BB241_13 Depth=1
	v_and_b32_e32 v46, 7, v2
	v_ffbh_u32_e32 v48, v46
	v_min_u32_e32 v51, 32, v48
	v_subrev_u32_e32 v48, 28, v51
	v_lshlrev_b64 v[48:49], v48, v[2:3]
	v_lshrrev_b32_e32 v50, 3, v47
	v_sub_u32_e32 v49, 29, v51
	v_cmp_gt_u32_e64 s[0:1], 8, v47
	v_and_b32_e32 v48, 7, v48
	s_nop 0
	v_cndmask_b32_e64 v47, v50, v49, s[0:1]
	v_lshl_add_u32 v47, v47, 10, v19
	v_lshlrev_b32_e32 v49, 8, v2
	v_and_b32_e32 v47, 0xfc00, v47
	v_cndmask_b32_e64 v46, v46, v48, s[0:1]
	v_and_or_b32 v47, v49, s54, v47
	v_lshl_or_b32 v46, v46, 7, v47
.LBB241_142:                            ;   in Loop: Header=BB241_13 Depth=1
	s_or_b64 exec, exec, s[44:45]
.LBB241_143:                            ;   in Loop: Header=BB241_13 Depth=1
	s_or_b64 exec, exec, s[42:43]
.LBB241_144:                            ;   in Loop: Header=BB241_13 Depth=1
	s_or_b64 exec, exec, s[40:41]
	v_lshrrev_b16_e32 v2, 8, v2
	v_cmp_ne_u16_e64 s[0:1], 0, v2
	s_and_saveexec_b64 s[40:41], s[0:1]
	s_cbranch_execz .LBB241_150
; %bb.145:                              ;   in Loop: Header=BB241_13 Depth=1
	v_cmp_ne_u16_e64 s[0:1], s52, v2
	v_bfrev_b32_e32 v45, 1
	s_and_saveexec_b64 s[42:43], s[0:1]
	s_cbranch_execz .LBB241_149
; %bb.146:                              ;   in Loop: Header=BB241_13 Depth=1
	v_and_b32_e32 v47, 0x7f, v2
	v_cmp_ne_u32_e64 s[0:1], s53, v47
	v_mov_b32_e32 v45, 0x7c010000
	s_and_saveexec_b64 s[44:45], s[0:1]
	s_cbranch_execz .LBB241_148
; %bb.147:                              ;   in Loop: Header=BB241_13 Depth=1
	v_and_b32_e32 v45, 7, v2
	v_ffbh_u32_e32 v48, v45
	v_min_u32_e32 v51, 32, v48
	v_subrev_u32_e32 v48, 28, v51
	v_lshlrev_b64 v[48:49], v48, v[2:3]
	v_lshrrev_b32_e32 v50, 3, v47
	v_sub_u32_e32 v49, 29, v51
	v_cmp_gt_u32_e64 s[0:1], 8, v47
	v_lshlrev_b32_e32 v2, 8, v2
	v_and_b32_e32 v48, 7, v48
	v_cndmask_b32_e64 v47, v50, v49, s[0:1]
	v_lshl_add_u32 v47, v47, 10, v19
	v_and_or_b32 v2, v2, s54, v47
	v_cndmask_b32_e64 v45, v45, v48, s[0:1]
	v_lshlrev_b32_e32 v2, 16, v2
	v_lshl_or_b32 v45, v45, 23, v2
.LBB241_148:                            ;   in Loop: Header=BB241_13 Depth=1
	s_or_b64 exec, exec, s[44:45]
.LBB241_149:                            ;   in Loop: Header=BB241_13 Depth=1
	s_or_b64 exec, exec, s[42:43]
.LBB241_150:                            ;   in Loop: Header=BB241_13 Depth=1
	s_or_b64 exec, exec, s[40:41]
	global_load_ushort v48, v[8:9], off offset:1288
	v_mov_b32_e32 v47, 0
	s_waitcnt vmcnt(0)
	v_and_b32_e32 v2, 0xffff, v48
	v_cmp_ne_u16_sdwa s[0:1], v48, v3 src0_sel:BYTE_0 src1_sel:DWORD
	v_mov_b32_e32 v48, 0
	s_and_saveexec_b64 s[40:41], s[0:1]
	s_cbranch_execz .LBB241_156
; %bb.151:                              ;   in Loop: Header=BB241_13 Depth=1
	v_cmp_ne_u16_sdwa s[0:1], v2, s52 src0_sel:BYTE_0 src1_sel:DWORD
	v_mov_b32_e32 v48, 0x8000
	s_and_saveexec_b64 s[42:43], s[0:1]
	s_cbranch_execz .LBB241_155
; %bb.152:                              ;   in Loop: Header=BB241_13 Depth=1
	v_and_b32_e32 v49, 0x7f, v2
	v_cmp_ne_u32_e64 s[0:1], s53, v49
	v_mov_b32_e32 v48, 0x7c01
	s_and_saveexec_b64 s[44:45], s[0:1]
	s_cbranch_execz .LBB241_154
; %bb.153:                              ;   in Loop: Header=BB241_13 Depth=1
	v_and_b32_e32 v48, 7, v2
	v_ffbh_u32_e32 v50, v48
	v_min_u32_e32 v53, 32, v50
	v_subrev_u32_e32 v50, 28, v53
	v_lshlrev_b64 v[50:51], v50, v[2:3]
	v_lshrrev_b32_e32 v52, 3, v49
	v_sub_u32_e32 v51, 29, v53
	v_cmp_gt_u32_e64 s[0:1], 8, v49
	v_and_b32_e32 v50, 7, v50
	s_nop 0
	v_cndmask_b32_e64 v49, v52, v51, s[0:1]
	v_lshl_add_u32 v49, v49, 10, v19
	v_lshlrev_b32_e32 v51, 8, v2
	v_and_b32_e32 v49, 0xfc00, v49
	v_cndmask_b32_e64 v48, v48, v50, s[0:1]
	v_and_or_b32 v49, v51, s54, v49
	v_lshl_or_b32 v48, v48, 7, v49
.LBB241_154:                            ;   in Loop: Header=BB241_13 Depth=1
	s_or_b64 exec, exec, s[44:45]
.LBB241_155:                            ;   in Loop: Header=BB241_13 Depth=1
	s_or_b64 exec, exec, s[42:43]
.LBB241_156:                            ;   in Loop: Header=BB241_13 Depth=1
	s_or_b64 exec, exec, s[40:41]
	v_lshrrev_b16_e32 v2, 8, v2
	v_cmp_ne_u16_e64 s[0:1], 0, v2
	s_and_saveexec_b64 s[40:41], s[0:1]
	s_cbranch_execz .LBB241_162
; %bb.157:                              ;   in Loop: Header=BB241_13 Depth=1
	v_cmp_ne_u16_e64 s[0:1], s52, v2
	v_bfrev_b32_e32 v47, 1
	s_and_saveexec_b64 s[42:43], s[0:1]
	s_cbranch_execz .LBB241_161
; %bb.158:                              ;   in Loop: Header=BB241_13 Depth=1
	v_and_b32_e32 v49, 0x7f, v2
	v_cmp_ne_u32_e64 s[0:1], s53, v49
	v_mov_b32_e32 v47, 0x7c010000
	s_and_saveexec_b64 s[44:45], s[0:1]
	s_cbranch_execz .LBB241_160
; %bb.159:                              ;   in Loop: Header=BB241_13 Depth=1
	v_and_b32_e32 v47, 7, v2
	v_ffbh_u32_e32 v50, v47
	v_min_u32_e32 v53, 32, v50
	v_subrev_u32_e32 v50, 28, v53
	v_lshlrev_b64 v[50:51], v50, v[2:3]
	v_lshrrev_b32_e32 v52, 3, v49
	v_sub_u32_e32 v51, 29, v53
	v_cmp_gt_u32_e64 s[0:1], 8, v49
	v_lshlrev_b32_e32 v2, 8, v2
	v_and_b32_e32 v50, 7, v50
	v_cndmask_b32_e64 v49, v52, v51, s[0:1]
	v_lshl_add_u32 v49, v49, 10, v19
	v_and_or_b32 v2, v2, s54, v49
	v_cndmask_b32_e64 v47, v47, v50, s[0:1]
	v_lshlrev_b32_e32 v2, 16, v2
	v_lshl_or_b32 v47, v47, 23, v2
.LBB241_160:                            ;   in Loop: Header=BB241_13 Depth=1
	s_or_b64 exec, exec, s[44:45]
.LBB241_161:                            ;   in Loop: Header=BB241_13 Depth=1
	s_or_b64 exec, exec, s[42:43]
.LBB241_162:                            ;   in Loop: Header=BB241_13 Depth=1
	s_or_b64 exec, exec, s[40:41]
	global_load_ushort v50, v[8:9], off offset:1536
	v_mov_b32_e32 v49, 0
	s_waitcnt vmcnt(0)
	v_and_b32_e32 v2, 0xffff, v50
	v_cmp_ne_u16_sdwa s[0:1], v50, v3 src0_sel:BYTE_0 src1_sel:DWORD
	v_mov_b32_e32 v50, 0
	s_and_saveexec_b64 s[40:41], s[0:1]
	s_cbranch_execz .LBB241_168
; %bb.163:                              ;   in Loop: Header=BB241_13 Depth=1
	v_cmp_ne_u16_sdwa s[0:1], v2, s52 src0_sel:BYTE_0 src1_sel:DWORD
	v_mov_b32_e32 v50, 0x8000
	s_and_saveexec_b64 s[42:43], s[0:1]
	s_cbranch_execz .LBB241_167
; %bb.164:                              ;   in Loop: Header=BB241_13 Depth=1
	v_and_b32_e32 v51, 0x7f, v2
	v_cmp_ne_u32_e64 s[0:1], s53, v51
	v_mov_b32_e32 v50, 0x7c01
	s_and_saveexec_b64 s[44:45], s[0:1]
	s_cbranch_execz .LBB241_166
; %bb.165:                              ;   in Loop: Header=BB241_13 Depth=1
	v_and_b32_e32 v50, 7, v2
	v_ffbh_u32_e32 v52, v50
	v_min_u32_e32 v55, 32, v52
	v_subrev_u32_e32 v52, 28, v55
	v_lshlrev_b64 v[52:53], v52, v[2:3]
	v_lshrrev_b32_e32 v54, 3, v51
	v_sub_u32_e32 v53, 29, v55
	v_cmp_gt_u32_e64 s[0:1], 8, v51
	v_and_b32_e32 v52, 7, v52
	s_nop 0
	v_cndmask_b32_e64 v51, v54, v53, s[0:1]
	v_lshl_add_u32 v51, v51, 10, v19
	v_lshlrev_b32_e32 v53, 8, v2
	v_and_b32_e32 v51, 0xfc00, v51
	v_cndmask_b32_e64 v50, v50, v52, s[0:1]
	v_and_or_b32 v51, v53, s54, v51
	v_lshl_or_b32 v50, v50, 7, v51
.LBB241_166:                            ;   in Loop: Header=BB241_13 Depth=1
	s_or_b64 exec, exec, s[44:45]
.LBB241_167:                            ;   in Loop: Header=BB241_13 Depth=1
	s_or_b64 exec, exec, s[42:43]
.LBB241_168:                            ;   in Loop: Header=BB241_13 Depth=1
	s_or_b64 exec, exec, s[40:41]
	v_lshrrev_b16_e32 v2, 8, v2
	v_cmp_ne_u16_e64 s[0:1], 0, v2
	s_and_saveexec_b64 s[40:41], s[0:1]
	s_cbranch_execz .LBB241_174
; %bb.169:                              ;   in Loop: Header=BB241_13 Depth=1
	v_cmp_ne_u16_e64 s[0:1], s52, v2
	v_bfrev_b32_e32 v49, 1
	s_and_saveexec_b64 s[42:43], s[0:1]
	s_cbranch_execz .LBB241_173
; %bb.170:                              ;   in Loop: Header=BB241_13 Depth=1
	v_and_b32_e32 v51, 0x7f, v2
	v_cmp_ne_u32_e64 s[0:1], s53, v51
	v_mov_b32_e32 v49, 0x7c010000
	s_and_saveexec_b64 s[44:45], s[0:1]
	s_cbranch_execz .LBB241_172
; %bb.171:                              ;   in Loop: Header=BB241_13 Depth=1
	v_and_b32_e32 v49, 7, v2
	v_ffbh_u32_e32 v52, v49
	v_min_u32_e32 v55, 32, v52
	v_subrev_u32_e32 v52, 28, v55
	v_lshlrev_b64 v[52:53], v52, v[2:3]
	v_lshrrev_b32_e32 v54, 3, v51
	v_sub_u32_e32 v53, 29, v55
	v_cmp_gt_u32_e64 s[0:1], 8, v51
	v_lshlrev_b32_e32 v2, 8, v2
	v_and_b32_e32 v52, 7, v52
	v_cndmask_b32_e64 v51, v54, v53, s[0:1]
	v_lshl_add_u32 v51, v51, 10, v19
	v_and_or_b32 v2, v2, s54, v51
	v_cndmask_b32_e64 v49, v49, v52, s[0:1]
	v_lshlrev_b32_e32 v2, 16, v2
	v_lshl_or_b32 v49, v49, 23, v2
.LBB241_172:                            ;   in Loop: Header=BB241_13 Depth=1
	s_or_b64 exec, exec, s[44:45]
.LBB241_173:                            ;   in Loop: Header=BB241_13 Depth=1
	s_or_b64 exec, exec, s[42:43]
.LBB241_174:                            ;   in Loop: Header=BB241_13 Depth=1
	s_or_b64 exec, exec, s[40:41]
	global_load_ushort v52, v[8:9], off offset:1544
	v_mov_b32_e32 v51, 0
	s_waitcnt vmcnt(0)
	v_and_b32_e32 v2, 0xffff, v52
	v_cmp_ne_u16_sdwa s[0:1], v52, v3 src0_sel:BYTE_0 src1_sel:DWORD
	v_mov_b32_e32 v52, 0
	s_and_saveexec_b64 s[40:41], s[0:1]
	s_cbranch_execz .LBB241_180
; %bb.175:                              ;   in Loop: Header=BB241_13 Depth=1
	v_cmp_ne_u16_sdwa s[0:1], v2, s52 src0_sel:BYTE_0 src1_sel:DWORD
	v_mov_b32_e32 v52, 0x8000
	s_and_saveexec_b64 s[42:43], s[0:1]
	s_cbranch_execz .LBB241_179
; %bb.176:                              ;   in Loop: Header=BB241_13 Depth=1
	v_and_b32_e32 v53, 0x7f, v2
	v_cmp_ne_u32_e64 s[0:1], s53, v53
	v_mov_b32_e32 v52, 0x7c01
	s_and_saveexec_b64 s[44:45], s[0:1]
	s_cbranch_execz .LBB241_178
; %bb.177:                              ;   in Loop: Header=BB241_13 Depth=1
	v_and_b32_e32 v52, 7, v2
	v_ffbh_u32_e32 v54, v52
	v_min_u32_e32 v57, 32, v54
	v_subrev_u32_e32 v54, 28, v57
	v_lshlrev_b64 v[54:55], v54, v[2:3]
	v_lshrrev_b32_e32 v56, 3, v53
	v_sub_u32_e32 v55, 29, v57
	v_cmp_gt_u32_e64 s[0:1], 8, v53
	v_and_b32_e32 v54, 7, v54
	s_nop 0
	v_cndmask_b32_e64 v53, v56, v55, s[0:1]
	v_lshl_add_u32 v53, v53, 10, v19
	v_lshlrev_b32_e32 v55, 8, v2
	v_and_b32_e32 v53, 0xfc00, v53
	v_cndmask_b32_e64 v52, v52, v54, s[0:1]
	v_and_or_b32 v53, v55, s54, v53
	v_lshl_or_b32 v52, v52, 7, v53
.LBB241_178:                            ;   in Loop: Header=BB241_13 Depth=1
	s_or_b64 exec, exec, s[44:45]
.LBB241_179:                            ;   in Loop: Header=BB241_13 Depth=1
	s_or_b64 exec, exec, s[42:43]
.LBB241_180:                            ;   in Loop: Header=BB241_13 Depth=1
	s_or_b64 exec, exec, s[40:41]
	v_lshrrev_b16_e32 v2, 8, v2
	v_cmp_ne_u16_e64 s[0:1], 0, v2
	s_and_saveexec_b64 s[40:41], s[0:1]
	s_cbranch_execz .LBB241_186
; %bb.181:                              ;   in Loop: Header=BB241_13 Depth=1
	v_cmp_ne_u16_e64 s[0:1], s52, v2
	v_bfrev_b32_e32 v51, 1
	s_and_saveexec_b64 s[42:43], s[0:1]
	s_cbranch_execz .LBB241_185
; %bb.182:                              ;   in Loop: Header=BB241_13 Depth=1
	v_and_b32_e32 v53, 0x7f, v2
	v_cmp_ne_u32_e64 s[0:1], s53, v53
	v_mov_b32_e32 v51, 0x7c010000
	s_and_saveexec_b64 s[44:45], s[0:1]
	s_cbranch_execz .LBB241_184
; %bb.183:                              ;   in Loop: Header=BB241_13 Depth=1
	v_and_b32_e32 v51, 7, v2
	v_ffbh_u32_e32 v54, v51
	v_min_u32_e32 v57, 32, v54
	v_subrev_u32_e32 v54, 28, v57
	v_lshlrev_b64 v[54:55], v54, v[2:3]
	v_lshrrev_b32_e32 v56, 3, v53
	v_sub_u32_e32 v55, 29, v57
	v_cmp_gt_u32_e64 s[0:1], 8, v53
	v_lshlrev_b32_e32 v2, 8, v2
	v_and_b32_e32 v54, 7, v54
	v_cndmask_b32_e64 v53, v56, v55, s[0:1]
	v_lshl_add_u32 v53, v53, 10, v19
	v_and_or_b32 v2, v2, s54, v53
	v_cndmask_b32_e64 v51, v51, v54, s[0:1]
	v_lshlrev_b32_e32 v2, 16, v2
	v_lshl_or_b32 v51, v51, 23, v2
.LBB241_184:                            ;   in Loop: Header=BB241_13 Depth=1
	s_or_b64 exec, exec, s[44:45]
.LBB241_185:                            ;   in Loop: Header=BB241_13 Depth=1
	s_or_b64 exec, exec, s[42:43]
.LBB241_186:                            ;   in Loop: Header=BB241_13 Depth=1
	s_or_b64 exec, exec, s[40:41]
	global_load_ushort v54, v[8:9], off offset:1792
	v_mov_b32_e32 v53, 0
	s_waitcnt vmcnt(0)
	v_and_b32_e32 v2, 0xffff, v54
	v_cmp_ne_u16_sdwa s[0:1], v54, v3 src0_sel:BYTE_0 src1_sel:DWORD
	v_mov_b32_e32 v54, 0
	s_and_saveexec_b64 s[40:41], s[0:1]
	s_cbranch_execz .LBB241_192
; %bb.187:                              ;   in Loop: Header=BB241_13 Depth=1
	v_cmp_ne_u16_sdwa s[0:1], v2, s52 src0_sel:BYTE_0 src1_sel:DWORD
	v_mov_b32_e32 v54, 0x8000
	s_and_saveexec_b64 s[42:43], s[0:1]
	s_cbranch_execz .LBB241_191
; %bb.188:                              ;   in Loop: Header=BB241_13 Depth=1
	v_and_b32_e32 v55, 0x7f, v2
	v_cmp_ne_u32_e64 s[0:1], s53, v55
	v_mov_b32_e32 v54, 0x7c01
	s_and_saveexec_b64 s[44:45], s[0:1]
	s_cbranch_execz .LBB241_190
; %bb.189:                              ;   in Loop: Header=BB241_13 Depth=1
	v_and_b32_e32 v54, 7, v2
	v_ffbh_u32_e32 v56, v54
	v_min_u32_e32 v59, 32, v56
	v_subrev_u32_e32 v56, 28, v59
	v_lshlrev_b64 v[56:57], v56, v[2:3]
	v_lshrrev_b32_e32 v58, 3, v55
	v_sub_u32_e32 v57, 29, v59
	v_cmp_gt_u32_e64 s[0:1], 8, v55
	v_and_b32_e32 v56, 7, v56
	s_nop 0
	v_cndmask_b32_e64 v55, v58, v57, s[0:1]
	v_lshl_add_u32 v55, v55, 10, v19
	v_lshlrev_b32_e32 v57, 8, v2
	v_and_b32_e32 v55, 0xfc00, v55
	v_cndmask_b32_e64 v54, v54, v56, s[0:1]
	v_and_or_b32 v55, v57, s54, v55
	v_lshl_or_b32 v54, v54, 7, v55
.LBB241_190:                            ;   in Loop: Header=BB241_13 Depth=1
	s_or_b64 exec, exec, s[44:45]
.LBB241_191:                            ;   in Loop: Header=BB241_13 Depth=1
	s_or_b64 exec, exec, s[42:43]
.LBB241_192:                            ;   in Loop: Header=BB241_13 Depth=1
	s_or_b64 exec, exec, s[40:41]
	v_lshrrev_b16_e32 v2, 8, v2
	v_cmp_ne_u16_e64 s[0:1], 0, v2
	s_and_saveexec_b64 s[40:41], s[0:1]
	s_cbranch_execz .LBB241_198
; %bb.193:                              ;   in Loop: Header=BB241_13 Depth=1
	v_cmp_ne_u16_e64 s[0:1], s52, v2
	v_bfrev_b32_e32 v53, 1
	s_and_saveexec_b64 s[42:43], s[0:1]
	s_cbranch_execz .LBB241_197
; %bb.194:                              ;   in Loop: Header=BB241_13 Depth=1
	v_and_b32_e32 v55, 0x7f, v2
	v_cmp_ne_u32_e64 s[0:1], s53, v55
	v_mov_b32_e32 v53, 0x7c010000
	s_and_saveexec_b64 s[44:45], s[0:1]
	s_cbranch_execz .LBB241_196
; %bb.195:                              ;   in Loop: Header=BB241_13 Depth=1
	v_and_b32_e32 v53, 7, v2
	v_ffbh_u32_e32 v56, v53
	v_min_u32_e32 v59, 32, v56
	v_subrev_u32_e32 v56, 28, v59
	v_lshlrev_b64 v[56:57], v56, v[2:3]
	v_lshrrev_b32_e32 v58, 3, v55
	v_sub_u32_e32 v57, 29, v59
	v_cmp_gt_u32_e64 s[0:1], 8, v55
	v_lshlrev_b32_e32 v2, 8, v2
	v_and_b32_e32 v56, 7, v56
	v_cndmask_b32_e64 v55, v58, v57, s[0:1]
	v_lshl_add_u32 v55, v55, 10, v19
	v_and_or_b32 v2, v2, s54, v55
	v_cndmask_b32_e64 v53, v53, v56, s[0:1]
	v_lshlrev_b32_e32 v2, 16, v2
	v_lshl_or_b32 v53, v53, 23, v2
.LBB241_196:                            ;   in Loop: Header=BB241_13 Depth=1
	s_or_b64 exec, exec, s[44:45]
.LBB241_197:                            ;   in Loop: Header=BB241_13 Depth=1
	s_or_b64 exec, exec, s[42:43]
.LBB241_198:                            ;   in Loop: Header=BB241_13 Depth=1
	s_or_b64 exec, exec, s[40:41]
	global_load_ushort v56, v[8:9], off offset:1800
	v_mov_b32_e32 v55, 0
	s_waitcnt vmcnt(0)
	v_and_b32_e32 v2, 0xffff, v56
	v_cmp_ne_u16_sdwa s[0:1], v56, v3 src0_sel:BYTE_0 src1_sel:DWORD
	v_mov_b32_e32 v56, 0
	s_and_saveexec_b64 s[40:41], s[0:1]
	s_cbranch_execz .LBB241_204
; %bb.199:                              ;   in Loop: Header=BB241_13 Depth=1
	v_cmp_ne_u16_sdwa s[0:1], v2, s52 src0_sel:BYTE_0 src1_sel:DWORD
	v_mov_b32_e32 v56, 0x8000
	s_and_saveexec_b64 s[42:43], s[0:1]
	s_cbranch_execz .LBB241_203
; %bb.200:                              ;   in Loop: Header=BB241_13 Depth=1
	v_and_b32_e32 v57, 0x7f, v2
	v_cmp_ne_u32_e64 s[0:1], s53, v57
	v_mov_b32_e32 v56, 0x7c01
	s_and_saveexec_b64 s[44:45], s[0:1]
	s_cbranch_execz .LBB241_202
; %bb.201:                              ;   in Loop: Header=BB241_13 Depth=1
	v_and_b32_e32 v56, 7, v2
	v_ffbh_u32_e32 v58, v56
	v_min_u32_e32 v61, 32, v58
	v_subrev_u32_e32 v58, 28, v61
	v_lshlrev_b64 v[58:59], v58, v[2:3]
	v_lshrrev_b32_e32 v60, 3, v57
	v_sub_u32_e32 v59, 29, v61
	v_cmp_gt_u32_e64 s[0:1], 8, v57
	v_and_b32_e32 v58, 7, v58
	s_nop 0
	v_cndmask_b32_e64 v57, v60, v59, s[0:1]
	v_lshl_add_u32 v57, v57, 10, v19
	v_lshlrev_b32_e32 v59, 8, v2
	v_and_b32_e32 v57, 0xfc00, v57
	v_cndmask_b32_e64 v56, v56, v58, s[0:1]
	v_and_or_b32 v57, v59, s54, v57
	v_lshl_or_b32 v56, v56, 7, v57
.LBB241_202:                            ;   in Loop: Header=BB241_13 Depth=1
	s_or_b64 exec, exec, s[44:45]
.LBB241_203:                            ;   in Loop: Header=BB241_13 Depth=1
	s_or_b64 exec, exec, s[42:43]
.LBB241_204:                            ;   in Loop: Header=BB241_13 Depth=1
	s_or_b64 exec, exec, s[40:41]
	v_lshrrev_b16_e32 v2, 8, v2
	v_cmp_ne_u16_e64 s[0:1], 0, v2
	s_and_saveexec_b64 s[40:41], s[0:1]
	s_cbranch_execz .LBB241_210
; %bb.205:                              ;   in Loop: Header=BB241_13 Depth=1
	v_cmp_ne_u16_e64 s[0:1], s52, v2
	v_bfrev_b32_e32 v55, 1
	s_and_saveexec_b64 s[42:43], s[0:1]
	s_cbranch_execz .LBB241_209
; %bb.206:                              ;   in Loop: Header=BB241_13 Depth=1
	v_and_b32_e32 v57, 0x7f, v2
	v_cmp_ne_u32_e64 s[0:1], s53, v57
	v_mov_b32_e32 v55, 0x7c010000
	s_and_saveexec_b64 s[44:45], s[0:1]
	s_cbranch_execz .LBB241_208
; %bb.207:                              ;   in Loop: Header=BB241_13 Depth=1
	v_and_b32_e32 v55, 7, v2
	v_ffbh_u32_e32 v58, v55
	v_min_u32_e32 v61, 32, v58
	v_subrev_u32_e32 v58, 28, v61
	v_lshlrev_b64 v[58:59], v58, v[2:3]
	v_lshrrev_b32_e32 v60, 3, v57
	v_sub_u32_e32 v59, 29, v61
	v_cmp_gt_u32_e64 s[0:1], 8, v57
	v_lshlrev_b32_e32 v2, 8, v2
	v_and_b32_e32 v58, 7, v58
	v_cndmask_b32_e64 v57, v60, v59, s[0:1]
	v_lshl_add_u32 v57, v57, 10, v19
	v_and_or_b32 v2, v2, s54, v57
	v_cndmask_b32_e64 v55, v55, v58, s[0:1]
	v_lshlrev_b32_e32 v2, 16, v2
	v_lshl_or_b32 v55, v55, 23, v2
.LBB241_208:                            ;   in Loop: Header=BB241_13 Depth=1
	s_or_b64 exec, exec, s[44:45]
.LBB241_209:                            ;   in Loop: Header=BB241_13 Depth=1
	s_or_b64 exec, exec, s[42:43]
.LBB241_210:                            ;   in Loop: Header=BB241_13 Depth=1
	s_or_b64 exec, exec, s[40:41]
	global_load_ushort v58, v[8:9], off offset:2048
	v_mov_b32_e32 v57, 0
	s_waitcnt vmcnt(0)
	v_and_b32_e32 v2, 0xffff, v58
	v_cmp_ne_u16_sdwa s[0:1], v58, v3 src0_sel:BYTE_0 src1_sel:DWORD
	v_mov_b32_e32 v58, 0
	s_and_saveexec_b64 s[40:41], s[0:1]
	s_cbranch_execz .LBB241_216
; %bb.211:                              ;   in Loop: Header=BB241_13 Depth=1
	v_cmp_ne_u16_sdwa s[0:1], v2, s52 src0_sel:BYTE_0 src1_sel:DWORD
	v_mov_b32_e32 v58, 0x8000
	s_and_saveexec_b64 s[42:43], s[0:1]
	s_cbranch_execz .LBB241_215
; %bb.212:                              ;   in Loop: Header=BB241_13 Depth=1
	v_and_b32_e32 v59, 0x7f, v2
	v_cmp_ne_u32_e64 s[0:1], s53, v59
	v_mov_b32_e32 v58, 0x7c01
	s_and_saveexec_b64 s[44:45], s[0:1]
	s_cbranch_execz .LBB241_214
; %bb.213:                              ;   in Loop: Header=BB241_13 Depth=1
	v_and_b32_e32 v58, 7, v2
	v_ffbh_u32_e32 v60, v58
	v_min_u32_e32 v63, 32, v60
	v_subrev_u32_e32 v60, 28, v63
	v_lshlrev_b64 v[60:61], v60, v[2:3]
	v_lshrrev_b32_e32 v62, 3, v59
	v_sub_u32_e32 v61, 29, v63
	v_cmp_gt_u32_e64 s[0:1], 8, v59
	v_and_b32_e32 v60, 7, v60
	s_nop 0
	v_cndmask_b32_e64 v59, v62, v61, s[0:1]
	v_lshl_add_u32 v59, v59, 10, v19
	v_lshlrev_b32_e32 v61, 8, v2
	v_and_b32_e32 v59, 0xfc00, v59
	v_cndmask_b32_e64 v58, v58, v60, s[0:1]
	v_and_or_b32 v59, v61, s54, v59
	v_lshl_or_b32 v58, v58, 7, v59
.LBB241_214:                            ;   in Loop: Header=BB241_13 Depth=1
	s_or_b64 exec, exec, s[44:45]
.LBB241_215:                            ;   in Loop: Header=BB241_13 Depth=1
	s_or_b64 exec, exec, s[42:43]
.LBB241_216:                            ;   in Loop: Header=BB241_13 Depth=1
	s_or_b64 exec, exec, s[40:41]
	v_lshrrev_b16_e32 v2, 8, v2
	v_cmp_ne_u16_e64 s[0:1], 0, v2
	s_and_saveexec_b64 s[40:41], s[0:1]
	s_cbranch_execz .LBB241_222
; %bb.217:                              ;   in Loop: Header=BB241_13 Depth=1
	v_cmp_ne_u16_e64 s[0:1], s52, v2
	v_bfrev_b32_e32 v57, 1
	s_and_saveexec_b64 s[42:43], s[0:1]
	s_cbranch_execz .LBB241_221
; %bb.218:                              ;   in Loop: Header=BB241_13 Depth=1
	v_and_b32_e32 v59, 0x7f, v2
	v_cmp_ne_u32_e64 s[0:1], s53, v59
	v_mov_b32_e32 v57, 0x7c010000
	s_and_saveexec_b64 s[44:45], s[0:1]
	s_cbranch_execz .LBB241_220
; %bb.219:                              ;   in Loop: Header=BB241_13 Depth=1
	v_and_b32_e32 v57, 7, v2
	v_ffbh_u32_e32 v60, v57
	v_min_u32_e32 v63, 32, v60
	v_subrev_u32_e32 v60, 28, v63
	v_lshlrev_b64 v[60:61], v60, v[2:3]
	v_lshrrev_b32_e32 v62, 3, v59
	v_sub_u32_e32 v61, 29, v63
	v_cmp_gt_u32_e64 s[0:1], 8, v59
	v_lshlrev_b32_e32 v2, 8, v2
	v_and_b32_e32 v60, 7, v60
	v_cndmask_b32_e64 v59, v62, v61, s[0:1]
	v_lshl_add_u32 v59, v59, 10, v19
	v_and_or_b32 v2, v2, s54, v59
	v_cndmask_b32_e64 v57, v57, v60, s[0:1]
	v_lshlrev_b32_e32 v2, 16, v2
	v_lshl_or_b32 v57, v57, 23, v2
.LBB241_220:                            ;   in Loop: Header=BB241_13 Depth=1
	s_or_b64 exec, exec, s[44:45]
.LBB241_221:                            ;   in Loop: Header=BB241_13 Depth=1
	s_or_b64 exec, exec, s[42:43]
.LBB241_222:                            ;   in Loop: Header=BB241_13 Depth=1
	s_or_b64 exec, exec, s[40:41]
	global_load_ushort v60, v[8:9], off offset:2056
	v_mov_b32_e32 v59, 0
	s_waitcnt vmcnt(0)
	v_and_b32_e32 v2, 0xffff, v60
	v_cmp_ne_u16_sdwa s[0:1], v60, v3 src0_sel:BYTE_0 src1_sel:DWORD
	v_mov_b32_e32 v60, 0
	s_and_saveexec_b64 s[40:41], s[0:1]
	s_cbranch_execz .LBB241_228
; %bb.223:                              ;   in Loop: Header=BB241_13 Depth=1
	v_cmp_ne_u16_sdwa s[0:1], v2, s52 src0_sel:BYTE_0 src1_sel:DWORD
	v_mov_b32_e32 v60, 0x8000
	s_and_saveexec_b64 s[42:43], s[0:1]
	s_cbranch_execz .LBB241_227
; %bb.224:                              ;   in Loop: Header=BB241_13 Depth=1
	v_and_b32_e32 v61, 0x7f, v2
	v_cmp_ne_u32_e64 s[0:1], s53, v61
	v_mov_b32_e32 v60, 0x7c01
	s_and_saveexec_b64 s[44:45], s[0:1]
	s_cbranch_execz .LBB241_226
; %bb.225:                              ;   in Loop: Header=BB241_13 Depth=1
	v_and_b32_e32 v60, 7, v2
	v_ffbh_u32_e32 v62, v60
	v_min_u32_e32 v65, 32, v62
	v_subrev_u32_e32 v62, 28, v65
	v_lshlrev_b64 v[62:63], v62, v[2:3]
	v_lshrrev_b32_e32 v64, 3, v61
	v_sub_u32_e32 v63, 29, v65
	v_cmp_gt_u32_e64 s[0:1], 8, v61
	v_and_b32_e32 v62, 7, v62
	s_nop 0
	v_cndmask_b32_e64 v61, v64, v63, s[0:1]
	v_lshl_add_u32 v61, v61, 10, v19
	v_lshlrev_b32_e32 v63, 8, v2
	v_and_b32_e32 v61, 0xfc00, v61
	v_cndmask_b32_e64 v60, v60, v62, s[0:1]
	v_and_or_b32 v61, v63, s54, v61
	v_lshl_or_b32 v60, v60, 7, v61
.LBB241_226:                            ;   in Loop: Header=BB241_13 Depth=1
	s_or_b64 exec, exec, s[44:45]
.LBB241_227:                            ;   in Loop: Header=BB241_13 Depth=1
	s_or_b64 exec, exec, s[42:43]
.LBB241_228:                            ;   in Loop: Header=BB241_13 Depth=1
	s_or_b64 exec, exec, s[40:41]
	v_lshrrev_b16_e32 v2, 8, v2
	v_cmp_ne_u16_e64 s[0:1], 0, v2
	s_and_saveexec_b64 s[40:41], s[0:1]
	s_cbranch_execz .LBB241_234
; %bb.229:                              ;   in Loop: Header=BB241_13 Depth=1
	v_cmp_ne_u16_e64 s[0:1], s52, v2
	v_bfrev_b32_e32 v59, 1
	s_and_saveexec_b64 s[42:43], s[0:1]
	s_cbranch_execz .LBB241_233
; %bb.230:                              ;   in Loop: Header=BB241_13 Depth=1
	v_and_b32_e32 v61, 0x7f, v2
	v_cmp_ne_u32_e64 s[0:1], s53, v61
	v_mov_b32_e32 v59, 0x7c010000
	s_and_saveexec_b64 s[44:45], s[0:1]
	s_cbranch_execz .LBB241_232
; %bb.231:                              ;   in Loop: Header=BB241_13 Depth=1
	v_and_b32_e32 v59, 7, v2
	v_ffbh_u32_e32 v62, v59
	v_min_u32_e32 v65, 32, v62
	v_subrev_u32_e32 v62, 28, v65
	v_lshlrev_b64 v[62:63], v62, v[2:3]
	v_lshrrev_b32_e32 v64, 3, v61
	v_sub_u32_e32 v63, 29, v65
	v_cmp_gt_u32_e64 s[0:1], 8, v61
	v_lshlrev_b32_e32 v2, 8, v2
	v_and_b32_e32 v62, 7, v62
	v_cndmask_b32_e64 v61, v64, v63, s[0:1]
	v_lshl_add_u32 v61, v61, 10, v19
	v_and_or_b32 v2, v2, s54, v61
	v_cndmask_b32_e64 v59, v59, v62, s[0:1]
	v_lshlrev_b32_e32 v2, 16, v2
	v_lshl_or_b32 v59, v59, 23, v2
.LBB241_232:                            ;   in Loop: Header=BB241_13 Depth=1
	s_or_b64 exec, exec, s[44:45]
.LBB241_233:                            ;   in Loop: Header=BB241_13 Depth=1
	s_or_b64 exec, exec, s[42:43]
.LBB241_234:                            ;   in Loop: Header=BB241_13 Depth=1
	s_or_b64 exec, exec, s[40:41]
	global_load_ushort v62, v[8:9], off offset:2304
	v_mov_b32_e32 v61, 0
	s_waitcnt vmcnt(0)
	v_and_b32_e32 v2, 0xffff, v62
	v_cmp_ne_u16_sdwa s[0:1], v62, v3 src0_sel:BYTE_0 src1_sel:DWORD
	v_mov_b32_e32 v62, 0
	s_and_saveexec_b64 s[40:41], s[0:1]
	s_cbranch_execz .LBB241_240
; %bb.235:                              ;   in Loop: Header=BB241_13 Depth=1
	v_cmp_ne_u16_sdwa s[0:1], v2, s52 src0_sel:BYTE_0 src1_sel:DWORD
	v_mov_b32_e32 v62, 0x8000
	s_and_saveexec_b64 s[42:43], s[0:1]
	s_cbranch_execz .LBB241_239
; %bb.236:                              ;   in Loop: Header=BB241_13 Depth=1
	v_and_b32_e32 v63, 0x7f, v2
	v_cmp_ne_u32_e64 s[0:1], s53, v63
	v_mov_b32_e32 v62, 0x7c01
	s_and_saveexec_b64 s[44:45], s[0:1]
	s_cbranch_execz .LBB241_238
; %bb.237:                              ;   in Loop: Header=BB241_13 Depth=1
	v_and_b32_e32 v62, 7, v2
	v_ffbh_u32_e32 v64, v62
	v_min_u32_e32 v67, 32, v64
	v_subrev_u32_e32 v64, 28, v67
	v_lshlrev_b64 v[64:65], v64, v[2:3]
	v_lshrrev_b32_e32 v66, 3, v63
	v_sub_u32_e32 v65, 29, v67
	v_cmp_gt_u32_e64 s[0:1], 8, v63
	v_and_b32_e32 v64, 7, v64
	s_nop 0
	v_cndmask_b32_e64 v63, v66, v65, s[0:1]
	v_lshl_add_u32 v63, v63, 10, v19
	v_lshlrev_b32_e32 v65, 8, v2
	v_and_b32_e32 v63, 0xfc00, v63
	v_cndmask_b32_e64 v62, v62, v64, s[0:1]
	v_and_or_b32 v63, v65, s54, v63
	v_lshl_or_b32 v62, v62, 7, v63
.LBB241_238:                            ;   in Loop: Header=BB241_13 Depth=1
	s_or_b64 exec, exec, s[44:45]
.LBB241_239:                            ;   in Loop: Header=BB241_13 Depth=1
	s_or_b64 exec, exec, s[42:43]
.LBB241_240:                            ;   in Loop: Header=BB241_13 Depth=1
	s_or_b64 exec, exec, s[40:41]
	v_lshrrev_b16_e32 v2, 8, v2
	v_cmp_ne_u16_e64 s[0:1], 0, v2
	s_and_saveexec_b64 s[40:41], s[0:1]
	s_cbranch_execz .LBB241_246
; %bb.241:                              ;   in Loop: Header=BB241_13 Depth=1
	v_cmp_ne_u16_e64 s[0:1], s52, v2
	v_bfrev_b32_e32 v61, 1
	s_and_saveexec_b64 s[42:43], s[0:1]
	s_cbranch_execz .LBB241_245
; %bb.242:                              ;   in Loop: Header=BB241_13 Depth=1
	v_and_b32_e32 v63, 0x7f, v2
	v_cmp_ne_u32_e64 s[0:1], s53, v63
	v_mov_b32_e32 v61, 0x7c010000
	s_and_saveexec_b64 s[44:45], s[0:1]
	s_cbranch_execz .LBB241_244
; %bb.243:                              ;   in Loop: Header=BB241_13 Depth=1
	v_and_b32_e32 v61, 7, v2
	v_ffbh_u32_e32 v64, v61
	v_min_u32_e32 v67, 32, v64
	v_subrev_u32_e32 v64, 28, v67
	v_lshlrev_b64 v[64:65], v64, v[2:3]
	v_lshrrev_b32_e32 v66, 3, v63
	v_sub_u32_e32 v65, 29, v67
	v_cmp_gt_u32_e64 s[0:1], 8, v63
	v_lshlrev_b32_e32 v2, 8, v2
	v_and_b32_e32 v64, 7, v64
	v_cndmask_b32_e64 v63, v66, v65, s[0:1]
	v_lshl_add_u32 v63, v63, 10, v19
	v_and_or_b32 v2, v2, s54, v63
	v_cndmask_b32_e64 v61, v61, v64, s[0:1]
	v_lshlrev_b32_e32 v2, 16, v2
	v_lshl_or_b32 v61, v61, 23, v2
.LBB241_244:                            ;   in Loop: Header=BB241_13 Depth=1
	s_or_b64 exec, exec, s[44:45]
.LBB241_245:                            ;   in Loop: Header=BB241_13 Depth=1
	s_or_b64 exec, exec, s[42:43]
.LBB241_246:                            ;   in Loop: Header=BB241_13 Depth=1
	s_or_b64 exec, exec, s[40:41]
	global_load_ushort v64, v[8:9], off offset:2312
	v_mov_b32_e32 v63, 0
	s_waitcnt vmcnt(0)
	v_and_b32_e32 v2, 0xffff, v64
	v_cmp_ne_u16_sdwa s[0:1], v64, v3 src0_sel:BYTE_0 src1_sel:DWORD
	v_mov_b32_e32 v64, 0
	s_and_saveexec_b64 s[40:41], s[0:1]
	s_cbranch_execz .LBB241_252
; %bb.247:                              ;   in Loop: Header=BB241_13 Depth=1
	v_cmp_ne_u16_sdwa s[0:1], v2, s52 src0_sel:BYTE_0 src1_sel:DWORD
	v_mov_b32_e32 v64, 0x8000
	s_and_saveexec_b64 s[42:43], s[0:1]
	s_cbranch_execz .LBB241_251
; %bb.248:                              ;   in Loop: Header=BB241_13 Depth=1
	v_and_b32_e32 v65, 0x7f, v2
	v_cmp_ne_u32_e64 s[0:1], s53, v65
	v_mov_b32_e32 v64, 0x7c01
	s_and_saveexec_b64 s[44:45], s[0:1]
	s_cbranch_execz .LBB241_250
; %bb.249:                              ;   in Loop: Header=BB241_13 Depth=1
	v_and_b32_e32 v64, 7, v2
	v_ffbh_u32_e32 v66, v64
	v_min_u32_e32 v69, 32, v66
	v_subrev_u32_e32 v66, 28, v69
	v_lshlrev_b64 v[66:67], v66, v[2:3]
	v_lshrrev_b32_e32 v68, 3, v65
	v_sub_u32_e32 v67, 29, v69
	v_cmp_gt_u32_e64 s[0:1], 8, v65
	v_and_b32_e32 v66, 7, v66
	s_nop 0
	v_cndmask_b32_e64 v65, v68, v67, s[0:1]
	v_lshl_add_u32 v65, v65, 10, v19
	v_lshlrev_b32_e32 v67, 8, v2
	v_and_b32_e32 v65, 0xfc00, v65
	v_cndmask_b32_e64 v64, v64, v66, s[0:1]
	v_and_or_b32 v65, v67, s54, v65
	v_lshl_or_b32 v64, v64, 7, v65
.LBB241_250:                            ;   in Loop: Header=BB241_13 Depth=1
	s_or_b64 exec, exec, s[44:45]
.LBB241_251:                            ;   in Loop: Header=BB241_13 Depth=1
	s_or_b64 exec, exec, s[42:43]
.LBB241_252:                            ;   in Loop: Header=BB241_13 Depth=1
	s_or_b64 exec, exec, s[40:41]
	v_lshrrev_b16_e32 v2, 8, v2
	v_cmp_ne_u16_e64 s[0:1], 0, v2
	s_and_saveexec_b64 s[40:41], s[0:1]
	s_cbranch_execz .LBB241_258
; %bb.253:                              ;   in Loop: Header=BB241_13 Depth=1
	v_cmp_ne_u16_e64 s[0:1], s52, v2
	v_bfrev_b32_e32 v63, 1
	s_and_saveexec_b64 s[42:43], s[0:1]
	s_cbranch_execz .LBB241_257
; %bb.254:                              ;   in Loop: Header=BB241_13 Depth=1
	v_and_b32_e32 v65, 0x7f, v2
	v_cmp_ne_u32_e64 s[0:1], s53, v65
	v_mov_b32_e32 v63, 0x7c010000
	s_and_saveexec_b64 s[44:45], s[0:1]
	s_cbranch_execz .LBB241_256
; %bb.255:                              ;   in Loop: Header=BB241_13 Depth=1
	v_and_b32_e32 v63, 7, v2
	v_ffbh_u32_e32 v66, v63
	v_min_u32_e32 v69, 32, v66
	v_subrev_u32_e32 v66, 28, v69
	v_lshlrev_b64 v[66:67], v66, v[2:3]
	v_lshrrev_b32_e32 v68, 3, v65
	v_sub_u32_e32 v67, 29, v69
	v_cmp_gt_u32_e64 s[0:1], 8, v65
	v_lshlrev_b32_e32 v2, 8, v2
	v_and_b32_e32 v66, 7, v66
	v_cndmask_b32_e64 v65, v68, v67, s[0:1]
	v_lshl_add_u32 v65, v65, 10, v19
	v_and_or_b32 v2, v2, s54, v65
	v_cndmask_b32_e64 v63, v63, v66, s[0:1]
	v_lshlrev_b32_e32 v2, 16, v2
	v_lshl_or_b32 v63, v63, 23, v2
.LBB241_256:                            ;   in Loop: Header=BB241_13 Depth=1
	s_or_b64 exec, exec, s[44:45]
.LBB241_257:                            ;   in Loop: Header=BB241_13 Depth=1
	s_or_b64 exec, exec, s[42:43]
.LBB241_258:                            ;   in Loop: Header=BB241_13 Depth=1
	s_or_b64 exec, exec, s[40:41]
	global_load_ushort v65, v[8:9], off offset:2560
	v_mov_b32_e32 v66, 0
	v_mov_b32_e32 v67, 0
	s_waitcnt vmcnt(0)
	v_and_b32_e32 v2, 0xffff, v65
	v_cmp_ne_u16_sdwa s[0:1], v65, v3 src0_sel:BYTE_0 src1_sel:DWORD
	s_and_saveexec_b64 s[40:41], s[0:1]
	s_cbranch_execz .LBB241_264
; %bb.259:                              ;   in Loop: Header=BB241_13 Depth=1
	v_cmp_ne_u16_sdwa s[0:1], v2, s52 src0_sel:BYTE_0 src1_sel:DWORD
	v_mov_b32_e32 v67, 0x8000
	s_and_saveexec_b64 s[42:43], s[0:1]
	s_cbranch_execz .LBB241_263
; %bb.260:                              ;   in Loop: Header=BB241_13 Depth=1
	v_and_b32_e32 v65, 0x7f, v2
	v_cmp_ne_u32_e64 s[0:1], s53, v65
	v_mov_b32_e32 v67, 0x7c01
	s_and_saveexec_b64 s[44:45], s[0:1]
	s_cbranch_execz .LBB241_262
; %bb.261:                              ;   in Loop: Header=BB241_13 Depth=1
	v_and_b32_e32 v67, 7, v2
	v_ffbh_u32_e32 v68, v67
	v_min_u32_e32 v71, 32, v68
	v_subrev_u32_e32 v68, 28, v71
	v_lshlrev_b64 v[68:69], v68, v[2:3]
	v_lshrrev_b32_e32 v70, 3, v65
	v_sub_u32_e32 v69, 29, v71
	v_cmp_gt_u32_e64 s[0:1], 8, v65
	v_and_b32_e32 v68, 7, v68
	s_nop 0
	v_cndmask_b32_e64 v65, v70, v69, s[0:1]
	v_lshl_add_u32 v65, v65, 10, v19
	v_lshlrev_b32_e32 v69, 8, v2
	v_and_b32_e32 v65, 0xfc00, v65
	v_cndmask_b32_e64 v67, v67, v68, s[0:1]
	v_and_or_b32 v65, v69, s54, v65
	v_lshl_or_b32 v67, v67, 7, v65
.LBB241_262:                            ;   in Loop: Header=BB241_13 Depth=1
	s_or_b64 exec, exec, s[44:45]
.LBB241_263:                            ;   in Loop: Header=BB241_13 Depth=1
	s_or_b64 exec, exec, s[42:43]
.LBB241_264:                            ;   in Loop: Header=BB241_13 Depth=1
	s_or_b64 exec, exec, s[40:41]
	v_lshrrev_b16_e32 v2, 8, v2
	v_cmp_ne_u16_e64 s[0:1], 0, v2
	s_and_saveexec_b64 s[40:41], s[0:1]
	s_cbranch_execz .LBB241_270
; %bb.265:                              ;   in Loop: Header=BB241_13 Depth=1
	v_cmp_ne_u16_e64 s[0:1], s52, v2
	v_bfrev_b32_e32 v66, 1
	s_and_saveexec_b64 s[42:43], s[0:1]
	s_cbranch_execz .LBB241_269
; %bb.266:                              ;   in Loop: Header=BB241_13 Depth=1
	v_and_b32_e32 v65, 0x7f, v2
	v_cmp_ne_u32_e64 s[0:1], s53, v65
	v_mov_b32_e32 v66, 0x7c010000
	s_and_saveexec_b64 s[44:45], s[0:1]
	s_cbranch_execz .LBB241_268
; %bb.267:                              ;   in Loop: Header=BB241_13 Depth=1
	v_and_b32_e32 v66, 7, v2
	v_ffbh_u32_e32 v68, v66
	v_min_u32_e32 v71, 32, v68
	v_subrev_u32_e32 v68, 28, v71
	v_lshlrev_b64 v[68:69], v68, v[2:3]
	v_lshrrev_b32_e32 v70, 3, v65
	v_sub_u32_e32 v69, 29, v71
	v_cmp_gt_u32_e64 s[0:1], 8, v65
	v_lshlrev_b32_e32 v2, 8, v2
	v_and_b32_e32 v68, 7, v68
	v_cndmask_b32_e64 v65, v70, v69, s[0:1]
	v_lshl_add_u32 v65, v65, 10, v19
	v_and_or_b32 v2, v2, s54, v65
	v_cndmask_b32_e64 v66, v66, v68, s[0:1]
	v_lshlrev_b32_e32 v2, 16, v2
	v_lshl_or_b32 v66, v66, 23, v2
.LBB241_268:                            ;   in Loop: Header=BB241_13 Depth=1
	s_or_b64 exec, exec, s[44:45]
.LBB241_269:                            ;   in Loop: Header=BB241_13 Depth=1
	s_or_b64 exec, exec, s[42:43]
.LBB241_270:                            ;   in Loop: Header=BB241_13 Depth=1
	s_or_b64 exec, exec, s[40:41]
	global_load_ushort v65, v[8:9], off offset:2568
	v_mov_b32_e32 v70, 0
	s_waitcnt vmcnt(0)
	v_and_b32_e32 v2, 0xffff, v65
	v_cmp_ne_u16_sdwa s[0:1], v65, v3 src0_sel:BYTE_0 src1_sel:DWORD
	v_mov_b32_e32 v65, 0
	s_and_saveexec_b64 s[40:41], s[0:1]
	s_cbranch_execz .LBB241_276
; %bb.271:                              ;   in Loop: Header=BB241_13 Depth=1
	v_cmp_ne_u16_sdwa s[0:1], v2, s52 src0_sel:BYTE_0 src1_sel:DWORD
	v_mov_b32_e32 v65, 0x8000
	s_and_saveexec_b64 s[42:43], s[0:1]
	s_cbranch_execz .LBB241_275
; %bb.272:                              ;   in Loop: Header=BB241_13 Depth=1
	v_and_b32_e32 v68, 0x7f, v2
	v_cmp_ne_u32_e64 s[0:1], s53, v68
	v_mov_b32_e32 v65, 0x7c01
	s_and_saveexec_b64 s[44:45], s[0:1]
	s_cbranch_execz .LBB241_274
; %bb.273:                              ;   in Loop: Header=BB241_13 Depth=1
	v_and_b32_e32 v65, 7, v2
	v_ffbh_u32_e32 v71, v65
	v_min_u32_e32 v71, 32, v71
	v_lshrrev_b32_e32 v69, 3, v68
	v_subrev_u32_e32 v72, 28, v71
	v_sub_u32_e32 v71, 29, v71
	v_cmp_gt_u32_e64 s[0:1], 8, v68
	v_lshlrev_b64 v[72:73], v72, v[2:3]
	s_nop 0
	v_cndmask_b32_e64 v68, v69, v71, s[0:1]
	v_lshl_add_u32 v68, v68, 10, v19
	v_lshlrev_b32_e32 v69, 8, v2
	v_and_b32_e32 v71, 7, v72
	v_and_b32_e32 v68, 0xfc00, v68
	v_cndmask_b32_e64 v65, v65, v71, s[0:1]
	v_and_or_b32 v68, v69, s54, v68
	v_lshl_or_b32 v65, v65, 7, v68
.LBB241_274:                            ;   in Loop: Header=BB241_13 Depth=1
	s_or_b64 exec, exec, s[44:45]
.LBB241_275:                            ;   in Loop: Header=BB241_13 Depth=1
	s_or_b64 exec, exec, s[42:43]
.LBB241_276:                            ;   in Loop: Header=BB241_13 Depth=1
	s_or_b64 exec, exec, s[40:41]
	v_lshrrev_b16_e32 v2, 8, v2
	v_cmp_ne_u16_e64 s[0:1], 0, v2
	s_and_saveexec_b64 s[40:41], s[0:1]
	s_cbranch_execz .LBB241_282
; %bb.277:                              ;   in Loop: Header=BB241_13 Depth=1
	v_cmp_ne_u16_e64 s[0:1], s52, v2
	v_bfrev_b32_e32 v70, 1
	s_and_saveexec_b64 s[42:43], s[0:1]
	s_cbranch_execz .LBB241_281
; %bb.278:                              ;   in Loop: Header=BB241_13 Depth=1
	v_and_b32_e32 v68, 0x7f, v2
	v_cmp_ne_u32_e64 s[0:1], s53, v68
	v_mov_b32_e32 v70, 0x7c010000
	s_and_saveexec_b64 s[44:45], s[0:1]
	s_cbranch_execz .LBB241_280
; %bb.279:                              ;   in Loop: Header=BB241_13 Depth=1
	v_and_b32_e32 v69, 7, v2
	v_ffbh_u32_e32 v70, v69
	v_min_u32_e32 v73, 32, v70
	v_subrev_u32_e32 v70, 28, v73
	v_lshlrev_b64 v[70:71], v70, v[2:3]
	v_lshrrev_b32_e32 v72, 3, v68
	v_sub_u32_e32 v71, 29, v73
	v_cmp_gt_u32_e64 s[0:1], 8, v68
	v_lshlrev_b32_e32 v2, 8, v2
	v_and_b32_e32 v70, 7, v70
	v_cndmask_b32_e64 v68, v72, v71, s[0:1]
	v_lshl_add_u32 v68, v68, 10, v19
	v_and_or_b32 v2, v2, s54, v68
	v_cndmask_b32_e64 v69, v69, v70, s[0:1]
	v_lshlrev_b32_e32 v2, 16, v2
	v_lshl_or_b32 v70, v69, 23, v2
.LBB241_280:                            ;   in Loop: Header=BB241_13 Depth=1
	s_or_b64 exec, exec, s[44:45]
.LBB241_281:                            ;   in Loop: Header=BB241_13 Depth=1
	s_or_b64 exec, exec, s[42:43]
.LBB241_282:                            ;   in Loop: Header=BB241_13 Depth=1
	s_or_b64 exec, exec, s[40:41]
	global_load_ushort v68, v[8:9], off offset:2816
	v_mov_b32_e32 v71, 0
	v_mov_b32_e32 v72, 0
	s_waitcnt vmcnt(0)
	v_and_b32_e32 v2, 0xffff, v68
	v_cmp_ne_u16_sdwa s[0:1], v68, v3 src0_sel:BYTE_0 src1_sel:DWORD
	s_and_saveexec_b64 s[40:41], s[0:1]
	s_cbranch_execz .LBB241_288
; %bb.283:                              ;   in Loop: Header=BB241_13 Depth=1
	v_cmp_ne_u16_sdwa s[0:1], v2, s52 src0_sel:BYTE_0 src1_sel:DWORD
	v_mov_b32_e32 v72, 0x8000
	s_and_saveexec_b64 s[42:43], s[0:1]
	s_cbranch_execz .LBB241_287
; %bb.284:                              ;   in Loop: Header=BB241_13 Depth=1
	v_and_b32_e32 v68, 0x7f, v2
	v_cmp_ne_u32_e64 s[0:1], s53, v68
	v_mov_b32_e32 v72, 0x7c01
	s_and_saveexec_b64 s[44:45], s[0:1]
	s_cbranch_execz .LBB241_286
; %bb.285:                              ;   in Loop: Header=BB241_13 Depth=1
	v_and_b32_e32 v69, 7, v2
	v_ffbh_u32_e32 v72, v69
	v_min_u32_e32 v75, 32, v72
	v_subrev_u32_e32 v72, 28, v75
	v_lshlrev_b64 v[72:73], v72, v[2:3]
	v_lshrrev_b32_e32 v74, 3, v68
	v_sub_u32_e32 v73, 29, v75
	v_cmp_gt_u32_e64 s[0:1], 8, v68
	v_and_b32_e32 v72, 7, v72
	s_nop 0
	v_cndmask_b32_e64 v68, v74, v73, s[0:1]
	v_lshl_add_u32 v68, v68, 10, v19
	v_lshlrev_b32_e32 v73, 8, v2
	v_and_b32_e32 v68, 0xfc00, v68
	v_cndmask_b32_e64 v69, v69, v72, s[0:1]
	v_and_or_b32 v68, v73, s54, v68
	v_lshl_or_b32 v72, v69, 7, v68
.LBB241_286:                            ;   in Loop: Header=BB241_13 Depth=1
	s_or_b64 exec, exec, s[44:45]
.LBB241_287:                            ;   in Loop: Header=BB241_13 Depth=1
	s_or_b64 exec, exec, s[42:43]
.LBB241_288:                            ;   in Loop: Header=BB241_13 Depth=1
	s_or_b64 exec, exec, s[40:41]
	v_lshrrev_b16_e32 v2, 8, v2
	v_cmp_ne_u16_e64 s[0:1], 0, v2
	s_and_saveexec_b64 s[40:41], s[0:1]
	s_cbranch_execz .LBB241_294
; %bb.289:                              ;   in Loop: Header=BB241_13 Depth=1
	v_cmp_ne_u16_e64 s[0:1], s52, v2
	v_bfrev_b32_e32 v71, 1
	s_and_saveexec_b64 s[42:43], s[0:1]
	s_cbranch_execz .LBB241_293
; %bb.290:                              ;   in Loop: Header=BB241_13 Depth=1
	v_and_b32_e32 v68, 0x7f, v2
	v_cmp_ne_u32_e64 s[0:1], s53, v68
	v_mov_b32_e32 v71, 0x7c010000
	s_and_saveexec_b64 s[44:45], s[0:1]
	s_cbranch_execz .LBB241_292
; %bb.291:                              ;   in Loop: Header=BB241_13 Depth=1
	v_and_b32_e32 v69, 7, v2
	v_ffbh_u32_e32 v73, v69
	v_min_u32_e32 v73, 32, v73
	v_lshrrev_b32_e32 v71, 3, v68
	v_subrev_u32_e32 v74, 28, v73
	v_sub_u32_e32 v73, 29, v73
	v_cmp_gt_u32_e64 s[0:1], 8, v68
	v_lshlrev_b64 v[74:75], v74, v[2:3]
	v_lshlrev_b32_e32 v2, 8, v2
	v_cndmask_b32_e64 v68, v71, v73, s[0:1]
	v_lshl_add_u32 v68, v68, 10, v19
	v_and_b32_e32 v71, 7, v74
	v_and_or_b32 v2, v2, s54, v68
	v_cndmask_b32_e64 v69, v69, v71, s[0:1]
	v_lshlrev_b32_e32 v2, 16, v2
	v_lshl_or_b32 v71, v69, 23, v2
.LBB241_292:                            ;   in Loop: Header=BB241_13 Depth=1
	s_or_b64 exec, exec, s[44:45]
.LBB241_293:                            ;   in Loop: Header=BB241_13 Depth=1
	s_or_b64 exec, exec, s[42:43]
.LBB241_294:                            ;   in Loop: Header=BB241_13 Depth=1
	s_or_b64 exec, exec, s[40:41]
	global_load_ushort v8, v[8:9], off offset:2824
	v_mov_b32_e32 v68, 0
	v_mov_b32_e32 v69, 0
	s_waitcnt vmcnt(0)
	v_and_b32_e32 v2, 0xffff, v8
	v_cmp_ne_u16_sdwa s[0:1], v8, v3 src0_sel:BYTE_0 src1_sel:DWORD
	s_and_saveexec_b64 s[40:41], s[0:1]
	s_cbranch_execz .LBB241_300
; %bb.295:                              ;   in Loop: Header=BB241_13 Depth=1
	v_cmp_ne_u16_sdwa s[0:1], v2, s52 src0_sel:BYTE_0 src1_sel:DWORD
	v_mov_b32_e32 v69, 0x8000
	s_and_saveexec_b64 s[42:43], s[0:1]
	s_cbranch_execz .LBB241_299
; %bb.296:                              ;   in Loop: Header=BB241_13 Depth=1
	v_and_b32_e32 v8, 0x7f, v2
	v_cmp_ne_u32_e64 s[0:1], s53, v8
	v_mov_b32_e32 v69, 0x7c01
	s_and_saveexec_b64 s[44:45], s[0:1]
	s_cbranch_execz .LBB241_298
; %bb.297:                              ;   in Loop: Header=BB241_13 Depth=1
	v_and_b32_e32 v9, 7, v2
	v_ffbh_u32_e32 v73, v9
	v_min_u32_e32 v73, 32, v73
	v_lshrrev_b32_e32 v69, 3, v8
	v_subrev_u32_e32 v74, 28, v73
	v_sub_u32_e32 v73, 29, v73
	v_cmp_gt_u32_e64 s[0:1], 8, v8
	v_lshlrev_b64 v[74:75], v74, v[2:3]
	s_nop 0
	v_cndmask_b32_e64 v8, v69, v73, s[0:1]
	v_lshl_add_u32 v8, v8, 10, v19
	v_lshlrev_b32_e32 v69, 8, v2
	v_and_b32_e32 v73, 7, v74
	v_and_b32_e32 v8, 0xfc00, v8
	v_cndmask_b32_e64 v9, v9, v73, s[0:1]
	v_and_or_b32 v8, v69, s54, v8
	v_lshl_or_b32 v69, v9, 7, v8
.LBB241_298:                            ;   in Loop: Header=BB241_13 Depth=1
	s_or_b64 exec, exec, s[44:45]
.LBB241_299:                            ;   in Loop: Header=BB241_13 Depth=1
	s_or_b64 exec, exec, s[42:43]
.LBB241_300:                            ;   in Loop: Header=BB241_13 Depth=1
	s_or_b64 exec, exec, s[40:41]
	v_lshrrev_b16_e32 v2, 8, v2
	v_cmp_ne_u16_e64 s[0:1], 0, v2
	s_and_saveexec_b64 s[40:41], s[0:1]
	s_cbranch_execz .LBB241_306
; %bb.301:                              ;   in Loop: Header=BB241_13 Depth=1
	v_cmp_ne_u16_e64 s[0:1], s52, v2
	v_bfrev_b32_e32 v68, 1
	s_and_saveexec_b64 s[42:43], s[0:1]
	s_cbranch_execz .LBB241_305
; %bb.302:                              ;   in Loop: Header=BB241_13 Depth=1
	v_and_b32_e32 v8, 0x7f, v2
	v_cmp_ne_u32_e64 s[0:1], s53, v8
	v_mov_b32_e32 v68, 0x7c010000
	s_and_saveexec_b64 s[44:45], s[0:1]
	s_cbranch_execz .LBB241_304
; %bb.303:                              ;   in Loop: Header=BB241_13 Depth=1
	v_and_b32_e32 v9, 7, v2
	v_ffbh_u32_e32 v73, v9
	v_min_u32_e32 v73, 32, v73
	v_lshrrev_b32_e32 v68, 3, v8
	v_subrev_u32_e32 v74, 28, v73
	v_sub_u32_e32 v73, 29, v73
	v_cmp_gt_u32_e64 s[0:1], 8, v8
	v_lshlrev_b64 v[74:75], v74, v[2:3]
	v_lshlrev_b32_e32 v2, 8, v2
	v_cndmask_b32_e64 v8, v68, v73, s[0:1]
	v_lshl_add_u32 v8, v8, 10, v19
	v_and_b32_e32 v68, 7, v74
	v_and_or_b32 v2, v2, s54, v8
	v_cndmask_b32_e64 v9, v9, v68, s[0:1]
	v_lshlrev_b32_e32 v2, 16, v2
	v_lshl_or_b32 v68, v9, 23, v2
.LBB241_304:                            ;   in Loop: Header=BB241_13 Depth=1
	s_or_b64 exec, exec, s[44:45]
.LBB241_305:                            ;   in Loop: Header=BB241_13 Depth=1
	s_or_b64 exec, exec, s[42:43]
.LBB241_306:                            ;   in Loop: Header=BB241_13 Depth=1
	s_or_b64 exec, exec, s[40:41]
	v_or_b32_e32 v9, v70, v65
	v_fma_mixlo_f16 v65, v22, v9, 0 op_sel_hi:[0,1,0]
	v_fma_mixlo_f16 v9, v22, v70, 0 op_sel:[0,1,0] op_sel_hi:[0,1,0]
	ds_read_b32 v70, v12
	v_or_b32_e32 v2, v71, v72
	v_or_b32_e32 v24, v23, v24
	v_fma_mixlo_f16 v8, v22, v2, 0 op_sel_hi:[0,1,0]
	v_fma_mixlo_f16 v2, v22, v71, 0 op_sel:[0,1,0] op_sel_hi:[0,1,0]
	v_fma_mixlo_f16 v71, v22, v24, 0 op_sel_hi:[0,1,0]
	s_waitcnt lgkmcnt(0)
	v_lshrrev_b32_e32 v24, 16, v70
	v_and_b32_e32 v70, 0xffff, v70
	v_fma_mixlo_f16 v23, v22, v23, 0 op_sel:[0,1,0] op_sel_hi:[0,1,0]
	;;#ASMSTART
	v_cvt_f32_f16 v72, v70;
	;;#ASMEND
	v_and_b32_e32 v70, 0xffff, v71
	;;#ASMSTART
	v_cvt_f32_f16 v24, v24;
	;;#ASMEND
	;;#ASMSTART
	v_cvt_f32_f16 v71, v70;
	;;#ASMEND
	v_and_b32_e32 v23, 0xffff, v23
	;;#ASMSTART
	v_cvt_f32_f16 v70, v23;
	;;#ASMEND
	ds_read_b32 v73, v12 offset:4
	v_or_b32_e32 v28, v25, v28
	v_fma_mixlo_f16 v28, v22, v28, 0 op_sel_hi:[0,1,0]
	v_fma_mixlo_f16 v25, v22, v25, 0 op_sel:[0,1,0] op_sel_hi:[0,1,0]
	v_or_b32_e32 v56, v55, v56
	v_fma_mixlo_f16 v23, v22, v55, 0 op_sel:[0,1,0] op_sel_hi:[0,1,0]
	s_waitcnt lgkmcnt(0)
	v_lshrrev_b32_e32 v74, 16, v73
	v_and_b32_e32 v55, 0xffff, v73
	v_and_b32_e32 v28, 0xffff, v28
	;; [unrolled: 1-line block ×3, first 2 shown]
	;;#ASMSTART
	v_cvt_f32_f16 v55, v55;
	;;#ASMEND
	;;#ASMSTART
	v_cvt_f32_f16 v73, v74;
	;;#ASMEND
	;;#ASMSTART
	v_cvt_f32_f16 v28, v28;
	;;#ASMEND
	;;#ASMSTART
	v_cvt_f32_f16 v25, v25;
	;;#ASMEND
	ds_read_b32 v74, v12 offset:8
	v_or_b32_e32 v30, v29, v30
	v_fma_mixlo_f16 v30, v22, v30, 0 op_sel_hi:[0,1,0]
	v_fma_mixlo_f16 v29, v22, v29, 0 op_sel:[0,1,0] op_sel_hi:[0,1,0]
	v_and_b32_e32 v30, 0xffff, v30
	s_waitcnt lgkmcnt(0)
	v_lshrrev_b32_e32 v75, 16, v74
	v_and_b32_e32 v74, 0xffff, v74
	v_and_b32_e32 v29, 0xffff, v29
	;;#ASMSTART
	v_cvt_f32_f16 v74, v74;
	;;#ASMEND
	;;#ASMSTART
	v_cvt_f32_f16 v75, v75;
	;;#ASMEND
	;;#ASMSTART
	v_cvt_f32_f16 v30, v30;
	;;#ASMEND
	;;#ASMSTART
	v_cvt_f32_f16 v29, v29;
	;;#ASMEND
	ds_read_b32 v76, v12 offset:12
	v_or_b32_e32 v32, v31, v32
	v_fma_mixlo_f16 v32, v22, v32, 0 op_sel_hi:[0,1,0]
	v_fma_mixlo_f16 v31, v22, v31, 0 op_sel:[0,1,0] op_sel_hi:[0,1,0]
	v_and_b32_e32 v32, 0xffff, v32
	s_waitcnt lgkmcnt(0)
	v_lshrrev_b32_e32 v77, 16, v76
	v_and_b32_e32 v76, 0xffff, v76
	v_and_b32_e32 v31, 0xffff, v31
	;; [unrolled: 21-line block ×10, first 2 shown]
	;;#ASMSTART
	v_cvt_f32_f16 v92, v92;
	;;#ASMEND
	;;#ASMSTART
	v_cvt_f32_f16 v93, v93;
	;;#ASMEND
	;; [unrolled: 3-line block ×4, first 2 shown]
	ds_read_b32 v94, v12 offset:48
	v_or_b32_e32 v50, v49, v50
	v_or_b32_e32 v67, v66, v67
	;; [unrolled: 1-line block ×8, first 2 shown]
	v_fma_mixlo_f16 v50, v22, v50, 0 op_sel_hi:[0,1,0]
	v_fma_mixlo_f16 v49, v22, v49, 0 op_sel:[0,1,0] op_sel_hi:[0,1,0]
	v_or_b32_e32 v69, v68, v69
	v_fma_mixlo_f16 v67, v22, v67, 0 op_sel_hi:[0,1,0]
	v_fma_mixlo_f16 v66, v22, v66, 0 op_sel:[0,1,0] op_sel_hi:[0,1,0]
	v_fma_mixlo_f16 v64, v22, v64, 0 op_sel_hi:[0,1,0]
	v_fma_mixlo_f16 v63, v22, v63, 0 op_sel:[0,1,0] op_sel_hi:[0,1,0]
	v_fma_mixlo_f16 v62, v22, v62, 0 op_sel_hi:[0,1,0]
	v_fma_mixlo_f16 v61, v22, v61, 0 op_sel:[0,1,0] op_sel_hi:[0,1,0]
	v_fma_mixlo_f16 v60, v22, v60, 0 op_sel_hi:[0,1,0]
	v_fma_mixlo_f16 v59, v22, v59, 0 op_sel:[0,1,0] op_sel_hi:[0,1,0]
	v_fma_mixlo_f16 v58, v22, v58, 0 op_sel_hi:[0,1,0]
	v_fma_mixlo_f16 v57, v22, v57, 0 op_sel:[0,1,0] op_sel_hi:[0,1,0]
	v_fma_mixlo_f16 v56, v22, v56, 0 op_sel_hi:[0,1,0]
	v_fma_mixlo_f16 v54, v22, v54, 0 op_sel_hi:[0,1,0]
	v_fma_mixlo_f16 v53, v22, v53, 0 op_sel:[0,1,0] op_sel_hi:[0,1,0]
	v_fma_mixlo_f16 v52, v22, v52, 0 op_sel_hi:[0,1,0]
	v_fma_mixlo_f16 v51, v22, v51, 0 op_sel:[0,1,0] op_sel_hi:[0,1,0]
	;; [unrolled: 2-line block ×3, first 2 shown]
	v_mul_f32_e32 v28, v55, v28
	s_waitcnt lgkmcnt(0)
	v_lshrrev_b32_e32 v68, 16, v94
	v_and_b32_e32 v55, 0xffff, v94
	v_and_b32_e32 v50, 0xffff, v50
	v_and_b32_e32 v49, 0xffff, v49
	v_fmac_f32_e32 v28, v72, v71
	;;#ASMSTART
	v_cvt_f32_f16 v55, v55;
	;;#ASMEND
	;;#ASMSTART
	v_cvt_f32_f16 v68, v68;
	;;#ASMEND
	;; [unrolled: 3-line block ×4, first 2 shown]
	ds_read_b32 v71, v12 offset:52
	v_mul_f32_e32 v25, v73, v25
	v_fmac_f32_e32 v25, v24, v70
	v_fmac_f32_e32 v28, v74, v30
	;; [unrolled: 1-line block ×3, first 2 shown]
	s_waitcnt lgkmcnt(0)
	v_lshrrev_b32_e32 v29, 16, v71
	v_and_b32_e32 v24, 0xffff, v71
	v_and_b32_e32 v30, 0xffff, v52
	;; [unrolled: 1-line block ×3, first 2 shown]
	;;#ASMSTART
	v_cvt_f32_f16 v24, v24;
	;;#ASMEND
	;;#ASMSTART
	v_cvt_f32_f16 v29, v29;
	;;#ASMEND
	;; [unrolled: 3-line block ×4, first 2 shown]
	ds_read_b32 v52, v12 offset:56
	v_fmac_f32_e32 v28, v76, v32
	v_fmac_f32_e32 v25, v77, v31
	;; [unrolled: 1-line block ×4, first 2 shown]
	s_waitcnt lgkmcnt(0)
	v_lshrrev_b32_e32 v32, 16, v52
	v_and_b32_e32 v31, 0xffff, v52
	v_and_b32_e32 v33, 0xffff, v54
	;; [unrolled: 1-line block ×3, first 2 shown]
	;;#ASMSTART
	v_cvt_f32_f16 v31, v31;
	;;#ASMEND
	;;#ASMSTART
	v_cvt_f32_f16 v32, v32;
	;;#ASMEND
	;;#ASMSTART
	v_cvt_f32_f16 v33, v33;
	;;#ASMEND
	;;#ASMSTART
	v_cvt_f32_f16 v34, v34;
	;;#ASMEND
	ds_read_b32 v52, v12 offset:60
	v_fmac_f32_e32 v25, v81, v35
	v_fmac_f32_e32 v28, v80, v36
	v_fmac_f32_e32 v25, v83, v37
	v_and_b32_e32 v37, 0xffff, v56
	s_waitcnt lgkmcnt(0)
	v_lshrrev_b32_e32 v36, 16, v52
	v_and_b32_e32 v35, 0xffff, v52
	v_and_b32_e32 v23, 0xffff, v23
	v_fmac_f32_e32 v28, v82, v38
	;;#ASMSTART
	v_cvt_f32_f16 v35, v35;
	;;#ASMEND
	;;#ASMSTART
	v_cvt_f32_f16 v36, v36;
	;;#ASMEND
	;;#ASMSTART
	v_cvt_f32_f16 v37, v37;
	;;#ASMEND
	;;#ASMSTART
	v_cvt_f32_f16 v23, v23;
	;;#ASMEND
	ds_read_b32 v38, v12 offset:64
	v_fmac_f32_e32 v25, v85, v39
	v_fmac_f32_e32 v28, v84, v40
	v_fmac_f32_e32 v25, v87, v41
	v_and_b32_e32 v40, 0xffff, v58
	s_waitcnt lgkmcnt(0)
	v_lshrrev_b32_e32 v39, 16, v38
	v_and_b32_e32 v38, 0xffff, v38
	v_and_b32_e32 v41, 0xffff, v57
	v_fmac_f32_e32 v28, v86, v42
	;; [unrolled: 22-line block ×5, first 2 shown]
	;;#ASMSTART
	v_cvt_f32_f16 v24, v24;
	;;#ASMEND
	;;#ASMSTART
	v_cvt_f32_f16 v29, v29;
	;;#ASMEND
	;; [unrolled: 3-line block ×4, first 2 shown]
	ds_read_b32 v32, v12 offset:80
	v_fmac_f32_e32 v25, v36, v23
	v_and_b32_e32 v34, 0xffff, v66
	v_fmac_f32_e32 v28, v35, v37
	v_and_b32_e32 v37, 0xffff, v65
	s_waitcnt lgkmcnt(0)
	v_lshrrev_b32_e32 v33, 16, v32
	v_and_b32_e32 v23, 0xffff, v32
	;;#ASMSTART
	v_cvt_f32_f16 v23, v23;
	;;#ASMEND
	;;#ASMSTART
	v_cvt_f32_f16 v32, v33;
	;;#ASMEND
	v_and_b32_e32 v33, 0xffff, v67
	;;#ASMSTART
	v_cvt_f32_f16 v33, v33;
	;;#ASMEND
	;;#ASMSTART
	v_cvt_f32_f16 v34, v34;
	;;#ASMEND
	ds_read_b32 v35, v12 offset:84
	v_and_b32_e32 v9, 0xffff, v9
	v_fmac_f32_e32 v28, v38, v40
	v_fmac_f32_e32 v28, v42, v44
	v_fmac_f32_e32 v25, v39, v41
	s_waitcnt lgkmcnt(0)
	v_lshrrev_b32_e32 v36, 16, v35
	v_and_b32_e32 v35, 0xffff, v35
	;;#ASMSTART
	v_cvt_f32_f16 v35, v35;
	;;#ASMEND
	;;#ASMSTART
	v_cvt_f32_f16 v36, v36;
	;;#ASMEND
	;; [unrolled: 3-line block ×4, first 2 shown]
	ds_read_b32 v38, v12 offset:88
	v_fmac_f32_e32 v28, v46, v48
	v_fmac_f32_e32 v25, v43, v45
	;; [unrolled: 1-line block ×5, first 2 shown]
	s_waitcnt lgkmcnt(0)
	v_lshrrev_b32_e32 v24, 16, v38
	v_and_b32_e32 v23, 0xffff, v38
	v_and_b32_e32 v8, 0xffff, v8
	;; [unrolled: 1-line block ×3, first 2 shown]
	v_fmac_f32_e32 v25, v29, v31
	;;#ASMSTART
	v_cvt_f32_f16 v23, v23;
	;;#ASMEND
	;;#ASMSTART
	v_cvt_f32_f16 v24, v24;
	;;#ASMEND
	;; [unrolled: 3-line block ×4, first 2 shown]
	ds_read_b32 v29, v12 offset:92
	v_fmac_f32_e32 v25, v32, v34
	v_fmac_f32_e32 v28, v35, v37
	;; [unrolled: 1-line block ×5, first 2 shown]
	s_waitcnt lgkmcnt(0)
	v_lshrrev_b32_e32 v8, 16, v29
	v_and_b32_e32 v2, 0xffff, v29
	;;#ASMSTART
	v_cvt_f32_f16 v2, v2;
	;;#ASMEND
	;;#ASMSTART
	v_cvt_f32_f16 v8, v8;
	;;#ASMEND
	v_and_b32_e32 v9, 0xffff, v69
	v_and_b32_e32 v22, 0xffff, v22
	;;#ASMSTART
	v_cvt_f32_f16 v9, v9;
	;;#ASMEND
	;;#ASMSTART
	v_cvt_f32_f16 v22, v22;
	;;#ASMEND
	s_nop 0
	v_fmac_f32_e32 v25, v8, v22
	v_and_b32_e32 v8, 64, v20
	v_fmac_f32_e32 v28, v2, v9
	v_add_u32_e32 v8, 64, v8
	v_xor_b32_e32 v9, 2, v20
	v_cmp_lt_i32_e64 s[0:1], v9, v8
	v_add_f32_e32 v2, v28, v25
	s_nop 0
	v_cndmask_b32_e64 v9, v20, v9, s[0:1]
	v_lshlrev_b32_e32 v9, 2, v9
	ds_bpermute_b32 v9, v9, v2
	s_waitcnt lgkmcnt(0)
	v_add_f32_e32 v2, v2, v9
	v_xor_b32_e32 v9, 1, v20
	v_cmp_lt_i32_e64 s[0:1], v9, v8
	s_nop 1
	v_cndmask_b32_e64 v8, v20, v9, s[0:1]
	v_lshlrev_b32_e32 v8, 2, v8
	ds_bpermute_b32 v8, v8, v2
	s_and_saveexec_b64 s[40:41], vcc
	s_cbranch_execz .LBB241_11
; %bb.307:                              ;   in Loop: Header=BB241_13 Depth=1
	v_add_u32_e32 v9, v16, v15
	v_cvt_f32_i32_e32 v9, v9
	s_waitcnt lgkmcnt(0)
	v_add_f32_e32 v2, v2, v8
	v_add_u32_e32 v22, v11, v15
	v_cmp_gt_i32_e64 s[0:1], s33, v22
	v_mul_f32_e32 v8, s48, v9
	v_cndmask_b32_e64 v8, 0, v8, s[2:3]
	v_fmac_f32_e32 v8, s37, v2
	v_cndmask_b32_e64 v2, 0, v8, s[0:1]
	ds_write_b32 v17, v2
	v_max_f32_e32 v2, v13, v13
	v_max_f32_e32 v2, v2, v8
	v_cndmask_b32_e64 v13, v13, v2, s[0:1]
	s_branch .LBB241_11
.LBB241_308:
	s_or_b64 exec, exec, s[38:39]
.LBB241_309:
	s_or_b64 exec, exec, s[18:19]
	v_mbcnt_hi_u32_b32 v2, -1, v10
	v_and_b32_e32 v10, 64, v2
	v_add_u32_e32 v3, 64, v10
	v_xor_b32_e32 v4, 32, v2
	v_cmp_lt_i32_e32 vcc, v4, v3
	v_xor_b32_e32 v7, 16, v2
	v_max_f32_e32 v6, v13, v13
	v_cndmask_b32_e32 v4, v2, v4, vcc
	v_lshlrev_b32_e32 v4, 2, v4
	ds_bpermute_b32 v5, v4, v13
	v_cmp_lt_i32_e32 vcc, v7, v3
	s_waitcnt lgkmcnt(1)
	v_xor_b32_e32 v8, 8, v2
	v_xor_b32_e32 v9, 4, v2
	v_and_b32_e32 v28, 63, v0
	s_waitcnt lgkmcnt(0)
	v_max_f32_e32 v5, v5, v5
	v_max_f32_e32 v6, v6, v5
	v_cndmask_b32_e32 v5, v2, v7, vcc
	v_lshlrev_b32_e32 v5, 2, v5
	ds_bpermute_b32 v7, v5, v6
	v_cmp_lt_i32_e32 vcc, v8, v3
	s_waitcnt lgkmcnt(0)
	v_max_f32_e32 v7, v7, v7
	v_max_f32_e32 v6, v6, v7
	v_cndmask_b32_e32 v7, v2, v8, vcc
	v_lshlrev_b32_e32 v8, 2, v7
	ds_bpermute_b32 v7, v8, v6
	v_cmp_lt_i32_e32 vcc, v9, v3
	s_waitcnt lgkmcnt(0)
	v_max_f32_e32 v7, v7, v7
	v_max_f32_e32 v7, v6, v7
	v_cndmask_b32_e32 v6, v2, v9, vcc
	v_lshlrev_b32_e32 v9, 2, v6
	ds_bpermute_b32 v11, v9, v7
	v_cmp_eq_u32_e32 vcc, 0, v28
	v_lshlrev_b32_e32 v6, 2, v26
	s_and_saveexec_b64 s[0:1], vcc
	s_cbranch_execz .LBB241_311
; %bb.310:
	s_waitcnt lgkmcnt(0)
	v_max_f32_e32 v11, v11, v11
	v_max_f32_e32 v7, v7, v7
	;; [unrolled: 1-line block ×3, first 2 shown]
	ds_write_b32 v6, v7 offset:384
.LBB241_311:
	s_or_b64 exec, exec, s[0:1]
	v_cmp_gt_u32_e64 s[0:1], 2, v28
	s_waitcnt lgkmcnt(0)
	v_mov_b32_e32 v11, 0xff7fffff
	v_lshlrev_b32_e32 v7, 2, v28
	s_barrier
	s_and_saveexec_b64 s[2:3], s[0:1]
; %bb.312:
	ds_read_b32 v11, v7 offset:384
; %bb.313:
	s_or_b64 exec, exec, s[2:3]
	v_xor_b32_e32 v12, 1, v2
	v_cmp_lt_i32_e64 s[2:3], v12, v3
	v_lshlrev_b32_e32 v10, 2, v10
	s_nop 0
	v_cndmask_b32_e64 v12, v2, v12, s[2:3]
	v_lshlrev_b32_e32 v29, 2, v12
	s_waitcnt lgkmcnt(0)
	ds_bpermute_b32 v12, v29, v11
	v_max_f32_e32 v11, v11, v11
	s_lshl_b32 s2, s47, 4
	s_min_i32 s37, s2, s33
	v_cmp_gt_i32_e64 s[2:3], s37, v0
	s_waitcnt lgkmcnt(0)
	v_max_f32_e32 v12, v12, v12
	v_max_f32_e32 v11, v11, v12
	ds_bpermute_b32 v11, v10, v11
	v_mov_b32_e32 v10, 0
	s_and_saveexec_b64 s[12:13], s[2:3]
	s_cbranch_execz .LBB241_317
; %bb.314:
	v_mov_b32_e32 v10, 0x190
	v_lshl_add_u32 v12, v0, 2, v10
	v_mov_b32_e32 v10, 0
	s_mov_b64 s[18:19], 0
	v_mov_b32_e32 v13, v0
.LBB241_315:                            ; =>This Inner Loop Header: Depth=1
	ds_read_b32 v14, v12
	v_add_u32_e32 v13, 0x80, v13
	v_cmp_le_i32_e64 s[8:9], s37, v13
	s_or_b64 s[18:19], s[8:9], s[18:19]
	s_waitcnt lgkmcnt(0)
	v_sub_f32_e32 v14, v14, v11
	v_mul_f32_e32 v14, 0x3fb8aa3b, v14
	v_exp_f32_e32 v14, v14
	ds_write_b32 v12, v14
	v_add_f32_e32 v10, v10, v14
	v_add_u32_e32 v12, 0x200, v12
	s_andn2_b64 exec, exec, s[18:19]
	s_cbranch_execnz .LBB241_315
; %bb.316:
	s_or_b64 exec, exec, s[18:19]
.LBB241_317:
	s_or_b64 exec, exec, s[12:13]
	ds_bpermute_b32 v4, v4, v10
	s_waitcnt lgkmcnt(0)
	v_add_f32_e32 v4, v10, v4
	ds_bpermute_b32 v5, v5, v4
	s_waitcnt lgkmcnt(0)
	v_add_f32_e32 v4, v4, v5
	ds_bpermute_b32 v5, v8, v4
	v_xor_b32_e32 v8, 2, v2
	v_cmp_lt_i32_e64 s[8:9], v8, v3
	s_waitcnt lgkmcnt(0)
	v_add_f32_e32 v4, v4, v5
	ds_bpermute_b32 v5, v9, v4
	v_cndmask_b32_e64 v3, v2, v8, s[8:9]
	v_lshlrev_b32_e32 v3, 2, v3
	s_waitcnt lgkmcnt(0)
	v_add_f32_e32 v4, v4, v5
	ds_bpermute_b32 v3, v3, v4
	s_waitcnt lgkmcnt(0)
	v_add_f32_e32 v3, v4, v3
	ds_bpermute_b32 v4, v29, v3
	s_waitcnt lgkmcnt(0)
	v_add_f32_e32 v3, v3, v4
	s_and_saveexec_b64 s[8:9], vcc
; %bb.318:
	ds_write_b32 v6, v3 offset:392
; %bb.319:
	s_or_b64 exec, exec, s[8:9]
	s_waitcnt lgkmcnt(0)
	s_barrier
	s_and_saveexec_b64 s[8:9], s[0:1]
; %bb.320:
	ds_read_b32 v3, v7 offset:392
; %bb.321:
	s_or_b64 exec, exec, s[8:9]
	s_waitcnt lgkmcnt(0)
	ds_bpermute_b32 v4, v29, v3
	v_lshlrev_b32_e32 v2, 2, v2
	v_and_b32_e32 v2, 0x100, v2
	s_waitcnt lgkmcnt(0)
	v_add_f32_e32 v3, v3, v4
	ds_bpermute_b32 v2, v2, v3
	s_and_saveexec_b64 s[0:1], s[2:3]
	s_cbranch_execz .LBB241_334
; %bb.322:
	s_waitcnt lgkmcnt(0)
	v_add_f32_e32 v2, 0x358637bd, v2
	v_div_scale_f32 v3, s[2:3], v2, v2, 1.0
	v_rcp_f32_e32 v4, v3
	v_div_scale_f32 v5, vcc, 1.0, v2, 1.0
	s_movk_i32 s2, 0x7f
	v_fma_f32 v6, -v3, v4, 1.0
	v_fmac_f32_e32 v4, v6, v4
	v_mul_f32_e32 v6, v5, v4
	v_fma_f32 v7, -v3, v6, v5
	v_fmac_f32_e32 v6, v7, v4
	v_fma_f32 v3, -v3, v6, v5
	v_div_fmas_f32 v3, v3, v4, v6
	v_xad_u32 v4, v0, -1, s37
	v_div_fixup_f32 v2, v3, v2, 1.0
	v_cmp_lt_u32_e32 vcc, s2, v4
	s_mov_b64 s[8:9], -1
	v_mov_b32_e32 v3, v0
	s_and_saveexec_b64 s[2:3], vcc
	s_cbranch_execz .LBB241_331
; %bb.323:
	v_lshrrev_b32_e32 v4, 7, v4
	v_add_u32_e32 v6, -1, v4
	v_lshrrev_b32_e32 v5, 1, v6
	v_mov_b32_e32 v3, v2
	v_add_u32_e32 v5, 1, v5
	v_cmp_lt_u32_e32 vcc, 13, v6
	v_mov_b32_e32 v8, 0
	s_and_saveexec_b64 s[8:9], vcc
	s_cbranch_execz .LBB241_327
; %bb.324:
	v_mov_b32_e32 v7, 0x190
	v_and_b32_e32 v6, -8, v5
	v_lshl_add_u32 v7, v0, 2, v7
	s_mov_b32 s18, 0
	s_mov_b64 s[12:13], 0
.LBB241_325:                            ; =>This Inner Loop Header: Depth=1
	ds_read2st64_b32 v[8:9], v7 offset1:2
	ds_read2st64_b32 v[10:11], v7 offset0:4 offset1:6
	ds_read2st64_b32 v[12:13], v7 offset0:8 offset1:10
	;; [unrolled: 1-line block ×3, first 2 shown]
	v_add_u32_e32 v6, -8, v6
	s_waitcnt lgkmcnt(3)
	v_pk_mul_f32 v[8:9], v[2:3], v[8:9]
	s_waitcnt lgkmcnt(2)
	v_pk_mul_f32 v[10:11], v[2:3], v[10:11]
	ds_write2st64_b32 v7, v8, v9 offset1:2
	ds_write2st64_b32 v7, v10, v11 offset0:4 offset1:6
	ds_read2st64_b32 v[10:11], v7 offset0:16 offset1:18
	s_waitcnt lgkmcnt(4)
	v_pk_mul_f32 v[8:9], v[2:3], v[12:13]
	ds_write2st64_b32 v7, v8, v9 offset0:8 offset1:10
	s_waitcnt lgkmcnt(4)
	v_pk_mul_f32 v[8:9], v[2:3], v[14:15]
	ds_write2st64_b32 v7, v8, v9 offset0:12 offset1:14
	ds_read2st64_b32 v[8:9], v7 offset0:20 offset1:22
	s_waitcnt lgkmcnt(3)
	v_pk_mul_f32 v[10:11], v[2:3], v[10:11]
	ds_read2st64_b32 v[12:13], v7 offset0:24 offset1:26
	ds_write2st64_b32 v7, v10, v11 offset0:16 offset1:18
	ds_read2st64_b32 v[10:11], v7 offset0:28 offset1:30
	s_waitcnt lgkmcnt(3)
	v_pk_mul_f32 v[8:9], v[2:3], v[8:9]
	ds_write2st64_b32 v7, v8, v9 offset0:20 offset1:22
	s_waitcnt lgkmcnt(3)
	v_pk_mul_f32 v[8:9], v[2:3], v[12:13]
	ds_write2st64_b32 v7, v8, v9 offset0:24 offset1:26
	s_waitcnt lgkmcnt(2)
	v_pk_mul_f32 v[8:9], v[2:3], v[10:11]
	s_add_i32 s18, s18, 16
	v_cmp_eq_u32_e32 vcc, 0, v6
	ds_write2st64_b32 v7, v8, v9 offset0:28 offset1:30
	v_add_u32_e32 v7, 0x2000, v7
	s_or_b64 s[12:13], vcc, s[12:13]
	v_mov_b32_e32 v8, s18
	s_andn2_b64 exec, exec, s[12:13]
	s_cbranch_execnz .LBB241_325
; %bb.326:
	s_or_b64 exec, exec, s[12:13]
.LBB241_327:
	s_or_b64 exec, exec, s[8:9]
	v_and_b32_e32 v5, 7, v5
	v_cmp_ne_u32_e32 vcc, 0, v5
	s_and_saveexec_b64 s[8:9], vcc
	s_cbranch_execz .LBB241_330
; %bb.328:
	v_lshlrev_b32_e32 v6, 9, v8
	v_lshlrev_b32_e32 v7, 2, v0
	s_movk_i32 s12, 0x190
	v_add3_u32 v6, v6, v7, s12
	s_mov_b64 s[12:13], 0
.LBB241_329:                            ; =>This Inner Loop Header: Depth=1
	ds_read2st64_b32 v[8:9], v6 offset1:2
	v_add_u32_e32 v5, -1, v5
	v_cmp_eq_u32_e32 vcc, 0, v5
	s_or_b64 s[12:13], vcc, s[12:13]
	s_waitcnt lgkmcnt(0)
	v_pk_mul_f32 v[8:9], v[2:3], v[8:9]
	ds_write2st64_b32 v6, v8, v9 offset1:2
	v_add_u32_e32 v6, 0x400, v6
	s_andn2_b64 exec, exec, s[12:13]
	s_cbranch_execnz .LBB241_329
.LBB241_330:
	s_or_b64 exec, exec, s[8:9]
	v_add_u32_e32 v4, 1, v4
	v_and_b32_e32 v5, 0x3fffffe, v4
	v_cmp_ne_u32_e32 vcc, v4, v5
	v_lshl_add_u32 v3, v5, 7, v0
	s_orn2_b64 s[8:9], vcc, exec
.LBB241_331:
	s_or_b64 exec, exec, s[2:3]
	s_and_b64 exec, exec, s[8:9]
	s_cbranch_execz .LBB241_334
; %bb.332:
	v_mov_b32_e32 v4, 0x190
	v_lshl_add_u32 v4, v3, 2, v4
	s_mov_b64 s[2:3], 0
.LBB241_333:                            ; =>This Inner Loop Header: Depth=1
	ds_read_b32 v5, v4
	v_add_u32_e32 v3, 0x80, v3
	v_cmp_le_i32_e32 vcc, s37, v3
	s_or_b64 s[2:3], vcc, s[2:3]
	s_waitcnt lgkmcnt(0)
	v_mul_f32_e32 v5, v2, v5
	ds_write_b32 v4, v5
	v_add_u32_e32 v4, 0x200, v4
	s_andn2_b64 exec, exec, s[2:3]
	s_cbranch_execnz .LBB241_333
.LBB241_334:
	s_or_b64 exec, exec, s[0:1]
	v_mov_b32_e32 v3, 0
	v_and_b32_e32 v30, 1, v0
	s_waitcnt lgkmcnt(0)
	v_mov_b32_e32 v2, v3
	v_mov_b32_e32 v5, v3
	v_mov_b32_e32 v4, v3
	v_mov_b32_e32 v7, v3
	v_mov_b32_e32 v6, v3
	s_barrier
	s_and_saveexec_b64 s[2:3], s[6:7]
	s_cbranch_execz .LBB241_640
; %bb.335:
	s_sub_i32 s37, s16, s21
	s_ashr_i32 s1, s20, 31
	s_add_u32 s0, s34, s20
	s_addc_u32 s1, s35, s1
	s_abs_i32 s22, s22
	v_cvt_f32_u32_e32 v3, s22
	v_lshlrev_b32_e32 v2, 3, v0
	v_and_b32_e32 v31, 8, v2
	v_and_b32_e32 v8, 0x1f8, v2
	v_rcp_iflag_f32_e32 v2, v3
	v_mov_b32_e32 v9, 0
	v_lshl_add_u64 v[10:11], s[0:1], 0, v[8:9]
	s_sub_i32 s0, 0, s22
	v_mul_f32_e32 v2, 0x4f7ffffe, v2
	v_cvt_u32_f32_e32 v2, v2
	s_add_i32 s35, s47, -1
	v_and_b32_e32 v8, 60, v1
	v_lshlrev_b32_e32 v1, 5, v30
	v_mul_lo_u32 v3, s0, v2
	s_lshl_b64 s[0:1], s[30:31], 2
	s_add_u32 s0, s28, s0
	s_mov_b32 s6, -1
	v_mul_hi_u32 v3, v2, v3
	s_addc_u32 s1, s29, s1
	v_lshl_or_b32 v1, v26, 6, v1
	s_mov_b32 s34, s17
	s_mov_b32 s7, 0xffffff
	;; [unrolled: 1-line block ×3, first 2 shown]
	v_add_u32_e32 v32, v2, v3
	v_lshl_add_u64 v[12:13], s[0:1], 0, v[8:9]
	v_add_u32_e32 v33, 0x190, v1
	s_mov_b64 s[8:9], 0
	s_movk_i32 s28, 0x80
	s_movk_i32 s29, 0x7f
	s_mov_b32 s30, 0x8000
	v_mov_b32_e32 v34, 0x2000
	v_mov_b32_e32 v6, 0
	;; [unrolled: 1-line block ×7, first 2 shown]
	s_branch .LBB241_338
.LBB241_336:                            ;   in Loop: Header=BB241_338 Depth=1
	s_or_b64 exec, exec, s[0:1]
	v_add_f32_e32 v14, v24, v25
	v_add_f32_e32 v2, v2, v14
	;; [unrolled: 1-line block ×9, first 2 shown]
	;;#ASMSTART
	v_pk_mul_f16 v1, v46, v1;

	;;#ASMEND
	v_add_f32_e32 v6, v6, v14
	;;#ASMSTART
	v_pk_mul_f16 v8, v45, v8;

	;;#ASMEND
	;;#ASMSTART
	v_pk_mul_f16 v14, v44, v21;

	;;#ASMEND
	;; [unrolled: 4-line block ×3, first 2 shown]
	s_nop 0
	;;#ASMSTART
	v_pk_add_f16 v1, v1, v8;

	;;#ASMEND
	s_nop 0
	;;#ASMSTART
	v_pk_add_f16 v1, v1, v14;

	;;#ASMEND
	;; [unrolled: 5-line block ×3, first 2 shown]
	s_nop 0
	v_lshrrev_b32_e32 v8, 16, v1
	v_and_b32_e32 v1, 0xffff, v1
	;;#ASMSTART
	v_cvt_f32_f16 v1, v1;
	;;#ASMEND
	;;#ASMSTART
	v_cvt_f32_f16 v8, v8;
	;;#ASMEND
	s_nop 0
	v_add_f32_e32 v1, v1, v8
	v_add_f32_e32 v3, v3, v1
.LBB241_337:                            ;   in Loop: Header=BB241_338 Depth=1
	s_or_b64 exec, exec, s[12:13]
	v_add_u32_e32 v26, 2, v26
	v_cmp_le_i32_e32 vcc, s47, v26
	v_lshl_add_u64 v[12:13], v[12:13], 0, 8
	v_add_u32_e32 v27, 32, v27
	s_or_b64 s[8:9], vcc, s[8:9]
	v_add_u32_e32 v33, 0x80, v33
	s_andn2_b64 exec, exec, s[8:9]
	s_cbranch_execz .LBB241_639
.LBB241_338:                            ; =>This Inner Loop Header: Depth=1
	v_mul_hi_u32 v1, v27, s46
	v_mul_lo_u32 v8, v1, s25
	v_sub_u32_e32 v8, v27, v8
	v_add_u32_e32 v14, 1, v1
	v_cmp_le_u32_e32 vcc, s25, v8
	s_nop 1
	v_cndmask_b32_e32 v1, v1, v14, vcc
	v_subrev_u32_e32 v14, s25, v8
	v_cndmask_b32_e32 v8, v8, v14, vcc
	v_add_u32_e32 v14, 1, v1
	v_cmp_le_u32_e32 vcc, s25, v8
	s_nop 1
	v_cndmask_b32_e32 v1, v1, v14, vcc
	v_xor_b32_e32 v1, s23, v1
	v_subrev_u32_e32 v1, s23, v1
	v_add_u32_e32 v8, s36, v1
	v_sub_u32_e32 v15, 0, v8
	v_ashrrev_i32_e32 v14, 31, v8
	v_max_i32_e32 v8, v8, v15
	v_mul_hi_u32 v15, v8, v32
	v_mul_lo_u32 v15, v15, s22
	v_sub_u32_e32 v8, v8, v15
	v_subrev_u32_e32 v15, s22, v8
	v_cmp_le_u32_e32 vcc, s22, v8
	v_cmp_lt_i32_e64 s[0:1], s37, v1
	s_nop 0
	v_cndmask_b32_e32 v8, v8, v15, vcc
	v_subrev_u32_e32 v15, s22, v8
	v_cmp_le_u32_e32 vcc, s22, v8
	s_nop 1
	v_cndmask_b32_e32 v8, v8, v15, vcc
	v_xor_b32_e32 v8, v8, v14
	v_sub_u32_e32 v8, v8, v14
	v_cmp_eq_u32_e32 vcc, 0, v8
	s_or_b64 s[0:1], vcc, s[0:1]
	s_and_saveexec_b64 s[12:13], s[0:1]
	s_cbranch_execz .LBB241_337
; %bb.339:                              ;   in Loop: Header=BB241_338 Depth=1
	global_load_dword v1, v[12:13], off
	ds_read2_b64 v[14:17], v33 offset1:1
	ds_read2_b64 v[18:21], v33 offset0:2 offset1:3
	s_waitcnt lgkmcnt(1)
	;;#ASMSTART
	v_cvt_f16_f32 v43, v14;

	;;#ASMEND
	;;#ASMSTART
	v_cvt_f16_f32 v44, v15;

	;;#ASMEND
	;; [unrolled: 4-line block ×4, first 2 shown]
	s_waitcnt lgkmcnt(0)
	;;#ASMSTART
	v_cvt_f16_f32 v48, v18;

	;;#ASMEND
	;;#ASMSTART
	v_cvt_f16_f32 v49, v19;

	;;#ASMEND
	;; [unrolled: 4-line block ×4, first 2 shown]
	v_mov_b32_e32 v17, 0
	s_waitcnt vmcnt(0)
	v_mad_i64_i32 v[14:15], s[0:1], v1, s34, v[10:11]
	global_load_dwordx2 v[18:19], v[14:15], off
	v_mov_b32_e32 v1, 0
	global_load_dword v16, v1, s[14:15]
	s_waitcnt vmcnt(1)
	v_cmp_ne_u16_sdwa s[16:17], v18, v9 src0_sel:BYTE_0 src1_sel:DWORD
	s_and_saveexec_b64 s[0:1], s[16:17]
	s_cbranch_execz .LBB241_345
; %bb.340:                              ;   in Loop: Header=BB241_338 Depth=1
	v_cmp_ne_u16_sdwa s[18:19], v18, s28 src0_sel:BYTE_0 src1_sel:DWORD
	v_mov_b32_e32 v17, 0x8000
	s_and_saveexec_b64 s[16:17], s[18:19]
	s_cbranch_execz .LBB241_344
; %bb.341:                              ;   in Loop: Header=BB241_338 Depth=1
	v_and_b32_e32 v8, 0x7f, v18
	v_cmp_ne_u32_e32 vcc, s29, v8
	v_mov_b32_e32 v17, 0x7c01
	s_and_saveexec_b64 s[18:19], vcc
	s_cbranch_execz .LBB241_343
; %bb.342:                              ;   in Loop: Header=BB241_338 Depth=1
	v_and_b32_e32 v17, 7, v18
	v_ffbh_u32_e32 v20, v17
	v_min_u32_e32 v23, 32, v20
	v_subrev_u32_e32 v20, 28, v23
	v_lshlrev_b64 v[20:21], v20, v[18:19]
	v_lshrrev_b32_e32 v22, 3, v8
	v_sub_u32_e32 v21, 29, v23
	v_cmp_gt_u32_e32 vcc, 8, v8
	v_and_b32_e32 v20, 7, v20
	s_nop 0
	v_cndmask_b32_e32 v8, v22, v21, vcc
	v_lshl_add_u32 v8, v8, 10, v34
	v_lshlrev_b32_e32 v21, 8, v18
	v_and_b32_e32 v8, 0xfc00, v8
	v_cndmask_b32_e32 v17, v17, v20, vcc
	v_and_or_b32 v8, v21, s30, v8
	v_lshl_or_b32 v17, v17, 7, v8
.LBB241_343:                            ;   in Loop: Header=BB241_338 Depth=1
	s_or_b64 exec, exec, s[18:19]
.LBB241_344:                            ;   in Loop: Header=BB241_338 Depth=1
	s_or_b64 exec, exec, s[16:17]
.LBB241_345:                            ;   in Loop: Header=BB241_338 Depth=1
	s_or_b64 exec, exec, s[0:1]
	v_lshrrev_b16_e32 v8, 8, v18
	v_cmp_ne_u16_e32 vcc, 0, v8
	s_and_saveexec_b64 s[0:1], vcc
	s_cbranch_execz .LBB241_351
; %bb.346:                              ;   in Loop: Header=BB241_338 Depth=1
	v_cmp_ne_u16_e32 vcc, s28, v8
	v_bfrev_b32_e32 v1, 1
	s_and_saveexec_b64 s[16:17], vcc
	s_cbranch_execz .LBB241_350
; %bb.347:                              ;   in Loop: Header=BB241_338 Depth=1
	v_and_b32_e32 v20, 0x7f, v8
	v_cmp_ne_u32_e32 vcc, s29, v20
	v_mov_b32_e32 v1, 0x7c010000
	s_and_saveexec_b64 s[18:19], vcc
	s_cbranch_execz .LBB241_349
; %bb.348:                              ;   in Loop: Header=BB241_338 Depth=1
	v_and_b32_e32 v1, 7, v8
	v_ffbh_u32_e32 v22, v1
	v_min_u32_e32 v24, 32, v22
	v_subrev_u32_e32 v22, 28, v24
	v_lshlrev_b64 v[22:23], v22, v[8:9]
	v_lshrrev_b32_e32 v21, 3, v20
	v_sub_u32_e32 v23, 29, v24
	v_cmp_gt_u32_e32 vcc, 8, v20
	v_lshlrev_b32_e32 v8, 8, v8
	s_nop 0
	v_cndmask_b32_e32 v20, v21, v23, vcc
	v_lshl_add_u32 v20, v20, 10, v34
	v_and_b32_e32 v21, 7, v22
	v_and_or_b32 v8, v8, s30, v20
	v_cndmask_b32_e32 v1, v1, v21, vcc
	v_lshlrev_b32_e32 v8, 16, v8
	v_lshl_or_b32 v1, v1, 23, v8
.LBB241_349:                            ;   in Loop: Header=BB241_338 Depth=1
	s_or_b64 exec, exec, s[18:19]
.LBB241_350:                            ;   in Loop: Header=BB241_338 Depth=1
	s_or_b64 exec, exec, s[16:17]
.LBB241_351:                            ;   in Loop: Header=BB241_338 Depth=1
	s_or_b64 exec, exec, s[0:1]
	v_lshrrev_b32_e32 v8, 16, v18
	v_cmp_ne_u16_sdwa s[16:17], v8, v9 src0_sel:BYTE_0 src1_sel:DWORD
	v_mov_b32_e32 v21, 0
	v_mov_b32_e32 v20, 0
	s_and_saveexec_b64 s[0:1], s[16:17]
	s_cbranch_execz .LBB241_357
; %bb.352:                              ;   in Loop: Header=BB241_338 Depth=1
	v_cmp_ne_u16_sdwa s[18:19], v8, s28 src0_sel:BYTE_0 src1_sel:DWORD
	v_mov_b32_e32 v20, 0x8000
	s_and_saveexec_b64 s[16:17], s[18:19]
	s_cbranch_execz .LBB241_356
; %bb.353:                              ;   in Loop: Header=BB241_338 Depth=1
	v_bfe_u32 v22, v18, 16, 7
	v_cmp_ne_u32_e32 vcc, s29, v22
	v_mov_b32_e32 v20, 0x7c01
	s_and_saveexec_b64 s[18:19], vcc
	s_cbranch_execz .LBB241_355
; %bb.354:                              ;   in Loop: Header=BB241_338 Depth=1
	v_and_b32_e32 v20, 7, v8
	v_ffbh_u32_e32 v24, v20
	v_min_u32_e32 v35, 32, v24
	v_subrev_u32_e32 v24, 28, v35
	v_lshlrev_b64 v[24:25], v24, v[8:9]
	v_lshrrev_b32_e32 v23, 3, v22
	v_sub_u32_e32 v25, 29, v35
	v_cmp_gt_u32_e32 vcc, 8, v22
	v_lshlrev_b32_e32 v8, 8, v8
	s_nop 0
	v_cndmask_b32_e32 v22, v23, v25, vcc
	v_lshl_add_u32 v22, v22, 10, v34
	v_and_b32_e32 v23, 7, v24
	v_and_b32_e32 v22, 0xfc00, v22
	v_cndmask_b32_e32 v20, v20, v23, vcc
	v_and_or_b32 v8, v8, s30, v22
	v_lshl_or_b32 v20, v20, 7, v8
.LBB241_355:                            ;   in Loop: Header=BB241_338 Depth=1
	s_or_b64 exec, exec, s[18:19]
.LBB241_356:                            ;   in Loop: Header=BB241_338 Depth=1
	s_or_b64 exec, exec, s[16:17]
.LBB241_357:                            ;   in Loop: Header=BB241_338 Depth=1
	s_or_b64 exec, exec, s[0:1]
	v_cmp_lt_u32_e32 vcc, s7, v18
	s_and_saveexec_b64 s[0:1], vcc
	s_cbranch_execz .LBB241_363
; %bb.358:                              ;   in Loop: Header=BB241_338 Depth=1
	v_lshrrev_b32_e32 v8, 24, v18
	v_cmp_ne_u32_e32 vcc, s28, v8
	v_bfrev_b32_e32 v21, 1
	s_and_saveexec_b64 s[16:17], vcc
	s_cbranch_execz .LBB241_362
; %bb.359:                              ;   in Loop: Header=BB241_338 Depth=1
	v_and_b32_e32 v22, 0x7f, v8
	v_cmp_ne_u32_e32 vcc, s29, v22
	v_mov_b32_e32 v21, 0x7c010000
	s_and_saveexec_b64 s[18:19], vcc
	s_cbranch_execz .LBB241_361
; %bb.360:                              ;   in Loop: Header=BB241_338 Depth=1
	v_and_b32_e32 v21, 7, v8
	v_ffbh_u32_e32 v24, v21
	v_min_u32_e32 v35, 32, v24
	v_subrev_u32_e32 v24, 28, v35
	v_lshlrev_b64 v[24:25], v24, v[8:9]
	v_lshrrev_b32_e32 v23, 3, v22
	v_sub_u32_e32 v25, 29, v35
	v_cmp_gt_u32_e32 vcc, 8, v22
	v_lshlrev_b32_e32 v8, 8, v8
	s_nop 0
	v_cndmask_b32_e32 v22, v23, v25, vcc
	v_lshl_add_u32 v22, v22, 10, v34
	v_and_b32_e32 v23, 7, v24
	v_and_or_b32 v8, v8, s30, v22
	v_cndmask_b32_e32 v21, v21, v23, vcc
	v_lshlrev_b32_e32 v8, 16, v8
	v_lshl_or_b32 v21, v21, 23, v8
.LBB241_361:                            ;   in Loop: Header=BB241_338 Depth=1
	s_or_b64 exec, exec, s[18:19]
.LBB241_362:                            ;   in Loop: Header=BB241_338 Depth=1
	s_or_b64 exec, exec, s[16:17]
.LBB241_363:                            ;   in Loop: Header=BB241_338 Depth=1
	s_or_b64 exec, exec, s[0:1]
	v_mov_b32_e32 v8, v19
	v_cmp_ne_u16_sdwa s[16:17], v19, v9 src0_sel:BYTE_0 src1_sel:DWORD
	v_mov_b32_e32 v22, 0
	v_mov_b32_e32 v23, 0
	s_and_saveexec_b64 s[0:1], s[16:17]
	s_cbranch_execz .LBB241_369
; %bb.364:                              ;   in Loop: Header=BB241_338 Depth=1
	v_cmp_ne_u16_sdwa s[18:19], v19, s28 src0_sel:BYTE_0 src1_sel:DWORD
	v_mov_b32_e32 v23, 0x8000
	s_and_saveexec_b64 s[16:17], s[18:19]
	s_cbranch_execz .LBB241_368
; %bb.365:                              ;   in Loop: Header=BB241_338 Depth=1
	v_and_b32_e32 v24, 0x7f, v19
	v_cmp_ne_u32_e32 vcc, s29, v24
	v_mov_b32_e32 v23, 0x7c01
	s_and_saveexec_b64 s[18:19], vcc
	s_cbranch_execz .LBB241_367
; %bb.366:                              ;   in Loop: Header=BB241_338 Depth=1
	v_and_b32_e32 v23, 7, v19
	v_ffbh_u32_e32 v35, v23
	v_min_u32_e32 v35, 32, v35
	v_lshrrev_b32_e32 v25, 3, v24
	v_subrev_u32_e32 v36, 28, v35
	v_sub_u32_e32 v35, 29, v35
	v_cmp_gt_u32_e32 vcc, 8, v24
	v_lshlrev_b64 v[36:37], v36, v[8:9]
	s_nop 0
	v_cndmask_b32_e32 v24, v25, v35, vcc
	v_lshl_add_u32 v24, v24, 10, v34
	v_lshlrev_b32_e32 v25, 8, v19
	v_and_b32_e32 v35, 7, v36
	v_and_b32_e32 v24, 0xfc00, v24
	v_cndmask_b32_e32 v23, v23, v35, vcc
	v_and_or_b32 v24, v25, s30, v24
	v_lshl_or_b32 v23, v23, 7, v24
.LBB241_367:                            ;   in Loop: Header=BB241_338 Depth=1
	s_or_b64 exec, exec, s[18:19]
.LBB241_368:                            ;   in Loop: Header=BB241_338 Depth=1
	s_or_b64 exec, exec, s[16:17]
.LBB241_369:                            ;   in Loop: Header=BB241_338 Depth=1
	s_or_b64 exec, exec, s[0:1]
	v_lshrrev_b16_e32 v8, 8, v8
	v_cmp_ne_u16_e32 vcc, 0, v8
	v_mov_b32_e32 v24, 0
	s_and_saveexec_b64 s[0:1], vcc
	s_cbranch_execz .LBB241_375
; %bb.370:                              ;   in Loop: Header=BB241_338 Depth=1
	v_cmp_ne_u16_e32 vcc, s28, v8
	v_bfrev_b32_e32 v24, 1
	s_and_saveexec_b64 s[16:17], vcc
	s_cbranch_execz .LBB241_374
; %bb.371:                              ;   in Loop: Header=BB241_338 Depth=1
	v_and_b32_e32 v25, 0x7f, v8
	v_cmp_ne_u32_e32 vcc, s29, v25
	v_mov_b32_e32 v24, 0x7c010000
	s_and_saveexec_b64 s[18:19], vcc
	s_cbranch_execz .LBB241_373
; %bb.372:                              ;   in Loop: Header=BB241_338 Depth=1
	v_and_b32_e32 v24, 7, v8
	v_ffbh_u32_e32 v36, v24
	v_min_u32_e32 v38, 32, v36
	v_subrev_u32_e32 v36, 28, v38
	v_lshlrev_b64 v[36:37], v36, v[8:9]
	v_lshrrev_b32_e32 v35, 3, v25
	v_sub_u32_e32 v37, 29, v38
	v_cmp_gt_u32_e32 vcc, 8, v25
	v_lshlrev_b32_e32 v8, 8, v8
	s_nop 0
	v_cndmask_b32_e32 v25, v35, v37, vcc
	v_lshl_add_u32 v25, v25, 10, v34
	v_and_b32_e32 v35, 7, v36
	v_and_or_b32 v8, v8, s30, v25
	v_cndmask_b32_e32 v24, v24, v35, vcc
	v_lshlrev_b32_e32 v8, 16, v8
	v_lshl_or_b32 v24, v24, 23, v8
.LBB241_373:                            ;   in Loop: Header=BB241_338 Depth=1
	s_or_b64 exec, exec, s[18:19]
.LBB241_374:                            ;   in Loop: Header=BB241_338 Depth=1
	s_or_b64 exec, exec, s[16:17]
.LBB241_375:                            ;   in Loop: Header=BB241_338 Depth=1
	s_or_b64 exec, exec, s[0:1]
	v_lshrrev_b32_e32 v8, 16, v19
	v_cmp_ne_u16_sdwa s[16:17], v8, v9 src0_sel:BYTE_0 src1_sel:DWORD
	s_and_saveexec_b64 s[0:1], s[16:17]
	s_cbranch_execz .LBB241_381
; %bb.376:                              ;   in Loop: Header=BB241_338 Depth=1
	v_cmp_ne_u16_sdwa s[18:19], v8, s28 src0_sel:BYTE_0 src1_sel:DWORD
	v_mov_b32_e32 v22, 0x8000
	s_and_saveexec_b64 s[16:17], s[18:19]
	s_cbranch_execz .LBB241_380
; %bb.377:                              ;   in Loop: Header=BB241_338 Depth=1
	v_bfe_u32 v25, v19, 16, 7
	v_cmp_ne_u32_e32 vcc, s29, v25
	v_mov_b32_e32 v22, 0x7c01
	s_and_saveexec_b64 s[18:19], vcc
	s_cbranch_execz .LBB241_379
; %bb.378:                              ;   in Loop: Header=BB241_338 Depth=1
	v_and_b32_e32 v22, 7, v8
	v_ffbh_u32_e32 v36, v22
	v_min_u32_e32 v38, 32, v36
	v_subrev_u32_e32 v36, 28, v38
	v_lshlrev_b64 v[36:37], v36, v[8:9]
	v_lshrrev_b32_e32 v35, 3, v25
	v_sub_u32_e32 v37, 29, v38
	v_cmp_gt_u32_e32 vcc, 8, v25
	v_lshlrev_b32_e32 v8, 8, v8
	s_nop 0
	v_cndmask_b32_e32 v25, v35, v37, vcc
	v_lshl_add_u32 v25, v25, 10, v34
	v_and_b32_e32 v35, 7, v36
	v_and_b32_e32 v25, 0xfc00, v25
	v_cndmask_b32_e32 v22, v22, v35, vcc
	v_and_or_b32 v8, v8, s30, v25
	v_lshl_or_b32 v22, v22, 7, v8
.LBB241_379:                            ;   in Loop: Header=BB241_338 Depth=1
	s_or_b64 exec, exec, s[18:19]
.LBB241_380:                            ;   in Loop: Header=BB241_338 Depth=1
	s_or_b64 exec, exec, s[16:17]
.LBB241_381:                            ;   in Loop: Header=BB241_338 Depth=1
	s_or_b64 exec, exec, s[0:1]
	v_cmp_lt_u64_e32 vcc, s[6:7], v[18:19]
	v_mov_b32_e32 v25, 0
	s_and_saveexec_b64 s[0:1], vcc
	s_cbranch_execz .LBB241_387
; %bb.382:                              ;   in Loop: Header=BB241_338 Depth=1
	v_lshrrev_b32_e32 v8, 24, v19
	v_cmp_ne_u32_e32 vcc, s28, v8
	v_bfrev_b32_e32 v25, 1
	s_and_saveexec_b64 s[16:17], vcc
	s_cbranch_execz .LBB241_386
; %bb.383:                              ;   in Loop: Header=BB241_338 Depth=1
	v_and_b32_e32 v18, 0x7f, v8
	v_cmp_ne_u32_e32 vcc, s29, v18
	v_mov_b32_e32 v25, 0x7c010000
	s_and_saveexec_b64 s[18:19], vcc
	s_cbranch_execz .LBB241_385
; %bb.384:                              ;   in Loop: Header=BB241_338 Depth=1
	v_and_b32_e32 v19, 7, v8
	v_ffbh_u32_e32 v35, v19
	v_min_u32_e32 v35, 32, v35
	v_lshrrev_b32_e32 v25, 3, v18
	v_subrev_u32_e32 v36, 28, v35
	v_sub_u32_e32 v35, 29, v35
	v_cmp_gt_u32_e32 vcc, 8, v18
	v_lshlrev_b64 v[36:37], v36, v[8:9]
	v_lshlrev_b32_e32 v8, 8, v8
	v_cndmask_b32_e32 v18, v25, v35, vcc
	v_lshl_add_u32 v18, v18, 10, v34
	v_and_b32_e32 v25, 7, v36
	v_and_or_b32 v8, v8, s30, v18
	v_cndmask_b32_e32 v19, v19, v25, vcc
	v_lshlrev_b32_e32 v8, 16, v8
	v_lshl_or_b32 v25, v19, 23, v8
.LBB241_385:                            ;   in Loop: Header=BB241_338 Depth=1
	s_or_b64 exec, exec, s[18:19]
.LBB241_386:                            ;   in Loop: Header=BB241_338 Depth=1
	s_or_b64 exec, exec, s[16:17]
.LBB241_387:                            ;   in Loop: Header=BB241_338 Depth=1
	s_or_b64 exec, exec, s[0:1]
	v_cvt_f32_f16_sdwa v19, v1 dst_sel:DWORD dst_unused:UNUSED_PAD src0_sel:WORD_1
	v_cvt_f32_f16_sdwa v18, v21 dst_sel:DWORD dst_unused:UNUSED_PAD src0_sel:WORD_1
	v_or_b32_e32 v1, v1, v17
	v_or_b32_e32 v8, v21, v20
	v_cvt_f32_f16_e32 v20, v8
	v_cvt_f32_f16_e32 v21, v1
	s_waitcnt vmcnt(0)
	v_pk_mul_f32 v[18:19], v[16:17], v[18:19] op_sel_hi:[0,1]
	v_cvt_pk_f16_f32 v1, v18, v19
	v_and_b32_e32 v17, 0xffff0000, v1
	v_pk_mul_f32 v[20:21], v[16:17], v[20:21] op_sel_hi:[0,1]
	v_lshlrev_b32_e32 v18, 16, v1
	v_cvt_pk_f16_f32 v1, v20, v21
	v_or_b32_e32 v8, v24, v23
	v_or_b32_e32 v21, v25, v22
	v_cvt_f32_f16_e32 v22, v21
	v_cvt_f32_f16_e32 v23, v8
	v_cvt_f32_f16_sdwa v37, v24 dst_sel:DWORD dst_unused:UNUSED_PAD src0_sel:WORD_1
	v_cvt_f32_f16_sdwa v36, v25 dst_sel:DWORD dst_unused:UNUSED_PAD src0_sel:WORD_1
	v_add_u32_e32 v35, v31, v27
	v_pk_mul_f32 v[22:23], v[16:17], v[22:23] op_sel_hi:[0,1]
	v_cvt_pk_f16_f32 v24, v22, v23
	v_pk_mul_f32 v[22:23], v[16:17], v[36:37] op_sel_hi:[0,1]
	v_cvt_pk_f16_f32 v16, v22, v23
	v_lshrrev_b32_e32 v19, 16, v1
	v_and_b32_e32 v20, 0xffff, v1
	v_and_b32_e32 v21, 0xffff0000, v16
	v_lshlrev_b32_e32 v16, 16, v16
	v_lshrrev_b32_e32 v25, 16, v24
	v_and_b32_e32 v24, 0xffff, v24
	v_cmp_eq_u32_e32 vcc, s35, v26
	v_or_b32_e32 v1, v17, v19
	v_or_b32_e32 v8, v18, v20
	;; [unrolled: 1-line block ×4, first 2 shown]
	v_add_u32_e32 v42, 2, v35
	v_or_b32_e32 v41, 1, v35
	v_or_b32_e32 v40, 3, v35
	;; [unrolled: 1-line block ×6, first 2 shown]
	s_and_saveexec_b64 s[16:17], vcc
	s_cbranch_execz .LBB241_389
; %bb.388:                              ;   in Loop: Header=BB241_338 Depth=1
	v_cmp_gt_i32_e64 s[0:1], s38, v35
	s_nop 1
	v_cndmask_b32_e64 v1, 0, v19, s[0:1]
	v_cmp_gt_i32_e64 s[0:1], s33, v42
	s_nop 1
	v_cndmask_b32_e64 v8, 0, v20, s[0:1]
	;; [unrolled: 3-line block ×3, first 2 shown]
	v_cmp_gt_i32_e64 s[0:1], s33, v40
	v_or_b32_e32 v1, v17, v1
	s_nop 0
	v_cndmask_b32_e64 v18, 0, v18, s[0:1]
	v_cmp_gt_i32_e64 s[0:1], s38, v39
	v_or_b32_e32 v8, v18, v8
	s_nop 0
	v_cndmask_b32_e64 v17, 0, v25, s[0:1]
	v_cmp_gt_i32_e64 s[0:1], s33, v38
	s_nop 1
	v_cndmask_b32_e64 v18, 0, v24, s[0:1]
	v_cmp_gt_i32_e64 s[0:1], s38, v37
	;; [unrolled: 3-line block ×3, first 2 shown]
	v_or_b32_e32 v23, v19, v17
	s_nop 0
	v_cndmask_b32_e64 v16, 0, v16, s[0:1]
	v_or_b32_e32 v22, v16, v18
.LBB241_389:                            ;   in Loop: Header=BB241_338 Depth=1
	s_or_b64 exec, exec, s[16:17]
	v_and_b32_e32 v16, 0xffff, v43
	v_lshl_or_b32 v46, v44, 16, v16
	v_and_b32_e32 v16, 0xffff, v45
	v_lshl_or_b32 v45, v47, 16, v16
	;; [unrolled: 2-line block ×3, first 2 shown]
	v_and_b32_e32 v16, 0xffff, v50
	;;#ASMSTART
	v_pk_mul_f16 v1, v46, v1;

	;;#ASMEND
	v_lshl_or_b32 v43, v51, 16, v16
	;;#ASMSTART
	v_pk_mul_f16 v8, v45, v8;

	;;#ASMEND
	;;#ASMSTART
	v_pk_mul_f16 v16, v44, v23;

	;;#ASMEND
	;;#ASMSTART
	v_pk_mul_f16 v17, v43, v22;

	;;#ASMEND
	s_nop 0
	;;#ASMSTART
	v_pk_add_f16 v1, v1, v8;

	;;#ASMEND
	s_nop 0
	;;#ASMSTART
	v_pk_add_f16 v1, v1, v16;

	;;#ASMEND
	;; [unrolled: 5-line block ×3, first 2 shown]
	v_mov_b32_e32 v17, 0
	v_lshrrev_b32_e32 v8, 16, v1
	v_and_b32_e32 v1, 0xffff, v1
	;;#ASMSTART
	v_cvt_f32_f16 v47, v1;
	;;#ASMEND
	;;#ASMSTART
	v_cvt_f32_f16 v48, v8;
	;;#ASMEND
	global_load_dwordx2 v[18:19], v[14:15], off offset:512
	v_mov_b32_e32 v1, 0
	global_load_dword v16, v1, s[14:15]
	s_waitcnt vmcnt(1)
	v_cmp_ne_u16_sdwa s[0:1], v18, v9 src0_sel:BYTE_0 src1_sel:DWORD
	s_and_saveexec_b64 s[16:17], s[0:1]
	s_cbranch_execz .LBB241_395
; %bb.390:                              ;   in Loop: Header=BB241_338 Depth=1
	v_cmp_ne_u16_sdwa s[0:1], v18, s28 src0_sel:BYTE_0 src1_sel:DWORD
	v_mov_b32_e32 v17, 0x8000
	s_and_saveexec_b64 s[18:19], s[0:1]
	s_cbranch_execz .LBB241_394
; %bb.391:                              ;   in Loop: Header=BB241_338 Depth=1
	v_and_b32_e32 v8, 0x7f, v18
	v_cmp_ne_u32_e64 s[0:1], s29, v8
	v_mov_b32_e32 v17, 0x7c01
	s_and_saveexec_b64 s[20:21], s[0:1]
	s_cbranch_execz .LBB241_393
; %bb.392:                              ;   in Loop: Header=BB241_338 Depth=1
	v_and_b32_e32 v17, 7, v18
	v_ffbh_u32_e32 v20, v17
	v_min_u32_e32 v23, 32, v20
	v_subrev_u32_e32 v20, 28, v23
	v_lshlrev_b64 v[20:21], v20, v[18:19]
	v_lshrrev_b32_e32 v22, 3, v8
	v_sub_u32_e32 v21, 29, v23
	v_cmp_gt_u32_e64 s[0:1], 8, v8
	v_and_b32_e32 v20, 7, v20
	s_nop 0
	v_cndmask_b32_e64 v8, v22, v21, s[0:1]
	v_lshl_add_u32 v8, v8, 10, v34
	v_lshlrev_b32_e32 v21, 8, v18
	v_and_b32_e32 v8, 0xfc00, v8
	v_cndmask_b32_e64 v17, v17, v20, s[0:1]
	v_and_or_b32 v8, v21, s30, v8
	v_lshl_or_b32 v17, v17, 7, v8
.LBB241_393:                            ;   in Loop: Header=BB241_338 Depth=1
	s_or_b64 exec, exec, s[20:21]
.LBB241_394:                            ;   in Loop: Header=BB241_338 Depth=1
	s_or_b64 exec, exec, s[18:19]
.LBB241_395:                            ;   in Loop: Header=BB241_338 Depth=1
	s_or_b64 exec, exec, s[16:17]
	v_lshrrev_b16_e32 v8, 8, v18
	v_cmp_ne_u16_e64 s[0:1], 0, v8
	s_and_saveexec_b64 s[16:17], s[0:1]
	s_cbranch_execz .LBB241_401
; %bb.396:                              ;   in Loop: Header=BB241_338 Depth=1
	v_cmp_ne_u16_e64 s[0:1], s28, v8
	v_bfrev_b32_e32 v1, 1
	s_and_saveexec_b64 s[18:19], s[0:1]
	s_cbranch_execz .LBB241_400
; %bb.397:                              ;   in Loop: Header=BB241_338 Depth=1
	v_and_b32_e32 v20, 0x7f, v8
	v_cmp_ne_u32_e64 s[0:1], s29, v20
	v_mov_b32_e32 v1, 0x7c010000
	s_and_saveexec_b64 s[20:21], s[0:1]
	s_cbranch_execz .LBB241_399
; %bb.398:                              ;   in Loop: Header=BB241_338 Depth=1
	v_and_b32_e32 v1, 7, v8
	v_ffbh_u32_e32 v22, v1
	v_min_u32_e32 v24, 32, v22
	v_subrev_u32_e32 v22, 28, v24
	v_lshlrev_b64 v[22:23], v22, v[8:9]
	v_lshrrev_b32_e32 v21, 3, v20
	v_sub_u32_e32 v23, 29, v24
	v_cmp_gt_u32_e64 s[0:1], 8, v20
	v_lshlrev_b32_e32 v8, 8, v8
	s_nop 0
	v_cndmask_b32_e64 v20, v21, v23, s[0:1]
	v_lshl_add_u32 v20, v20, 10, v34
	v_and_b32_e32 v21, 7, v22
	v_and_or_b32 v8, v8, s30, v20
	v_cndmask_b32_e64 v1, v1, v21, s[0:1]
	v_lshlrev_b32_e32 v8, 16, v8
	v_lshl_or_b32 v1, v1, 23, v8
.LBB241_399:                            ;   in Loop: Header=BB241_338 Depth=1
	s_or_b64 exec, exec, s[20:21]
.LBB241_400:                            ;   in Loop: Header=BB241_338 Depth=1
	s_or_b64 exec, exec, s[18:19]
.LBB241_401:                            ;   in Loop: Header=BB241_338 Depth=1
	s_or_b64 exec, exec, s[16:17]
	v_lshrrev_b32_e32 v8, 16, v18
	v_cmp_ne_u16_sdwa s[0:1], v8, v9 src0_sel:BYTE_0 src1_sel:DWORD
	v_mov_b32_e32 v21, 0
	v_mov_b32_e32 v20, 0
	s_and_saveexec_b64 s[16:17], s[0:1]
	s_cbranch_execz .LBB241_407
; %bb.402:                              ;   in Loop: Header=BB241_338 Depth=1
	v_cmp_ne_u16_sdwa s[0:1], v8, s28 src0_sel:BYTE_0 src1_sel:DWORD
	v_mov_b32_e32 v20, 0x8000
	s_and_saveexec_b64 s[18:19], s[0:1]
	s_cbranch_execz .LBB241_406
; %bb.403:                              ;   in Loop: Header=BB241_338 Depth=1
	v_bfe_u32 v22, v18, 16, 7
	v_cmp_ne_u32_e64 s[0:1], s29, v22
	v_mov_b32_e32 v20, 0x7c01
	s_and_saveexec_b64 s[20:21], s[0:1]
	s_cbranch_execz .LBB241_405
; %bb.404:                              ;   in Loop: Header=BB241_338 Depth=1
	v_and_b32_e32 v20, 7, v8
	v_ffbh_u32_e32 v24, v20
	v_min_u32_e32 v49, 32, v24
	v_subrev_u32_e32 v24, 28, v49
	v_lshlrev_b64 v[24:25], v24, v[8:9]
	v_lshrrev_b32_e32 v23, 3, v22
	v_sub_u32_e32 v25, 29, v49
	v_cmp_gt_u32_e64 s[0:1], 8, v22
	v_lshlrev_b32_e32 v8, 8, v8
	s_nop 0
	v_cndmask_b32_e64 v22, v23, v25, s[0:1]
	v_lshl_add_u32 v22, v22, 10, v34
	v_and_b32_e32 v23, 7, v24
	v_and_b32_e32 v22, 0xfc00, v22
	v_cndmask_b32_e64 v20, v20, v23, s[0:1]
	v_and_or_b32 v8, v8, s30, v22
	v_lshl_or_b32 v20, v20, 7, v8
.LBB241_405:                            ;   in Loop: Header=BB241_338 Depth=1
	s_or_b64 exec, exec, s[20:21]
.LBB241_406:                            ;   in Loop: Header=BB241_338 Depth=1
	s_or_b64 exec, exec, s[18:19]
.LBB241_407:                            ;   in Loop: Header=BB241_338 Depth=1
	s_or_b64 exec, exec, s[16:17]
	v_cmp_lt_u32_e64 s[0:1], s7, v18
	s_and_saveexec_b64 s[16:17], s[0:1]
	s_cbranch_execz .LBB241_413
; %bb.408:                              ;   in Loop: Header=BB241_338 Depth=1
	v_lshrrev_b32_e32 v8, 24, v18
	v_cmp_ne_u32_e64 s[0:1], s28, v8
	v_bfrev_b32_e32 v21, 1
	s_and_saveexec_b64 s[18:19], s[0:1]
	s_cbranch_execz .LBB241_412
; %bb.409:                              ;   in Loop: Header=BB241_338 Depth=1
	v_and_b32_e32 v22, 0x7f, v8
	v_cmp_ne_u32_e64 s[0:1], s29, v22
	v_mov_b32_e32 v21, 0x7c010000
	s_and_saveexec_b64 s[20:21], s[0:1]
	s_cbranch_execz .LBB241_411
; %bb.410:                              ;   in Loop: Header=BB241_338 Depth=1
	v_and_b32_e32 v21, 7, v8
	v_ffbh_u32_e32 v24, v21
	v_min_u32_e32 v49, 32, v24
	v_subrev_u32_e32 v24, 28, v49
	v_lshlrev_b64 v[24:25], v24, v[8:9]
	v_lshrrev_b32_e32 v23, 3, v22
	v_sub_u32_e32 v25, 29, v49
	v_cmp_gt_u32_e64 s[0:1], 8, v22
	v_lshlrev_b32_e32 v8, 8, v8
	s_nop 0
	v_cndmask_b32_e64 v22, v23, v25, s[0:1]
	v_lshl_add_u32 v22, v22, 10, v34
	v_and_b32_e32 v23, 7, v24
	v_and_or_b32 v8, v8, s30, v22
	v_cndmask_b32_e64 v21, v21, v23, s[0:1]
	v_lshlrev_b32_e32 v8, 16, v8
	v_lshl_or_b32 v21, v21, 23, v8
.LBB241_411:                            ;   in Loop: Header=BB241_338 Depth=1
	s_or_b64 exec, exec, s[20:21]
.LBB241_412:                            ;   in Loop: Header=BB241_338 Depth=1
	s_or_b64 exec, exec, s[18:19]
.LBB241_413:                            ;   in Loop: Header=BB241_338 Depth=1
	s_or_b64 exec, exec, s[16:17]
	v_mov_b32_e32 v8, v19
	v_cmp_ne_u16_sdwa s[0:1], v19, v9 src0_sel:BYTE_0 src1_sel:DWORD
	v_mov_b32_e32 v22, 0
	v_mov_b32_e32 v23, 0
	s_and_saveexec_b64 s[16:17], s[0:1]
	s_cbranch_execz .LBB241_419
; %bb.414:                              ;   in Loop: Header=BB241_338 Depth=1
	v_cmp_ne_u16_sdwa s[0:1], v19, s28 src0_sel:BYTE_0 src1_sel:DWORD
	v_mov_b32_e32 v23, 0x8000
	s_and_saveexec_b64 s[18:19], s[0:1]
	s_cbranch_execz .LBB241_418
; %bb.415:                              ;   in Loop: Header=BB241_338 Depth=1
	v_and_b32_e32 v24, 0x7f, v19
	v_cmp_ne_u32_e64 s[0:1], s29, v24
	v_mov_b32_e32 v23, 0x7c01
	s_and_saveexec_b64 s[20:21], s[0:1]
	s_cbranch_execz .LBB241_417
; %bb.416:                              ;   in Loop: Header=BB241_338 Depth=1
	v_and_b32_e32 v23, 7, v19
	v_ffbh_u32_e32 v49, v23
	v_min_u32_e32 v49, 32, v49
	v_lshrrev_b32_e32 v25, 3, v24
	v_subrev_u32_e32 v50, 28, v49
	v_sub_u32_e32 v49, 29, v49
	v_cmp_gt_u32_e64 s[0:1], 8, v24
	v_lshlrev_b64 v[50:51], v50, v[8:9]
	s_nop 0
	v_cndmask_b32_e64 v24, v25, v49, s[0:1]
	v_lshl_add_u32 v24, v24, 10, v34
	v_lshlrev_b32_e32 v25, 8, v19
	v_and_b32_e32 v49, 7, v50
	v_and_b32_e32 v24, 0xfc00, v24
	v_cndmask_b32_e64 v23, v23, v49, s[0:1]
	v_and_or_b32 v24, v25, s30, v24
	v_lshl_or_b32 v23, v23, 7, v24
.LBB241_417:                            ;   in Loop: Header=BB241_338 Depth=1
	s_or_b64 exec, exec, s[20:21]
.LBB241_418:                            ;   in Loop: Header=BB241_338 Depth=1
	s_or_b64 exec, exec, s[18:19]
.LBB241_419:                            ;   in Loop: Header=BB241_338 Depth=1
	s_or_b64 exec, exec, s[16:17]
	v_lshrrev_b16_e32 v8, 8, v8
	v_cmp_ne_u16_e64 s[0:1], 0, v8
	v_mov_b32_e32 v24, 0
	s_and_saveexec_b64 s[16:17], s[0:1]
	s_cbranch_execz .LBB241_425
; %bb.420:                              ;   in Loop: Header=BB241_338 Depth=1
	v_cmp_ne_u16_e64 s[0:1], s28, v8
	v_bfrev_b32_e32 v24, 1
	s_and_saveexec_b64 s[18:19], s[0:1]
	s_cbranch_execz .LBB241_424
; %bb.421:                              ;   in Loop: Header=BB241_338 Depth=1
	v_and_b32_e32 v25, 0x7f, v8
	v_cmp_ne_u32_e64 s[0:1], s29, v25
	v_mov_b32_e32 v24, 0x7c010000
	s_and_saveexec_b64 s[20:21], s[0:1]
	s_cbranch_execz .LBB241_423
; %bb.422:                              ;   in Loop: Header=BB241_338 Depth=1
	v_and_b32_e32 v24, 7, v8
	v_ffbh_u32_e32 v50, v24
	v_min_u32_e32 v52, 32, v50
	v_subrev_u32_e32 v50, 28, v52
	v_lshlrev_b64 v[50:51], v50, v[8:9]
	v_lshrrev_b32_e32 v49, 3, v25
	v_sub_u32_e32 v51, 29, v52
	v_cmp_gt_u32_e64 s[0:1], 8, v25
	v_lshlrev_b32_e32 v8, 8, v8
	s_nop 0
	v_cndmask_b32_e64 v25, v49, v51, s[0:1]
	v_lshl_add_u32 v25, v25, 10, v34
	v_and_b32_e32 v49, 7, v50
	v_and_or_b32 v8, v8, s30, v25
	v_cndmask_b32_e64 v24, v24, v49, s[0:1]
	v_lshlrev_b32_e32 v8, 16, v8
	v_lshl_or_b32 v24, v24, 23, v8
.LBB241_423:                            ;   in Loop: Header=BB241_338 Depth=1
	s_or_b64 exec, exec, s[20:21]
.LBB241_424:                            ;   in Loop: Header=BB241_338 Depth=1
	s_or_b64 exec, exec, s[18:19]
.LBB241_425:                            ;   in Loop: Header=BB241_338 Depth=1
	s_or_b64 exec, exec, s[16:17]
	v_lshrrev_b32_e32 v8, 16, v19
	v_cmp_ne_u16_sdwa s[0:1], v8, v9 src0_sel:BYTE_0 src1_sel:DWORD
	s_and_saveexec_b64 s[16:17], s[0:1]
	s_cbranch_execz .LBB241_431
; %bb.426:                              ;   in Loop: Header=BB241_338 Depth=1
	v_cmp_ne_u16_sdwa s[0:1], v8, s28 src0_sel:BYTE_0 src1_sel:DWORD
	v_mov_b32_e32 v22, 0x8000
	s_and_saveexec_b64 s[18:19], s[0:1]
	s_cbranch_execz .LBB241_430
; %bb.427:                              ;   in Loop: Header=BB241_338 Depth=1
	v_bfe_u32 v25, v19, 16, 7
	v_cmp_ne_u32_e64 s[0:1], s29, v25
	v_mov_b32_e32 v22, 0x7c01
	s_and_saveexec_b64 s[20:21], s[0:1]
	s_cbranch_execz .LBB241_429
; %bb.428:                              ;   in Loop: Header=BB241_338 Depth=1
	v_and_b32_e32 v22, 7, v8
	v_ffbh_u32_e32 v50, v22
	v_min_u32_e32 v52, 32, v50
	v_subrev_u32_e32 v50, 28, v52
	v_lshlrev_b64 v[50:51], v50, v[8:9]
	v_lshrrev_b32_e32 v49, 3, v25
	v_sub_u32_e32 v51, 29, v52
	v_cmp_gt_u32_e64 s[0:1], 8, v25
	v_lshlrev_b32_e32 v8, 8, v8
	s_nop 0
	v_cndmask_b32_e64 v25, v49, v51, s[0:1]
	v_lshl_add_u32 v25, v25, 10, v34
	v_and_b32_e32 v49, 7, v50
	v_and_b32_e32 v25, 0xfc00, v25
	v_cndmask_b32_e64 v22, v22, v49, s[0:1]
	v_and_or_b32 v8, v8, s30, v25
	v_lshl_or_b32 v22, v22, 7, v8
.LBB241_429:                            ;   in Loop: Header=BB241_338 Depth=1
	s_or_b64 exec, exec, s[20:21]
.LBB241_430:                            ;   in Loop: Header=BB241_338 Depth=1
	s_or_b64 exec, exec, s[18:19]
.LBB241_431:                            ;   in Loop: Header=BB241_338 Depth=1
	s_or_b64 exec, exec, s[16:17]
	v_cmp_lt_u64_e64 s[0:1], s[6:7], v[18:19]
	v_mov_b32_e32 v18, 0
	s_and_saveexec_b64 s[16:17], s[0:1]
	s_cbranch_execz .LBB241_437
; %bb.432:                              ;   in Loop: Header=BB241_338 Depth=1
	v_lshrrev_b32_e32 v8, 24, v19
	v_cmp_ne_u32_e64 s[0:1], s28, v8
	v_bfrev_b32_e32 v18, 1
	s_and_saveexec_b64 s[18:19], s[0:1]
	s_cbranch_execz .LBB241_436
; %bb.433:                              ;   in Loop: Header=BB241_338 Depth=1
	v_and_b32_e32 v19, 0x7f, v8
	v_cmp_ne_u32_e64 s[0:1], s29, v19
	v_mov_b32_e32 v18, 0x7c010000
	s_and_saveexec_b64 s[20:21], s[0:1]
	s_cbranch_execz .LBB241_435
; %bb.434:                              ;   in Loop: Header=BB241_338 Depth=1
	v_and_b32_e32 v18, 7, v8
	v_ffbh_u32_e32 v49, v18
	v_min_u32_e32 v49, 32, v49
	v_lshrrev_b32_e32 v25, 3, v19
	v_subrev_u32_e32 v50, 28, v49
	v_sub_u32_e32 v49, 29, v49
	v_cmp_gt_u32_e64 s[0:1], 8, v19
	v_lshlrev_b64 v[50:51], v50, v[8:9]
	v_lshlrev_b32_e32 v8, 8, v8
	v_cndmask_b32_e64 v19, v25, v49, s[0:1]
	v_lshl_add_u32 v19, v19, 10, v34
	v_and_b32_e32 v25, 7, v50
	v_and_or_b32 v8, v8, s30, v19
	v_cndmask_b32_e64 v18, v18, v25, s[0:1]
	v_lshlrev_b32_e32 v8, 16, v8
	v_lshl_or_b32 v18, v18, 23, v8
.LBB241_435:                            ;   in Loop: Header=BB241_338 Depth=1
	s_or_b64 exec, exec, s[20:21]
.LBB241_436:                            ;   in Loop: Header=BB241_338 Depth=1
	s_or_b64 exec, exec, s[18:19]
.LBB241_437:                            ;   in Loop: Header=BB241_338 Depth=1
	s_or_b64 exec, exec, s[16:17]
	v_cvt_f32_f16_sdwa v51, v1 dst_sel:DWORD dst_unused:UNUSED_PAD src0_sel:WORD_1
	v_cvt_f32_f16_sdwa v50, v21 dst_sel:DWORD dst_unused:UNUSED_PAD src0_sel:WORD_1
	v_or_b32_e32 v1, v1, v17
	v_or_b32_e32 v8, v21, v20
	;; [unrolled: 1-line block ×3, first 2 shown]
	s_waitcnt vmcnt(0)
	v_pk_mul_f32 v[20:21], v[16:17], v[50:51] op_sel_hi:[0,1]
	v_cvt_f32_f16_e32 v50, v8
	v_cvt_f32_f16_e32 v51, v1
	v_cvt_pk_f16_f32 v1, v20, v21
	v_and_b32_e32 v17, 0xffff0000, v1
	v_lshlrev_b32_e32 v8, 16, v1
	v_pk_mul_f32 v[20:21], v[16:17], v[50:51] op_sel_hi:[0,1]
	v_cvt_pk_f16_f32 v1, v20, v21
	v_or_b32_e32 v21, v24, v23
	v_cvt_f32_f16_e32 v22, v22
	v_cvt_f32_f16_e32 v23, v21
	v_cvt_f32_f16_sdwa v25, v24 dst_sel:DWORD dst_unused:UNUSED_PAD src0_sel:WORD_1
	v_cvt_f32_f16_sdwa v24, v18 dst_sel:DWORD dst_unused:UNUSED_PAD src0_sel:WORD_1
	v_lshrrev_b32_e32 v19, 16, v1
	v_pk_mul_f32 v[22:23], v[16:17], v[22:23] op_sel_hi:[0,1]
	v_cvt_pk_f16_f32 v49, v22, v23
	v_pk_mul_f32 v[22:23], v[16:17], v[24:25] op_sel_hi:[0,1]
	v_cvt_pk_f16_f32 v16, v22, v23
	v_and_b32_e32 v20, 0xffff, v1
	v_and_b32_e32 v21, 0xffff0000, v16
	v_lshlrev_b32_e32 v16, 16, v16
	v_lshrrev_b32_e32 v23, 16, v49
	v_and_b32_e32 v22, 0xffff, v49
	v_or_b32_e32 v1, v17, v19
	v_or_b32_e32 v18, v8, v20
	;; [unrolled: 1-line block ×4, first 2 shown]
	s_and_saveexec_b64 s[16:17], vcc
	s_cbranch_execz .LBB241_439
; %bb.438:                              ;   in Loop: Header=BB241_338 Depth=1
	v_cmp_gt_i32_e64 s[0:1], s38, v35
	s_nop 1
	v_cndmask_b32_e64 v1, 0, v19, s[0:1]
	v_cmp_gt_i32_e64 s[0:1], s33, v42
	s_nop 1
	v_cndmask_b32_e64 v18, 0, v20, s[0:1]
	;; [unrolled: 3-line block ×3, first 2 shown]
	v_cmp_gt_i32_e64 s[0:1], s33, v40
	v_or_b32_e32 v1, v17, v1
	s_nop 0
	v_cndmask_b32_e64 v8, 0, v8, s[0:1]
	v_cmp_gt_i32_e64 s[0:1], s38, v39
	v_or_b32_e32 v18, v8, v18
	s_nop 0
	v_cndmask_b32_e64 v8, 0, v23, s[0:1]
	v_cmp_gt_i32_e64 s[0:1], s33, v38
	s_nop 1
	v_cndmask_b32_e64 v17, 0, v22, s[0:1]
	v_cmp_gt_i32_e64 s[0:1], s38, v37
	;; [unrolled: 3-line block ×3, first 2 shown]
	v_or_b32_e32 v25, v19, v8
	s_nop 0
	v_cndmask_b32_e64 v16, 0, v16, s[0:1]
	v_or_b32_e32 v24, v16, v17
.LBB241_439:                            ;   in Loop: Header=BB241_338 Depth=1
	s_or_b64 exec, exec, s[16:17]
	;;#ASMSTART
	v_pk_mul_f16 v1, v46, v1;

	;;#ASMEND
	;;#ASMSTART
	v_pk_mul_f16 v8, v45, v18;

	;;#ASMEND
	;; [unrolled: 4-line block ×4, first 2 shown]
	s_nop 0
	;;#ASMSTART
	v_pk_add_f16 v1, v1, v8;

	;;#ASMEND
	s_nop 0
	;;#ASMSTART
	v_pk_add_f16 v1, v1, v16;

	;;#ASMEND
	;; [unrolled: 5-line block ×3, first 2 shown]
	v_mov_b32_e32 v17, 0
	v_lshrrev_b32_e32 v8, 16, v1
	v_and_b32_e32 v1, 0xffff, v1
	;;#ASMSTART
	v_cvt_f32_f16 v49, v1;
	;;#ASMEND
	;;#ASMSTART
	v_cvt_f32_f16 v50, v8;
	;;#ASMEND
	global_load_dwordx2 v[18:19], v[14:15], off offset:1024
	v_mov_b32_e32 v1, 0
	global_load_dword v16, v1, s[14:15]
	s_waitcnt vmcnt(1)
	v_cmp_ne_u16_sdwa s[0:1], v18, v9 src0_sel:BYTE_0 src1_sel:DWORD
	s_and_saveexec_b64 s[16:17], s[0:1]
	s_cbranch_execz .LBB241_445
; %bb.440:                              ;   in Loop: Header=BB241_338 Depth=1
	v_cmp_ne_u16_sdwa s[0:1], v18, s28 src0_sel:BYTE_0 src1_sel:DWORD
	v_mov_b32_e32 v17, 0x8000
	s_and_saveexec_b64 s[18:19], s[0:1]
	s_cbranch_execz .LBB241_444
; %bb.441:                              ;   in Loop: Header=BB241_338 Depth=1
	v_and_b32_e32 v8, 0x7f, v18
	v_cmp_ne_u32_e64 s[0:1], s29, v8
	v_mov_b32_e32 v17, 0x7c01
	s_and_saveexec_b64 s[20:21], s[0:1]
	s_cbranch_execz .LBB241_443
; %bb.442:                              ;   in Loop: Header=BB241_338 Depth=1
	v_and_b32_e32 v17, 7, v18
	v_ffbh_u32_e32 v20, v17
	v_min_u32_e32 v23, 32, v20
	v_subrev_u32_e32 v20, 28, v23
	v_lshlrev_b64 v[20:21], v20, v[18:19]
	v_lshrrev_b32_e32 v22, 3, v8
	v_sub_u32_e32 v21, 29, v23
	v_cmp_gt_u32_e64 s[0:1], 8, v8
	v_and_b32_e32 v20, 7, v20
	s_nop 0
	v_cndmask_b32_e64 v8, v22, v21, s[0:1]
	v_lshl_add_u32 v8, v8, 10, v34
	v_lshlrev_b32_e32 v21, 8, v18
	v_and_b32_e32 v8, 0xfc00, v8
	v_cndmask_b32_e64 v17, v17, v20, s[0:1]
	v_and_or_b32 v8, v21, s30, v8
	v_lshl_or_b32 v17, v17, 7, v8
.LBB241_443:                            ;   in Loop: Header=BB241_338 Depth=1
	s_or_b64 exec, exec, s[20:21]
.LBB241_444:                            ;   in Loop: Header=BB241_338 Depth=1
	s_or_b64 exec, exec, s[18:19]
.LBB241_445:                            ;   in Loop: Header=BB241_338 Depth=1
	s_or_b64 exec, exec, s[16:17]
	v_lshrrev_b16_e32 v8, 8, v18
	v_cmp_ne_u16_e64 s[0:1], 0, v8
	s_and_saveexec_b64 s[16:17], s[0:1]
	s_cbranch_execz .LBB241_451
; %bb.446:                              ;   in Loop: Header=BB241_338 Depth=1
	v_cmp_ne_u16_e64 s[0:1], s28, v8
	v_bfrev_b32_e32 v1, 1
	s_and_saveexec_b64 s[18:19], s[0:1]
	s_cbranch_execz .LBB241_450
; %bb.447:                              ;   in Loop: Header=BB241_338 Depth=1
	v_and_b32_e32 v20, 0x7f, v8
	v_cmp_ne_u32_e64 s[0:1], s29, v20
	v_mov_b32_e32 v1, 0x7c010000
	s_and_saveexec_b64 s[20:21], s[0:1]
	s_cbranch_execz .LBB241_449
; %bb.448:                              ;   in Loop: Header=BB241_338 Depth=1
	v_and_b32_e32 v1, 7, v8
	v_ffbh_u32_e32 v22, v1
	v_min_u32_e32 v24, 32, v22
	v_subrev_u32_e32 v22, 28, v24
	v_lshlrev_b64 v[22:23], v22, v[8:9]
	v_lshrrev_b32_e32 v21, 3, v20
	v_sub_u32_e32 v23, 29, v24
	v_cmp_gt_u32_e64 s[0:1], 8, v20
	v_lshlrev_b32_e32 v8, 8, v8
	s_nop 0
	v_cndmask_b32_e64 v20, v21, v23, s[0:1]
	v_lshl_add_u32 v20, v20, 10, v34
	v_and_b32_e32 v21, 7, v22
	v_and_or_b32 v8, v8, s30, v20
	v_cndmask_b32_e64 v1, v1, v21, s[0:1]
	v_lshlrev_b32_e32 v8, 16, v8
	v_lshl_or_b32 v1, v1, 23, v8
.LBB241_449:                            ;   in Loop: Header=BB241_338 Depth=1
	s_or_b64 exec, exec, s[20:21]
.LBB241_450:                            ;   in Loop: Header=BB241_338 Depth=1
	s_or_b64 exec, exec, s[18:19]
.LBB241_451:                            ;   in Loop: Header=BB241_338 Depth=1
	s_or_b64 exec, exec, s[16:17]
	v_lshrrev_b32_e32 v8, 16, v18
	v_cmp_ne_u16_sdwa s[0:1], v8, v9 src0_sel:BYTE_0 src1_sel:DWORD
	v_mov_b32_e32 v21, 0
	v_mov_b32_e32 v20, 0
	s_and_saveexec_b64 s[16:17], s[0:1]
	s_cbranch_execz .LBB241_457
; %bb.452:                              ;   in Loop: Header=BB241_338 Depth=1
	v_cmp_ne_u16_sdwa s[0:1], v8, s28 src0_sel:BYTE_0 src1_sel:DWORD
	v_mov_b32_e32 v20, 0x8000
	s_and_saveexec_b64 s[18:19], s[0:1]
	s_cbranch_execz .LBB241_456
; %bb.453:                              ;   in Loop: Header=BB241_338 Depth=1
	v_bfe_u32 v22, v18, 16, 7
	v_cmp_ne_u32_e64 s[0:1], s29, v22
	v_mov_b32_e32 v20, 0x7c01
	s_and_saveexec_b64 s[20:21], s[0:1]
	s_cbranch_execz .LBB241_455
; %bb.454:                              ;   in Loop: Header=BB241_338 Depth=1
	v_and_b32_e32 v20, 7, v8
	v_ffbh_u32_e32 v24, v20
	v_min_u32_e32 v51, 32, v24
	v_subrev_u32_e32 v24, 28, v51
	v_lshlrev_b64 v[24:25], v24, v[8:9]
	v_lshrrev_b32_e32 v23, 3, v22
	v_sub_u32_e32 v25, 29, v51
	v_cmp_gt_u32_e64 s[0:1], 8, v22
	v_lshlrev_b32_e32 v8, 8, v8
	s_nop 0
	v_cndmask_b32_e64 v22, v23, v25, s[0:1]
	v_lshl_add_u32 v22, v22, 10, v34
	v_and_b32_e32 v23, 7, v24
	v_and_b32_e32 v22, 0xfc00, v22
	v_cndmask_b32_e64 v20, v20, v23, s[0:1]
	v_and_or_b32 v8, v8, s30, v22
	v_lshl_or_b32 v20, v20, 7, v8
.LBB241_455:                            ;   in Loop: Header=BB241_338 Depth=1
	s_or_b64 exec, exec, s[20:21]
.LBB241_456:                            ;   in Loop: Header=BB241_338 Depth=1
	s_or_b64 exec, exec, s[18:19]
.LBB241_457:                            ;   in Loop: Header=BB241_338 Depth=1
	s_or_b64 exec, exec, s[16:17]
	v_cmp_lt_u32_e64 s[0:1], s7, v18
	s_and_saveexec_b64 s[16:17], s[0:1]
	s_cbranch_execz .LBB241_463
; %bb.458:                              ;   in Loop: Header=BB241_338 Depth=1
	v_lshrrev_b32_e32 v8, 24, v18
	v_cmp_ne_u32_e64 s[0:1], s28, v8
	v_bfrev_b32_e32 v21, 1
	s_and_saveexec_b64 s[18:19], s[0:1]
	s_cbranch_execz .LBB241_462
; %bb.459:                              ;   in Loop: Header=BB241_338 Depth=1
	v_and_b32_e32 v22, 0x7f, v8
	v_cmp_ne_u32_e64 s[0:1], s29, v22
	v_mov_b32_e32 v21, 0x7c010000
	s_and_saveexec_b64 s[20:21], s[0:1]
	s_cbranch_execz .LBB241_461
; %bb.460:                              ;   in Loop: Header=BB241_338 Depth=1
	v_and_b32_e32 v21, 7, v8
	v_ffbh_u32_e32 v24, v21
	v_min_u32_e32 v51, 32, v24
	v_subrev_u32_e32 v24, 28, v51
	v_lshlrev_b64 v[24:25], v24, v[8:9]
	v_lshrrev_b32_e32 v23, 3, v22
	v_sub_u32_e32 v25, 29, v51
	v_cmp_gt_u32_e64 s[0:1], 8, v22
	v_lshlrev_b32_e32 v8, 8, v8
	s_nop 0
	v_cndmask_b32_e64 v22, v23, v25, s[0:1]
	v_lshl_add_u32 v22, v22, 10, v34
	v_and_b32_e32 v23, 7, v24
	v_and_or_b32 v8, v8, s30, v22
	v_cndmask_b32_e64 v21, v21, v23, s[0:1]
	v_lshlrev_b32_e32 v8, 16, v8
	v_lshl_or_b32 v21, v21, 23, v8
.LBB241_461:                            ;   in Loop: Header=BB241_338 Depth=1
	s_or_b64 exec, exec, s[20:21]
.LBB241_462:                            ;   in Loop: Header=BB241_338 Depth=1
	s_or_b64 exec, exec, s[18:19]
.LBB241_463:                            ;   in Loop: Header=BB241_338 Depth=1
	s_or_b64 exec, exec, s[16:17]
	v_mov_b32_e32 v8, v19
	v_cmp_ne_u16_sdwa s[0:1], v19, v9 src0_sel:BYTE_0 src1_sel:DWORD
	v_mov_b32_e32 v22, 0
	v_mov_b32_e32 v23, 0
	s_and_saveexec_b64 s[16:17], s[0:1]
	s_cbranch_execz .LBB241_469
; %bb.464:                              ;   in Loop: Header=BB241_338 Depth=1
	v_cmp_ne_u16_sdwa s[0:1], v19, s28 src0_sel:BYTE_0 src1_sel:DWORD
	v_mov_b32_e32 v23, 0x8000
	s_and_saveexec_b64 s[18:19], s[0:1]
	s_cbranch_execz .LBB241_468
; %bb.465:                              ;   in Loop: Header=BB241_338 Depth=1
	v_and_b32_e32 v24, 0x7f, v19
	v_cmp_ne_u32_e64 s[0:1], s29, v24
	v_mov_b32_e32 v23, 0x7c01
	s_and_saveexec_b64 s[20:21], s[0:1]
	s_cbranch_execz .LBB241_467
; %bb.466:                              ;   in Loop: Header=BB241_338 Depth=1
	v_and_b32_e32 v23, 7, v19
	v_ffbh_u32_e32 v51, v23
	v_min_u32_e32 v51, 32, v51
	v_lshrrev_b32_e32 v25, 3, v24
	v_subrev_u32_e32 v52, 28, v51
	v_sub_u32_e32 v51, 29, v51
	v_cmp_gt_u32_e64 s[0:1], 8, v24
	v_lshlrev_b64 v[52:53], v52, v[8:9]
	s_nop 0
	v_cndmask_b32_e64 v24, v25, v51, s[0:1]
	v_lshl_add_u32 v24, v24, 10, v34
	v_lshlrev_b32_e32 v25, 8, v19
	v_and_b32_e32 v51, 7, v52
	v_and_b32_e32 v24, 0xfc00, v24
	v_cndmask_b32_e64 v23, v23, v51, s[0:1]
	v_and_or_b32 v24, v25, s30, v24
	v_lshl_or_b32 v23, v23, 7, v24
.LBB241_467:                            ;   in Loop: Header=BB241_338 Depth=1
	s_or_b64 exec, exec, s[20:21]
.LBB241_468:                            ;   in Loop: Header=BB241_338 Depth=1
	s_or_b64 exec, exec, s[18:19]
.LBB241_469:                            ;   in Loop: Header=BB241_338 Depth=1
	s_or_b64 exec, exec, s[16:17]
	v_lshrrev_b16_e32 v8, 8, v8
	v_cmp_ne_u16_e64 s[0:1], 0, v8
	v_mov_b32_e32 v24, 0
	s_and_saveexec_b64 s[16:17], s[0:1]
	s_cbranch_execz .LBB241_475
; %bb.470:                              ;   in Loop: Header=BB241_338 Depth=1
	v_cmp_ne_u16_e64 s[0:1], s28, v8
	v_bfrev_b32_e32 v24, 1
	s_and_saveexec_b64 s[18:19], s[0:1]
	s_cbranch_execz .LBB241_474
; %bb.471:                              ;   in Loop: Header=BB241_338 Depth=1
	v_and_b32_e32 v25, 0x7f, v8
	v_cmp_ne_u32_e64 s[0:1], s29, v25
	v_mov_b32_e32 v24, 0x7c010000
	s_and_saveexec_b64 s[20:21], s[0:1]
	s_cbranch_execz .LBB241_473
; %bb.472:                              ;   in Loop: Header=BB241_338 Depth=1
	v_and_b32_e32 v24, 7, v8
	v_ffbh_u32_e32 v52, v24
	v_min_u32_e32 v54, 32, v52
	v_subrev_u32_e32 v52, 28, v54
	v_lshlrev_b64 v[52:53], v52, v[8:9]
	v_lshrrev_b32_e32 v51, 3, v25
	v_sub_u32_e32 v53, 29, v54
	v_cmp_gt_u32_e64 s[0:1], 8, v25
	v_lshlrev_b32_e32 v8, 8, v8
	s_nop 0
	v_cndmask_b32_e64 v25, v51, v53, s[0:1]
	v_lshl_add_u32 v25, v25, 10, v34
	v_and_b32_e32 v51, 7, v52
	v_and_or_b32 v8, v8, s30, v25
	v_cndmask_b32_e64 v24, v24, v51, s[0:1]
	v_lshlrev_b32_e32 v8, 16, v8
	v_lshl_or_b32 v24, v24, 23, v8
.LBB241_473:                            ;   in Loop: Header=BB241_338 Depth=1
	s_or_b64 exec, exec, s[20:21]
.LBB241_474:                            ;   in Loop: Header=BB241_338 Depth=1
	s_or_b64 exec, exec, s[18:19]
.LBB241_475:                            ;   in Loop: Header=BB241_338 Depth=1
	s_or_b64 exec, exec, s[16:17]
	v_lshrrev_b32_e32 v8, 16, v19
	v_cmp_ne_u16_sdwa s[0:1], v8, v9 src0_sel:BYTE_0 src1_sel:DWORD
	s_and_saveexec_b64 s[16:17], s[0:1]
	s_cbranch_execz .LBB241_481
; %bb.476:                              ;   in Loop: Header=BB241_338 Depth=1
	v_cmp_ne_u16_sdwa s[0:1], v8, s28 src0_sel:BYTE_0 src1_sel:DWORD
	v_mov_b32_e32 v22, 0x8000
	s_and_saveexec_b64 s[18:19], s[0:1]
	s_cbranch_execz .LBB241_480
; %bb.477:                              ;   in Loop: Header=BB241_338 Depth=1
	v_bfe_u32 v25, v19, 16, 7
	v_cmp_ne_u32_e64 s[0:1], s29, v25
	v_mov_b32_e32 v22, 0x7c01
	s_and_saveexec_b64 s[20:21], s[0:1]
	s_cbranch_execz .LBB241_479
; %bb.478:                              ;   in Loop: Header=BB241_338 Depth=1
	v_and_b32_e32 v22, 7, v8
	v_ffbh_u32_e32 v52, v22
	v_min_u32_e32 v54, 32, v52
	v_subrev_u32_e32 v52, 28, v54
	v_lshlrev_b64 v[52:53], v52, v[8:9]
	v_lshrrev_b32_e32 v51, 3, v25
	v_sub_u32_e32 v53, 29, v54
	v_cmp_gt_u32_e64 s[0:1], 8, v25
	v_lshlrev_b32_e32 v8, 8, v8
	s_nop 0
	v_cndmask_b32_e64 v25, v51, v53, s[0:1]
	v_lshl_add_u32 v25, v25, 10, v34
	v_and_b32_e32 v51, 7, v52
	v_and_b32_e32 v25, 0xfc00, v25
	v_cndmask_b32_e64 v22, v22, v51, s[0:1]
	v_and_or_b32 v8, v8, s30, v25
	v_lshl_or_b32 v22, v22, 7, v8
.LBB241_479:                            ;   in Loop: Header=BB241_338 Depth=1
	s_or_b64 exec, exec, s[20:21]
.LBB241_480:                            ;   in Loop: Header=BB241_338 Depth=1
	s_or_b64 exec, exec, s[18:19]
.LBB241_481:                            ;   in Loop: Header=BB241_338 Depth=1
	s_or_b64 exec, exec, s[16:17]
	v_cmp_lt_u64_e64 s[0:1], s[6:7], v[18:19]
	v_mov_b32_e32 v18, 0
	s_and_saveexec_b64 s[16:17], s[0:1]
	s_cbranch_execz .LBB241_487
; %bb.482:                              ;   in Loop: Header=BB241_338 Depth=1
	v_lshrrev_b32_e32 v8, 24, v19
	v_cmp_ne_u32_e64 s[0:1], s28, v8
	v_bfrev_b32_e32 v18, 1
	s_and_saveexec_b64 s[18:19], s[0:1]
	s_cbranch_execz .LBB241_486
; %bb.483:                              ;   in Loop: Header=BB241_338 Depth=1
	v_and_b32_e32 v19, 0x7f, v8
	v_cmp_ne_u32_e64 s[0:1], s29, v19
	v_mov_b32_e32 v18, 0x7c010000
	s_and_saveexec_b64 s[20:21], s[0:1]
	s_cbranch_execz .LBB241_485
; %bb.484:                              ;   in Loop: Header=BB241_338 Depth=1
	v_and_b32_e32 v18, 7, v8
	v_ffbh_u32_e32 v51, v18
	v_min_u32_e32 v51, 32, v51
	v_lshrrev_b32_e32 v25, 3, v19
	v_subrev_u32_e32 v52, 28, v51
	v_sub_u32_e32 v51, 29, v51
	v_cmp_gt_u32_e64 s[0:1], 8, v19
	v_lshlrev_b64 v[52:53], v52, v[8:9]
	v_lshlrev_b32_e32 v8, 8, v8
	v_cndmask_b32_e64 v19, v25, v51, s[0:1]
	v_lshl_add_u32 v19, v19, 10, v34
	v_and_b32_e32 v25, 7, v52
	v_and_or_b32 v8, v8, s30, v19
	v_cndmask_b32_e64 v18, v18, v25, s[0:1]
	v_lshlrev_b32_e32 v8, 16, v8
	v_lshl_or_b32 v18, v18, 23, v8
.LBB241_485:                            ;   in Loop: Header=BB241_338 Depth=1
	s_or_b64 exec, exec, s[20:21]
.LBB241_486:                            ;   in Loop: Header=BB241_338 Depth=1
	s_or_b64 exec, exec, s[18:19]
.LBB241_487:                            ;   in Loop: Header=BB241_338 Depth=1
	s_or_b64 exec, exec, s[16:17]
	v_cvt_f32_f16_sdwa v53, v1 dst_sel:DWORD dst_unused:UNUSED_PAD src0_sel:WORD_1
	v_cvt_f32_f16_sdwa v52, v21 dst_sel:DWORD dst_unused:UNUSED_PAD src0_sel:WORD_1
	v_or_b32_e32 v1, v1, v17
	v_or_b32_e32 v8, v21, v20
	;; [unrolled: 1-line block ×3, first 2 shown]
	s_waitcnt vmcnt(0)
	v_pk_mul_f32 v[20:21], v[16:17], v[52:53] op_sel_hi:[0,1]
	v_cvt_f32_f16_e32 v52, v8
	v_cvt_f32_f16_e32 v53, v1
	v_cvt_pk_f16_f32 v1, v20, v21
	v_and_b32_e32 v17, 0xffff0000, v1
	v_lshlrev_b32_e32 v8, 16, v1
	v_pk_mul_f32 v[20:21], v[16:17], v[52:53] op_sel_hi:[0,1]
	v_cvt_pk_f16_f32 v1, v20, v21
	v_or_b32_e32 v21, v24, v23
	v_cvt_f32_f16_e32 v22, v22
	v_cvt_f32_f16_e32 v23, v21
	v_cvt_f32_f16_sdwa v25, v24 dst_sel:DWORD dst_unused:UNUSED_PAD src0_sel:WORD_1
	v_cvt_f32_f16_sdwa v24, v18 dst_sel:DWORD dst_unused:UNUSED_PAD src0_sel:WORD_1
	v_lshrrev_b32_e32 v19, 16, v1
	v_pk_mul_f32 v[22:23], v[16:17], v[22:23] op_sel_hi:[0,1]
	v_cvt_pk_f16_f32 v51, v22, v23
	v_pk_mul_f32 v[22:23], v[16:17], v[24:25] op_sel_hi:[0,1]
	v_cvt_pk_f16_f32 v16, v22, v23
	v_and_b32_e32 v20, 0xffff, v1
	v_and_b32_e32 v21, 0xffff0000, v16
	v_lshlrev_b32_e32 v16, 16, v16
	v_lshrrev_b32_e32 v23, 16, v51
	v_and_b32_e32 v22, 0xffff, v51
	v_or_b32_e32 v1, v17, v19
	v_or_b32_e32 v18, v8, v20
	;; [unrolled: 1-line block ×4, first 2 shown]
	s_and_saveexec_b64 s[16:17], vcc
	s_cbranch_execz .LBB241_489
; %bb.488:                              ;   in Loop: Header=BB241_338 Depth=1
	v_cmp_gt_i32_e64 s[0:1], s38, v35
	s_nop 1
	v_cndmask_b32_e64 v1, 0, v19, s[0:1]
	v_cmp_gt_i32_e64 s[0:1], s33, v42
	s_nop 1
	v_cndmask_b32_e64 v18, 0, v20, s[0:1]
	;; [unrolled: 3-line block ×3, first 2 shown]
	v_cmp_gt_i32_e64 s[0:1], s33, v40
	v_or_b32_e32 v1, v17, v1
	s_nop 0
	v_cndmask_b32_e64 v8, 0, v8, s[0:1]
	v_cmp_gt_i32_e64 s[0:1], s38, v39
	v_or_b32_e32 v18, v8, v18
	s_nop 0
	v_cndmask_b32_e64 v8, 0, v23, s[0:1]
	v_cmp_gt_i32_e64 s[0:1], s33, v38
	s_nop 1
	v_cndmask_b32_e64 v17, 0, v22, s[0:1]
	v_cmp_gt_i32_e64 s[0:1], s38, v37
	s_nop 1
	v_cndmask_b32_e64 v19, 0, v21, s[0:1]
	v_cmp_gt_i32_e64 s[0:1], s33, v36
	v_or_b32_e32 v25, v19, v8
	s_nop 0
	v_cndmask_b32_e64 v16, 0, v16, s[0:1]
	v_or_b32_e32 v24, v16, v17
.LBB241_489:                            ;   in Loop: Header=BB241_338 Depth=1
	s_or_b64 exec, exec, s[16:17]
	;;#ASMSTART
	v_pk_mul_f16 v1, v46, v1;

	;;#ASMEND
	;;#ASMSTART
	v_pk_mul_f16 v8, v45, v18;

	;;#ASMEND
	;; [unrolled: 4-line block ×4, first 2 shown]
	s_nop 0
	;;#ASMSTART
	v_pk_add_f16 v1, v1, v8;

	;;#ASMEND
	s_nop 0
	;;#ASMSTART
	v_pk_add_f16 v1, v1, v16;

	;;#ASMEND
	;; [unrolled: 5-line block ×3, first 2 shown]
	v_mov_b32_e32 v17, 0
	v_lshrrev_b32_e32 v8, 16, v1
	v_and_b32_e32 v1, 0xffff, v1
	;;#ASMSTART
	v_cvt_f32_f16 v51, v1;
	;;#ASMEND
	;;#ASMSTART
	v_cvt_f32_f16 v52, v8;
	;;#ASMEND
	global_load_dwordx2 v[18:19], v[14:15], off offset:1536
	v_mov_b32_e32 v1, 0
	global_load_dword v16, v1, s[14:15]
	s_waitcnt vmcnt(1)
	v_cmp_ne_u16_sdwa s[0:1], v18, v9 src0_sel:BYTE_0 src1_sel:DWORD
	s_and_saveexec_b64 s[16:17], s[0:1]
	s_cbranch_execz .LBB241_495
; %bb.490:                              ;   in Loop: Header=BB241_338 Depth=1
	v_cmp_ne_u16_sdwa s[0:1], v18, s28 src0_sel:BYTE_0 src1_sel:DWORD
	v_mov_b32_e32 v17, 0x8000
	s_and_saveexec_b64 s[18:19], s[0:1]
	s_cbranch_execz .LBB241_494
; %bb.491:                              ;   in Loop: Header=BB241_338 Depth=1
	v_and_b32_e32 v8, 0x7f, v18
	v_cmp_ne_u32_e64 s[0:1], s29, v8
	v_mov_b32_e32 v17, 0x7c01
	s_and_saveexec_b64 s[20:21], s[0:1]
	s_cbranch_execz .LBB241_493
; %bb.492:                              ;   in Loop: Header=BB241_338 Depth=1
	v_and_b32_e32 v17, 7, v18
	v_ffbh_u32_e32 v20, v17
	v_min_u32_e32 v23, 32, v20
	v_subrev_u32_e32 v20, 28, v23
	v_lshlrev_b64 v[20:21], v20, v[18:19]
	v_lshrrev_b32_e32 v22, 3, v8
	v_sub_u32_e32 v21, 29, v23
	v_cmp_gt_u32_e64 s[0:1], 8, v8
	v_and_b32_e32 v20, 7, v20
	s_nop 0
	v_cndmask_b32_e64 v8, v22, v21, s[0:1]
	v_lshl_add_u32 v8, v8, 10, v34
	v_lshlrev_b32_e32 v21, 8, v18
	v_and_b32_e32 v8, 0xfc00, v8
	v_cndmask_b32_e64 v17, v17, v20, s[0:1]
	v_and_or_b32 v8, v21, s30, v8
	v_lshl_or_b32 v17, v17, 7, v8
.LBB241_493:                            ;   in Loop: Header=BB241_338 Depth=1
	s_or_b64 exec, exec, s[20:21]
.LBB241_494:                            ;   in Loop: Header=BB241_338 Depth=1
	s_or_b64 exec, exec, s[18:19]
.LBB241_495:                            ;   in Loop: Header=BB241_338 Depth=1
	s_or_b64 exec, exec, s[16:17]
	v_lshrrev_b16_e32 v8, 8, v18
	v_cmp_ne_u16_e64 s[0:1], 0, v8
	s_and_saveexec_b64 s[16:17], s[0:1]
	s_cbranch_execz .LBB241_501
; %bb.496:                              ;   in Loop: Header=BB241_338 Depth=1
	v_cmp_ne_u16_e64 s[0:1], s28, v8
	v_bfrev_b32_e32 v1, 1
	s_and_saveexec_b64 s[18:19], s[0:1]
	s_cbranch_execz .LBB241_500
; %bb.497:                              ;   in Loop: Header=BB241_338 Depth=1
	v_and_b32_e32 v20, 0x7f, v8
	v_cmp_ne_u32_e64 s[0:1], s29, v20
	v_mov_b32_e32 v1, 0x7c010000
	s_and_saveexec_b64 s[20:21], s[0:1]
	s_cbranch_execz .LBB241_499
; %bb.498:                              ;   in Loop: Header=BB241_338 Depth=1
	v_and_b32_e32 v1, 7, v8
	v_ffbh_u32_e32 v22, v1
	v_min_u32_e32 v24, 32, v22
	v_subrev_u32_e32 v22, 28, v24
	v_lshlrev_b64 v[22:23], v22, v[8:9]
	v_lshrrev_b32_e32 v21, 3, v20
	v_sub_u32_e32 v23, 29, v24
	v_cmp_gt_u32_e64 s[0:1], 8, v20
	v_lshlrev_b32_e32 v8, 8, v8
	s_nop 0
	v_cndmask_b32_e64 v20, v21, v23, s[0:1]
	v_lshl_add_u32 v20, v20, 10, v34
	v_and_b32_e32 v21, 7, v22
	v_and_or_b32 v8, v8, s30, v20
	v_cndmask_b32_e64 v1, v1, v21, s[0:1]
	v_lshlrev_b32_e32 v8, 16, v8
	v_lshl_or_b32 v1, v1, 23, v8
.LBB241_499:                            ;   in Loop: Header=BB241_338 Depth=1
	s_or_b64 exec, exec, s[20:21]
.LBB241_500:                            ;   in Loop: Header=BB241_338 Depth=1
	s_or_b64 exec, exec, s[18:19]
.LBB241_501:                            ;   in Loop: Header=BB241_338 Depth=1
	s_or_b64 exec, exec, s[16:17]
	v_lshrrev_b32_e32 v8, 16, v18
	v_cmp_ne_u16_sdwa s[0:1], v8, v9 src0_sel:BYTE_0 src1_sel:DWORD
	v_mov_b32_e32 v21, 0
	v_mov_b32_e32 v20, 0
	s_and_saveexec_b64 s[16:17], s[0:1]
	s_cbranch_execz .LBB241_507
; %bb.502:                              ;   in Loop: Header=BB241_338 Depth=1
	v_cmp_ne_u16_sdwa s[0:1], v8, s28 src0_sel:BYTE_0 src1_sel:DWORD
	v_mov_b32_e32 v20, 0x8000
	s_and_saveexec_b64 s[18:19], s[0:1]
	s_cbranch_execz .LBB241_506
; %bb.503:                              ;   in Loop: Header=BB241_338 Depth=1
	v_bfe_u32 v22, v18, 16, 7
	v_cmp_ne_u32_e64 s[0:1], s29, v22
	v_mov_b32_e32 v20, 0x7c01
	s_and_saveexec_b64 s[20:21], s[0:1]
	s_cbranch_execz .LBB241_505
; %bb.504:                              ;   in Loop: Header=BB241_338 Depth=1
	v_and_b32_e32 v20, 7, v8
	v_ffbh_u32_e32 v24, v20
	v_min_u32_e32 v53, 32, v24
	v_subrev_u32_e32 v24, 28, v53
	v_lshlrev_b64 v[24:25], v24, v[8:9]
	v_lshrrev_b32_e32 v23, 3, v22
	v_sub_u32_e32 v25, 29, v53
	v_cmp_gt_u32_e64 s[0:1], 8, v22
	v_lshlrev_b32_e32 v8, 8, v8
	s_nop 0
	v_cndmask_b32_e64 v22, v23, v25, s[0:1]
	v_lshl_add_u32 v22, v22, 10, v34
	v_and_b32_e32 v23, 7, v24
	v_and_b32_e32 v22, 0xfc00, v22
	v_cndmask_b32_e64 v20, v20, v23, s[0:1]
	v_and_or_b32 v8, v8, s30, v22
	v_lshl_or_b32 v20, v20, 7, v8
.LBB241_505:                            ;   in Loop: Header=BB241_338 Depth=1
	s_or_b64 exec, exec, s[20:21]
.LBB241_506:                            ;   in Loop: Header=BB241_338 Depth=1
	s_or_b64 exec, exec, s[18:19]
.LBB241_507:                            ;   in Loop: Header=BB241_338 Depth=1
	s_or_b64 exec, exec, s[16:17]
	v_cmp_lt_u32_e64 s[0:1], s7, v18
	s_and_saveexec_b64 s[16:17], s[0:1]
	s_cbranch_execz .LBB241_513
; %bb.508:                              ;   in Loop: Header=BB241_338 Depth=1
	v_lshrrev_b32_e32 v8, 24, v18
	v_cmp_ne_u32_e64 s[0:1], s28, v8
	v_bfrev_b32_e32 v21, 1
	s_and_saveexec_b64 s[18:19], s[0:1]
	s_cbranch_execz .LBB241_512
; %bb.509:                              ;   in Loop: Header=BB241_338 Depth=1
	v_and_b32_e32 v22, 0x7f, v8
	v_cmp_ne_u32_e64 s[0:1], s29, v22
	v_mov_b32_e32 v21, 0x7c010000
	s_and_saveexec_b64 s[20:21], s[0:1]
	s_cbranch_execz .LBB241_511
; %bb.510:                              ;   in Loop: Header=BB241_338 Depth=1
	v_and_b32_e32 v21, 7, v8
	v_ffbh_u32_e32 v24, v21
	v_min_u32_e32 v53, 32, v24
	v_subrev_u32_e32 v24, 28, v53
	v_lshlrev_b64 v[24:25], v24, v[8:9]
	v_lshrrev_b32_e32 v23, 3, v22
	v_sub_u32_e32 v25, 29, v53
	v_cmp_gt_u32_e64 s[0:1], 8, v22
	v_lshlrev_b32_e32 v8, 8, v8
	s_nop 0
	v_cndmask_b32_e64 v22, v23, v25, s[0:1]
	v_lshl_add_u32 v22, v22, 10, v34
	v_and_b32_e32 v23, 7, v24
	v_and_or_b32 v8, v8, s30, v22
	v_cndmask_b32_e64 v21, v21, v23, s[0:1]
	v_lshlrev_b32_e32 v8, 16, v8
	v_lshl_or_b32 v21, v21, 23, v8
.LBB241_511:                            ;   in Loop: Header=BB241_338 Depth=1
	s_or_b64 exec, exec, s[20:21]
.LBB241_512:                            ;   in Loop: Header=BB241_338 Depth=1
	s_or_b64 exec, exec, s[18:19]
.LBB241_513:                            ;   in Loop: Header=BB241_338 Depth=1
	s_or_b64 exec, exec, s[16:17]
	v_mov_b32_e32 v8, v19
	v_cmp_ne_u16_sdwa s[0:1], v19, v9 src0_sel:BYTE_0 src1_sel:DWORD
	v_mov_b32_e32 v22, 0
	v_mov_b32_e32 v23, 0
	s_and_saveexec_b64 s[16:17], s[0:1]
	s_cbranch_execz .LBB241_519
; %bb.514:                              ;   in Loop: Header=BB241_338 Depth=1
	v_cmp_ne_u16_sdwa s[0:1], v19, s28 src0_sel:BYTE_0 src1_sel:DWORD
	v_mov_b32_e32 v23, 0x8000
	s_and_saveexec_b64 s[18:19], s[0:1]
	s_cbranch_execz .LBB241_518
; %bb.515:                              ;   in Loop: Header=BB241_338 Depth=1
	v_and_b32_e32 v24, 0x7f, v19
	v_cmp_ne_u32_e64 s[0:1], s29, v24
	v_mov_b32_e32 v23, 0x7c01
	s_and_saveexec_b64 s[20:21], s[0:1]
	s_cbranch_execz .LBB241_517
; %bb.516:                              ;   in Loop: Header=BB241_338 Depth=1
	v_and_b32_e32 v23, 7, v19
	v_ffbh_u32_e32 v53, v23
	v_min_u32_e32 v53, 32, v53
	v_lshrrev_b32_e32 v25, 3, v24
	v_subrev_u32_e32 v54, 28, v53
	v_sub_u32_e32 v53, 29, v53
	v_cmp_gt_u32_e64 s[0:1], 8, v24
	v_lshlrev_b64 v[54:55], v54, v[8:9]
	s_nop 0
	v_cndmask_b32_e64 v24, v25, v53, s[0:1]
	v_lshl_add_u32 v24, v24, 10, v34
	v_lshlrev_b32_e32 v25, 8, v19
	v_and_b32_e32 v53, 7, v54
	v_and_b32_e32 v24, 0xfc00, v24
	v_cndmask_b32_e64 v23, v23, v53, s[0:1]
	v_and_or_b32 v24, v25, s30, v24
	v_lshl_or_b32 v23, v23, 7, v24
.LBB241_517:                            ;   in Loop: Header=BB241_338 Depth=1
	s_or_b64 exec, exec, s[20:21]
.LBB241_518:                            ;   in Loop: Header=BB241_338 Depth=1
	s_or_b64 exec, exec, s[18:19]
.LBB241_519:                            ;   in Loop: Header=BB241_338 Depth=1
	s_or_b64 exec, exec, s[16:17]
	v_lshrrev_b16_e32 v8, 8, v8
	v_cmp_ne_u16_e64 s[0:1], 0, v8
	v_mov_b32_e32 v24, 0
	s_and_saveexec_b64 s[16:17], s[0:1]
	s_cbranch_execz .LBB241_525
; %bb.520:                              ;   in Loop: Header=BB241_338 Depth=1
	v_cmp_ne_u16_e64 s[0:1], s28, v8
	v_bfrev_b32_e32 v24, 1
	s_and_saveexec_b64 s[18:19], s[0:1]
	s_cbranch_execz .LBB241_524
; %bb.521:                              ;   in Loop: Header=BB241_338 Depth=1
	v_and_b32_e32 v25, 0x7f, v8
	v_cmp_ne_u32_e64 s[0:1], s29, v25
	v_mov_b32_e32 v24, 0x7c010000
	s_and_saveexec_b64 s[20:21], s[0:1]
	s_cbranch_execz .LBB241_523
; %bb.522:                              ;   in Loop: Header=BB241_338 Depth=1
	v_and_b32_e32 v24, 7, v8
	v_ffbh_u32_e32 v54, v24
	v_min_u32_e32 v56, 32, v54
	v_subrev_u32_e32 v54, 28, v56
	v_lshlrev_b64 v[54:55], v54, v[8:9]
	v_lshrrev_b32_e32 v53, 3, v25
	v_sub_u32_e32 v55, 29, v56
	v_cmp_gt_u32_e64 s[0:1], 8, v25
	v_lshlrev_b32_e32 v8, 8, v8
	s_nop 0
	v_cndmask_b32_e64 v25, v53, v55, s[0:1]
	v_lshl_add_u32 v25, v25, 10, v34
	v_and_b32_e32 v53, 7, v54
	v_and_or_b32 v8, v8, s30, v25
	v_cndmask_b32_e64 v24, v24, v53, s[0:1]
	v_lshlrev_b32_e32 v8, 16, v8
	v_lshl_or_b32 v24, v24, 23, v8
.LBB241_523:                            ;   in Loop: Header=BB241_338 Depth=1
	s_or_b64 exec, exec, s[20:21]
.LBB241_524:                            ;   in Loop: Header=BB241_338 Depth=1
	s_or_b64 exec, exec, s[18:19]
.LBB241_525:                            ;   in Loop: Header=BB241_338 Depth=1
	s_or_b64 exec, exec, s[16:17]
	v_lshrrev_b32_e32 v8, 16, v19
	v_cmp_ne_u16_sdwa s[0:1], v8, v9 src0_sel:BYTE_0 src1_sel:DWORD
	s_and_saveexec_b64 s[16:17], s[0:1]
	s_cbranch_execz .LBB241_531
; %bb.526:                              ;   in Loop: Header=BB241_338 Depth=1
	v_cmp_ne_u16_sdwa s[0:1], v8, s28 src0_sel:BYTE_0 src1_sel:DWORD
	v_mov_b32_e32 v22, 0x8000
	s_and_saveexec_b64 s[18:19], s[0:1]
	s_cbranch_execz .LBB241_530
; %bb.527:                              ;   in Loop: Header=BB241_338 Depth=1
	v_bfe_u32 v25, v19, 16, 7
	v_cmp_ne_u32_e64 s[0:1], s29, v25
	v_mov_b32_e32 v22, 0x7c01
	s_and_saveexec_b64 s[20:21], s[0:1]
	s_cbranch_execz .LBB241_529
; %bb.528:                              ;   in Loop: Header=BB241_338 Depth=1
	v_and_b32_e32 v22, 7, v8
	v_ffbh_u32_e32 v54, v22
	v_min_u32_e32 v56, 32, v54
	v_subrev_u32_e32 v54, 28, v56
	v_lshlrev_b64 v[54:55], v54, v[8:9]
	v_lshrrev_b32_e32 v53, 3, v25
	v_sub_u32_e32 v55, 29, v56
	v_cmp_gt_u32_e64 s[0:1], 8, v25
	v_lshlrev_b32_e32 v8, 8, v8
	s_nop 0
	v_cndmask_b32_e64 v25, v53, v55, s[0:1]
	v_lshl_add_u32 v25, v25, 10, v34
	v_and_b32_e32 v53, 7, v54
	v_and_b32_e32 v25, 0xfc00, v25
	v_cndmask_b32_e64 v22, v22, v53, s[0:1]
	v_and_or_b32 v8, v8, s30, v25
	v_lshl_or_b32 v22, v22, 7, v8
.LBB241_529:                            ;   in Loop: Header=BB241_338 Depth=1
	s_or_b64 exec, exec, s[20:21]
.LBB241_530:                            ;   in Loop: Header=BB241_338 Depth=1
	s_or_b64 exec, exec, s[18:19]
.LBB241_531:                            ;   in Loop: Header=BB241_338 Depth=1
	s_or_b64 exec, exec, s[16:17]
	v_cmp_lt_u64_e64 s[0:1], s[6:7], v[18:19]
	v_mov_b32_e32 v18, 0
	s_and_saveexec_b64 s[16:17], s[0:1]
	s_cbranch_execz .LBB241_537
; %bb.532:                              ;   in Loop: Header=BB241_338 Depth=1
	v_lshrrev_b32_e32 v8, 24, v19
	v_cmp_ne_u32_e64 s[0:1], s28, v8
	v_bfrev_b32_e32 v18, 1
	s_and_saveexec_b64 s[18:19], s[0:1]
	s_cbranch_execz .LBB241_536
; %bb.533:                              ;   in Loop: Header=BB241_338 Depth=1
	v_and_b32_e32 v19, 0x7f, v8
	v_cmp_ne_u32_e64 s[0:1], s29, v19
	v_mov_b32_e32 v18, 0x7c010000
	s_and_saveexec_b64 s[20:21], s[0:1]
	s_cbranch_execz .LBB241_535
; %bb.534:                              ;   in Loop: Header=BB241_338 Depth=1
	v_and_b32_e32 v18, 7, v8
	v_ffbh_u32_e32 v53, v18
	v_min_u32_e32 v53, 32, v53
	v_lshrrev_b32_e32 v25, 3, v19
	v_subrev_u32_e32 v54, 28, v53
	v_sub_u32_e32 v53, 29, v53
	v_cmp_gt_u32_e64 s[0:1], 8, v19
	v_lshlrev_b64 v[54:55], v54, v[8:9]
	v_lshlrev_b32_e32 v8, 8, v8
	v_cndmask_b32_e64 v19, v25, v53, s[0:1]
	v_lshl_add_u32 v19, v19, 10, v34
	v_and_b32_e32 v25, 7, v54
	v_and_or_b32 v8, v8, s30, v19
	v_cndmask_b32_e64 v18, v18, v25, s[0:1]
	v_lshlrev_b32_e32 v8, 16, v8
	v_lshl_or_b32 v18, v18, 23, v8
.LBB241_535:                            ;   in Loop: Header=BB241_338 Depth=1
	s_or_b64 exec, exec, s[20:21]
.LBB241_536:                            ;   in Loop: Header=BB241_338 Depth=1
	s_or_b64 exec, exec, s[18:19]
.LBB241_537:                            ;   in Loop: Header=BB241_338 Depth=1
	s_or_b64 exec, exec, s[16:17]
	v_cvt_f32_f16_sdwa v55, v1 dst_sel:DWORD dst_unused:UNUSED_PAD src0_sel:WORD_1
	v_cvt_f32_f16_sdwa v54, v21 dst_sel:DWORD dst_unused:UNUSED_PAD src0_sel:WORD_1
	v_or_b32_e32 v1, v1, v17
	v_or_b32_e32 v8, v21, v20
	;; [unrolled: 1-line block ×3, first 2 shown]
	s_waitcnt vmcnt(0)
	v_pk_mul_f32 v[20:21], v[16:17], v[54:55] op_sel_hi:[0,1]
	v_cvt_f32_f16_e32 v54, v8
	v_cvt_f32_f16_e32 v55, v1
	v_cvt_pk_f16_f32 v1, v20, v21
	v_and_b32_e32 v17, 0xffff0000, v1
	v_lshlrev_b32_e32 v8, 16, v1
	v_pk_mul_f32 v[20:21], v[16:17], v[54:55] op_sel_hi:[0,1]
	v_cvt_pk_f16_f32 v1, v20, v21
	v_or_b32_e32 v21, v24, v23
	v_cvt_f32_f16_e32 v22, v22
	v_cvt_f32_f16_e32 v23, v21
	v_cvt_f32_f16_sdwa v25, v24 dst_sel:DWORD dst_unused:UNUSED_PAD src0_sel:WORD_1
	v_cvt_f32_f16_sdwa v24, v18 dst_sel:DWORD dst_unused:UNUSED_PAD src0_sel:WORD_1
	v_lshrrev_b32_e32 v19, 16, v1
	v_pk_mul_f32 v[22:23], v[16:17], v[22:23] op_sel_hi:[0,1]
	v_cvt_pk_f16_f32 v53, v22, v23
	v_pk_mul_f32 v[22:23], v[16:17], v[24:25] op_sel_hi:[0,1]
	v_cvt_pk_f16_f32 v16, v22, v23
	v_and_b32_e32 v20, 0xffff, v1
	v_and_b32_e32 v21, 0xffff0000, v16
	v_lshlrev_b32_e32 v16, 16, v16
	v_lshrrev_b32_e32 v23, 16, v53
	v_and_b32_e32 v22, 0xffff, v53
	v_or_b32_e32 v1, v17, v19
	v_or_b32_e32 v18, v8, v20
	;; [unrolled: 1-line block ×4, first 2 shown]
	s_and_saveexec_b64 s[16:17], vcc
	s_cbranch_execz .LBB241_539
; %bb.538:                              ;   in Loop: Header=BB241_338 Depth=1
	v_cmp_gt_i32_e64 s[0:1], s38, v35
	s_nop 1
	v_cndmask_b32_e64 v1, 0, v19, s[0:1]
	v_cmp_gt_i32_e64 s[0:1], s33, v42
	s_nop 1
	v_cndmask_b32_e64 v18, 0, v20, s[0:1]
	;; [unrolled: 3-line block ×3, first 2 shown]
	v_cmp_gt_i32_e64 s[0:1], s33, v40
	v_or_b32_e32 v1, v17, v1
	s_nop 0
	v_cndmask_b32_e64 v8, 0, v8, s[0:1]
	v_cmp_gt_i32_e64 s[0:1], s38, v39
	v_or_b32_e32 v18, v8, v18
	s_nop 0
	v_cndmask_b32_e64 v8, 0, v23, s[0:1]
	v_cmp_gt_i32_e64 s[0:1], s33, v38
	s_nop 1
	v_cndmask_b32_e64 v17, 0, v22, s[0:1]
	v_cmp_gt_i32_e64 s[0:1], s38, v37
	;; [unrolled: 3-line block ×3, first 2 shown]
	v_or_b32_e32 v25, v19, v8
	s_nop 0
	v_cndmask_b32_e64 v16, 0, v16, s[0:1]
	v_or_b32_e32 v24, v16, v17
.LBB241_539:                            ;   in Loop: Header=BB241_338 Depth=1
	s_or_b64 exec, exec, s[16:17]
	;;#ASMSTART
	v_pk_mul_f16 v1, v46, v1;

	;;#ASMEND
	;;#ASMSTART
	v_pk_mul_f16 v8, v45, v18;

	;;#ASMEND
	;; [unrolled: 4-line block ×4, first 2 shown]
	s_nop 0
	;;#ASMSTART
	v_pk_add_f16 v1, v1, v8;

	;;#ASMEND
	s_nop 0
	;;#ASMSTART
	v_pk_add_f16 v1, v1, v16;

	;;#ASMEND
	;; [unrolled: 5-line block ×3, first 2 shown]
	v_mov_b32_e32 v17, 0
	v_lshrrev_b32_e32 v8, 16, v1
	v_and_b32_e32 v1, 0xffff, v1
	;;#ASMSTART
	v_cvt_f32_f16 v53, v1;
	;;#ASMEND
	;;#ASMSTART
	v_cvt_f32_f16 v54, v8;
	;;#ASMEND
	global_load_dwordx2 v[18:19], v[14:15], off offset:2048
	v_mov_b32_e32 v1, 0
	global_load_dword v16, v1, s[14:15]
	s_waitcnt vmcnt(1)
	v_cmp_ne_u16_sdwa s[0:1], v18, v9 src0_sel:BYTE_0 src1_sel:DWORD
	s_and_saveexec_b64 s[16:17], s[0:1]
	s_cbranch_execz .LBB241_545
; %bb.540:                              ;   in Loop: Header=BB241_338 Depth=1
	v_cmp_ne_u16_sdwa s[0:1], v18, s28 src0_sel:BYTE_0 src1_sel:DWORD
	v_mov_b32_e32 v17, 0x8000
	s_and_saveexec_b64 s[18:19], s[0:1]
	s_cbranch_execz .LBB241_544
; %bb.541:                              ;   in Loop: Header=BB241_338 Depth=1
	v_and_b32_e32 v8, 0x7f, v18
	v_cmp_ne_u32_e64 s[0:1], s29, v8
	v_mov_b32_e32 v17, 0x7c01
	s_and_saveexec_b64 s[20:21], s[0:1]
	s_cbranch_execz .LBB241_543
; %bb.542:                              ;   in Loop: Header=BB241_338 Depth=1
	v_and_b32_e32 v17, 7, v18
	v_ffbh_u32_e32 v20, v17
	v_min_u32_e32 v23, 32, v20
	v_subrev_u32_e32 v20, 28, v23
	v_lshlrev_b64 v[20:21], v20, v[18:19]
	v_lshrrev_b32_e32 v22, 3, v8
	v_sub_u32_e32 v21, 29, v23
	v_cmp_gt_u32_e64 s[0:1], 8, v8
	v_and_b32_e32 v20, 7, v20
	s_nop 0
	v_cndmask_b32_e64 v8, v22, v21, s[0:1]
	v_lshl_add_u32 v8, v8, 10, v34
	v_lshlrev_b32_e32 v21, 8, v18
	v_and_b32_e32 v8, 0xfc00, v8
	v_cndmask_b32_e64 v17, v17, v20, s[0:1]
	v_and_or_b32 v8, v21, s30, v8
	v_lshl_or_b32 v17, v17, 7, v8
.LBB241_543:                            ;   in Loop: Header=BB241_338 Depth=1
	s_or_b64 exec, exec, s[20:21]
.LBB241_544:                            ;   in Loop: Header=BB241_338 Depth=1
	s_or_b64 exec, exec, s[18:19]
.LBB241_545:                            ;   in Loop: Header=BB241_338 Depth=1
	s_or_b64 exec, exec, s[16:17]
	v_lshrrev_b16_e32 v8, 8, v18
	v_cmp_ne_u16_e64 s[0:1], 0, v8
	s_and_saveexec_b64 s[16:17], s[0:1]
	s_cbranch_execz .LBB241_551
; %bb.546:                              ;   in Loop: Header=BB241_338 Depth=1
	v_cmp_ne_u16_e64 s[0:1], s28, v8
	v_bfrev_b32_e32 v1, 1
	s_and_saveexec_b64 s[18:19], s[0:1]
	s_cbranch_execz .LBB241_550
; %bb.547:                              ;   in Loop: Header=BB241_338 Depth=1
	v_and_b32_e32 v20, 0x7f, v8
	v_cmp_ne_u32_e64 s[0:1], s29, v20
	v_mov_b32_e32 v1, 0x7c010000
	s_and_saveexec_b64 s[20:21], s[0:1]
	s_cbranch_execz .LBB241_549
; %bb.548:                              ;   in Loop: Header=BB241_338 Depth=1
	v_and_b32_e32 v1, 7, v8
	v_ffbh_u32_e32 v22, v1
	v_min_u32_e32 v24, 32, v22
	v_subrev_u32_e32 v22, 28, v24
	v_lshlrev_b64 v[22:23], v22, v[8:9]
	v_lshrrev_b32_e32 v21, 3, v20
	v_sub_u32_e32 v23, 29, v24
	v_cmp_gt_u32_e64 s[0:1], 8, v20
	v_lshlrev_b32_e32 v8, 8, v8
	s_nop 0
	v_cndmask_b32_e64 v20, v21, v23, s[0:1]
	v_lshl_add_u32 v20, v20, 10, v34
	v_and_b32_e32 v21, 7, v22
	v_and_or_b32 v8, v8, s30, v20
	v_cndmask_b32_e64 v1, v1, v21, s[0:1]
	v_lshlrev_b32_e32 v8, 16, v8
	v_lshl_or_b32 v1, v1, 23, v8
.LBB241_549:                            ;   in Loop: Header=BB241_338 Depth=1
	s_or_b64 exec, exec, s[20:21]
.LBB241_550:                            ;   in Loop: Header=BB241_338 Depth=1
	s_or_b64 exec, exec, s[18:19]
.LBB241_551:                            ;   in Loop: Header=BB241_338 Depth=1
	s_or_b64 exec, exec, s[16:17]
	v_lshrrev_b32_e32 v8, 16, v18
	v_cmp_ne_u16_sdwa s[0:1], v8, v9 src0_sel:BYTE_0 src1_sel:DWORD
	v_mov_b32_e32 v21, 0
	v_mov_b32_e32 v20, 0
	s_and_saveexec_b64 s[16:17], s[0:1]
	s_cbranch_execz .LBB241_557
; %bb.552:                              ;   in Loop: Header=BB241_338 Depth=1
	v_cmp_ne_u16_sdwa s[0:1], v8, s28 src0_sel:BYTE_0 src1_sel:DWORD
	v_mov_b32_e32 v20, 0x8000
	s_and_saveexec_b64 s[18:19], s[0:1]
	s_cbranch_execz .LBB241_556
; %bb.553:                              ;   in Loop: Header=BB241_338 Depth=1
	v_bfe_u32 v22, v18, 16, 7
	v_cmp_ne_u32_e64 s[0:1], s29, v22
	v_mov_b32_e32 v20, 0x7c01
	s_and_saveexec_b64 s[20:21], s[0:1]
	s_cbranch_execz .LBB241_555
; %bb.554:                              ;   in Loop: Header=BB241_338 Depth=1
	v_and_b32_e32 v20, 7, v8
	v_ffbh_u32_e32 v24, v20
	v_min_u32_e32 v55, 32, v24
	v_subrev_u32_e32 v24, 28, v55
	v_lshlrev_b64 v[24:25], v24, v[8:9]
	v_lshrrev_b32_e32 v23, 3, v22
	v_sub_u32_e32 v25, 29, v55
	v_cmp_gt_u32_e64 s[0:1], 8, v22
	v_lshlrev_b32_e32 v8, 8, v8
	s_nop 0
	v_cndmask_b32_e64 v22, v23, v25, s[0:1]
	v_lshl_add_u32 v22, v22, 10, v34
	v_and_b32_e32 v23, 7, v24
	v_and_b32_e32 v22, 0xfc00, v22
	v_cndmask_b32_e64 v20, v20, v23, s[0:1]
	v_and_or_b32 v8, v8, s30, v22
	v_lshl_or_b32 v20, v20, 7, v8
.LBB241_555:                            ;   in Loop: Header=BB241_338 Depth=1
	s_or_b64 exec, exec, s[20:21]
.LBB241_556:                            ;   in Loop: Header=BB241_338 Depth=1
	s_or_b64 exec, exec, s[18:19]
.LBB241_557:                            ;   in Loop: Header=BB241_338 Depth=1
	s_or_b64 exec, exec, s[16:17]
	v_cmp_lt_u32_e64 s[0:1], s7, v18
	s_and_saveexec_b64 s[16:17], s[0:1]
	s_cbranch_execz .LBB241_563
; %bb.558:                              ;   in Loop: Header=BB241_338 Depth=1
	v_lshrrev_b32_e32 v8, 24, v18
	v_cmp_ne_u32_e64 s[0:1], s28, v8
	v_bfrev_b32_e32 v21, 1
	s_and_saveexec_b64 s[18:19], s[0:1]
	s_cbranch_execz .LBB241_562
; %bb.559:                              ;   in Loop: Header=BB241_338 Depth=1
	v_and_b32_e32 v22, 0x7f, v8
	v_cmp_ne_u32_e64 s[0:1], s29, v22
	v_mov_b32_e32 v21, 0x7c010000
	s_and_saveexec_b64 s[20:21], s[0:1]
	s_cbranch_execz .LBB241_561
; %bb.560:                              ;   in Loop: Header=BB241_338 Depth=1
	v_and_b32_e32 v21, 7, v8
	v_ffbh_u32_e32 v24, v21
	v_min_u32_e32 v55, 32, v24
	v_subrev_u32_e32 v24, 28, v55
	v_lshlrev_b64 v[24:25], v24, v[8:9]
	v_lshrrev_b32_e32 v23, 3, v22
	v_sub_u32_e32 v25, 29, v55
	v_cmp_gt_u32_e64 s[0:1], 8, v22
	v_lshlrev_b32_e32 v8, 8, v8
	s_nop 0
	v_cndmask_b32_e64 v22, v23, v25, s[0:1]
	v_lshl_add_u32 v22, v22, 10, v34
	v_and_b32_e32 v23, 7, v24
	v_and_or_b32 v8, v8, s30, v22
	v_cndmask_b32_e64 v21, v21, v23, s[0:1]
	v_lshlrev_b32_e32 v8, 16, v8
	v_lshl_or_b32 v21, v21, 23, v8
.LBB241_561:                            ;   in Loop: Header=BB241_338 Depth=1
	s_or_b64 exec, exec, s[20:21]
.LBB241_562:                            ;   in Loop: Header=BB241_338 Depth=1
	s_or_b64 exec, exec, s[18:19]
.LBB241_563:                            ;   in Loop: Header=BB241_338 Depth=1
	s_or_b64 exec, exec, s[16:17]
	v_mov_b32_e32 v8, v19
	v_cmp_ne_u16_sdwa s[0:1], v19, v9 src0_sel:BYTE_0 src1_sel:DWORD
	v_mov_b32_e32 v22, 0
	v_mov_b32_e32 v23, 0
	s_and_saveexec_b64 s[16:17], s[0:1]
	s_cbranch_execz .LBB241_569
; %bb.564:                              ;   in Loop: Header=BB241_338 Depth=1
	v_cmp_ne_u16_sdwa s[0:1], v19, s28 src0_sel:BYTE_0 src1_sel:DWORD
	v_mov_b32_e32 v23, 0x8000
	s_and_saveexec_b64 s[18:19], s[0:1]
	s_cbranch_execz .LBB241_568
; %bb.565:                              ;   in Loop: Header=BB241_338 Depth=1
	v_and_b32_e32 v24, 0x7f, v19
	v_cmp_ne_u32_e64 s[0:1], s29, v24
	v_mov_b32_e32 v23, 0x7c01
	s_and_saveexec_b64 s[20:21], s[0:1]
	s_cbranch_execz .LBB241_567
; %bb.566:                              ;   in Loop: Header=BB241_338 Depth=1
	v_and_b32_e32 v23, 7, v19
	v_ffbh_u32_e32 v55, v23
	v_min_u32_e32 v55, 32, v55
	v_lshrrev_b32_e32 v25, 3, v24
	v_subrev_u32_e32 v56, 28, v55
	v_sub_u32_e32 v55, 29, v55
	v_cmp_gt_u32_e64 s[0:1], 8, v24
	v_lshlrev_b64 v[56:57], v56, v[8:9]
	s_nop 0
	v_cndmask_b32_e64 v24, v25, v55, s[0:1]
	v_lshl_add_u32 v24, v24, 10, v34
	v_lshlrev_b32_e32 v25, 8, v19
	v_and_b32_e32 v55, 7, v56
	v_and_b32_e32 v24, 0xfc00, v24
	v_cndmask_b32_e64 v23, v23, v55, s[0:1]
	v_and_or_b32 v24, v25, s30, v24
	v_lshl_or_b32 v23, v23, 7, v24
.LBB241_567:                            ;   in Loop: Header=BB241_338 Depth=1
	s_or_b64 exec, exec, s[20:21]
.LBB241_568:                            ;   in Loop: Header=BB241_338 Depth=1
	s_or_b64 exec, exec, s[18:19]
.LBB241_569:                            ;   in Loop: Header=BB241_338 Depth=1
	s_or_b64 exec, exec, s[16:17]
	v_lshrrev_b16_e32 v8, 8, v8
	v_cmp_ne_u16_e64 s[0:1], 0, v8
	v_mov_b32_e32 v24, 0
	s_and_saveexec_b64 s[16:17], s[0:1]
	s_cbranch_execz .LBB241_575
; %bb.570:                              ;   in Loop: Header=BB241_338 Depth=1
	v_cmp_ne_u16_e64 s[0:1], s28, v8
	v_bfrev_b32_e32 v24, 1
	s_and_saveexec_b64 s[18:19], s[0:1]
	s_cbranch_execz .LBB241_574
; %bb.571:                              ;   in Loop: Header=BB241_338 Depth=1
	v_and_b32_e32 v25, 0x7f, v8
	v_cmp_ne_u32_e64 s[0:1], s29, v25
	v_mov_b32_e32 v24, 0x7c010000
	s_and_saveexec_b64 s[20:21], s[0:1]
	s_cbranch_execz .LBB241_573
; %bb.572:                              ;   in Loop: Header=BB241_338 Depth=1
	v_and_b32_e32 v24, 7, v8
	v_ffbh_u32_e32 v56, v24
	v_min_u32_e32 v58, 32, v56
	v_subrev_u32_e32 v56, 28, v58
	v_lshlrev_b64 v[56:57], v56, v[8:9]
	v_lshrrev_b32_e32 v55, 3, v25
	v_sub_u32_e32 v57, 29, v58
	v_cmp_gt_u32_e64 s[0:1], 8, v25
	v_lshlrev_b32_e32 v8, 8, v8
	s_nop 0
	v_cndmask_b32_e64 v25, v55, v57, s[0:1]
	v_lshl_add_u32 v25, v25, 10, v34
	v_and_b32_e32 v55, 7, v56
	v_and_or_b32 v8, v8, s30, v25
	v_cndmask_b32_e64 v24, v24, v55, s[0:1]
	v_lshlrev_b32_e32 v8, 16, v8
	v_lshl_or_b32 v24, v24, 23, v8
.LBB241_573:                            ;   in Loop: Header=BB241_338 Depth=1
	s_or_b64 exec, exec, s[20:21]
.LBB241_574:                            ;   in Loop: Header=BB241_338 Depth=1
	s_or_b64 exec, exec, s[18:19]
.LBB241_575:                            ;   in Loop: Header=BB241_338 Depth=1
	s_or_b64 exec, exec, s[16:17]
	v_lshrrev_b32_e32 v8, 16, v19
	v_cmp_ne_u16_sdwa s[0:1], v8, v9 src0_sel:BYTE_0 src1_sel:DWORD
	s_and_saveexec_b64 s[16:17], s[0:1]
	s_cbranch_execz .LBB241_581
; %bb.576:                              ;   in Loop: Header=BB241_338 Depth=1
	v_cmp_ne_u16_sdwa s[0:1], v8, s28 src0_sel:BYTE_0 src1_sel:DWORD
	v_mov_b32_e32 v22, 0x8000
	s_and_saveexec_b64 s[18:19], s[0:1]
	s_cbranch_execz .LBB241_580
; %bb.577:                              ;   in Loop: Header=BB241_338 Depth=1
	v_bfe_u32 v25, v19, 16, 7
	v_cmp_ne_u32_e64 s[0:1], s29, v25
	v_mov_b32_e32 v22, 0x7c01
	s_and_saveexec_b64 s[20:21], s[0:1]
	s_cbranch_execz .LBB241_579
; %bb.578:                              ;   in Loop: Header=BB241_338 Depth=1
	v_and_b32_e32 v22, 7, v8
	v_ffbh_u32_e32 v56, v22
	v_min_u32_e32 v58, 32, v56
	v_subrev_u32_e32 v56, 28, v58
	v_lshlrev_b64 v[56:57], v56, v[8:9]
	v_lshrrev_b32_e32 v55, 3, v25
	v_sub_u32_e32 v57, 29, v58
	v_cmp_gt_u32_e64 s[0:1], 8, v25
	v_lshlrev_b32_e32 v8, 8, v8
	s_nop 0
	v_cndmask_b32_e64 v25, v55, v57, s[0:1]
	v_lshl_add_u32 v25, v25, 10, v34
	v_and_b32_e32 v55, 7, v56
	v_and_b32_e32 v25, 0xfc00, v25
	v_cndmask_b32_e64 v22, v22, v55, s[0:1]
	v_and_or_b32 v8, v8, s30, v25
	v_lshl_or_b32 v22, v22, 7, v8
.LBB241_579:                            ;   in Loop: Header=BB241_338 Depth=1
	s_or_b64 exec, exec, s[20:21]
.LBB241_580:                            ;   in Loop: Header=BB241_338 Depth=1
	s_or_b64 exec, exec, s[18:19]
.LBB241_581:                            ;   in Loop: Header=BB241_338 Depth=1
	s_or_b64 exec, exec, s[16:17]
	v_cmp_lt_u64_e64 s[0:1], s[6:7], v[18:19]
	v_mov_b32_e32 v18, 0
	s_and_saveexec_b64 s[16:17], s[0:1]
	s_cbranch_execz .LBB241_587
; %bb.582:                              ;   in Loop: Header=BB241_338 Depth=1
	v_lshrrev_b32_e32 v8, 24, v19
	v_cmp_ne_u32_e64 s[0:1], s28, v8
	v_bfrev_b32_e32 v18, 1
	s_and_saveexec_b64 s[18:19], s[0:1]
	s_cbranch_execz .LBB241_586
; %bb.583:                              ;   in Loop: Header=BB241_338 Depth=1
	v_and_b32_e32 v19, 0x7f, v8
	v_cmp_ne_u32_e64 s[0:1], s29, v19
	v_mov_b32_e32 v18, 0x7c010000
	s_and_saveexec_b64 s[20:21], s[0:1]
	s_cbranch_execz .LBB241_585
; %bb.584:                              ;   in Loop: Header=BB241_338 Depth=1
	v_and_b32_e32 v18, 7, v8
	v_ffbh_u32_e32 v55, v18
	v_min_u32_e32 v55, 32, v55
	v_lshrrev_b32_e32 v25, 3, v19
	v_subrev_u32_e32 v56, 28, v55
	v_sub_u32_e32 v55, 29, v55
	v_cmp_gt_u32_e64 s[0:1], 8, v19
	v_lshlrev_b64 v[56:57], v56, v[8:9]
	v_lshlrev_b32_e32 v8, 8, v8
	v_cndmask_b32_e64 v19, v25, v55, s[0:1]
	v_lshl_add_u32 v19, v19, 10, v34
	v_and_b32_e32 v25, 7, v56
	v_and_or_b32 v8, v8, s30, v19
	v_cndmask_b32_e64 v18, v18, v25, s[0:1]
	v_lshlrev_b32_e32 v8, 16, v8
	v_lshl_or_b32 v18, v18, 23, v8
.LBB241_585:                            ;   in Loop: Header=BB241_338 Depth=1
	s_or_b64 exec, exec, s[20:21]
.LBB241_586:                            ;   in Loop: Header=BB241_338 Depth=1
	s_or_b64 exec, exec, s[18:19]
.LBB241_587:                            ;   in Loop: Header=BB241_338 Depth=1
	s_or_b64 exec, exec, s[16:17]
	v_cvt_f32_f16_sdwa v57, v1 dst_sel:DWORD dst_unused:UNUSED_PAD src0_sel:WORD_1
	v_cvt_f32_f16_sdwa v56, v21 dst_sel:DWORD dst_unused:UNUSED_PAD src0_sel:WORD_1
	v_or_b32_e32 v1, v1, v17
	v_or_b32_e32 v8, v21, v20
	;; [unrolled: 1-line block ×3, first 2 shown]
	s_waitcnt vmcnt(0)
	v_pk_mul_f32 v[20:21], v[16:17], v[56:57] op_sel_hi:[0,1]
	v_cvt_f32_f16_e32 v56, v8
	v_cvt_f32_f16_e32 v57, v1
	v_cvt_pk_f16_f32 v1, v20, v21
	v_and_b32_e32 v17, 0xffff0000, v1
	v_lshlrev_b32_e32 v8, 16, v1
	v_pk_mul_f32 v[20:21], v[16:17], v[56:57] op_sel_hi:[0,1]
	v_cvt_pk_f16_f32 v1, v20, v21
	v_or_b32_e32 v21, v24, v23
	v_cvt_f32_f16_e32 v22, v22
	v_cvt_f32_f16_e32 v23, v21
	v_cvt_f32_f16_sdwa v25, v24 dst_sel:DWORD dst_unused:UNUSED_PAD src0_sel:WORD_1
	v_cvt_f32_f16_sdwa v24, v18 dst_sel:DWORD dst_unused:UNUSED_PAD src0_sel:WORD_1
	v_lshrrev_b32_e32 v19, 16, v1
	v_pk_mul_f32 v[22:23], v[16:17], v[22:23] op_sel_hi:[0,1]
	v_cvt_pk_f16_f32 v55, v22, v23
	v_pk_mul_f32 v[22:23], v[16:17], v[24:25] op_sel_hi:[0,1]
	v_cvt_pk_f16_f32 v16, v22, v23
	v_and_b32_e32 v20, 0xffff, v1
	v_and_b32_e32 v21, 0xffff0000, v16
	v_lshlrev_b32_e32 v16, 16, v16
	v_lshrrev_b32_e32 v23, 16, v55
	v_and_b32_e32 v22, 0xffff, v55
	v_or_b32_e32 v1, v17, v19
	v_or_b32_e32 v18, v8, v20
	;; [unrolled: 1-line block ×4, first 2 shown]
	s_and_saveexec_b64 s[16:17], vcc
	s_cbranch_execz .LBB241_589
; %bb.588:                              ;   in Loop: Header=BB241_338 Depth=1
	v_cmp_gt_i32_e64 s[0:1], s38, v35
	s_nop 1
	v_cndmask_b32_e64 v1, 0, v19, s[0:1]
	v_cmp_gt_i32_e64 s[0:1], s33, v42
	s_nop 1
	v_cndmask_b32_e64 v18, 0, v20, s[0:1]
	;; [unrolled: 3-line block ×3, first 2 shown]
	v_cmp_gt_i32_e64 s[0:1], s33, v40
	v_or_b32_e32 v1, v17, v1
	s_nop 0
	v_cndmask_b32_e64 v8, 0, v8, s[0:1]
	v_cmp_gt_i32_e64 s[0:1], s38, v39
	v_or_b32_e32 v18, v8, v18
	s_nop 0
	v_cndmask_b32_e64 v8, 0, v23, s[0:1]
	v_cmp_gt_i32_e64 s[0:1], s33, v38
	s_nop 1
	v_cndmask_b32_e64 v17, 0, v22, s[0:1]
	v_cmp_gt_i32_e64 s[0:1], s38, v37
	;; [unrolled: 3-line block ×3, first 2 shown]
	v_or_b32_e32 v25, v19, v8
	s_nop 0
	v_cndmask_b32_e64 v16, 0, v16, s[0:1]
	v_or_b32_e32 v24, v16, v17
.LBB241_589:                            ;   in Loop: Header=BB241_338 Depth=1
	s_or_b64 exec, exec, s[16:17]
	;;#ASMSTART
	v_pk_mul_f16 v1, v46, v1;

	;;#ASMEND
	;;#ASMSTART
	v_pk_mul_f16 v8, v45, v18;

	;;#ASMEND
	;; [unrolled: 4-line block ×4, first 2 shown]
	s_nop 0
	;;#ASMSTART
	v_pk_add_f16 v1, v1, v8;

	;;#ASMEND
	s_nop 0
	;;#ASMSTART
	v_pk_add_f16 v1, v1, v16;

	;;#ASMEND
	;; [unrolled: 5-line block ×3, first 2 shown]
	s_nop 0
	v_lshrrev_b32_e32 v8, 16, v1
	v_and_b32_e32 v1, 0xffff, v1
	;;#ASMSTART
	v_cvt_f32_f16 v24, v1;
	;;#ASMEND
	;;#ASMSTART
	v_cvt_f32_f16 v25, v8;
	;;#ASMEND
	global_load_dwordx2 v[16:17], v[14:15], off offset:2560
	v_mov_b32_e32 v1, 0
	global_load_dword v14, v1, s[14:15]
	v_mov_b32_e32 v15, 0
	s_waitcnt vmcnt(1)
	v_cmp_ne_u16_sdwa s[0:1], v16, v9 src0_sel:BYTE_0 src1_sel:DWORD
	s_and_saveexec_b64 s[16:17], s[0:1]
	s_cbranch_execz .LBB241_595
; %bb.590:                              ;   in Loop: Header=BB241_338 Depth=1
	v_cmp_ne_u16_sdwa s[0:1], v16, s28 src0_sel:BYTE_0 src1_sel:DWORD
	v_mov_b32_e32 v15, 0x8000
	s_and_saveexec_b64 s[18:19], s[0:1]
	s_cbranch_execz .LBB241_594
; %bb.591:                              ;   in Loop: Header=BB241_338 Depth=1
	v_and_b32_e32 v8, 0x7f, v16
	v_cmp_ne_u32_e64 s[0:1], s29, v8
	v_mov_b32_e32 v15, 0x7c01
	s_and_saveexec_b64 s[20:21], s[0:1]
	s_cbranch_execz .LBB241_593
; %bb.592:                              ;   in Loop: Header=BB241_338 Depth=1
	v_and_b32_e32 v15, 7, v16
	v_ffbh_u32_e32 v18, v15
	v_min_u32_e32 v21, 32, v18
	v_subrev_u32_e32 v18, 28, v21
	v_lshlrev_b64 v[18:19], v18, v[16:17]
	v_lshrrev_b32_e32 v20, 3, v8
	v_sub_u32_e32 v19, 29, v21
	v_cmp_gt_u32_e64 s[0:1], 8, v8
	v_and_b32_e32 v18, 7, v18
	s_nop 0
	v_cndmask_b32_e64 v8, v20, v19, s[0:1]
	v_lshl_add_u32 v8, v8, 10, v34
	v_lshlrev_b32_e32 v19, 8, v16
	v_and_b32_e32 v8, 0xfc00, v8
	v_cndmask_b32_e64 v15, v15, v18, s[0:1]
	v_and_or_b32 v8, v19, s30, v8
	v_lshl_or_b32 v15, v15, 7, v8
.LBB241_593:                            ;   in Loop: Header=BB241_338 Depth=1
	s_or_b64 exec, exec, s[20:21]
.LBB241_594:                            ;   in Loop: Header=BB241_338 Depth=1
	s_or_b64 exec, exec, s[18:19]
.LBB241_595:                            ;   in Loop: Header=BB241_338 Depth=1
	s_or_b64 exec, exec, s[16:17]
	v_lshrrev_b16_e32 v8, 8, v16
	v_cmp_ne_u16_e64 s[0:1], 0, v8
	s_and_saveexec_b64 s[16:17], s[0:1]
	s_cbranch_execz .LBB241_601
; %bb.596:                              ;   in Loop: Header=BB241_338 Depth=1
	v_cmp_ne_u16_e64 s[0:1], s28, v8
	v_bfrev_b32_e32 v1, 1
	s_and_saveexec_b64 s[18:19], s[0:1]
	s_cbranch_execz .LBB241_600
; %bb.597:                              ;   in Loop: Header=BB241_338 Depth=1
	v_and_b32_e32 v18, 0x7f, v8
	v_cmp_ne_u32_e64 s[0:1], s29, v18
	v_mov_b32_e32 v1, 0x7c010000
	s_and_saveexec_b64 s[20:21], s[0:1]
	s_cbranch_execz .LBB241_599
; %bb.598:                              ;   in Loop: Header=BB241_338 Depth=1
	v_and_b32_e32 v1, 7, v8
	v_ffbh_u32_e32 v20, v1
	v_min_u32_e32 v22, 32, v20
	v_subrev_u32_e32 v20, 28, v22
	v_lshlrev_b64 v[20:21], v20, v[8:9]
	v_lshrrev_b32_e32 v19, 3, v18
	v_sub_u32_e32 v21, 29, v22
	v_cmp_gt_u32_e64 s[0:1], 8, v18
	v_lshlrev_b32_e32 v8, 8, v8
	s_nop 0
	v_cndmask_b32_e64 v18, v19, v21, s[0:1]
	v_lshl_add_u32 v18, v18, 10, v34
	v_and_b32_e32 v19, 7, v20
	v_and_or_b32 v8, v8, s30, v18
	v_cndmask_b32_e64 v1, v1, v19, s[0:1]
	v_lshlrev_b32_e32 v8, 16, v8
	v_lshl_or_b32 v1, v1, 23, v8
.LBB241_599:                            ;   in Loop: Header=BB241_338 Depth=1
	s_or_b64 exec, exec, s[20:21]
.LBB241_600:                            ;   in Loop: Header=BB241_338 Depth=1
	s_or_b64 exec, exec, s[18:19]
.LBB241_601:                            ;   in Loop: Header=BB241_338 Depth=1
	s_or_b64 exec, exec, s[16:17]
	v_lshrrev_b32_e32 v8, 16, v16
	v_cmp_ne_u16_sdwa s[0:1], v8, v9 src0_sel:BYTE_0 src1_sel:DWORD
	v_mov_b32_e32 v19, 0
	v_mov_b32_e32 v18, 0
	s_and_saveexec_b64 s[16:17], s[0:1]
	s_cbranch_execz .LBB241_607
; %bb.602:                              ;   in Loop: Header=BB241_338 Depth=1
	v_cmp_ne_u16_sdwa s[0:1], v8, s28 src0_sel:BYTE_0 src1_sel:DWORD
	v_mov_b32_e32 v18, 0x8000
	s_and_saveexec_b64 s[18:19], s[0:1]
	s_cbranch_execz .LBB241_606
; %bb.603:                              ;   in Loop: Header=BB241_338 Depth=1
	v_bfe_u32 v20, v16, 16, 7
	v_cmp_ne_u32_e64 s[0:1], s29, v20
	v_mov_b32_e32 v18, 0x7c01
	s_and_saveexec_b64 s[20:21], s[0:1]
	s_cbranch_execz .LBB241_605
; %bb.604:                              ;   in Loop: Header=BB241_338 Depth=1
	v_and_b32_e32 v18, 7, v8
	v_ffbh_u32_e32 v22, v18
	v_min_u32_e32 v55, 32, v22
	v_subrev_u32_e32 v22, 28, v55
	v_lshlrev_b64 v[22:23], v22, v[8:9]
	v_lshrrev_b32_e32 v21, 3, v20
	v_sub_u32_e32 v23, 29, v55
	v_cmp_gt_u32_e64 s[0:1], 8, v20
	v_lshlrev_b32_e32 v8, 8, v8
	s_nop 0
	v_cndmask_b32_e64 v20, v21, v23, s[0:1]
	v_lshl_add_u32 v20, v20, 10, v34
	v_and_b32_e32 v21, 7, v22
	v_and_b32_e32 v20, 0xfc00, v20
	v_cndmask_b32_e64 v18, v18, v21, s[0:1]
	v_and_or_b32 v8, v8, s30, v20
	v_lshl_or_b32 v18, v18, 7, v8
.LBB241_605:                            ;   in Loop: Header=BB241_338 Depth=1
	s_or_b64 exec, exec, s[20:21]
.LBB241_606:                            ;   in Loop: Header=BB241_338 Depth=1
	s_or_b64 exec, exec, s[18:19]
.LBB241_607:                            ;   in Loop: Header=BB241_338 Depth=1
	s_or_b64 exec, exec, s[16:17]
	v_cmp_lt_u32_e64 s[0:1], s7, v16
	s_and_saveexec_b64 s[16:17], s[0:1]
	s_cbranch_execz .LBB241_613
; %bb.608:                              ;   in Loop: Header=BB241_338 Depth=1
	v_lshrrev_b32_e32 v8, 24, v16
	v_cmp_ne_u32_e64 s[0:1], s28, v8
	v_bfrev_b32_e32 v19, 1
	s_and_saveexec_b64 s[18:19], s[0:1]
	s_cbranch_execz .LBB241_612
; %bb.609:                              ;   in Loop: Header=BB241_338 Depth=1
	v_and_b32_e32 v20, 0x7f, v8
	v_cmp_ne_u32_e64 s[0:1], s29, v20
	v_mov_b32_e32 v19, 0x7c010000
	s_and_saveexec_b64 s[20:21], s[0:1]
	s_cbranch_execz .LBB241_611
; %bb.610:                              ;   in Loop: Header=BB241_338 Depth=1
	v_and_b32_e32 v19, 7, v8
	v_ffbh_u32_e32 v22, v19
	v_min_u32_e32 v55, 32, v22
	v_subrev_u32_e32 v22, 28, v55
	v_lshlrev_b64 v[22:23], v22, v[8:9]
	v_lshrrev_b32_e32 v21, 3, v20
	v_sub_u32_e32 v23, 29, v55
	v_cmp_gt_u32_e64 s[0:1], 8, v20
	v_lshlrev_b32_e32 v8, 8, v8
	s_nop 0
	v_cndmask_b32_e64 v20, v21, v23, s[0:1]
	v_lshl_add_u32 v20, v20, 10, v34
	v_and_b32_e32 v21, 7, v22
	v_and_or_b32 v8, v8, s30, v20
	v_cndmask_b32_e64 v19, v19, v21, s[0:1]
	v_lshlrev_b32_e32 v8, 16, v8
	v_lshl_or_b32 v19, v19, 23, v8
.LBB241_611:                            ;   in Loop: Header=BB241_338 Depth=1
	s_or_b64 exec, exec, s[20:21]
.LBB241_612:                            ;   in Loop: Header=BB241_338 Depth=1
	s_or_b64 exec, exec, s[18:19]
.LBB241_613:                            ;   in Loop: Header=BB241_338 Depth=1
	s_or_b64 exec, exec, s[16:17]
	v_mov_b32_e32 v8, v17
	v_cmp_ne_u16_sdwa s[0:1], v17, v9 src0_sel:BYTE_0 src1_sel:DWORD
	v_mov_b32_e32 v20, 0
	v_mov_b32_e32 v21, 0
	s_and_saveexec_b64 s[16:17], s[0:1]
	s_cbranch_execz .LBB241_619
; %bb.614:                              ;   in Loop: Header=BB241_338 Depth=1
	v_cmp_ne_u16_sdwa s[0:1], v17, s28 src0_sel:BYTE_0 src1_sel:DWORD
	v_mov_b32_e32 v21, 0x8000
	s_and_saveexec_b64 s[18:19], s[0:1]
	s_cbranch_execz .LBB241_618
; %bb.615:                              ;   in Loop: Header=BB241_338 Depth=1
	v_and_b32_e32 v22, 0x7f, v17
	v_cmp_ne_u32_e64 s[0:1], s29, v22
	v_mov_b32_e32 v21, 0x7c01
	s_and_saveexec_b64 s[20:21], s[0:1]
	s_cbranch_execz .LBB241_617
; %bb.616:                              ;   in Loop: Header=BB241_338 Depth=1
	v_and_b32_e32 v21, 7, v17
	v_ffbh_u32_e32 v55, v21
	v_min_u32_e32 v55, 32, v55
	v_lshrrev_b32_e32 v23, 3, v22
	v_subrev_u32_e32 v56, 28, v55
	v_sub_u32_e32 v55, 29, v55
	v_cmp_gt_u32_e64 s[0:1], 8, v22
	v_lshlrev_b64 v[56:57], v56, v[8:9]
	s_nop 0
	v_cndmask_b32_e64 v22, v23, v55, s[0:1]
	v_lshl_add_u32 v22, v22, 10, v34
	v_lshlrev_b32_e32 v23, 8, v17
	v_and_b32_e32 v55, 7, v56
	v_and_b32_e32 v22, 0xfc00, v22
	v_cndmask_b32_e64 v21, v21, v55, s[0:1]
	v_and_or_b32 v22, v23, s30, v22
	v_lshl_or_b32 v21, v21, 7, v22
.LBB241_617:                            ;   in Loop: Header=BB241_338 Depth=1
	s_or_b64 exec, exec, s[20:21]
.LBB241_618:                            ;   in Loop: Header=BB241_338 Depth=1
	s_or_b64 exec, exec, s[18:19]
.LBB241_619:                            ;   in Loop: Header=BB241_338 Depth=1
	s_or_b64 exec, exec, s[16:17]
	v_lshrrev_b16_e32 v8, 8, v8
	v_cmp_ne_u16_e64 s[0:1], 0, v8
	v_mov_b32_e32 v22, 0
	s_and_saveexec_b64 s[16:17], s[0:1]
	s_cbranch_execz .LBB241_625
; %bb.620:                              ;   in Loop: Header=BB241_338 Depth=1
	v_cmp_ne_u16_e64 s[0:1], s28, v8
	v_bfrev_b32_e32 v22, 1
	s_and_saveexec_b64 s[18:19], s[0:1]
	s_cbranch_execz .LBB241_624
; %bb.621:                              ;   in Loop: Header=BB241_338 Depth=1
	v_and_b32_e32 v23, 0x7f, v8
	v_cmp_ne_u32_e64 s[0:1], s29, v23
	v_mov_b32_e32 v22, 0x7c010000
	s_and_saveexec_b64 s[20:21], s[0:1]
	s_cbranch_execz .LBB241_623
; %bb.622:                              ;   in Loop: Header=BB241_338 Depth=1
	v_and_b32_e32 v22, 7, v8
	v_ffbh_u32_e32 v56, v22
	v_min_u32_e32 v58, 32, v56
	v_subrev_u32_e32 v56, 28, v58
	v_lshlrev_b64 v[56:57], v56, v[8:9]
	v_lshrrev_b32_e32 v55, 3, v23
	v_sub_u32_e32 v57, 29, v58
	v_cmp_gt_u32_e64 s[0:1], 8, v23
	v_lshlrev_b32_e32 v8, 8, v8
	s_nop 0
	v_cndmask_b32_e64 v23, v55, v57, s[0:1]
	v_lshl_add_u32 v23, v23, 10, v34
	v_and_b32_e32 v55, 7, v56
	v_and_or_b32 v8, v8, s30, v23
	v_cndmask_b32_e64 v22, v22, v55, s[0:1]
	v_lshlrev_b32_e32 v8, 16, v8
	v_lshl_or_b32 v22, v22, 23, v8
.LBB241_623:                            ;   in Loop: Header=BB241_338 Depth=1
	s_or_b64 exec, exec, s[20:21]
.LBB241_624:                            ;   in Loop: Header=BB241_338 Depth=1
	s_or_b64 exec, exec, s[18:19]
.LBB241_625:                            ;   in Loop: Header=BB241_338 Depth=1
	s_or_b64 exec, exec, s[16:17]
	v_lshrrev_b32_e32 v8, 16, v17
	v_cmp_ne_u16_sdwa s[0:1], v8, v9 src0_sel:BYTE_0 src1_sel:DWORD
	s_and_saveexec_b64 s[16:17], s[0:1]
	s_cbranch_execz .LBB241_631
; %bb.626:                              ;   in Loop: Header=BB241_338 Depth=1
	v_cmp_ne_u16_sdwa s[0:1], v8, s28 src0_sel:BYTE_0 src1_sel:DWORD
	v_mov_b32_e32 v20, 0x8000
	s_and_saveexec_b64 s[18:19], s[0:1]
	s_cbranch_execz .LBB241_630
; %bb.627:                              ;   in Loop: Header=BB241_338 Depth=1
	v_bfe_u32 v23, v17, 16, 7
	v_cmp_ne_u32_e64 s[0:1], s29, v23
	v_mov_b32_e32 v20, 0x7c01
	s_and_saveexec_b64 s[20:21], s[0:1]
	s_cbranch_execz .LBB241_629
; %bb.628:                              ;   in Loop: Header=BB241_338 Depth=1
	v_and_b32_e32 v20, 7, v8
	v_ffbh_u32_e32 v56, v20
	v_min_u32_e32 v58, 32, v56
	v_subrev_u32_e32 v56, 28, v58
	v_lshlrev_b64 v[56:57], v56, v[8:9]
	v_lshrrev_b32_e32 v55, 3, v23
	v_sub_u32_e32 v57, 29, v58
	v_cmp_gt_u32_e64 s[0:1], 8, v23
	v_lshlrev_b32_e32 v8, 8, v8
	s_nop 0
	v_cndmask_b32_e64 v23, v55, v57, s[0:1]
	v_lshl_add_u32 v23, v23, 10, v34
	v_and_b32_e32 v55, 7, v56
	v_and_b32_e32 v23, 0xfc00, v23
	v_cndmask_b32_e64 v20, v20, v55, s[0:1]
	v_and_or_b32 v8, v8, s30, v23
	v_lshl_or_b32 v20, v20, 7, v8
.LBB241_629:                            ;   in Loop: Header=BB241_338 Depth=1
	s_or_b64 exec, exec, s[20:21]
.LBB241_630:                            ;   in Loop: Header=BB241_338 Depth=1
	s_or_b64 exec, exec, s[18:19]
.LBB241_631:                            ;   in Loop: Header=BB241_338 Depth=1
	s_or_b64 exec, exec, s[16:17]
	v_cmp_lt_u64_e64 s[0:1], s[6:7], v[16:17]
	v_mov_b32_e32 v23, 0
	s_and_saveexec_b64 s[16:17], s[0:1]
	s_cbranch_execz .LBB241_637
; %bb.632:                              ;   in Loop: Header=BB241_338 Depth=1
	v_lshrrev_b32_e32 v8, 24, v17
	v_cmp_ne_u32_e64 s[0:1], s28, v8
	v_bfrev_b32_e32 v23, 1
	s_and_saveexec_b64 s[18:19], s[0:1]
	s_cbranch_execz .LBB241_636
; %bb.633:                              ;   in Loop: Header=BB241_338 Depth=1
	v_and_b32_e32 v16, 0x7f, v8
	v_cmp_ne_u32_e64 s[0:1], s29, v16
	v_mov_b32_e32 v23, 0x7c010000
	s_and_saveexec_b64 s[20:21], s[0:1]
	s_cbranch_execz .LBB241_635
; %bb.634:                              ;   in Loop: Header=BB241_338 Depth=1
	v_and_b32_e32 v17, 7, v8
	v_ffbh_u32_e32 v55, v17
	v_min_u32_e32 v55, 32, v55
	v_lshrrev_b32_e32 v23, 3, v16
	v_subrev_u32_e32 v56, 28, v55
	v_sub_u32_e32 v55, 29, v55
	v_cmp_gt_u32_e64 s[0:1], 8, v16
	v_lshlrev_b64 v[56:57], v56, v[8:9]
	v_lshlrev_b32_e32 v8, 8, v8
	v_cndmask_b32_e64 v16, v23, v55, s[0:1]
	v_lshl_add_u32 v16, v16, 10, v34
	v_and_b32_e32 v23, 7, v56
	v_and_or_b32 v8, v8, s30, v16
	v_cndmask_b32_e64 v17, v17, v23, s[0:1]
	v_lshlrev_b32_e32 v8, 16, v8
	v_lshl_or_b32 v23, v17, 23, v8
.LBB241_635:                            ;   in Loop: Header=BB241_338 Depth=1
	s_or_b64 exec, exec, s[20:21]
.LBB241_636:                            ;   in Loop: Header=BB241_338 Depth=1
	s_or_b64 exec, exec, s[18:19]
.LBB241_637:                            ;   in Loop: Header=BB241_338 Depth=1
	s_or_b64 exec, exec, s[16:17]
	v_cvt_f32_f16_sdwa v17, v1 dst_sel:DWORD dst_unused:UNUSED_PAD src0_sel:WORD_1
	v_cvt_f32_f16_sdwa v16, v19 dst_sel:DWORD dst_unused:UNUSED_PAD src0_sel:WORD_1
	v_or_b32_e32 v1, v1, v15
	v_or_b32_e32 v8, v19, v18
	v_cvt_f32_f16_e32 v18, v8
	v_cvt_f32_f16_e32 v19, v1
	s_waitcnt vmcnt(0)
	v_pk_mul_f32 v[16:17], v[14:15], v[16:17] op_sel_hi:[0,1]
	v_cvt_pk_f16_f32 v1, v16, v17
	v_and_b32_e32 v15, 0xffff0000, v1
	v_pk_mul_f32 v[18:19], v[14:15], v[18:19] op_sel_hi:[0,1]
	v_lshlrev_b32_e32 v16, 16, v1
	v_cvt_pk_f16_f32 v1, v18, v19
	v_or_b32_e32 v8, v22, v21
	v_or_b32_e32 v19, v23, v20
	v_cvt_f32_f16_e32 v20, v19
	v_cvt_f32_f16_e32 v21, v8
	v_cvt_f32_f16_sdwa v57, v22 dst_sel:DWORD dst_unused:UNUSED_PAD src0_sel:WORD_1
	v_cvt_f32_f16_sdwa v56, v23 dst_sel:DWORD dst_unused:UNUSED_PAD src0_sel:WORD_1
	v_lshrrev_b32_e32 v17, 16, v1
	v_pk_mul_f32 v[20:21], v[14:15], v[20:21] op_sel_hi:[0,1]
	v_cvt_pk_f16_f32 v22, v20, v21
	v_pk_mul_f32 v[20:21], v[14:15], v[56:57] op_sel_hi:[0,1]
	v_cvt_pk_f16_f32 v14, v20, v21
	v_and_b32_e32 v18, 0xffff, v1
	v_and_b32_e32 v19, 0xffff0000, v14
	v_lshlrev_b32_e32 v14, 16, v14
	v_lshrrev_b32_e32 v23, 16, v22
	v_and_b32_e32 v22, 0xffff, v22
	v_or_b32_e32 v1, v15, v17
	v_or_b32_e32 v8, v16, v18
	;; [unrolled: 1-line block ×4, first 2 shown]
	s_and_saveexec_b64 s[0:1], vcc
	s_cbranch_execz .LBB241_336
; %bb.638:                              ;   in Loop: Header=BB241_338 Depth=1
	v_cmp_gt_i32_e32 vcc, s38, v35
	s_nop 1
	v_cndmask_b32_e32 v1, 0, v17, vcc
	v_cmp_gt_i32_e32 vcc, s33, v42
	s_nop 1
	v_cndmask_b32_e32 v8, 0, v18, vcc
	v_cmp_gt_i32_e32 vcc, s38, v41
	s_nop 1
	v_cndmask_b32_e32 v15, 0, v15, vcc
	v_cmp_gt_i32_e32 vcc, s33, v40
	v_or_b32_e32 v1, v15, v1
	s_nop 0
	v_cndmask_b32_e32 v16, 0, v16, vcc
	v_cmp_gt_i32_e32 vcc, s38, v39
	v_or_b32_e32 v8, v16, v8
	s_nop 0
	v_cndmask_b32_e32 v15, 0, v23, vcc
	v_cmp_gt_i32_e32 vcc, s33, v38
	s_nop 1
	v_cndmask_b32_e32 v16, 0, v22, vcc
	v_cmp_gt_i32_e32 vcc, s38, v37
	;; [unrolled: 3-line block ×3, first 2 shown]
	v_or_b32_e32 v21, v17, v15
	s_nop 0
	v_cndmask_b32_e32 v14, 0, v14, vcc
	v_or_b32_e32 v20, v14, v16
	s_branch .LBB241_336
.LBB241_639:
	s_or_b64 exec, exec, s[8:9]
.LBB241_640:
	s_or_b64 exec, exec, s[2:3]
	ds_bpermute_b32 v8, v29, v6
	ds_bpermute_b32 v9, v29, v7
	;; [unrolled: 1-line block ×4, first 2 shown]
	v_and_b32_e32 v1, 0x3c1, v0
	v_cmp_ne_u32_e32 vcc, 64, v1
	s_waitcnt lgkmcnt(2)
	v_pk_add_f32 v[6:7], v[6:7], v[8:9]
	ds_bpermute_b32 v8, v29, v2
	ds_bpermute_b32 v9, v29, v3
	s_waitcnt lgkmcnt(2)
	v_pk_add_f32 v[4:5], v[4:5], v[10:11]
	s_waitcnt lgkmcnt(0)
	s_barrier
	s_and_saveexec_b64 s[0:1], vcc
	s_xor_b64 s[0:1], exec, s[0:1]
; %bb.641:
                                        ; implicit-def: $vgpr28
; %bb.642:
	s_or_saveexec_b64 s[0:1], s[0:1]
	v_pk_add_f32 v[2:3], v[2:3], v[8:9]
	s_xor_b64 exec, exec, s[0:1]
	s_cbranch_execz .LBB241_644
; %bb.643:
	v_mov_b32_e32 v8, 0x190
	v_lshl_add_u32 v8, v28, 1, v8
	ds_write2_b32 v8, v6, v7 offset1:32
	ds_write2_b32 v8, v4, v5 offset0:64 offset1:96
	ds_write2_b32 v8, v2, v3 offset0:128 offset1:160
.LBB241_644:
	s_or_b64 exec, exec, s[0:1]
	v_cmp_gt_u32_e32 vcc, 64, v0
	v_lshrrev_b32_e32 v0, 1, v0
	s_waitcnt lgkmcnt(0)
	s_barrier
	s_and_saveexec_b64 s[0:1], vcc
	s_cbranch_execz .LBB241_653
; %bb.645:
	v_mov_b32_e32 v8, 0x190
	v_cmp_eq_u32_e32 vcc, 0, v30
	v_lshl_add_u32 v8, v0, 2, v8
	s_and_saveexec_b64 s[2:3], vcc
	s_cbranch_execnz .LBB241_656
; %bb.646:
	s_or_b64 exec, exec, s[2:3]
	s_and_saveexec_b64 s[2:3], vcc
	s_cbranch_execnz .LBB241_657
.LBB241_647:
	s_or_b64 exec, exec, s[2:3]
	s_and_saveexec_b64 s[2:3], vcc
	s_cbranch_execnz .LBB241_658
.LBB241_648:
	s_or_b64 exec, exec, s[2:3]
	s_and_saveexec_b64 s[2:3], vcc
	s_cbranch_execnz .LBB241_659
.LBB241_649:
	s_or_b64 exec, exec, s[2:3]
	s_and_saveexec_b64 s[2:3], vcc
	s_cbranch_execnz .LBB241_660
.LBB241_650:
	s_or_b64 exec, exec, s[2:3]
	s_and_saveexec_b64 s[2:3], vcc
	s_cbranch_execz .LBB241_652
.LBB241_651:
	ds_read_b32 v8, v8 offset:640
	s_waitcnt lgkmcnt(0)
	v_add_f32_e32 v3, v3, v8
.LBB241_652:
	s_or_b64 exec, exec, s[2:3]
.LBB241_653:
	s_or_b64 exec, exec, s[0:1]
	v_cmp_eq_u32_e32 vcc, 0, v1
	s_barrier
	s_and_saveexec_b64 s[0:1], vcc
	s_cbranch_execz .LBB241_655
; %bb.654:
	s_mul_i32 s0, s10, s11
	s_mul_i32 s0, s0, s5
	s_mulk_i32 s0, 0xc0
	s_ashr_i32 s1, s0, 31
	s_lshl_b64 s[0:1], s[0:1], 1
	s_add_u32 s2, s26, s0
	s_mul_i32 s0, s11, s24
	s_addc_u32 s3, s27, s1
	s_ashr_i32 s1, s0, 31
	s_lshl_b64 s[0:1], s[0:1], 1
	s_add_u32 s2, s2, s0
	s_mul_i32 s0, s4, 0xc0
	s_addc_u32 s3, s3, s1
	s_ashr_i32 s1, s0, 31
	s_lshl_b64 s[0:1], s[0:1], 1
	s_add_u32 s0, s2, s0
	s_addc_u32 s1, s3, s1
	v_lshlrev_b32_e32 v0, 1, v0
	;;#ASMSTART
	v_cvt_f16_f32 v1, v6;

	;;#ASMEND
	global_store_short v0, v1, s[0:1]
	;;#ASMSTART
	v_cvt_f16_f32 v1, v7;

	;;#ASMEND
	global_store_short v0, v1, s[0:1] offset:64
	;;#ASMSTART
	v_cvt_f16_f32 v1, v4;

	;;#ASMEND
	global_store_short v0, v1, s[0:1] offset:128
	;;#ASMSTART
	v_cvt_f16_f32 v1, v5;

	;;#ASMEND
	global_store_short v0, v1, s[0:1] offset:192
	;;#ASMSTART
	v_cvt_f16_f32 v1, v2;

	;;#ASMEND
	global_store_short v0, v1, s[0:1] offset:256
	;;#ASMSTART
	v_cvt_f16_f32 v1, v3;

	;;#ASMEND
	global_store_short v0, v1, s[0:1] offset:320
.LBB241_655:
	s_endpgm
.LBB241_656:
	ds_read_b32 v9, v8
	s_waitcnt lgkmcnt(0)
	v_add_f32_e32 v6, v6, v9
	s_or_b64 exec, exec, s[2:3]
	s_and_saveexec_b64 s[2:3], vcc
	s_cbranch_execz .LBB241_647
.LBB241_657:
	ds_read_b32 v9, v8 offset:128
	s_waitcnt lgkmcnt(0)
	v_add_f32_e32 v7, v7, v9
	s_or_b64 exec, exec, s[2:3]
	s_and_saveexec_b64 s[2:3], vcc
	s_cbranch_execz .LBB241_648
.LBB241_658:
	ds_read_b32 v9, v8 offset:256
	s_waitcnt lgkmcnt(0)
	v_add_f32_e32 v4, v4, v9
	s_or_b64 exec, exec, s[2:3]
	s_and_saveexec_b64 s[2:3], vcc
	s_cbranch_execz .LBB241_649
.LBB241_659:
	ds_read_b32 v9, v8 offset:384
	s_waitcnt lgkmcnt(0)
	v_add_f32_e32 v5, v5, v9
	s_or_b64 exec, exec, s[2:3]
	s_and_saveexec_b64 s[2:3], vcc
	s_cbranch_execz .LBB241_650
.LBB241_660:
	ds_read_b32 v9, v8 offset:512
	s_waitcnt lgkmcnt(0)
	v_add_f32_e32 v2, v2, v9
	s_or_b64 exec, exec, s[2:3]
	s_and_saveexec_b64 s[2:3], vcc
	s_cbranch_execnz .LBB241_651
	s_branch .LBB241_652
	.section	.rodata,"a",@progbits
	.p2align	6, 0x0
	.amdhsa_kernel _ZN4vllm25paged_attention_v1_kernelIthLi192ELi16ELi128ELNS_18Fp8KVCacheDataTypeE1ELb1EEEvPT_PKS2_PKT0_S8_ifPKiSA_iPKfiiiSC_SC_iiiii
		.amdhsa_group_segment_fixed_size 400
		.amdhsa_private_segment_fixed_size 0
		.amdhsa_kernarg_size 384
		.amdhsa_user_sgpr_count 2
		.amdhsa_user_sgpr_dispatch_ptr 0
		.amdhsa_user_sgpr_queue_ptr 0
		.amdhsa_user_sgpr_kernarg_segment_ptr 1
		.amdhsa_user_sgpr_dispatch_id 0
		.amdhsa_user_sgpr_kernarg_preload_length 0
		.amdhsa_user_sgpr_kernarg_preload_offset 0
		.amdhsa_user_sgpr_private_segment_size 0
		.amdhsa_uses_dynamic_stack 0
		.amdhsa_enable_private_segment 0
		.amdhsa_system_sgpr_workgroup_id_x 1
		.amdhsa_system_sgpr_workgroup_id_y 1
		.amdhsa_system_sgpr_workgroup_id_z 1
		.amdhsa_system_sgpr_workgroup_info 0
		.amdhsa_system_vgpr_workitem_id 0
		.amdhsa_next_free_vgpr 95
		.amdhsa_next_free_sgpr 55
		.amdhsa_accum_offset 96
		.amdhsa_reserve_vcc 1
		.amdhsa_float_round_mode_32 0
		.amdhsa_float_round_mode_16_64 0
		.amdhsa_float_denorm_mode_32 3
		.amdhsa_float_denorm_mode_16_64 3
		.amdhsa_dx10_clamp 1
		.amdhsa_ieee_mode 1
		.amdhsa_fp16_overflow 0
		.amdhsa_tg_split 0
		.amdhsa_exception_fp_ieee_invalid_op 0
		.amdhsa_exception_fp_denorm_src 0
		.amdhsa_exception_fp_ieee_div_zero 0
		.amdhsa_exception_fp_ieee_overflow 0
		.amdhsa_exception_fp_ieee_underflow 0
		.amdhsa_exception_fp_ieee_inexact 0
		.amdhsa_exception_int_div_zero 0
	.end_amdhsa_kernel
	.section	.text._ZN4vllm25paged_attention_v1_kernelIthLi192ELi16ELi128ELNS_18Fp8KVCacheDataTypeE1ELb1EEEvPT_PKS2_PKT0_S8_ifPKiSA_iPKfiiiSC_SC_iiiii,"axG",@progbits,_ZN4vllm25paged_attention_v1_kernelIthLi192ELi16ELi128ELNS_18Fp8KVCacheDataTypeE1ELb1EEEvPT_PKS2_PKT0_S8_ifPKiSA_iPKfiiiSC_SC_iiiii,comdat
.Lfunc_end241:
	.size	_ZN4vllm25paged_attention_v1_kernelIthLi192ELi16ELi128ELNS_18Fp8KVCacheDataTypeE1ELb1EEEvPT_PKS2_PKT0_S8_ifPKiSA_iPKfiiiSC_SC_iiiii, .Lfunc_end241-_ZN4vllm25paged_attention_v1_kernelIthLi192ELi16ELi128ELNS_18Fp8KVCacheDataTypeE1ELb1EEEvPT_PKS2_PKT0_S8_ifPKiSA_iPKfiiiSC_SC_iiiii
                                        ; -- End function
	.set _ZN4vllm25paged_attention_v1_kernelIthLi192ELi16ELi128ELNS_18Fp8KVCacheDataTypeE1ELb1EEEvPT_PKS2_PKT0_S8_ifPKiSA_iPKfiiiSC_SC_iiiii.num_vgpr, 95
	.set _ZN4vllm25paged_attention_v1_kernelIthLi192ELi16ELi128ELNS_18Fp8KVCacheDataTypeE1ELb1EEEvPT_PKS2_PKT0_S8_ifPKiSA_iPKfiiiSC_SC_iiiii.num_agpr, 0
	.set _ZN4vllm25paged_attention_v1_kernelIthLi192ELi16ELi128ELNS_18Fp8KVCacheDataTypeE1ELb1EEEvPT_PKS2_PKT0_S8_ifPKiSA_iPKfiiiSC_SC_iiiii.numbered_sgpr, 55
	.set _ZN4vllm25paged_attention_v1_kernelIthLi192ELi16ELi128ELNS_18Fp8KVCacheDataTypeE1ELb1EEEvPT_PKS2_PKT0_S8_ifPKiSA_iPKfiiiSC_SC_iiiii.num_named_barrier, 0
	.set _ZN4vllm25paged_attention_v1_kernelIthLi192ELi16ELi128ELNS_18Fp8KVCacheDataTypeE1ELb1EEEvPT_PKS2_PKT0_S8_ifPKiSA_iPKfiiiSC_SC_iiiii.private_seg_size, 0
	.set _ZN4vllm25paged_attention_v1_kernelIthLi192ELi16ELi128ELNS_18Fp8KVCacheDataTypeE1ELb1EEEvPT_PKS2_PKT0_S8_ifPKiSA_iPKfiiiSC_SC_iiiii.uses_vcc, 1
	.set _ZN4vllm25paged_attention_v1_kernelIthLi192ELi16ELi128ELNS_18Fp8KVCacheDataTypeE1ELb1EEEvPT_PKS2_PKT0_S8_ifPKiSA_iPKfiiiSC_SC_iiiii.uses_flat_scratch, 0
	.set _ZN4vllm25paged_attention_v1_kernelIthLi192ELi16ELi128ELNS_18Fp8KVCacheDataTypeE1ELb1EEEvPT_PKS2_PKT0_S8_ifPKiSA_iPKfiiiSC_SC_iiiii.has_dyn_sized_stack, 0
	.set _ZN4vllm25paged_attention_v1_kernelIthLi192ELi16ELi128ELNS_18Fp8KVCacheDataTypeE1ELb1EEEvPT_PKS2_PKT0_S8_ifPKiSA_iPKfiiiSC_SC_iiiii.has_recursion, 0
	.set _ZN4vllm25paged_attention_v1_kernelIthLi192ELi16ELi128ELNS_18Fp8KVCacheDataTypeE1ELb1EEEvPT_PKS2_PKT0_S8_ifPKiSA_iPKfiiiSC_SC_iiiii.has_indirect_call, 0
	.section	.AMDGPU.csdata,"",@progbits
; Kernel info:
; codeLenInByte = 29052
; TotalNumSgprs: 61
; NumVgprs: 95
; NumAgprs: 0
; TotalNumVgprs: 95
; ScratchSize: 0
; MemoryBound: 0
; FloatMode: 240
; IeeeMode: 1
; LDSByteSize: 400 bytes/workgroup (compile time only)
; SGPRBlocks: 7
; VGPRBlocks: 11
; NumSGPRsForWavesPerEU: 61
; NumVGPRsForWavesPerEU: 95
; AccumOffset: 96
; Occupancy: 5
; WaveLimiterHint : 1
; COMPUTE_PGM_RSRC2:SCRATCH_EN: 0
; COMPUTE_PGM_RSRC2:USER_SGPR: 2
; COMPUTE_PGM_RSRC2:TRAP_HANDLER: 0
; COMPUTE_PGM_RSRC2:TGID_X_EN: 1
; COMPUTE_PGM_RSRC2:TGID_Y_EN: 1
; COMPUTE_PGM_RSRC2:TGID_Z_EN: 1
; COMPUTE_PGM_RSRC2:TIDIG_COMP_CNT: 0
; COMPUTE_PGM_RSRC3_GFX90A:ACCUM_OFFSET: 23
; COMPUTE_PGM_RSRC3_GFX90A:TG_SPLIT: 0
	.section	.text._ZN4vllm25paged_attention_v1_kernelIthLi256ELi16ELi128ELNS_18Fp8KVCacheDataTypeE1ELb1EEEvPT_PKS2_PKT0_S8_ifPKiSA_iPKfiiiSC_SC_iiiii,"axG",@progbits,_ZN4vllm25paged_attention_v1_kernelIthLi256ELi16ELi128ELNS_18Fp8KVCacheDataTypeE1ELb1EEEvPT_PKS2_PKT0_S8_ifPKiSA_iPKfiiiSC_SC_iiiii,comdat
	.protected	_ZN4vllm25paged_attention_v1_kernelIthLi256ELi16ELi128ELNS_18Fp8KVCacheDataTypeE1ELb1EEEvPT_PKS2_PKT0_S8_ifPKiSA_iPKfiiiSC_SC_iiiii ; -- Begin function _ZN4vllm25paged_attention_v1_kernelIthLi256ELi16ELi128ELNS_18Fp8KVCacheDataTypeE1ELb1EEEvPT_PKS2_PKT0_S8_ifPKiSA_iPKfiiiSC_SC_iiiii
	.globl	_ZN4vllm25paged_attention_v1_kernelIthLi256ELi16ELi128ELNS_18Fp8KVCacheDataTypeE1ELb1EEEvPT_PKS2_PKT0_S8_ifPKiSA_iPKfiiiSC_SC_iiiii
	.p2align	8
	.type	_ZN4vllm25paged_attention_v1_kernelIthLi256ELi16ELi128ELNS_18Fp8KVCacheDataTypeE1ELb1EEEvPT_PKS2_PKT0_S8_ifPKiSA_iPKfiiiSC_SC_iiiii,@function
_ZN4vllm25paged_attention_v1_kernelIthLi256ELi16ELi128ELNS_18Fp8KVCacheDataTypeE1ELb1EEEvPT_PKS2_PKT0_S8_ifPKiSA_iPKfiiiSC_SC_iiiii: ; @_ZN4vllm25paged_attention_v1_kernelIthLi256ELi16ELi128ELNS_18Fp8KVCacheDataTypeE1ELb1EEEvPT_PKS2_PKT0_S8_ifPKiSA_iPKfiiiSC_SC_iiiii
; %bb.0:
	s_load_dword s5, s[0:1], 0x80
	s_load_dwordx2 s[6:7], s[0:1], 0x30
	s_load_dwordx2 s[36:37], s[0:1], 0x20
	s_mov_b32 s10, s3
	s_ashr_i32 s11, s3, 31
	s_lshl_b64 s[8:9], s[10:11], 2
	s_waitcnt lgkmcnt(0)
	s_add_u32 s6, s6, s8
	s_addc_u32 s7, s7, s9
	s_abs_i32 s3, s36
	v_cvt_f32_u32_e32 v1, s3
	s_sub_i32 s11, 0, s3
	s_abs_i32 s9, s5
	s_xor_b32 s8, s5, s36
	v_rcp_iflag_f32_e32 v1, v1
	s_ashr_i32 s8, s8, 31
	s_mov_b32 s48, 0
	v_mul_f32_e32 v1, 0x4f7ffffe, v1
	v_cvt_u32_f32_e32 v1, v1
	s_nop 0
	v_readfirstlane_b32 s12, v1
	s_mul_i32 s11, s11, s12
	s_mul_hi_u32 s11, s12, s11
	s_add_i32 s12, s12, s11
	s_mul_hi_u32 s11, s9, s12
	s_mul_i32 s12, s11, s3
	s_sub_i32 s9, s9, s12
	s_add_i32 s12, s11, 1
	s_sub_i32 s13, s9, s3
	s_cmp_ge_u32 s9, s3
	s_cselect_b32 s11, s12, s11
	s_cselect_b32 s9, s13, s9
	s_add_i32 s12, s11, 1
	s_cmp_ge_u32 s9, s3
	s_cselect_b32 s3, s12, s11
	s_xor_b32 s3, s3, s8
	s_sub_i32 s14, s3, s8
	s_abs_i32 s11, s14
	v_cvt_f32_u32_e32 v1, s11
	s_load_dwordx2 s[8:9], s[0:1], 0x40
	s_sub_i32 s3, 0, s11
	s_abs_i32 s12, s2
	v_rcp_iflag_f32_e32 v1, v1
	s_nop 0
	v_mul_f32_e32 v1, 0x4f7ffffe, v1
	v_cvt_u32_f32_e32 v1, v1
	s_nop 0
	v_readfirstlane_b32 s13, v1
	s_mul_i32 s3, s3, s13
	s_mul_hi_u32 s3, s13, s3
	s_add_i32 s13, s13, s3
	s_waitcnt lgkmcnt(0)
	s_cmp_eq_u64 s[8:9], 0
	s_mul_hi_u32 s13, s12, s13
	s_cbranch_scc1 .LBB242_2
; %bb.1:
	s_ashr_i32 s3, s2, 31
	s_lshl_b64 s[16:17], s[2:3], 2
	s_add_u32 s8, s8, s16
	s_addc_u32 s9, s9, s17
	s_load_dword s48, s[8:9], 0x0
.LBB242_2:
	s_load_dword s33, s[6:7], 0x0
	s_load_dwordx4 s[16:19], s[0:1], 0x48
	s_movk_i32 s6, 0x80
	s_ashr_i32 s3, s2, 31
	s_ashr_i32 s9, s14, 31
	v_and_b32_e32 v4, 3, v0
	s_lshl_b32 s24, s2, 8
	v_cmp_gt_u32_e32 vcc, s6, v0
	s_and_saveexec_b64 s[6:7], vcc
	s_cbranch_execz .LBB242_4
; %bb.3:
	s_load_dwordx2 s[14:15], s[0:1], 0x8
	s_waitcnt lgkmcnt(0)
	s_mul_i32 s20, s16, s10
	s_ashr_i32 s21, s20, 31
	s_lshl_b64 s[20:21], s[20:21], 1
	v_lshlrev_b32_e32 v1, 2, v0
	s_add_u32 s8, s14, s20
	s_addc_u32 s16, s15, s21
	s_ashr_i32 s25, s24, 31
	s_lshl_b64 s[14:15], s[24:25], 1
	s_add_u32 s14, s8, s14
	s_addc_u32 s15, s16, s15
	global_load_dword v1, v1, s[14:15]
	v_and_b32_e32 v2, 0x3fc, v0
	v_lshl_add_u32 v2, v4, 7, v2
	s_waitcnt vmcnt(0)
	ds_write_b32 v2, v1
.LBB242_4:
	s_or_b64 exec, exec, s[6:7]
	s_mul_i32 s6, s13, s11
	s_sub_i32 s6, s12, s6
	s_xor_b32 s3, s3, s9
	s_add_i32 s7, s13, 1
	s_sub_i32 s9, s6, s11
	s_load_dwordx4 s[20:23], s[0:1], 0x68
	s_load_dword s8, s[0:1], 0x78
	s_cmp_ge_u32 s6, s11
	s_cselect_b32 s7, s7, s13
	s_cselect_b32 s6, s9, s6
	s_add_i32 s9, s7, 1
	s_cmp_ge_u32 s6, s11
	s_cselect_b32 s6, s9, s7
	s_waitcnt lgkmcnt(0)
	s_abs_i32 s25, s23
	v_cvt_f32_u32_e32 v1, s25
	s_xor_b32 s6, s6, s3
	s_sub_i32 s3, s6, s3
	s_sub_i32 s6, 0, s25
	v_rcp_iflag_f32_e32 v1, v1
	s_add_i32 s11, s33, -1
	s_abs_i32 s9, s11
	v_mul_f32_e32 v1, 0x4f7ffffe, v1
	v_cvt_u32_f32_e32 v1, v1
	s_barrier
	v_readfirstlane_b32 s46, v1
	s_mul_i32 s6, s6, s46
	s_mul_hi_u32 s6, s46, s6
	s_add_i32 s46, s46, s6
	s_cmp_lt_i32 s8, 0
	s_mul_hi_u32 s16, s9, s46
	s_cbranch_scc0 .LBB242_6
; %bb.5:
	s_mul_i32 s6, s20, s36
	s_add_i32 s6, s3, s6
	s_mul_i32 s6, s6, s8
	s_sub_i32 s36, 1, s6
	s_mov_b64 s[6:7], 0
	s_branch .LBB242_7
.LBB242_6:
	s_mov_b64 s[6:7], -1
                                        ; implicit-def: $sgpr36
.LBB242_7:
	s_load_dwordx2 s[28:29], s[0:1], 0x28
	s_ashr_i32 s19, s11, 31
	s_andn2_b64 vcc, exec, s[6:7]
	s_ashr_i32 s23, s23, 31
	s_cbranch_vccnz .LBB242_9
; %bb.8:
	s_mul_i32 s6, s5, s20
	s_add_i32 s2, s6, s2
	s_mul_i32 s2, s2, s8
	s_add_i32 s36, s2, 1
.LBB242_9:
	s_load_dword s2, s[0:1], 0x38
	s_load_dwordx2 s[26:27], s[0:1], 0x0
	s_load_dwordx2 s[34:35], s[0:1], 0x18
	s_load_dword s11, s[0:1], 0x88
	s_load_dwordx4 s[12:15], s[0:1], 0x58
	s_mul_i32 s6, s16, s25
	s_waitcnt lgkmcnt(0)
	s_mul_i32 s30, s2, s10
	s_sub_i32 s6, s9, s6
	s_ashr_i32 s31, s30, 31
	s_xor_b32 s2, s19, s23
	s_add_i32 s7, s16, 1
	s_sub_i32 s8, s6, s25
	s_cmp_ge_u32 s6, s25
	s_cselect_b32 s7, s7, s16
	s_cselect_b32 s6, s8, s6
	s_add_i32 s8, s7, 1
	s_cmp_ge_u32 s6, s25
	s_cselect_b32 s6, s8, s7
	s_xor_b32 s6, s6, s2
	s_sub_i32 s16, s6, s2
	s_add_i32 s2, s33, 15
	s_ashr_i32 s6, s2, 31
	s_lshr_b32 s6, s6, 28
	s_add_i32 s2, s2, s6
	s_ashr_i32 s47, s2, 4
	v_lshrrev_b32_e32 v28, 6, v0
	v_cmp_gt_i32_e64 s[6:7], s47, v28
	v_mov_b32_e32 v13, 0xff7fffff
	s_mul_i32 s20, s3, s18
	v_lshrrev_b32_e32 v1, 4, v0
	v_lshlrev_b32_e32 v29, 4, v28
	v_mbcnt_lo_u32_b32 v10, -1, 0
	s_and_saveexec_b64 s[18:19], s[6:7]
	s_cbranch_execz .LBB242_405
; %bb.10:
	s_load_dwordx2 s[0:1], s[0:1], 0x10
	s_sub_i32 s49, s16, s21
	s_ashr_i32 s2, s20, 31
	v_bfe_u32 v11, v0, 2, 4
	v_mov_b32_e32 v3, 0
	s_waitcnt lgkmcnt(0)
	s_add_u32 s0, s0, s20
	s_addc_u32 s1, s1, s2
	s_abs_i32 s50, s22
	v_cvt_f32_u32_e32 v2, s50
	v_cmp_eq_u32_e32 vcc, 0, v4
	v_lshlrev_b32_e32 v12, 7, v4
	s_mov_b32 s51, s17
	v_rcp_iflag_f32_e32 v5, v2
	v_lshlrev_b32_e32 v2, 4, v11
	v_lshl_add_u64 v[6:7], s[0:1], 0, v[2:3]
	s_sub_i32 s0, 0, s50
	v_mul_f32_e32 v5, 0x4f7ffffe, v5
	v_cvt_u32_f32_e32 v5, v5
	v_lshlrev_b32_e32 v2, 1, v4
	v_cmp_neq_f32_e64 s[2:3], s48, 0
	v_lshlrev_b32_e32 v15, 4, v28
	v_mul_lo_u32 v4, s0, v5
	s_lshl_b64 s[0:1], s[30:31], 2
	v_mul_hi_u32 v4, v5, v4
	s_add_u32 s0, s28, s0
	v_add_u32_e32 v14, v5, v4
	v_lshl_add_u64 v[4:5], v[6:7], 0, v[2:3]
	v_and_b32_e32 v2, 60, v1
	s_addc_u32 s1, s29, s1
	v_lshl_add_u64 v[6:7], s[0:1], 0, v[2:3]
	v_subrev_u32_e32 v2, s33, v11
	v_add_u32_e32 v16, 1, v2
	v_lshlrev_b32_e32 v2, 2, v11
	v_lshl_or_b32 v2, v28, 6, v2
	v_add_u32_e32 v17, 0x210, v2
	v_mov_b32_e32 v18, 0xff7fffff
	s_mov_b64 s[38:39], 0
	s_movk_i32 s52, 0x80
	s_movk_i32 s53, 0x7f
	s_mov_b32 s54, 0x8000
	v_mov_b32_e32 v19, 0x2000
	v_mbcnt_hi_u32_b32 v20, -1, v10
	v_mov_b32_e32 v13, 0xff7fffff
	v_mov_b32_e32 v21, v28
	s_branch .LBB242_13
.LBB242_11:                             ;   in Loop: Header=BB242_13 Depth=1
	s_or_b64 exec, exec, s[40:41]
.LBB242_12:                             ;   in Loop: Header=BB242_13 Depth=1
	s_or_b64 exec, exec, s[8:9]
	v_add_u32_e32 v21, 2, v21
	v_cmp_le_i32_e64 s[0:1], s47, v21
	v_lshl_add_u64 v[6:7], v[6:7], 0, 8
	v_add_u32_e32 v15, 32, v15
	s_or_b64 s[38:39], s[0:1], s[38:39]
	v_add_u32_e32 v17, 0x80, v17
	s_andn2_b64 exec, exec, s[38:39]
	s_cbranch_execz .LBB242_404
.LBB242_13:                             ; =>This Inner Loop Header: Depth=1
	v_mul_hi_u32 v2, v15, s46
	s_waitcnt lgkmcnt(0)
	v_mul_lo_u32 v8, v2, s25
	v_sub_u32_e32 v8, v15, v8
	v_add_u32_e32 v9, 1, v2
	v_cmp_le_u32_e64 s[0:1], s25, v8
	s_nop 1
	v_cndmask_b32_e64 v2, v2, v9, s[0:1]
	v_subrev_u32_e32 v9, s25, v8
	v_cndmask_b32_e64 v8, v8, v9, s[0:1]
	v_add_u32_e32 v9, 1, v2
	v_cmp_le_u32_e64 s[0:1], s25, v8
	s_nop 1
	v_cndmask_b32_e64 v2, v2, v9, s[0:1]
	v_xor_b32_e32 v2, s23, v2
	v_subrev_u32_e32 v2, s23, v2
	v_add_u32_e32 v8, s36, v2
	v_sub_u32_e32 v22, 0, v8
	v_ashrrev_i32_e32 v9, 31, v8
	v_max_i32_e32 v8, v8, v22
	v_mul_hi_u32 v22, v8, v14
	v_mul_lo_u32 v22, v22, s50
	v_sub_u32_e32 v8, v8, v22
	v_subrev_u32_e32 v22, s50, v8
	v_cmp_le_u32_e64 s[0:1], s50, v8
	v_cmp_ge_i32_e64 s[8:9], s49, v2
	s_nop 0
	v_cndmask_b32_e64 v8, v8, v22, s[0:1]
	v_subrev_u32_e32 v22, s50, v8
	v_cmp_le_u32_e64 s[0:1], s50, v8
	s_nop 1
	v_cndmask_b32_e64 v8, v8, v22, s[0:1]
	v_xor_b32_e32 v8, v8, v9
	v_sub_u32_e32 v8, v8, v9
	v_cmp_ne_u32_e64 s[0:1], 0, v8
	s_and_b64 s[0:1], s[0:1], s[8:9]
	s_and_saveexec_b64 s[8:9], s[0:1]
	s_xor_b64 s[0:1], exec, s[8:9]
	s_cbranch_execz .LBB242_17
; %bb.14:                               ;   in Loop: Header=BB242_13 Depth=1
	s_and_saveexec_b64 s[8:9], vcc
; %bb.15:                               ;   in Loop: Header=BB242_13 Depth=1
	ds_write_b32 v17, v18
; %bb.16:                               ;   in Loop: Header=BB242_13 Depth=1
	s_or_b64 exec, exec, s[8:9]
.LBB242_17:                             ;   in Loop: Header=BB242_13 Depth=1
	s_andn2_saveexec_b64 s[8:9], s[0:1]
	s_cbranch_execz .LBB242_12
; %bb.18:                               ;   in Loop: Header=BB242_13 Depth=1
	global_load_dword v2, v[6:7], off
	v_mov_b32_e32 v23, 0
	global_load_dword v22, v23, s[12:13]
	s_waitcnt vmcnt(1)
	v_mad_i64_i32 v[8:9], s[0:1], v2, s51, v[4:5]
	global_load_ushort v24, v[8:9], off
	s_waitcnt vmcnt(0)
	v_and_b32_e32 v2, 0xffff, v24
	v_cmp_ne_u16_sdwa s[0:1], v24, v3 src0_sel:BYTE_0 src1_sel:DWORD
	v_mov_b32_e32 v24, 0
	s_and_saveexec_b64 s[40:41], s[0:1]
	s_cbranch_execz .LBB242_24
; %bb.19:                               ;   in Loop: Header=BB242_13 Depth=1
	v_cmp_ne_u16_sdwa s[0:1], v2, s52 src0_sel:BYTE_0 src1_sel:DWORD
	v_mov_b32_e32 v24, 0x8000
	s_and_saveexec_b64 s[42:43], s[0:1]
	s_cbranch_execz .LBB242_23
; %bb.20:                               ;   in Loop: Header=BB242_13 Depth=1
	v_and_b32_e32 v25, 0x7f, v2
	v_cmp_ne_u32_e64 s[0:1], s53, v25
	v_mov_b32_e32 v24, 0x7c01
	s_and_saveexec_b64 s[44:45], s[0:1]
	s_cbranch_execz .LBB242_22
; %bb.21:                               ;   in Loop: Header=BB242_13 Depth=1
	v_and_b32_e32 v24, 7, v2
	v_ffbh_u32_e32 v26, v24
	v_min_u32_e32 v31, 32, v26
	v_subrev_u32_e32 v26, 28, v31
	v_lshlrev_b64 v[26:27], v26, v[2:3]
	v_lshrrev_b32_e32 v30, 3, v25
	v_sub_u32_e32 v27, 29, v31
	v_cmp_gt_u32_e64 s[0:1], 8, v25
	v_and_b32_e32 v26, 7, v26
	s_nop 0
	v_cndmask_b32_e64 v25, v30, v27, s[0:1]
	v_lshl_add_u32 v25, v25, 10, v19
	v_lshlrev_b32_e32 v27, 8, v2
	v_and_b32_e32 v25, 0xfc00, v25
	v_cndmask_b32_e64 v24, v24, v26, s[0:1]
	v_and_or_b32 v25, v27, s54, v25
	v_lshl_or_b32 v24, v24, 7, v25
.LBB242_22:                             ;   in Loop: Header=BB242_13 Depth=1
	s_or_b64 exec, exec, s[44:45]
.LBB242_23:                             ;   in Loop: Header=BB242_13 Depth=1
	s_or_b64 exec, exec, s[42:43]
.LBB242_24:                             ;   in Loop: Header=BB242_13 Depth=1
	s_or_b64 exec, exec, s[40:41]
	v_lshrrev_b16_e32 v2, 8, v2
	v_cmp_ne_u16_e64 s[0:1], 0, v2
	s_and_saveexec_b64 s[40:41], s[0:1]
	s_cbranch_execz .LBB242_30
; %bb.25:                               ;   in Loop: Header=BB242_13 Depth=1
	v_cmp_ne_u16_e64 s[0:1], s52, v2
	v_bfrev_b32_e32 v23, 1
	s_and_saveexec_b64 s[42:43], s[0:1]
	s_cbranch_execz .LBB242_29
; %bb.26:                               ;   in Loop: Header=BB242_13 Depth=1
	v_and_b32_e32 v25, 0x7f, v2
	v_cmp_ne_u32_e64 s[0:1], s53, v25
	v_mov_b32_e32 v23, 0x7c010000
	s_and_saveexec_b64 s[44:45], s[0:1]
	s_cbranch_execz .LBB242_28
; %bb.27:                               ;   in Loop: Header=BB242_13 Depth=1
	v_and_b32_e32 v23, 7, v2
	v_ffbh_u32_e32 v26, v23
	v_min_u32_e32 v31, 32, v26
	v_subrev_u32_e32 v26, 28, v31
	v_lshlrev_b64 v[26:27], v26, v[2:3]
	v_lshrrev_b32_e32 v30, 3, v25
	v_sub_u32_e32 v27, 29, v31
	v_cmp_gt_u32_e64 s[0:1], 8, v25
	v_lshlrev_b32_e32 v2, 8, v2
	v_and_b32_e32 v26, 7, v26
	v_cndmask_b32_e64 v25, v30, v27, s[0:1]
	v_lshl_add_u32 v25, v25, 10, v19
	v_and_or_b32 v2, v2, s54, v25
	v_cndmask_b32_e64 v23, v23, v26, s[0:1]
	v_lshlrev_b32_e32 v2, 16, v2
	v_lshl_or_b32 v23, v23, 23, v2
.LBB242_28:                             ;   in Loop: Header=BB242_13 Depth=1
	s_or_b64 exec, exec, s[44:45]
.LBB242_29:                             ;   in Loop: Header=BB242_13 Depth=1
	s_or_b64 exec, exec, s[42:43]
.LBB242_30:                             ;   in Loop: Header=BB242_13 Depth=1
	s_or_b64 exec, exec, s[40:41]
	global_load_ushort v26, v[8:9], off offset:8
	v_mov_b32_e32 v25, 0
	s_waitcnt vmcnt(0)
	v_and_b32_e32 v2, 0xffff, v26
	v_cmp_ne_u16_sdwa s[0:1], v26, v3 src0_sel:BYTE_0 src1_sel:DWORD
	v_mov_b32_e32 v26, 0
	s_and_saveexec_b64 s[40:41], s[0:1]
	s_cbranch_execz .LBB242_36
; %bb.31:                               ;   in Loop: Header=BB242_13 Depth=1
	v_cmp_ne_u16_sdwa s[0:1], v2, s52 src0_sel:BYTE_0 src1_sel:DWORD
	v_mov_b32_e32 v26, 0x8000
	s_and_saveexec_b64 s[42:43], s[0:1]
	s_cbranch_execz .LBB242_35
; %bb.32:                               ;   in Loop: Header=BB242_13 Depth=1
	v_and_b32_e32 v27, 0x7f, v2
	v_cmp_ne_u32_e64 s[0:1], s53, v27
	v_mov_b32_e32 v26, 0x7c01
	s_and_saveexec_b64 s[44:45], s[0:1]
	s_cbranch_execz .LBB242_34
; %bb.33:                               ;   in Loop: Header=BB242_13 Depth=1
	v_and_b32_e32 v26, 7, v2
	v_ffbh_u32_e32 v30, v26
	v_min_u32_e32 v33, 32, v30
	v_subrev_u32_e32 v30, 28, v33
	v_lshlrev_b64 v[30:31], v30, v[2:3]
	v_lshrrev_b32_e32 v32, 3, v27
	v_sub_u32_e32 v31, 29, v33
	v_cmp_gt_u32_e64 s[0:1], 8, v27
	v_and_b32_e32 v30, 7, v30
	s_nop 0
	v_cndmask_b32_e64 v27, v32, v31, s[0:1]
	v_lshl_add_u32 v27, v27, 10, v19
	v_lshlrev_b32_e32 v31, 8, v2
	v_and_b32_e32 v27, 0xfc00, v27
	v_cndmask_b32_e64 v26, v26, v30, s[0:1]
	v_and_or_b32 v27, v31, s54, v27
	v_lshl_or_b32 v26, v26, 7, v27
.LBB242_34:                             ;   in Loop: Header=BB242_13 Depth=1
	s_or_b64 exec, exec, s[44:45]
.LBB242_35:                             ;   in Loop: Header=BB242_13 Depth=1
	s_or_b64 exec, exec, s[42:43]
.LBB242_36:                             ;   in Loop: Header=BB242_13 Depth=1
	s_or_b64 exec, exec, s[40:41]
	v_lshrrev_b16_e32 v2, 8, v2
	v_cmp_ne_u16_e64 s[0:1], 0, v2
	s_and_saveexec_b64 s[40:41], s[0:1]
	s_cbranch_execz .LBB242_42
; %bb.37:                               ;   in Loop: Header=BB242_13 Depth=1
	v_cmp_ne_u16_e64 s[0:1], s52, v2
	v_bfrev_b32_e32 v25, 1
	s_and_saveexec_b64 s[42:43], s[0:1]
	s_cbranch_execz .LBB242_41
; %bb.38:                               ;   in Loop: Header=BB242_13 Depth=1
	v_and_b32_e32 v27, 0x7f, v2
	v_cmp_ne_u32_e64 s[0:1], s53, v27
	v_mov_b32_e32 v25, 0x7c010000
	s_and_saveexec_b64 s[44:45], s[0:1]
	s_cbranch_execz .LBB242_40
; %bb.39:                               ;   in Loop: Header=BB242_13 Depth=1
	v_and_b32_e32 v25, 7, v2
	v_ffbh_u32_e32 v30, v25
	v_min_u32_e32 v33, 32, v30
	v_subrev_u32_e32 v30, 28, v33
	v_lshlrev_b64 v[30:31], v30, v[2:3]
	v_lshrrev_b32_e32 v32, 3, v27
	v_sub_u32_e32 v31, 29, v33
	v_cmp_gt_u32_e64 s[0:1], 8, v27
	v_lshlrev_b32_e32 v2, 8, v2
	v_and_b32_e32 v30, 7, v30
	v_cndmask_b32_e64 v27, v32, v31, s[0:1]
	v_lshl_add_u32 v27, v27, 10, v19
	v_and_or_b32 v2, v2, s54, v27
	v_cndmask_b32_e64 v25, v25, v30, s[0:1]
	v_lshlrev_b32_e32 v2, 16, v2
	v_lshl_or_b32 v25, v25, 23, v2
.LBB242_40:                             ;   in Loop: Header=BB242_13 Depth=1
	s_or_b64 exec, exec, s[44:45]
.LBB242_41:                             ;   in Loop: Header=BB242_13 Depth=1
	s_or_b64 exec, exec, s[42:43]
.LBB242_42:                             ;   in Loop: Header=BB242_13 Depth=1
	s_or_b64 exec, exec, s[40:41]
	global_load_ushort v30, v[8:9], off offset:256
	v_mov_b32_e32 v27, 0
	s_waitcnt vmcnt(0)
	v_and_b32_e32 v2, 0xffff, v30
	v_cmp_ne_u16_sdwa s[0:1], v30, v3 src0_sel:BYTE_0 src1_sel:DWORD
	v_mov_b32_e32 v30, 0
	s_and_saveexec_b64 s[40:41], s[0:1]
	s_cbranch_execz .LBB242_48
; %bb.43:                               ;   in Loop: Header=BB242_13 Depth=1
	v_cmp_ne_u16_sdwa s[0:1], v2, s52 src0_sel:BYTE_0 src1_sel:DWORD
	v_mov_b32_e32 v30, 0x8000
	s_and_saveexec_b64 s[42:43], s[0:1]
	s_cbranch_execz .LBB242_47
; %bb.44:                               ;   in Loop: Header=BB242_13 Depth=1
	v_and_b32_e32 v31, 0x7f, v2
	v_cmp_ne_u32_e64 s[0:1], s53, v31
	v_mov_b32_e32 v30, 0x7c01
	s_and_saveexec_b64 s[44:45], s[0:1]
	s_cbranch_execz .LBB242_46
; %bb.45:                               ;   in Loop: Header=BB242_13 Depth=1
	v_and_b32_e32 v30, 7, v2
	v_ffbh_u32_e32 v32, v30
	v_min_u32_e32 v35, 32, v32
	v_subrev_u32_e32 v32, 28, v35
	v_lshlrev_b64 v[32:33], v32, v[2:3]
	v_lshrrev_b32_e32 v34, 3, v31
	v_sub_u32_e32 v33, 29, v35
	v_cmp_gt_u32_e64 s[0:1], 8, v31
	v_and_b32_e32 v32, 7, v32
	s_nop 0
	v_cndmask_b32_e64 v31, v34, v33, s[0:1]
	v_lshl_add_u32 v31, v31, 10, v19
	v_lshlrev_b32_e32 v33, 8, v2
	v_and_b32_e32 v31, 0xfc00, v31
	v_cndmask_b32_e64 v30, v30, v32, s[0:1]
	v_and_or_b32 v31, v33, s54, v31
	v_lshl_or_b32 v30, v30, 7, v31
.LBB242_46:                             ;   in Loop: Header=BB242_13 Depth=1
	s_or_b64 exec, exec, s[44:45]
.LBB242_47:                             ;   in Loop: Header=BB242_13 Depth=1
	s_or_b64 exec, exec, s[42:43]
.LBB242_48:                             ;   in Loop: Header=BB242_13 Depth=1
	s_or_b64 exec, exec, s[40:41]
	v_lshrrev_b16_e32 v2, 8, v2
	v_cmp_ne_u16_e64 s[0:1], 0, v2
	s_and_saveexec_b64 s[40:41], s[0:1]
	s_cbranch_execz .LBB242_54
; %bb.49:                               ;   in Loop: Header=BB242_13 Depth=1
	v_cmp_ne_u16_e64 s[0:1], s52, v2
	v_bfrev_b32_e32 v27, 1
	s_and_saveexec_b64 s[42:43], s[0:1]
	s_cbranch_execz .LBB242_53
; %bb.50:                               ;   in Loop: Header=BB242_13 Depth=1
	v_and_b32_e32 v31, 0x7f, v2
	v_cmp_ne_u32_e64 s[0:1], s53, v31
	v_mov_b32_e32 v27, 0x7c010000
	s_and_saveexec_b64 s[44:45], s[0:1]
	s_cbranch_execz .LBB242_52
; %bb.51:                               ;   in Loop: Header=BB242_13 Depth=1
	v_and_b32_e32 v27, 7, v2
	v_ffbh_u32_e32 v32, v27
	v_min_u32_e32 v35, 32, v32
	v_subrev_u32_e32 v32, 28, v35
	v_lshlrev_b64 v[32:33], v32, v[2:3]
	v_lshrrev_b32_e32 v34, 3, v31
	v_sub_u32_e32 v33, 29, v35
	v_cmp_gt_u32_e64 s[0:1], 8, v31
	v_lshlrev_b32_e32 v2, 8, v2
	v_and_b32_e32 v32, 7, v32
	v_cndmask_b32_e64 v31, v34, v33, s[0:1]
	v_lshl_add_u32 v31, v31, 10, v19
	v_and_or_b32 v2, v2, s54, v31
	v_cndmask_b32_e64 v27, v27, v32, s[0:1]
	v_lshlrev_b32_e32 v2, 16, v2
	v_lshl_or_b32 v27, v27, 23, v2
.LBB242_52:                             ;   in Loop: Header=BB242_13 Depth=1
	s_or_b64 exec, exec, s[44:45]
.LBB242_53:                             ;   in Loop: Header=BB242_13 Depth=1
	s_or_b64 exec, exec, s[42:43]
.LBB242_54:                             ;   in Loop: Header=BB242_13 Depth=1
	s_or_b64 exec, exec, s[40:41]
	global_load_ushort v32, v[8:9], off offset:264
	v_mov_b32_e32 v31, 0
	s_waitcnt vmcnt(0)
	v_and_b32_e32 v2, 0xffff, v32
	v_cmp_ne_u16_sdwa s[0:1], v32, v3 src0_sel:BYTE_0 src1_sel:DWORD
	v_mov_b32_e32 v32, 0
	s_and_saveexec_b64 s[40:41], s[0:1]
	s_cbranch_execz .LBB242_60
; %bb.55:                               ;   in Loop: Header=BB242_13 Depth=1
	v_cmp_ne_u16_sdwa s[0:1], v2, s52 src0_sel:BYTE_0 src1_sel:DWORD
	v_mov_b32_e32 v32, 0x8000
	s_and_saveexec_b64 s[42:43], s[0:1]
	s_cbranch_execz .LBB242_59
; %bb.56:                               ;   in Loop: Header=BB242_13 Depth=1
	v_and_b32_e32 v33, 0x7f, v2
	v_cmp_ne_u32_e64 s[0:1], s53, v33
	v_mov_b32_e32 v32, 0x7c01
	s_and_saveexec_b64 s[44:45], s[0:1]
	s_cbranch_execz .LBB242_58
; %bb.57:                               ;   in Loop: Header=BB242_13 Depth=1
	v_and_b32_e32 v32, 7, v2
	v_ffbh_u32_e32 v34, v32
	v_min_u32_e32 v37, 32, v34
	v_subrev_u32_e32 v34, 28, v37
	v_lshlrev_b64 v[34:35], v34, v[2:3]
	v_lshrrev_b32_e32 v36, 3, v33
	v_sub_u32_e32 v35, 29, v37
	v_cmp_gt_u32_e64 s[0:1], 8, v33
	v_and_b32_e32 v34, 7, v34
	s_nop 0
	v_cndmask_b32_e64 v33, v36, v35, s[0:1]
	v_lshl_add_u32 v33, v33, 10, v19
	v_lshlrev_b32_e32 v35, 8, v2
	v_and_b32_e32 v33, 0xfc00, v33
	v_cndmask_b32_e64 v32, v32, v34, s[0:1]
	v_and_or_b32 v33, v35, s54, v33
	v_lshl_or_b32 v32, v32, 7, v33
.LBB242_58:                             ;   in Loop: Header=BB242_13 Depth=1
	s_or_b64 exec, exec, s[44:45]
.LBB242_59:                             ;   in Loop: Header=BB242_13 Depth=1
	s_or_b64 exec, exec, s[42:43]
.LBB242_60:                             ;   in Loop: Header=BB242_13 Depth=1
	s_or_b64 exec, exec, s[40:41]
	v_lshrrev_b16_e32 v2, 8, v2
	v_cmp_ne_u16_e64 s[0:1], 0, v2
	s_and_saveexec_b64 s[40:41], s[0:1]
	s_cbranch_execz .LBB242_66
; %bb.61:                               ;   in Loop: Header=BB242_13 Depth=1
	v_cmp_ne_u16_e64 s[0:1], s52, v2
	v_bfrev_b32_e32 v31, 1
	s_and_saveexec_b64 s[42:43], s[0:1]
	s_cbranch_execz .LBB242_65
; %bb.62:                               ;   in Loop: Header=BB242_13 Depth=1
	v_and_b32_e32 v33, 0x7f, v2
	v_cmp_ne_u32_e64 s[0:1], s53, v33
	v_mov_b32_e32 v31, 0x7c010000
	s_and_saveexec_b64 s[44:45], s[0:1]
	s_cbranch_execz .LBB242_64
; %bb.63:                               ;   in Loop: Header=BB242_13 Depth=1
	v_and_b32_e32 v31, 7, v2
	v_ffbh_u32_e32 v34, v31
	v_min_u32_e32 v37, 32, v34
	v_subrev_u32_e32 v34, 28, v37
	v_lshlrev_b64 v[34:35], v34, v[2:3]
	v_lshrrev_b32_e32 v36, 3, v33
	v_sub_u32_e32 v35, 29, v37
	v_cmp_gt_u32_e64 s[0:1], 8, v33
	v_lshlrev_b32_e32 v2, 8, v2
	v_and_b32_e32 v34, 7, v34
	v_cndmask_b32_e64 v33, v36, v35, s[0:1]
	v_lshl_add_u32 v33, v33, 10, v19
	v_and_or_b32 v2, v2, s54, v33
	v_cndmask_b32_e64 v31, v31, v34, s[0:1]
	v_lshlrev_b32_e32 v2, 16, v2
	v_lshl_or_b32 v31, v31, 23, v2
.LBB242_64:                             ;   in Loop: Header=BB242_13 Depth=1
	s_or_b64 exec, exec, s[44:45]
.LBB242_65:                             ;   in Loop: Header=BB242_13 Depth=1
	s_or_b64 exec, exec, s[42:43]
.LBB242_66:                             ;   in Loop: Header=BB242_13 Depth=1
	s_or_b64 exec, exec, s[40:41]
	global_load_ushort v34, v[8:9], off offset:512
	v_mov_b32_e32 v33, 0
	s_waitcnt vmcnt(0)
	v_and_b32_e32 v2, 0xffff, v34
	v_cmp_ne_u16_sdwa s[0:1], v34, v3 src0_sel:BYTE_0 src1_sel:DWORD
	v_mov_b32_e32 v34, 0
	s_and_saveexec_b64 s[40:41], s[0:1]
	s_cbranch_execz .LBB242_72
; %bb.67:                               ;   in Loop: Header=BB242_13 Depth=1
	v_cmp_ne_u16_sdwa s[0:1], v2, s52 src0_sel:BYTE_0 src1_sel:DWORD
	v_mov_b32_e32 v34, 0x8000
	s_and_saveexec_b64 s[42:43], s[0:1]
	s_cbranch_execz .LBB242_71
; %bb.68:                               ;   in Loop: Header=BB242_13 Depth=1
	v_and_b32_e32 v35, 0x7f, v2
	v_cmp_ne_u32_e64 s[0:1], s53, v35
	v_mov_b32_e32 v34, 0x7c01
	s_and_saveexec_b64 s[44:45], s[0:1]
	s_cbranch_execz .LBB242_70
; %bb.69:                               ;   in Loop: Header=BB242_13 Depth=1
	v_and_b32_e32 v34, 7, v2
	v_ffbh_u32_e32 v36, v34
	v_min_u32_e32 v39, 32, v36
	v_subrev_u32_e32 v36, 28, v39
	v_lshlrev_b64 v[36:37], v36, v[2:3]
	v_lshrrev_b32_e32 v38, 3, v35
	v_sub_u32_e32 v37, 29, v39
	v_cmp_gt_u32_e64 s[0:1], 8, v35
	v_and_b32_e32 v36, 7, v36
	s_nop 0
	v_cndmask_b32_e64 v35, v38, v37, s[0:1]
	v_lshl_add_u32 v35, v35, 10, v19
	v_lshlrev_b32_e32 v37, 8, v2
	v_and_b32_e32 v35, 0xfc00, v35
	v_cndmask_b32_e64 v34, v34, v36, s[0:1]
	v_and_or_b32 v35, v37, s54, v35
	v_lshl_or_b32 v34, v34, 7, v35
.LBB242_70:                             ;   in Loop: Header=BB242_13 Depth=1
	s_or_b64 exec, exec, s[44:45]
.LBB242_71:                             ;   in Loop: Header=BB242_13 Depth=1
	s_or_b64 exec, exec, s[42:43]
.LBB242_72:                             ;   in Loop: Header=BB242_13 Depth=1
	s_or_b64 exec, exec, s[40:41]
	v_lshrrev_b16_e32 v2, 8, v2
	v_cmp_ne_u16_e64 s[0:1], 0, v2
	s_and_saveexec_b64 s[40:41], s[0:1]
	s_cbranch_execz .LBB242_78
; %bb.73:                               ;   in Loop: Header=BB242_13 Depth=1
	v_cmp_ne_u16_e64 s[0:1], s52, v2
	v_bfrev_b32_e32 v33, 1
	s_and_saveexec_b64 s[42:43], s[0:1]
	s_cbranch_execz .LBB242_77
; %bb.74:                               ;   in Loop: Header=BB242_13 Depth=1
	v_and_b32_e32 v35, 0x7f, v2
	v_cmp_ne_u32_e64 s[0:1], s53, v35
	v_mov_b32_e32 v33, 0x7c010000
	s_and_saveexec_b64 s[44:45], s[0:1]
	s_cbranch_execz .LBB242_76
; %bb.75:                               ;   in Loop: Header=BB242_13 Depth=1
	v_and_b32_e32 v33, 7, v2
	v_ffbh_u32_e32 v36, v33
	v_min_u32_e32 v39, 32, v36
	v_subrev_u32_e32 v36, 28, v39
	v_lshlrev_b64 v[36:37], v36, v[2:3]
	v_lshrrev_b32_e32 v38, 3, v35
	v_sub_u32_e32 v37, 29, v39
	v_cmp_gt_u32_e64 s[0:1], 8, v35
	v_lshlrev_b32_e32 v2, 8, v2
	v_and_b32_e32 v36, 7, v36
	v_cndmask_b32_e64 v35, v38, v37, s[0:1]
	v_lshl_add_u32 v35, v35, 10, v19
	v_and_or_b32 v2, v2, s54, v35
	v_cndmask_b32_e64 v33, v33, v36, s[0:1]
	v_lshlrev_b32_e32 v2, 16, v2
	v_lshl_or_b32 v33, v33, 23, v2
.LBB242_76:                             ;   in Loop: Header=BB242_13 Depth=1
	s_or_b64 exec, exec, s[44:45]
.LBB242_77:                             ;   in Loop: Header=BB242_13 Depth=1
	s_or_b64 exec, exec, s[42:43]
.LBB242_78:                             ;   in Loop: Header=BB242_13 Depth=1
	s_or_b64 exec, exec, s[40:41]
	global_load_ushort v36, v[8:9], off offset:520
	v_mov_b32_e32 v35, 0
	s_waitcnt vmcnt(0)
	v_and_b32_e32 v2, 0xffff, v36
	v_cmp_ne_u16_sdwa s[0:1], v36, v3 src0_sel:BYTE_0 src1_sel:DWORD
	v_mov_b32_e32 v36, 0
	s_and_saveexec_b64 s[40:41], s[0:1]
	s_cbranch_execz .LBB242_84
; %bb.79:                               ;   in Loop: Header=BB242_13 Depth=1
	v_cmp_ne_u16_sdwa s[0:1], v2, s52 src0_sel:BYTE_0 src1_sel:DWORD
	v_mov_b32_e32 v36, 0x8000
	s_and_saveexec_b64 s[42:43], s[0:1]
	s_cbranch_execz .LBB242_83
; %bb.80:                               ;   in Loop: Header=BB242_13 Depth=1
	v_and_b32_e32 v37, 0x7f, v2
	v_cmp_ne_u32_e64 s[0:1], s53, v37
	v_mov_b32_e32 v36, 0x7c01
	s_and_saveexec_b64 s[44:45], s[0:1]
	s_cbranch_execz .LBB242_82
; %bb.81:                               ;   in Loop: Header=BB242_13 Depth=1
	v_and_b32_e32 v36, 7, v2
	v_ffbh_u32_e32 v38, v36
	v_min_u32_e32 v41, 32, v38
	v_subrev_u32_e32 v38, 28, v41
	v_lshlrev_b64 v[38:39], v38, v[2:3]
	v_lshrrev_b32_e32 v40, 3, v37
	v_sub_u32_e32 v39, 29, v41
	v_cmp_gt_u32_e64 s[0:1], 8, v37
	v_and_b32_e32 v38, 7, v38
	s_nop 0
	v_cndmask_b32_e64 v37, v40, v39, s[0:1]
	v_lshl_add_u32 v37, v37, 10, v19
	v_lshlrev_b32_e32 v39, 8, v2
	v_and_b32_e32 v37, 0xfc00, v37
	v_cndmask_b32_e64 v36, v36, v38, s[0:1]
	v_and_or_b32 v37, v39, s54, v37
	v_lshl_or_b32 v36, v36, 7, v37
.LBB242_82:                             ;   in Loop: Header=BB242_13 Depth=1
	s_or_b64 exec, exec, s[44:45]
.LBB242_83:                             ;   in Loop: Header=BB242_13 Depth=1
	s_or_b64 exec, exec, s[42:43]
.LBB242_84:                             ;   in Loop: Header=BB242_13 Depth=1
	s_or_b64 exec, exec, s[40:41]
	v_lshrrev_b16_e32 v2, 8, v2
	v_cmp_ne_u16_e64 s[0:1], 0, v2
	s_and_saveexec_b64 s[40:41], s[0:1]
	s_cbranch_execz .LBB242_90
; %bb.85:                               ;   in Loop: Header=BB242_13 Depth=1
	v_cmp_ne_u16_e64 s[0:1], s52, v2
	v_bfrev_b32_e32 v35, 1
	s_and_saveexec_b64 s[42:43], s[0:1]
	s_cbranch_execz .LBB242_89
; %bb.86:                               ;   in Loop: Header=BB242_13 Depth=1
	v_and_b32_e32 v37, 0x7f, v2
	v_cmp_ne_u32_e64 s[0:1], s53, v37
	v_mov_b32_e32 v35, 0x7c010000
	s_and_saveexec_b64 s[44:45], s[0:1]
	s_cbranch_execz .LBB242_88
; %bb.87:                               ;   in Loop: Header=BB242_13 Depth=1
	v_and_b32_e32 v35, 7, v2
	v_ffbh_u32_e32 v38, v35
	v_min_u32_e32 v41, 32, v38
	v_subrev_u32_e32 v38, 28, v41
	v_lshlrev_b64 v[38:39], v38, v[2:3]
	v_lshrrev_b32_e32 v40, 3, v37
	v_sub_u32_e32 v39, 29, v41
	v_cmp_gt_u32_e64 s[0:1], 8, v37
	v_lshlrev_b32_e32 v2, 8, v2
	v_and_b32_e32 v38, 7, v38
	v_cndmask_b32_e64 v37, v40, v39, s[0:1]
	v_lshl_add_u32 v37, v37, 10, v19
	v_and_or_b32 v2, v2, s54, v37
	v_cndmask_b32_e64 v35, v35, v38, s[0:1]
	v_lshlrev_b32_e32 v2, 16, v2
	v_lshl_or_b32 v35, v35, 23, v2
.LBB242_88:                             ;   in Loop: Header=BB242_13 Depth=1
	s_or_b64 exec, exec, s[44:45]
.LBB242_89:                             ;   in Loop: Header=BB242_13 Depth=1
	s_or_b64 exec, exec, s[42:43]
.LBB242_90:                             ;   in Loop: Header=BB242_13 Depth=1
	s_or_b64 exec, exec, s[40:41]
	global_load_ushort v38, v[8:9], off offset:768
	v_mov_b32_e32 v37, 0
	s_waitcnt vmcnt(0)
	v_and_b32_e32 v2, 0xffff, v38
	v_cmp_ne_u16_sdwa s[0:1], v38, v3 src0_sel:BYTE_0 src1_sel:DWORD
	v_mov_b32_e32 v38, 0
	s_and_saveexec_b64 s[40:41], s[0:1]
	s_cbranch_execz .LBB242_96
; %bb.91:                               ;   in Loop: Header=BB242_13 Depth=1
	v_cmp_ne_u16_sdwa s[0:1], v2, s52 src0_sel:BYTE_0 src1_sel:DWORD
	v_mov_b32_e32 v38, 0x8000
	s_and_saveexec_b64 s[42:43], s[0:1]
	s_cbranch_execz .LBB242_95
; %bb.92:                               ;   in Loop: Header=BB242_13 Depth=1
	v_and_b32_e32 v39, 0x7f, v2
	v_cmp_ne_u32_e64 s[0:1], s53, v39
	v_mov_b32_e32 v38, 0x7c01
	s_and_saveexec_b64 s[44:45], s[0:1]
	s_cbranch_execz .LBB242_94
; %bb.93:                               ;   in Loop: Header=BB242_13 Depth=1
	v_and_b32_e32 v38, 7, v2
	v_ffbh_u32_e32 v40, v38
	v_min_u32_e32 v43, 32, v40
	v_subrev_u32_e32 v40, 28, v43
	v_lshlrev_b64 v[40:41], v40, v[2:3]
	v_lshrrev_b32_e32 v42, 3, v39
	v_sub_u32_e32 v41, 29, v43
	v_cmp_gt_u32_e64 s[0:1], 8, v39
	v_and_b32_e32 v40, 7, v40
	s_nop 0
	v_cndmask_b32_e64 v39, v42, v41, s[0:1]
	v_lshl_add_u32 v39, v39, 10, v19
	v_lshlrev_b32_e32 v41, 8, v2
	v_and_b32_e32 v39, 0xfc00, v39
	v_cndmask_b32_e64 v38, v38, v40, s[0:1]
	v_and_or_b32 v39, v41, s54, v39
	v_lshl_or_b32 v38, v38, 7, v39
.LBB242_94:                             ;   in Loop: Header=BB242_13 Depth=1
	s_or_b64 exec, exec, s[44:45]
.LBB242_95:                             ;   in Loop: Header=BB242_13 Depth=1
	s_or_b64 exec, exec, s[42:43]
.LBB242_96:                             ;   in Loop: Header=BB242_13 Depth=1
	s_or_b64 exec, exec, s[40:41]
	v_lshrrev_b16_e32 v2, 8, v2
	v_cmp_ne_u16_e64 s[0:1], 0, v2
	s_and_saveexec_b64 s[40:41], s[0:1]
	s_cbranch_execz .LBB242_102
; %bb.97:                               ;   in Loop: Header=BB242_13 Depth=1
	v_cmp_ne_u16_e64 s[0:1], s52, v2
	v_bfrev_b32_e32 v37, 1
	s_and_saveexec_b64 s[42:43], s[0:1]
	s_cbranch_execz .LBB242_101
; %bb.98:                               ;   in Loop: Header=BB242_13 Depth=1
	v_and_b32_e32 v39, 0x7f, v2
	v_cmp_ne_u32_e64 s[0:1], s53, v39
	v_mov_b32_e32 v37, 0x7c010000
	s_and_saveexec_b64 s[44:45], s[0:1]
	s_cbranch_execz .LBB242_100
; %bb.99:                               ;   in Loop: Header=BB242_13 Depth=1
	v_and_b32_e32 v37, 7, v2
	v_ffbh_u32_e32 v40, v37
	v_min_u32_e32 v43, 32, v40
	v_subrev_u32_e32 v40, 28, v43
	v_lshlrev_b64 v[40:41], v40, v[2:3]
	v_lshrrev_b32_e32 v42, 3, v39
	v_sub_u32_e32 v41, 29, v43
	v_cmp_gt_u32_e64 s[0:1], 8, v39
	v_lshlrev_b32_e32 v2, 8, v2
	v_and_b32_e32 v40, 7, v40
	v_cndmask_b32_e64 v39, v42, v41, s[0:1]
	v_lshl_add_u32 v39, v39, 10, v19
	v_and_or_b32 v2, v2, s54, v39
	v_cndmask_b32_e64 v37, v37, v40, s[0:1]
	v_lshlrev_b32_e32 v2, 16, v2
	v_lshl_or_b32 v37, v37, 23, v2
.LBB242_100:                            ;   in Loop: Header=BB242_13 Depth=1
	s_or_b64 exec, exec, s[44:45]
.LBB242_101:                            ;   in Loop: Header=BB242_13 Depth=1
	s_or_b64 exec, exec, s[42:43]
.LBB242_102:                            ;   in Loop: Header=BB242_13 Depth=1
	s_or_b64 exec, exec, s[40:41]
	global_load_ushort v40, v[8:9], off offset:776
	v_mov_b32_e32 v39, 0
	s_waitcnt vmcnt(0)
	v_and_b32_e32 v2, 0xffff, v40
	v_cmp_ne_u16_sdwa s[0:1], v40, v3 src0_sel:BYTE_0 src1_sel:DWORD
	v_mov_b32_e32 v40, 0
	s_and_saveexec_b64 s[40:41], s[0:1]
	s_cbranch_execz .LBB242_108
; %bb.103:                              ;   in Loop: Header=BB242_13 Depth=1
	v_cmp_ne_u16_sdwa s[0:1], v2, s52 src0_sel:BYTE_0 src1_sel:DWORD
	v_mov_b32_e32 v40, 0x8000
	s_and_saveexec_b64 s[42:43], s[0:1]
	s_cbranch_execz .LBB242_107
; %bb.104:                              ;   in Loop: Header=BB242_13 Depth=1
	v_and_b32_e32 v41, 0x7f, v2
	v_cmp_ne_u32_e64 s[0:1], s53, v41
	v_mov_b32_e32 v40, 0x7c01
	s_and_saveexec_b64 s[44:45], s[0:1]
	s_cbranch_execz .LBB242_106
; %bb.105:                              ;   in Loop: Header=BB242_13 Depth=1
	v_and_b32_e32 v40, 7, v2
	v_ffbh_u32_e32 v42, v40
	v_min_u32_e32 v45, 32, v42
	v_subrev_u32_e32 v42, 28, v45
	v_lshlrev_b64 v[42:43], v42, v[2:3]
	v_lshrrev_b32_e32 v44, 3, v41
	v_sub_u32_e32 v43, 29, v45
	v_cmp_gt_u32_e64 s[0:1], 8, v41
	v_and_b32_e32 v42, 7, v42
	s_nop 0
	v_cndmask_b32_e64 v41, v44, v43, s[0:1]
	v_lshl_add_u32 v41, v41, 10, v19
	v_lshlrev_b32_e32 v43, 8, v2
	v_and_b32_e32 v41, 0xfc00, v41
	v_cndmask_b32_e64 v40, v40, v42, s[0:1]
	v_and_or_b32 v41, v43, s54, v41
	v_lshl_or_b32 v40, v40, 7, v41
.LBB242_106:                            ;   in Loop: Header=BB242_13 Depth=1
	s_or_b64 exec, exec, s[44:45]
.LBB242_107:                            ;   in Loop: Header=BB242_13 Depth=1
	s_or_b64 exec, exec, s[42:43]
.LBB242_108:                            ;   in Loop: Header=BB242_13 Depth=1
	s_or_b64 exec, exec, s[40:41]
	v_lshrrev_b16_e32 v2, 8, v2
	v_cmp_ne_u16_e64 s[0:1], 0, v2
	s_and_saveexec_b64 s[40:41], s[0:1]
	s_cbranch_execz .LBB242_114
; %bb.109:                              ;   in Loop: Header=BB242_13 Depth=1
	v_cmp_ne_u16_e64 s[0:1], s52, v2
	v_bfrev_b32_e32 v39, 1
	s_and_saveexec_b64 s[42:43], s[0:1]
	s_cbranch_execz .LBB242_113
; %bb.110:                              ;   in Loop: Header=BB242_13 Depth=1
	v_and_b32_e32 v41, 0x7f, v2
	v_cmp_ne_u32_e64 s[0:1], s53, v41
	v_mov_b32_e32 v39, 0x7c010000
	s_and_saveexec_b64 s[44:45], s[0:1]
	s_cbranch_execz .LBB242_112
; %bb.111:                              ;   in Loop: Header=BB242_13 Depth=1
	v_and_b32_e32 v39, 7, v2
	v_ffbh_u32_e32 v42, v39
	v_min_u32_e32 v45, 32, v42
	v_subrev_u32_e32 v42, 28, v45
	v_lshlrev_b64 v[42:43], v42, v[2:3]
	v_lshrrev_b32_e32 v44, 3, v41
	v_sub_u32_e32 v43, 29, v45
	v_cmp_gt_u32_e64 s[0:1], 8, v41
	v_lshlrev_b32_e32 v2, 8, v2
	v_and_b32_e32 v42, 7, v42
	v_cndmask_b32_e64 v41, v44, v43, s[0:1]
	v_lshl_add_u32 v41, v41, 10, v19
	v_and_or_b32 v2, v2, s54, v41
	v_cndmask_b32_e64 v39, v39, v42, s[0:1]
	v_lshlrev_b32_e32 v2, 16, v2
	v_lshl_or_b32 v39, v39, 23, v2
.LBB242_112:                            ;   in Loop: Header=BB242_13 Depth=1
	s_or_b64 exec, exec, s[44:45]
.LBB242_113:                            ;   in Loop: Header=BB242_13 Depth=1
	s_or_b64 exec, exec, s[42:43]
.LBB242_114:                            ;   in Loop: Header=BB242_13 Depth=1
	s_or_b64 exec, exec, s[40:41]
	global_load_ushort v42, v[8:9], off offset:1024
	v_mov_b32_e32 v41, 0
	s_waitcnt vmcnt(0)
	v_and_b32_e32 v2, 0xffff, v42
	v_cmp_ne_u16_sdwa s[0:1], v42, v3 src0_sel:BYTE_0 src1_sel:DWORD
	v_mov_b32_e32 v42, 0
	s_and_saveexec_b64 s[40:41], s[0:1]
	s_cbranch_execz .LBB242_120
; %bb.115:                              ;   in Loop: Header=BB242_13 Depth=1
	v_cmp_ne_u16_sdwa s[0:1], v2, s52 src0_sel:BYTE_0 src1_sel:DWORD
	v_mov_b32_e32 v42, 0x8000
	s_and_saveexec_b64 s[42:43], s[0:1]
	s_cbranch_execz .LBB242_119
; %bb.116:                              ;   in Loop: Header=BB242_13 Depth=1
	v_and_b32_e32 v43, 0x7f, v2
	v_cmp_ne_u32_e64 s[0:1], s53, v43
	v_mov_b32_e32 v42, 0x7c01
	s_and_saveexec_b64 s[44:45], s[0:1]
	s_cbranch_execz .LBB242_118
; %bb.117:                              ;   in Loop: Header=BB242_13 Depth=1
	v_and_b32_e32 v42, 7, v2
	v_ffbh_u32_e32 v44, v42
	v_min_u32_e32 v47, 32, v44
	v_subrev_u32_e32 v44, 28, v47
	v_lshlrev_b64 v[44:45], v44, v[2:3]
	v_lshrrev_b32_e32 v46, 3, v43
	v_sub_u32_e32 v45, 29, v47
	v_cmp_gt_u32_e64 s[0:1], 8, v43
	v_and_b32_e32 v44, 7, v44
	s_nop 0
	v_cndmask_b32_e64 v43, v46, v45, s[0:1]
	v_lshl_add_u32 v43, v43, 10, v19
	v_lshlrev_b32_e32 v45, 8, v2
	v_and_b32_e32 v43, 0xfc00, v43
	v_cndmask_b32_e64 v42, v42, v44, s[0:1]
	v_and_or_b32 v43, v45, s54, v43
	v_lshl_or_b32 v42, v42, 7, v43
.LBB242_118:                            ;   in Loop: Header=BB242_13 Depth=1
	s_or_b64 exec, exec, s[44:45]
.LBB242_119:                            ;   in Loop: Header=BB242_13 Depth=1
	s_or_b64 exec, exec, s[42:43]
.LBB242_120:                            ;   in Loop: Header=BB242_13 Depth=1
	s_or_b64 exec, exec, s[40:41]
	v_lshrrev_b16_e32 v2, 8, v2
	v_cmp_ne_u16_e64 s[0:1], 0, v2
	s_and_saveexec_b64 s[40:41], s[0:1]
	s_cbranch_execz .LBB242_126
; %bb.121:                              ;   in Loop: Header=BB242_13 Depth=1
	v_cmp_ne_u16_e64 s[0:1], s52, v2
	v_bfrev_b32_e32 v41, 1
	s_and_saveexec_b64 s[42:43], s[0:1]
	s_cbranch_execz .LBB242_125
; %bb.122:                              ;   in Loop: Header=BB242_13 Depth=1
	v_and_b32_e32 v43, 0x7f, v2
	v_cmp_ne_u32_e64 s[0:1], s53, v43
	v_mov_b32_e32 v41, 0x7c010000
	s_and_saveexec_b64 s[44:45], s[0:1]
	s_cbranch_execz .LBB242_124
; %bb.123:                              ;   in Loop: Header=BB242_13 Depth=1
	v_and_b32_e32 v41, 7, v2
	v_ffbh_u32_e32 v44, v41
	v_min_u32_e32 v47, 32, v44
	v_subrev_u32_e32 v44, 28, v47
	v_lshlrev_b64 v[44:45], v44, v[2:3]
	v_lshrrev_b32_e32 v46, 3, v43
	v_sub_u32_e32 v45, 29, v47
	v_cmp_gt_u32_e64 s[0:1], 8, v43
	v_lshlrev_b32_e32 v2, 8, v2
	v_and_b32_e32 v44, 7, v44
	v_cndmask_b32_e64 v43, v46, v45, s[0:1]
	v_lshl_add_u32 v43, v43, 10, v19
	v_and_or_b32 v2, v2, s54, v43
	v_cndmask_b32_e64 v41, v41, v44, s[0:1]
	v_lshlrev_b32_e32 v2, 16, v2
	v_lshl_or_b32 v41, v41, 23, v2
.LBB242_124:                            ;   in Loop: Header=BB242_13 Depth=1
	s_or_b64 exec, exec, s[44:45]
.LBB242_125:                            ;   in Loop: Header=BB242_13 Depth=1
	s_or_b64 exec, exec, s[42:43]
.LBB242_126:                            ;   in Loop: Header=BB242_13 Depth=1
	s_or_b64 exec, exec, s[40:41]
	global_load_ushort v44, v[8:9], off offset:1032
	v_mov_b32_e32 v43, 0
	s_waitcnt vmcnt(0)
	v_and_b32_e32 v2, 0xffff, v44
	v_cmp_ne_u16_sdwa s[0:1], v44, v3 src0_sel:BYTE_0 src1_sel:DWORD
	v_mov_b32_e32 v44, 0
	s_and_saveexec_b64 s[40:41], s[0:1]
	s_cbranch_execz .LBB242_132
; %bb.127:                              ;   in Loop: Header=BB242_13 Depth=1
	v_cmp_ne_u16_sdwa s[0:1], v2, s52 src0_sel:BYTE_0 src1_sel:DWORD
	v_mov_b32_e32 v44, 0x8000
	s_and_saveexec_b64 s[42:43], s[0:1]
	s_cbranch_execz .LBB242_131
; %bb.128:                              ;   in Loop: Header=BB242_13 Depth=1
	v_and_b32_e32 v45, 0x7f, v2
	v_cmp_ne_u32_e64 s[0:1], s53, v45
	v_mov_b32_e32 v44, 0x7c01
	s_and_saveexec_b64 s[44:45], s[0:1]
	s_cbranch_execz .LBB242_130
; %bb.129:                              ;   in Loop: Header=BB242_13 Depth=1
	v_and_b32_e32 v44, 7, v2
	v_ffbh_u32_e32 v46, v44
	v_min_u32_e32 v49, 32, v46
	v_subrev_u32_e32 v46, 28, v49
	v_lshlrev_b64 v[46:47], v46, v[2:3]
	v_lshrrev_b32_e32 v48, 3, v45
	v_sub_u32_e32 v47, 29, v49
	v_cmp_gt_u32_e64 s[0:1], 8, v45
	v_and_b32_e32 v46, 7, v46
	s_nop 0
	v_cndmask_b32_e64 v45, v48, v47, s[0:1]
	v_lshl_add_u32 v45, v45, 10, v19
	v_lshlrev_b32_e32 v47, 8, v2
	v_and_b32_e32 v45, 0xfc00, v45
	v_cndmask_b32_e64 v44, v44, v46, s[0:1]
	v_and_or_b32 v45, v47, s54, v45
	v_lshl_or_b32 v44, v44, 7, v45
.LBB242_130:                            ;   in Loop: Header=BB242_13 Depth=1
	s_or_b64 exec, exec, s[44:45]
.LBB242_131:                            ;   in Loop: Header=BB242_13 Depth=1
	s_or_b64 exec, exec, s[42:43]
.LBB242_132:                            ;   in Loop: Header=BB242_13 Depth=1
	s_or_b64 exec, exec, s[40:41]
	v_lshrrev_b16_e32 v2, 8, v2
	v_cmp_ne_u16_e64 s[0:1], 0, v2
	s_and_saveexec_b64 s[40:41], s[0:1]
	s_cbranch_execz .LBB242_138
; %bb.133:                              ;   in Loop: Header=BB242_13 Depth=1
	v_cmp_ne_u16_e64 s[0:1], s52, v2
	v_bfrev_b32_e32 v43, 1
	s_and_saveexec_b64 s[42:43], s[0:1]
	s_cbranch_execz .LBB242_137
; %bb.134:                              ;   in Loop: Header=BB242_13 Depth=1
	v_and_b32_e32 v45, 0x7f, v2
	v_cmp_ne_u32_e64 s[0:1], s53, v45
	v_mov_b32_e32 v43, 0x7c010000
	s_and_saveexec_b64 s[44:45], s[0:1]
	s_cbranch_execz .LBB242_136
; %bb.135:                              ;   in Loop: Header=BB242_13 Depth=1
	v_and_b32_e32 v43, 7, v2
	v_ffbh_u32_e32 v46, v43
	v_min_u32_e32 v49, 32, v46
	v_subrev_u32_e32 v46, 28, v49
	v_lshlrev_b64 v[46:47], v46, v[2:3]
	v_lshrrev_b32_e32 v48, 3, v45
	v_sub_u32_e32 v47, 29, v49
	v_cmp_gt_u32_e64 s[0:1], 8, v45
	v_lshlrev_b32_e32 v2, 8, v2
	v_and_b32_e32 v46, 7, v46
	v_cndmask_b32_e64 v45, v48, v47, s[0:1]
	v_lshl_add_u32 v45, v45, 10, v19
	v_and_or_b32 v2, v2, s54, v45
	v_cndmask_b32_e64 v43, v43, v46, s[0:1]
	v_lshlrev_b32_e32 v2, 16, v2
	v_lshl_or_b32 v43, v43, 23, v2
.LBB242_136:                            ;   in Loop: Header=BB242_13 Depth=1
	s_or_b64 exec, exec, s[44:45]
.LBB242_137:                            ;   in Loop: Header=BB242_13 Depth=1
	s_or_b64 exec, exec, s[42:43]
.LBB242_138:                            ;   in Loop: Header=BB242_13 Depth=1
	s_or_b64 exec, exec, s[40:41]
	global_load_ushort v46, v[8:9], off offset:1280
	v_mov_b32_e32 v45, 0
	s_waitcnt vmcnt(0)
	v_and_b32_e32 v2, 0xffff, v46
	v_cmp_ne_u16_sdwa s[0:1], v46, v3 src0_sel:BYTE_0 src1_sel:DWORD
	v_mov_b32_e32 v46, 0
	s_and_saveexec_b64 s[40:41], s[0:1]
	s_cbranch_execz .LBB242_144
; %bb.139:                              ;   in Loop: Header=BB242_13 Depth=1
	v_cmp_ne_u16_sdwa s[0:1], v2, s52 src0_sel:BYTE_0 src1_sel:DWORD
	v_mov_b32_e32 v46, 0x8000
	s_and_saveexec_b64 s[42:43], s[0:1]
	s_cbranch_execz .LBB242_143
; %bb.140:                              ;   in Loop: Header=BB242_13 Depth=1
	v_and_b32_e32 v47, 0x7f, v2
	v_cmp_ne_u32_e64 s[0:1], s53, v47
	v_mov_b32_e32 v46, 0x7c01
	s_and_saveexec_b64 s[44:45], s[0:1]
	s_cbranch_execz .LBB242_142
; %bb.141:                              ;   in Loop: Header=BB242_13 Depth=1
	v_and_b32_e32 v46, 7, v2
	v_ffbh_u32_e32 v48, v46
	v_min_u32_e32 v51, 32, v48
	v_subrev_u32_e32 v48, 28, v51
	v_lshlrev_b64 v[48:49], v48, v[2:3]
	v_lshrrev_b32_e32 v50, 3, v47
	v_sub_u32_e32 v49, 29, v51
	v_cmp_gt_u32_e64 s[0:1], 8, v47
	v_and_b32_e32 v48, 7, v48
	s_nop 0
	v_cndmask_b32_e64 v47, v50, v49, s[0:1]
	v_lshl_add_u32 v47, v47, 10, v19
	v_lshlrev_b32_e32 v49, 8, v2
	v_and_b32_e32 v47, 0xfc00, v47
	v_cndmask_b32_e64 v46, v46, v48, s[0:1]
	v_and_or_b32 v47, v49, s54, v47
	v_lshl_or_b32 v46, v46, 7, v47
.LBB242_142:                            ;   in Loop: Header=BB242_13 Depth=1
	s_or_b64 exec, exec, s[44:45]
.LBB242_143:                            ;   in Loop: Header=BB242_13 Depth=1
	s_or_b64 exec, exec, s[42:43]
.LBB242_144:                            ;   in Loop: Header=BB242_13 Depth=1
	s_or_b64 exec, exec, s[40:41]
	v_lshrrev_b16_e32 v2, 8, v2
	v_cmp_ne_u16_e64 s[0:1], 0, v2
	s_and_saveexec_b64 s[40:41], s[0:1]
	s_cbranch_execz .LBB242_150
; %bb.145:                              ;   in Loop: Header=BB242_13 Depth=1
	v_cmp_ne_u16_e64 s[0:1], s52, v2
	v_bfrev_b32_e32 v45, 1
	s_and_saveexec_b64 s[42:43], s[0:1]
	s_cbranch_execz .LBB242_149
; %bb.146:                              ;   in Loop: Header=BB242_13 Depth=1
	v_and_b32_e32 v47, 0x7f, v2
	v_cmp_ne_u32_e64 s[0:1], s53, v47
	v_mov_b32_e32 v45, 0x7c010000
	s_and_saveexec_b64 s[44:45], s[0:1]
	s_cbranch_execz .LBB242_148
; %bb.147:                              ;   in Loop: Header=BB242_13 Depth=1
	v_and_b32_e32 v45, 7, v2
	v_ffbh_u32_e32 v48, v45
	v_min_u32_e32 v51, 32, v48
	v_subrev_u32_e32 v48, 28, v51
	v_lshlrev_b64 v[48:49], v48, v[2:3]
	v_lshrrev_b32_e32 v50, 3, v47
	v_sub_u32_e32 v49, 29, v51
	v_cmp_gt_u32_e64 s[0:1], 8, v47
	v_lshlrev_b32_e32 v2, 8, v2
	v_and_b32_e32 v48, 7, v48
	v_cndmask_b32_e64 v47, v50, v49, s[0:1]
	v_lshl_add_u32 v47, v47, 10, v19
	v_and_or_b32 v2, v2, s54, v47
	v_cndmask_b32_e64 v45, v45, v48, s[0:1]
	v_lshlrev_b32_e32 v2, 16, v2
	v_lshl_or_b32 v45, v45, 23, v2
.LBB242_148:                            ;   in Loop: Header=BB242_13 Depth=1
	s_or_b64 exec, exec, s[44:45]
.LBB242_149:                            ;   in Loop: Header=BB242_13 Depth=1
	s_or_b64 exec, exec, s[42:43]
.LBB242_150:                            ;   in Loop: Header=BB242_13 Depth=1
	s_or_b64 exec, exec, s[40:41]
	global_load_ushort v48, v[8:9], off offset:1288
	v_mov_b32_e32 v47, 0
	s_waitcnt vmcnt(0)
	v_and_b32_e32 v2, 0xffff, v48
	v_cmp_ne_u16_sdwa s[0:1], v48, v3 src0_sel:BYTE_0 src1_sel:DWORD
	v_mov_b32_e32 v48, 0
	s_and_saveexec_b64 s[40:41], s[0:1]
	s_cbranch_execz .LBB242_156
; %bb.151:                              ;   in Loop: Header=BB242_13 Depth=1
	v_cmp_ne_u16_sdwa s[0:1], v2, s52 src0_sel:BYTE_0 src1_sel:DWORD
	v_mov_b32_e32 v48, 0x8000
	s_and_saveexec_b64 s[42:43], s[0:1]
	s_cbranch_execz .LBB242_155
; %bb.152:                              ;   in Loop: Header=BB242_13 Depth=1
	v_and_b32_e32 v49, 0x7f, v2
	v_cmp_ne_u32_e64 s[0:1], s53, v49
	v_mov_b32_e32 v48, 0x7c01
	s_and_saveexec_b64 s[44:45], s[0:1]
	s_cbranch_execz .LBB242_154
; %bb.153:                              ;   in Loop: Header=BB242_13 Depth=1
	v_and_b32_e32 v48, 7, v2
	v_ffbh_u32_e32 v50, v48
	v_min_u32_e32 v53, 32, v50
	v_subrev_u32_e32 v50, 28, v53
	v_lshlrev_b64 v[50:51], v50, v[2:3]
	v_lshrrev_b32_e32 v52, 3, v49
	v_sub_u32_e32 v51, 29, v53
	v_cmp_gt_u32_e64 s[0:1], 8, v49
	v_and_b32_e32 v50, 7, v50
	s_nop 0
	v_cndmask_b32_e64 v49, v52, v51, s[0:1]
	v_lshl_add_u32 v49, v49, 10, v19
	v_lshlrev_b32_e32 v51, 8, v2
	v_and_b32_e32 v49, 0xfc00, v49
	v_cndmask_b32_e64 v48, v48, v50, s[0:1]
	v_and_or_b32 v49, v51, s54, v49
	v_lshl_or_b32 v48, v48, 7, v49
.LBB242_154:                            ;   in Loop: Header=BB242_13 Depth=1
	s_or_b64 exec, exec, s[44:45]
.LBB242_155:                            ;   in Loop: Header=BB242_13 Depth=1
	s_or_b64 exec, exec, s[42:43]
.LBB242_156:                            ;   in Loop: Header=BB242_13 Depth=1
	s_or_b64 exec, exec, s[40:41]
	v_lshrrev_b16_e32 v2, 8, v2
	v_cmp_ne_u16_e64 s[0:1], 0, v2
	s_and_saveexec_b64 s[40:41], s[0:1]
	s_cbranch_execz .LBB242_162
; %bb.157:                              ;   in Loop: Header=BB242_13 Depth=1
	v_cmp_ne_u16_e64 s[0:1], s52, v2
	v_bfrev_b32_e32 v47, 1
	s_and_saveexec_b64 s[42:43], s[0:1]
	s_cbranch_execz .LBB242_161
; %bb.158:                              ;   in Loop: Header=BB242_13 Depth=1
	v_and_b32_e32 v49, 0x7f, v2
	v_cmp_ne_u32_e64 s[0:1], s53, v49
	v_mov_b32_e32 v47, 0x7c010000
	s_and_saveexec_b64 s[44:45], s[0:1]
	s_cbranch_execz .LBB242_160
; %bb.159:                              ;   in Loop: Header=BB242_13 Depth=1
	v_and_b32_e32 v47, 7, v2
	v_ffbh_u32_e32 v50, v47
	v_min_u32_e32 v53, 32, v50
	v_subrev_u32_e32 v50, 28, v53
	v_lshlrev_b64 v[50:51], v50, v[2:3]
	v_lshrrev_b32_e32 v52, 3, v49
	v_sub_u32_e32 v51, 29, v53
	v_cmp_gt_u32_e64 s[0:1], 8, v49
	v_lshlrev_b32_e32 v2, 8, v2
	v_and_b32_e32 v50, 7, v50
	v_cndmask_b32_e64 v49, v52, v51, s[0:1]
	v_lshl_add_u32 v49, v49, 10, v19
	v_and_or_b32 v2, v2, s54, v49
	v_cndmask_b32_e64 v47, v47, v50, s[0:1]
	v_lshlrev_b32_e32 v2, 16, v2
	v_lshl_or_b32 v47, v47, 23, v2
.LBB242_160:                            ;   in Loop: Header=BB242_13 Depth=1
	s_or_b64 exec, exec, s[44:45]
.LBB242_161:                            ;   in Loop: Header=BB242_13 Depth=1
	s_or_b64 exec, exec, s[42:43]
.LBB242_162:                            ;   in Loop: Header=BB242_13 Depth=1
	s_or_b64 exec, exec, s[40:41]
	global_load_ushort v50, v[8:9], off offset:1536
	v_mov_b32_e32 v49, 0
	s_waitcnt vmcnt(0)
	v_and_b32_e32 v2, 0xffff, v50
	v_cmp_ne_u16_sdwa s[0:1], v50, v3 src0_sel:BYTE_0 src1_sel:DWORD
	v_mov_b32_e32 v50, 0
	s_and_saveexec_b64 s[40:41], s[0:1]
	s_cbranch_execz .LBB242_168
; %bb.163:                              ;   in Loop: Header=BB242_13 Depth=1
	v_cmp_ne_u16_sdwa s[0:1], v2, s52 src0_sel:BYTE_0 src1_sel:DWORD
	v_mov_b32_e32 v50, 0x8000
	s_and_saveexec_b64 s[42:43], s[0:1]
	s_cbranch_execz .LBB242_167
; %bb.164:                              ;   in Loop: Header=BB242_13 Depth=1
	v_and_b32_e32 v51, 0x7f, v2
	v_cmp_ne_u32_e64 s[0:1], s53, v51
	v_mov_b32_e32 v50, 0x7c01
	s_and_saveexec_b64 s[44:45], s[0:1]
	s_cbranch_execz .LBB242_166
; %bb.165:                              ;   in Loop: Header=BB242_13 Depth=1
	v_and_b32_e32 v50, 7, v2
	v_ffbh_u32_e32 v52, v50
	v_min_u32_e32 v55, 32, v52
	v_subrev_u32_e32 v52, 28, v55
	v_lshlrev_b64 v[52:53], v52, v[2:3]
	v_lshrrev_b32_e32 v54, 3, v51
	v_sub_u32_e32 v53, 29, v55
	v_cmp_gt_u32_e64 s[0:1], 8, v51
	v_and_b32_e32 v52, 7, v52
	s_nop 0
	v_cndmask_b32_e64 v51, v54, v53, s[0:1]
	v_lshl_add_u32 v51, v51, 10, v19
	v_lshlrev_b32_e32 v53, 8, v2
	v_and_b32_e32 v51, 0xfc00, v51
	v_cndmask_b32_e64 v50, v50, v52, s[0:1]
	v_and_or_b32 v51, v53, s54, v51
	v_lshl_or_b32 v50, v50, 7, v51
.LBB242_166:                            ;   in Loop: Header=BB242_13 Depth=1
	s_or_b64 exec, exec, s[44:45]
.LBB242_167:                            ;   in Loop: Header=BB242_13 Depth=1
	s_or_b64 exec, exec, s[42:43]
.LBB242_168:                            ;   in Loop: Header=BB242_13 Depth=1
	s_or_b64 exec, exec, s[40:41]
	v_lshrrev_b16_e32 v2, 8, v2
	v_cmp_ne_u16_e64 s[0:1], 0, v2
	s_and_saveexec_b64 s[40:41], s[0:1]
	s_cbranch_execz .LBB242_174
; %bb.169:                              ;   in Loop: Header=BB242_13 Depth=1
	v_cmp_ne_u16_e64 s[0:1], s52, v2
	v_bfrev_b32_e32 v49, 1
	s_and_saveexec_b64 s[42:43], s[0:1]
	s_cbranch_execz .LBB242_173
; %bb.170:                              ;   in Loop: Header=BB242_13 Depth=1
	v_and_b32_e32 v51, 0x7f, v2
	v_cmp_ne_u32_e64 s[0:1], s53, v51
	v_mov_b32_e32 v49, 0x7c010000
	s_and_saveexec_b64 s[44:45], s[0:1]
	s_cbranch_execz .LBB242_172
; %bb.171:                              ;   in Loop: Header=BB242_13 Depth=1
	v_and_b32_e32 v49, 7, v2
	v_ffbh_u32_e32 v52, v49
	v_min_u32_e32 v55, 32, v52
	v_subrev_u32_e32 v52, 28, v55
	v_lshlrev_b64 v[52:53], v52, v[2:3]
	v_lshrrev_b32_e32 v54, 3, v51
	v_sub_u32_e32 v53, 29, v55
	v_cmp_gt_u32_e64 s[0:1], 8, v51
	v_lshlrev_b32_e32 v2, 8, v2
	v_and_b32_e32 v52, 7, v52
	v_cndmask_b32_e64 v51, v54, v53, s[0:1]
	v_lshl_add_u32 v51, v51, 10, v19
	v_and_or_b32 v2, v2, s54, v51
	v_cndmask_b32_e64 v49, v49, v52, s[0:1]
	v_lshlrev_b32_e32 v2, 16, v2
	v_lshl_or_b32 v49, v49, 23, v2
.LBB242_172:                            ;   in Loop: Header=BB242_13 Depth=1
	s_or_b64 exec, exec, s[44:45]
.LBB242_173:                            ;   in Loop: Header=BB242_13 Depth=1
	s_or_b64 exec, exec, s[42:43]
.LBB242_174:                            ;   in Loop: Header=BB242_13 Depth=1
	s_or_b64 exec, exec, s[40:41]
	global_load_ushort v52, v[8:9], off offset:1544
	v_mov_b32_e32 v51, 0
	s_waitcnt vmcnt(0)
	v_and_b32_e32 v2, 0xffff, v52
	v_cmp_ne_u16_sdwa s[0:1], v52, v3 src0_sel:BYTE_0 src1_sel:DWORD
	v_mov_b32_e32 v52, 0
	s_and_saveexec_b64 s[40:41], s[0:1]
	s_cbranch_execz .LBB242_180
; %bb.175:                              ;   in Loop: Header=BB242_13 Depth=1
	v_cmp_ne_u16_sdwa s[0:1], v2, s52 src0_sel:BYTE_0 src1_sel:DWORD
	v_mov_b32_e32 v52, 0x8000
	s_and_saveexec_b64 s[42:43], s[0:1]
	s_cbranch_execz .LBB242_179
; %bb.176:                              ;   in Loop: Header=BB242_13 Depth=1
	v_and_b32_e32 v53, 0x7f, v2
	v_cmp_ne_u32_e64 s[0:1], s53, v53
	v_mov_b32_e32 v52, 0x7c01
	s_and_saveexec_b64 s[44:45], s[0:1]
	s_cbranch_execz .LBB242_178
; %bb.177:                              ;   in Loop: Header=BB242_13 Depth=1
	v_and_b32_e32 v52, 7, v2
	v_ffbh_u32_e32 v54, v52
	v_min_u32_e32 v57, 32, v54
	v_subrev_u32_e32 v54, 28, v57
	v_lshlrev_b64 v[54:55], v54, v[2:3]
	v_lshrrev_b32_e32 v56, 3, v53
	v_sub_u32_e32 v55, 29, v57
	v_cmp_gt_u32_e64 s[0:1], 8, v53
	v_and_b32_e32 v54, 7, v54
	s_nop 0
	v_cndmask_b32_e64 v53, v56, v55, s[0:1]
	v_lshl_add_u32 v53, v53, 10, v19
	v_lshlrev_b32_e32 v55, 8, v2
	v_and_b32_e32 v53, 0xfc00, v53
	v_cndmask_b32_e64 v52, v52, v54, s[0:1]
	v_and_or_b32 v53, v55, s54, v53
	v_lshl_or_b32 v52, v52, 7, v53
.LBB242_178:                            ;   in Loop: Header=BB242_13 Depth=1
	s_or_b64 exec, exec, s[44:45]
.LBB242_179:                            ;   in Loop: Header=BB242_13 Depth=1
	s_or_b64 exec, exec, s[42:43]
.LBB242_180:                            ;   in Loop: Header=BB242_13 Depth=1
	s_or_b64 exec, exec, s[40:41]
	v_lshrrev_b16_e32 v2, 8, v2
	v_cmp_ne_u16_e64 s[0:1], 0, v2
	s_and_saveexec_b64 s[40:41], s[0:1]
	s_cbranch_execz .LBB242_186
; %bb.181:                              ;   in Loop: Header=BB242_13 Depth=1
	v_cmp_ne_u16_e64 s[0:1], s52, v2
	v_bfrev_b32_e32 v51, 1
	s_and_saveexec_b64 s[42:43], s[0:1]
	s_cbranch_execz .LBB242_185
; %bb.182:                              ;   in Loop: Header=BB242_13 Depth=1
	v_and_b32_e32 v53, 0x7f, v2
	v_cmp_ne_u32_e64 s[0:1], s53, v53
	v_mov_b32_e32 v51, 0x7c010000
	s_and_saveexec_b64 s[44:45], s[0:1]
	s_cbranch_execz .LBB242_184
; %bb.183:                              ;   in Loop: Header=BB242_13 Depth=1
	v_and_b32_e32 v51, 7, v2
	v_ffbh_u32_e32 v54, v51
	v_min_u32_e32 v57, 32, v54
	v_subrev_u32_e32 v54, 28, v57
	v_lshlrev_b64 v[54:55], v54, v[2:3]
	v_lshrrev_b32_e32 v56, 3, v53
	v_sub_u32_e32 v55, 29, v57
	v_cmp_gt_u32_e64 s[0:1], 8, v53
	v_lshlrev_b32_e32 v2, 8, v2
	v_and_b32_e32 v54, 7, v54
	v_cndmask_b32_e64 v53, v56, v55, s[0:1]
	v_lshl_add_u32 v53, v53, 10, v19
	v_and_or_b32 v2, v2, s54, v53
	v_cndmask_b32_e64 v51, v51, v54, s[0:1]
	v_lshlrev_b32_e32 v2, 16, v2
	v_lshl_or_b32 v51, v51, 23, v2
.LBB242_184:                            ;   in Loop: Header=BB242_13 Depth=1
	s_or_b64 exec, exec, s[44:45]
.LBB242_185:                            ;   in Loop: Header=BB242_13 Depth=1
	s_or_b64 exec, exec, s[42:43]
.LBB242_186:                            ;   in Loop: Header=BB242_13 Depth=1
	s_or_b64 exec, exec, s[40:41]
	global_load_ushort v54, v[8:9], off offset:1792
	v_mov_b32_e32 v53, 0
	s_waitcnt vmcnt(0)
	v_and_b32_e32 v2, 0xffff, v54
	v_cmp_ne_u16_sdwa s[0:1], v54, v3 src0_sel:BYTE_0 src1_sel:DWORD
	v_mov_b32_e32 v54, 0
	s_and_saveexec_b64 s[40:41], s[0:1]
	s_cbranch_execz .LBB242_192
; %bb.187:                              ;   in Loop: Header=BB242_13 Depth=1
	v_cmp_ne_u16_sdwa s[0:1], v2, s52 src0_sel:BYTE_0 src1_sel:DWORD
	v_mov_b32_e32 v54, 0x8000
	s_and_saveexec_b64 s[42:43], s[0:1]
	s_cbranch_execz .LBB242_191
; %bb.188:                              ;   in Loop: Header=BB242_13 Depth=1
	v_and_b32_e32 v55, 0x7f, v2
	v_cmp_ne_u32_e64 s[0:1], s53, v55
	v_mov_b32_e32 v54, 0x7c01
	s_and_saveexec_b64 s[44:45], s[0:1]
	s_cbranch_execz .LBB242_190
; %bb.189:                              ;   in Loop: Header=BB242_13 Depth=1
	v_and_b32_e32 v54, 7, v2
	v_ffbh_u32_e32 v56, v54
	v_min_u32_e32 v59, 32, v56
	v_subrev_u32_e32 v56, 28, v59
	v_lshlrev_b64 v[56:57], v56, v[2:3]
	v_lshrrev_b32_e32 v58, 3, v55
	v_sub_u32_e32 v57, 29, v59
	v_cmp_gt_u32_e64 s[0:1], 8, v55
	v_and_b32_e32 v56, 7, v56
	s_nop 0
	v_cndmask_b32_e64 v55, v58, v57, s[0:1]
	v_lshl_add_u32 v55, v55, 10, v19
	v_lshlrev_b32_e32 v57, 8, v2
	v_and_b32_e32 v55, 0xfc00, v55
	v_cndmask_b32_e64 v54, v54, v56, s[0:1]
	v_and_or_b32 v55, v57, s54, v55
	v_lshl_or_b32 v54, v54, 7, v55
.LBB242_190:                            ;   in Loop: Header=BB242_13 Depth=1
	s_or_b64 exec, exec, s[44:45]
.LBB242_191:                            ;   in Loop: Header=BB242_13 Depth=1
	s_or_b64 exec, exec, s[42:43]
.LBB242_192:                            ;   in Loop: Header=BB242_13 Depth=1
	s_or_b64 exec, exec, s[40:41]
	v_lshrrev_b16_e32 v2, 8, v2
	v_cmp_ne_u16_e64 s[0:1], 0, v2
	s_and_saveexec_b64 s[40:41], s[0:1]
	s_cbranch_execz .LBB242_198
; %bb.193:                              ;   in Loop: Header=BB242_13 Depth=1
	v_cmp_ne_u16_e64 s[0:1], s52, v2
	v_bfrev_b32_e32 v53, 1
	s_and_saveexec_b64 s[42:43], s[0:1]
	s_cbranch_execz .LBB242_197
; %bb.194:                              ;   in Loop: Header=BB242_13 Depth=1
	v_and_b32_e32 v55, 0x7f, v2
	v_cmp_ne_u32_e64 s[0:1], s53, v55
	v_mov_b32_e32 v53, 0x7c010000
	s_and_saveexec_b64 s[44:45], s[0:1]
	s_cbranch_execz .LBB242_196
; %bb.195:                              ;   in Loop: Header=BB242_13 Depth=1
	v_and_b32_e32 v53, 7, v2
	v_ffbh_u32_e32 v56, v53
	v_min_u32_e32 v59, 32, v56
	v_subrev_u32_e32 v56, 28, v59
	v_lshlrev_b64 v[56:57], v56, v[2:3]
	v_lshrrev_b32_e32 v58, 3, v55
	v_sub_u32_e32 v57, 29, v59
	v_cmp_gt_u32_e64 s[0:1], 8, v55
	v_lshlrev_b32_e32 v2, 8, v2
	v_and_b32_e32 v56, 7, v56
	v_cndmask_b32_e64 v55, v58, v57, s[0:1]
	v_lshl_add_u32 v55, v55, 10, v19
	v_and_or_b32 v2, v2, s54, v55
	v_cndmask_b32_e64 v53, v53, v56, s[0:1]
	v_lshlrev_b32_e32 v2, 16, v2
	v_lshl_or_b32 v53, v53, 23, v2
.LBB242_196:                            ;   in Loop: Header=BB242_13 Depth=1
	s_or_b64 exec, exec, s[44:45]
.LBB242_197:                            ;   in Loop: Header=BB242_13 Depth=1
	s_or_b64 exec, exec, s[42:43]
.LBB242_198:                            ;   in Loop: Header=BB242_13 Depth=1
	s_or_b64 exec, exec, s[40:41]
	global_load_ushort v56, v[8:9], off offset:1800
	v_mov_b32_e32 v55, 0
	s_waitcnt vmcnt(0)
	v_and_b32_e32 v2, 0xffff, v56
	v_cmp_ne_u16_sdwa s[0:1], v56, v3 src0_sel:BYTE_0 src1_sel:DWORD
	v_mov_b32_e32 v56, 0
	s_and_saveexec_b64 s[40:41], s[0:1]
	s_cbranch_execz .LBB242_204
; %bb.199:                              ;   in Loop: Header=BB242_13 Depth=1
	v_cmp_ne_u16_sdwa s[0:1], v2, s52 src0_sel:BYTE_0 src1_sel:DWORD
	v_mov_b32_e32 v56, 0x8000
	s_and_saveexec_b64 s[42:43], s[0:1]
	s_cbranch_execz .LBB242_203
; %bb.200:                              ;   in Loop: Header=BB242_13 Depth=1
	v_and_b32_e32 v57, 0x7f, v2
	v_cmp_ne_u32_e64 s[0:1], s53, v57
	v_mov_b32_e32 v56, 0x7c01
	s_and_saveexec_b64 s[44:45], s[0:1]
	s_cbranch_execz .LBB242_202
; %bb.201:                              ;   in Loop: Header=BB242_13 Depth=1
	v_and_b32_e32 v56, 7, v2
	v_ffbh_u32_e32 v58, v56
	v_min_u32_e32 v61, 32, v58
	v_subrev_u32_e32 v58, 28, v61
	v_lshlrev_b64 v[58:59], v58, v[2:3]
	v_lshrrev_b32_e32 v60, 3, v57
	v_sub_u32_e32 v59, 29, v61
	v_cmp_gt_u32_e64 s[0:1], 8, v57
	v_and_b32_e32 v58, 7, v58
	s_nop 0
	v_cndmask_b32_e64 v57, v60, v59, s[0:1]
	v_lshl_add_u32 v57, v57, 10, v19
	v_lshlrev_b32_e32 v59, 8, v2
	v_and_b32_e32 v57, 0xfc00, v57
	v_cndmask_b32_e64 v56, v56, v58, s[0:1]
	v_and_or_b32 v57, v59, s54, v57
	v_lshl_or_b32 v56, v56, 7, v57
.LBB242_202:                            ;   in Loop: Header=BB242_13 Depth=1
	s_or_b64 exec, exec, s[44:45]
.LBB242_203:                            ;   in Loop: Header=BB242_13 Depth=1
	s_or_b64 exec, exec, s[42:43]
.LBB242_204:                            ;   in Loop: Header=BB242_13 Depth=1
	s_or_b64 exec, exec, s[40:41]
	v_lshrrev_b16_e32 v2, 8, v2
	v_cmp_ne_u16_e64 s[0:1], 0, v2
	s_and_saveexec_b64 s[40:41], s[0:1]
	s_cbranch_execz .LBB242_210
; %bb.205:                              ;   in Loop: Header=BB242_13 Depth=1
	v_cmp_ne_u16_e64 s[0:1], s52, v2
	v_bfrev_b32_e32 v55, 1
	s_and_saveexec_b64 s[42:43], s[0:1]
	s_cbranch_execz .LBB242_209
; %bb.206:                              ;   in Loop: Header=BB242_13 Depth=1
	v_and_b32_e32 v57, 0x7f, v2
	v_cmp_ne_u32_e64 s[0:1], s53, v57
	v_mov_b32_e32 v55, 0x7c010000
	s_and_saveexec_b64 s[44:45], s[0:1]
	s_cbranch_execz .LBB242_208
; %bb.207:                              ;   in Loop: Header=BB242_13 Depth=1
	v_and_b32_e32 v55, 7, v2
	v_ffbh_u32_e32 v58, v55
	v_min_u32_e32 v61, 32, v58
	v_subrev_u32_e32 v58, 28, v61
	v_lshlrev_b64 v[58:59], v58, v[2:3]
	v_lshrrev_b32_e32 v60, 3, v57
	v_sub_u32_e32 v59, 29, v61
	v_cmp_gt_u32_e64 s[0:1], 8, v57
	v_lshlrev_b32_e32 v2, 8, v2
	v_and_b32_e32 v58, 7, v58
	v_cndmask_b32_e64 v57, v60, v59, s[0:1]
	v_lshl_add_u32 v57, v57, 10, v19
	v_and_or_b32 v2, v2, s54, v57
	v_cndmask_b32_e64 v55, v55, v58, s[0:1]
	v_lshlrev_b32_e32 v2, 16, v2
	v_lshl_or_b32 v55, v55, 23, v2
.LBB242_208:                            ;   in Loop: Header=BB242_13 Depth=1
	s_or_b64 exec, exec, s[44:45]
.LBB242_209:                            ;   in Loop: Header=BB242_13 Depth=1
	s_or_b64 exec, exec, s[42:43]
.LBB242_210:                            ;   in Loop: Header=BB242_13 Depth=1
	s_or_b64 exec, exec, s[40:41]
	global_load_ushort v58, v[8:9], off offset:2048
	v_mov_b32_e32 v57, 0
	s_waitcnt vmcnt(0)
	v_and_b32_e32 v2, 0xffff, v58
	v_cmp_ne_u16_sdwa s[0:1], v58, v3 src0_sel:BYTE_0 src1_sel:DWORD
	v_mov_b32_e32 v58, 0
	s_and_saveexec_b64 s[40:41], s[0:1]
	s_cbranch_execz .LBB242_216
; %bb.211:                              ;   in Loop: Header=BB242_13 Depth=1
	v_cmp_ne_u16_sdwa s[0:1], v2, s52 src0_sel:BYTE_0 src1_sel:DWORD
	v_mov_b32_e32 v58, 0x8000
	s_and_saveexec_b64 s[42:43], s[0:1]
	s_cbranch_execz .LBB242_215
; %bb.212:                              ;   in Loop: Header=BB242_13 Depth=1
	v_and_b32_e32 v59, 0x7f, v2
	v_cmp_ne_u32_e64 s[0:1], s53, v59
	v_mov_b32_e32 v58, 0x7c01
	s_and_saveexec_b64 s[44:45], s[0:1]
	s_cbranch_execz .LBB242_214
; %bb.213:                              ;   in Loop: Header=BB242_13 Depth=1
	v_and_b32_e32 v58, 7, v2
	v_ffbh_u32_e32 v60, v58
	v_min_u32_e32 v63, 32, v60
	v_subrev_u32_e32 v60, 28, v63
	v_lshlrev_b64 v[60:61], v60, v[2:3]
	v_lshrrev_b32_e32 v62, 3, v59
	v_sub_u32_e32 v61, 29, v63
	v_cmp_gt_u32_e64 s[0:1], 8, v59
	v_and_b32_e32 v60, 7, v60
	s_nop 0
	v_cndmask_b32_e64 v59, v62, v61, s[0:1]
	v_lshl_add_u32 v59, v59, 10, v19
	v_lshlrev_b32_e32 v61, 8, v2
	v_and_b32_e32 v59, 0xfc00, v59
	v_cndmask_b32_e64 v58, v58, v60, s[0:1]
	v_and_or_b32 v59, v61, s54, v59
	v_lshl_or_b32 v58, v58, 7, v59
.LBB242_214:                            ;   in Loop: Header=BB242_13 Depth=1
	s_or_b64 exec, exec, s[44:45]
.LBB242_215:                            ;   in Loop: Header=BB242_13 Depth=1
	s_or_b64 exec, exec, s[42:43]
.LBB242_216:                            ;   in Loop: Header=BB242_13 Depth=1
	s_or_b64 exec, exec, s[40:41]
	v_lshrrev_b16_e32 v2, 8, v2
	v_cmp_ne_u16_e64 s[0:1], 0, v2
	s_and_saveexec_b64 s[40:41], s[0:1]
	s_cbranch_execz .LBB242_222
; %bb.217:                              ;   in Loop: Header=BB242_13 Depth=1
	v_cmp_ne_u16_e64 s[0:1], s52, v2
	v_bfrev_b32_e32 v57, 1
	s_and_saveexec_b64 s[42:43], s[0:1]
	s_cbranch_execz .LBB242_221
; %bb.218:                              ;   in Loop: Header=BB242_13 Depth=1
	v_and_b32_e32 v59, 0x7f, v2
	v_cmp_ne_u32_e64 s[0:1], s53, v59
	v_mov_b32_e32 v57, 0x7c010000
	s_and_saveexec_b64 s[44:45], s[0:1]
	s_cbranch_execz .LBB242_220
; %bb.219:                              ;   in Loop: Header=BB242_13 Depth=1
	v_and_b32_e32 v57, 7, v2
	v_ffbh_u32_e32 v60, v57
	v_min_u32_e32 v63, 32, v60
	v_subrev_u32_e32 v60, 28, v63
	v_lshlrev_b64 v[60:61], v60, v[2:3]
	v_lshrrev_b32_e32 v62, 3, v59
	v_sub_u32_e32 v61, 29, v63
	v_cmp_gt_u32_e64 s[0:1], 8, v59
	v_lshlrev_b32_e32 v2, 8, v2
	v_and_b32_e32 v60, 7, v60
	v_cndmask_b32_e64 v59, v62, v61, s[0:1]
	v_lshl_add_u32 v59, v59, 10, v19
	v_and_or_b32 v2, v2, s54, v59
	v_cndmask_b32_e64 v57, v57, v60, s[0:1]
	v_lshlrev_b32_e32 v2, 16, v2
	v_lshl_or_b32 v57, v57, 23, v2
.LBB242_220:                            ;   in Loop: Header=BB242_13 Depth=1
	s_or_b64 exec, exec, s[44:45]
.LBB242_221:                            ;   in Loop: Header=BB242_13 Depth=1
	s_or_b64 exec, exec, s[42:43]
.LBB242_222:                            ;   in Loop: Header=BB242_13 Depth=1
	s_or_b64 exec, exec, s[40:41]
	global_load_ushort v60, v[8:9], off offset:2056
	v_mov_b32_e32 v59, 0
	s_waitcnt vmcnt(0)
	v_and_b32_e32 v2, 0xffff, v60
	v_cmp_ne_u16_sdwa s[0:1], v60, v3 src0_sel:BYTE_0 src1_sel:DWORD
	v_mov_b32_e32 v60, 0
	s_and_saveexec_b64 s[40:41], s[0:1]
	s_cbranch_execz .LBB242_228
; %bb.223:                              ;   in Loop: Header=BB242_13 Depth=1
	v_cmp_ne_u16_sdwa s[0:1], v2, s52 src0_sel:BYTE_0 src1_sel:DWORD
	v_mov_b32_e32 v60, 0x8000
	s_and_saveexec_b64 s[42:43], s[0:1]
	s_cbranch_execz .LBB242_227
; %bb.224:                              ;   in Loop: Header=BB242_13 Depth=1
	v_and_b32_e32 v61, 0x7f, v2
	v_cmp_ne_u32_e64 s[0:1], s53, v61
	v_mov_b32_e32 v60, 0x7c01
	s_and_saveexec_b64 s[44:45], s[0:1]
	s_cbranch_execz .LBB242_226
; %bb.225:                              ;   in Loop: Header=BB242_13 Depth=1
	v_and_b32_e32 v60, 7, v2
	v_ffbh_u32_e32 v62, v60
	v_min_u32_e32 v65, 32, v62
	v_subrev_u32_e32 v62, 28, v65
	v_lshlrev_b64 v[62:63], v62, v[2:3]
	v_lshrrev_b32_e32 v64, 3, v61
	v_sub_u32_e32 v63, 29, v65
	v_cmp_gt_u32_e64 s[0:1], 8, v61
	v_and_b32_e32 v62, 7, v62
	s_nop 0
	v_cndmask_b32_e64 v61, v64, v63, s[0:1]
	v_lshl_add_u32 v61, v61, 10, v19
	v_lshlrev_b32_e32 v63, 8, v2
	v_and_b32_e32 v61, 0xfc00, v61
	v_cndmask_b32_e64 v60, v60, v62, s[0:1]
	v_and_or_b32 v61, v63, s54, v61
	v_lshl_or_b32 v60, v60, 7, v61
.LBB242_226:                            ;   in Loop: Header=BB242_13 Depth=1
	s_or_b64 exec, exec, s[44:45]
.LBB242_227:                            ;   in Loop: Header=BB242_13 Depth=1
	s_or_b64 exec, exec, s[42:43]
.LBB242_228:                            ;   in Loop: Header=BB242_13 Depth=1
	s_or_b64 exec, exec, s[40:41]
	v_lshrrev_b16_e32 v2, 8, v2
	v_cmp_ne_u16_e64 s[0:1], 0, v2
	s_and_saveexec_b64 s[40:41], s[0:1]
	s_cbranch_execz .LBB242_234
; %bb.229:                              ;   in Loop: Header=BB242_13 Depth=1
	v_cmp_ne_u16_e64 s[0:1], s52, v2
	v_bfrev_b32_e32 v59, 1
	s_and_saveexec_b64 s[42:43], s[0:1]
	s_cbranch_execz .LBB242_233
; %bb.230:                              ;   in Loop: Header=BB242_13 Depth=1
	v_and_b32_e32 v61, 0x7f, v2
	v_cmp_ne_u32_e64 s[0:1], s53, v61
	v_mov_b32_e32 v59, 0x7c010000
	s_and_saveexec_b64 s[44:45], s[0:1]
	s_cbranch_execz .LBB242_232
; %bb.231:                              ;   in Loop: Header=BB242_13 Depth=1
	v_and_b32_e32 v59, 7, v2
	v_ffbh_u32_e32 v62, v59
	v_min_u32_e32 v65, 32, v62
	v_subrev_u32_e32 v62, 28, v65
	v_lshlrev_b64 v[62:63], v62, v[2:3]
	v_lshrrev_b32_e32 v64, 3, v61
	v_sub_u32_e32 v63, 29, v65
	v_cmp_gt_u32_e64 s[0:1], 8, v61
	v_lshlrev_b32_e32 v2, 8, v2
	v_and_b32_e32 v62, 7, v62
	v_cndmask_b32_e64 v61, v64, v63, s[0:1]
	v_lshl_add_u32 v61, v61, 10, v19
	v_and_or_b32 v2, v2, s54, v61
	v_cndmask_b32_e64 v59, v59, v62, s[0:1]
	v_lshlrev_b32_e32 v2, 16, v2
	v_lshl_or_b32 v59, v59, 23, v2
.LBB242_232:                            ;   in Loop: Header=BB242_13 Depth=1
	s_or_b64 exec, exec, s[44:45]
.LBB242_233:                            ;   in Loop: Header=BB242_13 Depth=1
	s_or_b64 exec, exec, s[42:43]
.LBB242_234:                            ;   in Loop: Header=BB242_13 Depth=1
	s_or_b64 exec, exec, s[40:41]
	global_load_ushort v62, v[8:9], off offset:2304
	v_mov_b32_e32 v61, 0
	s_waitcnt vmcnt(0)
	v_and_b32_e32 v2, 0xffff, v62
	v_cmp_ne_u16_sdwa s[0:1], v62, v3 src0_sel:BYTE_0 src1_sel:DWORD
	v_mov_b32_e32 v62, 0
	s_and_saveexec_b64 s[40:41], s[0:1]
	s_cbranch_execz .LBB242_240
; %bb.235:                              ;   in Loop: Header=BB242_13 Depth=1
	v_cmp_ne_u16_sdwa s[0:1], v2, s52 src0_sel:BYTE_0 src1_sel:DWORD
	v_mov_b32_e32 v62, 0x8000
	s_and_saveexec_b64 s[42:43], s[0:1]
	s_cbranch_execz .LBB242_239
; %bb.236:                              ;   in Loop: Header=BB242_13 Depth=1
	v_and_b32_e32 v63, 0x7f, v2
	v_cmp_ne_u32_e64 s[0:1], s53, v63
	v_mov_b32_e32 v62, 0x7c01
	s_and_saveexec_b64 s[44:45], s[0:1]
	s_cbranch_execz .LBB242_238
; %bb.237:                              ;   in Loop: Header=BB242_13 Depth=1
	v_and_b32_e32 v62, 7, v2
	v_ffbh_u32_e32 v64, v62
	v_min_u32_e32 v67, 32, v64
	v_subrev_u32_e32 v64, 28, v67
	v_lshlrev_b64 v[64:65], v64, v[2:3]
	v_lshrrev_b32_e32 v66, 3, v63
	v_sub_u32_e32 v65, 29, v67
	v_cmp_gt_u32_e64 s[0:1], 8, v63
	v_and_b32_e32 v64, 7, v64
	s_nop 0
	v_cndmask_b32_e64 v63, v66, v65, s[0:1]
	v_lshl_add_u32 v63, v63, 10, v19
	v_lshlrev_b32_e32 v65, 8, v2
	v_and_b32_e32 v63, 0xfc00, v63
	v_cndmask_b32_e64 v62, v62, v64, s[0:1]
	v_and_or_b32 v63, v65, s54, v63
	v_lshl_or_b32 v62, v62, 7, v63
.LBB242_238:                            ;   in Loop: Header=BB242_13 Depth=1
	s_or_b64 exec, exec, s[44:45]
.LBB242_239:                            ;   in Loop: Header=BB242_13 Depth=1
	s_or_b64 exec, exec, s[42:43]
.LBB242_240:                            ;   in Loop: Header=BB242_13 Depth=1
	s_or_b64 exec, exec, s[40:41]
	v_lshrrev_b16_e32 v2, 8, v2
	v_cmp_ne_u16_e64 s[0:1], 0, v2
	s_and_saveexec_b64 s[40:41], s[0:1]
	s_cbranch_execz .LBB242_246
; %bb.241:                              ;   in Loop: Header=BB242_13 Depth=1
	v_cmp_ne_u16_e64 s[0:1], s52, v2
	v_bfrev_b32_e32 v61, 1
	s_and_saveexec_b64 s[42:43], s[0:1]
	s_cbranch_execz .LBB242_245
; %bb.242:                              ;   in Loop: Header=BB242_13 Depth=1
	v_and_b32_e32 v63, 0x7f, v2
	v_cmp_ne_u32_e64 s[0:1], s53, v63
	v_mov_b32_e32 v61, 0x7c010000
	s_and_saveexec_b64 s[44:45], s[0:1]
	s_cbranch_execz .LBB242_244
; %bb.243:                              ;   in Loop: Header=BB242_13 Depth=1
	v_and_b32_e32 v61, 7, v2
	v_ffbh_u32_e32 v64, v61
	v_min_u32_e32 v67, 32, v64
	v_subrev_u32_e32 v64, 28, v67
	v_lshlrev_b64 v[64:65], v64, v[2:3]
	v_lshrrev_b32_e32 v66, 3, v63
	v_sub_u32_e32 v65, 29, v67
	v_cmp_gt_u32_e64 s[0:1], 8, v63
	v_lshlrev_b32_e32 v2, 8, v2
	v_and_b32_e32 v64, 7, v64
	v_cndmask_b32_e64 v63, v66, v65, s[0:1]
	v_lshl_add_u32 v63, v63, 10, v19
	v_and_or_b32 v2, v2, s54, v63
	v_cndmask_b32_e64 v61, v61, v64, s[0:1]
	v_lshlrev_b32_e32 v2, 16, v2
	v_lshl_or_b32 v61, v61, 23, v2
.LBB242_244:                            ;   in Loop: Header=BB242_13 Depth=1
	s_or_b64 exec, exec, s[44:45]
.LBB242_245:                            ;   in Loop: Header=BB242_13 Depth=1
	s_or_b64 exec, exec, s[42:43]
.LBB242_246:                            ;   in Loop: Header=BB242_13 Depth=1
	s_or_b64 exec, exec, s[40:41]
	global_load_ushort v64, v[8:9], off offset:2312
	v_mov_b32_e32 v63, 0
	s_waitcnt vmcnt(0)
	v_and_b32_e32 v2, 0xffff, v64
	v_cmp_ne_u16_sdwa s[0:1], v64, v3 src0_sel:BYTE_0 src1_sel:DWORD
	v_mov_b32_e32 v64, 0
	s_and_saveexec_b64 s[40:41], s[0:1]
	s_cbranch_execz .LBB242_252
; %bb.247:                              ;   in Loop: Header=BB242_13 Depth=1
	v_cmp_ne_u16_sdwa s[0:1], v2, s52 src0_sel:BYTE_0 src1_sel:DWORD
	v_mov_b32_e32 v64, 0x8000
	s_and_saveexec_b64 s[42:43], s[0:1]
	s_cbranch_execz .LBB242_251
; %bb.248:                              ;   in Loop: Header=BB242_13 Depth=1
	v_and_b32_e32 v65, 0x7f, v2
	v_cmp_ne_u32_e64 s[0:1], s53, v65
	v_mov_b32_e32 v64, 0x7c01
	s_and_saveexec_b64 s[44:45], s[0:1]
	s_cbranch_execz .LBB242_250
; %bb.249:                              ;   in Loop: Header=BB242_13 Depth=1
	v_and_b32_e32 v64, 7, v2
	v_ffbh_u32_e32 v66, v64
	v_min_u32_e32 v69, 32, v66
	v_subrev_u32_e32 v66, 28, v69
	v_lshlrev_b64 v[66:67], v66, v[2:3]
	v_lshrrev_b32_e32 v68, 3, v65
	v_sub_u32_e32 v67, 29, v69
	v_cmp_gt_u32_e64 s[0:1], 8, v65
	v_and_b32_e32 v66, 7, v66
	s_nop 0
	v_cndmask_b32_e64 v65, v68, v67, s[0:1]
	v_lshl_add_u32 v65, v65, 10, v19
	v_lshlrev_b32_e32 v67, 8, v2
	v_and_b32_e32 v65, 0xfc00, v65
	v_cndmask_b32_e64 v64, v64, v66, s[0:1]
	v_and_or_b32 v65, v67, s54, v65
	v_lshl_or_b32 v64, v64, 7, v65
.LBB242_250:                            ;   in Loop: Header=BB242_13 Depth=1
	s_or_b64 exec, exec, s[44:45]
.LBB242_251:                            ;   in Loop: Header=BB242_13 Depth=1
	s_or_b64 exec, exec, s[42:43]
.LBB242_252:                            ;   in Loop: Header=BB242_13 Depth=1
	s_or_b64 exec, exec, s[40:41]
	v_lshrrev_b16_e32 v2, 8, v2
	v_cmp_ne_u16_e64 s[0:1], 0, v2
	s_and_saveexec_b64 s[40:41], s[0:1]
	s_cbranch_execz .LBB242_258
; %bb.253:                              ;   in Loop: Header=BB242_13 Depth=1
	v_cmp_ne_u16_e64 s[0:1], s52, v2
	v_bfrev_b32_e32 v63, 1
	s_and_saveexec_b64 s[42:43], s[0:1]
	s_cbranch_execz .LBB242_257
; %bb.254:                              ;   in Loop: Header=BB242_13 Depth=1
	v_and_b32_e32 v65, 0x7f, v2
	v_cmp_ne_u32_e64 s[0:1], s53, v65
	v_mov_b32_e32 v63, 0x7c010000
	s_and_saveexec_b64 s[44:45], s[0:1]
	s_cbranch_execz .LBB242_256
; %bb.255:                              ;   in Loop: Header=BB242_13 Depth=1
	v_and_b32_e32 v63, 7, v2
	v_ffbh_u32_e32 v66, v63
	v_min_u32_e32 v69, 32, v66
	v_subrev_u32_e32 v66, 28, v69
	v_lshlrev_b64 v[66:67], v66, v[2:3]
	v_lshrrev_b32_e32 v68, 3, v65
	v_sub_u32_e32 v67, 29, v69
	v_cmp_gt_u32_e64 s[0:1], 8, v65
	v_lshlrev_b32_e32 v2, 8, v2
	v_and_b32_e32 v66, 7, v66
	v_cndmask_b32_e64 v65, v68, v67, s[0:1]
	v_lshl_add_u32 v65, v65, 10, v19
	v_and_or_b32 v2, v2, s54, v65
	v_cndmask_b32_e64 v63, v63, v66, s[0:1]
	v_lshlrev_b32_e32 v2, 16, v2
	v_lshl_or_b32 v63, v63, 23, v2
.LBB242_256:                            ;   in Loop: Header=BB242_13 Depth=1
	s_or_b64 exec, exec, s[44:45]
.LBB242_257:                            ;   in Loop: Header=BB242_13 Depth=1
	s_or_b64 exec, exec, s[42:43]
.LBB242_258:                            ;   in Loop: Header=BB242_13 Depth=1
	s_or_b64 exec, exec, s[40:41]
	global_load_ushort v66, v[8:9], off offset:2560
	v_mov_b32_e32 v65, 0
	s_waitcnt vmcnt(0)
	v_and_b32_e32 v2, 0xffff, v66
	v_cmp_ne_u16_sdwa s[0:1], v66, v3 src0_sel:BYTE_0 src1_sel:DWORD
	v_mov_b32_e32 v66, 0
	s_and_saveexec_b64 s[40:41], s[0:1]
	s_cbranch_execz .LBB242_264
; %bb.259:                              ;   in Loop: Header=BB242_13 Depth=1
	v_cmp_ne_u16_sdwa s[0:1], v2, s52 src0_sel:BYTE_0 src1_sel:DWORD
	v_mov_b32_e32 v66, 0x8000
	s_and_saveexec_b64 s[42:43], s[0:1]
	s_cbranch_execz .LBB242_263
; %bb.260:                              ;   in Loop: Header=BB242_13 Depth=1
	v_and_b32_e32 v67, 0x7f, v2
	v_cmp_ne_u32_e64 s[0:1], s53, v67
	v_mov_b32_e32 v66, 0x7c01
	s_and_saveexec_b64 s[44:45], s[0:1]
	s_cbranch_execz .LBB242_262
; %bb.261:                              ;   in Loop: Header=BB242_13 Depth=1
	v_and_b32_e32 v66, 7, v2
	v_ffbh_u32_e32 v68, v66
	v_min_u32_e32 v71, 32, v68
	v_subrev_u32_e32 v68, 28, v71
	v_lshlrev_b64 v[68:69], v68, v[2:3]
	v_lshrrev_b32_e32 v70, 3, v67
	v_sub_u32_e32 v69, 29, v71
	v_cmp_gt_u32_e64 s[0:1], 8, v67
	v_and_b32_e32 v68, 7, v68
	s_nop 0
	v_cndmask_b32_e64 v67, v70, v69, s[0:1]
	v_lshl_add_u32 v67, v67, 10, v19
	v_lshlrev_b32_e32 v69, 8, v2
	v_and_b32_e32 v67, 0xfc00, v67
	v_cndmask_b32_e64 v66, v66, v68, s[0:1]
	v_and_or_b32 v67, v69, s54, v67
	v_lshl_or_b32 v66, v66, 7, v67
.LBB242_262:                            ;   in Loop: Header=BB242_13 Depth=1
	s_or_b64 exec, exec, s[44:45]
.LBB242_263:                            ;   in Loop: Header=BB242_13 Depth=1
	s_or_b64 exec, exec, s[42:43]
.LBB242_264:                            ;   in Loop: Header=BB242_13 Depth=1
	s_or_b64 exec, exec, s[40:41]
	v_lshrrev_b16_e32 v2, 8, v2
	v_cmp_ne_u16_e64 s[0:1], 0, v2
	s_and_saveexec_b64 s[40:41], s[0:1]
	s_cbranch_execz .LBB242_270
; %bb.265:                              ;   in Loop: Header=BB242_13 Depth=1
	v_cmp_ne_u16_e64 s[0:1], s52, v2
	v_bfrev_b32_e32 v65, 1
	s_and_saveexec_b64 s[42:43], s[0:1]
	s_cbranch_execz .LBB242_269
; %bb.266:                              ;   in Loop: Header=BB242_13 Depth=1
	v_and_b32_e32 v67, 0x7f, v2
	v_cmp_ne_u32_e64 s[0:1], s53, v67
	v_mov_b32_e32 v65, 0x7c010000
	s_and_saveexec_b64 s[44:45], s[0:1]
	s_cbranch_execz .LBB242_268
; %bb.267:                              ;   in Loop: Header=BB242_13 Depth=1
	v_and_b32_e32 v65, 7, v2
	v_ffbh_u32_e32 v68, v65
	v_min_u32_e32 v71, 32, v68
	v_subrev_u32_e32 v68, 28, v71
	v_lshlrev_b64 v[68:69], v68, v[2:3]
	v_lshrrev_b32_e32 v70, 3, v67
	v_sub_u32_e32 v69, 29, v71
	v_cmp_gt_u32_e64 s[0:1], 8, v67
	v_lshlrev_b32_e32 v2, 8, v2
	v_and_b32_e32 v68, 7, v68
	v_cndmask_b32_e64 v67, v70, v69, s[0:1]
	v_lshl_add_u32 v67, v67, 10, v19
	v_and_or_b32 v2, v2, s54, v67
	v_cndmask_b32_e64 v65, v65, v68, s[0:1]
	v_lshlrev_b32_e32 v2, 16, v2
	v_lshl_or_b32 v65, v65, 23, v2
.LBB242_268:                            ;   in Loop: Header=BB242_13 Depth=1
	s_or_b64 exec, exec, s[44:45]
.LBB242_269:                            ;   in Loop: Header=BB242_13 Depth=1
	s_or_b64 exec, exec, s[42:43]
.LBB242_270:                            ;   in Loop: Header=BB242_13 Depth=1
	s_or_b64 exec, exec, s[40:41]
	global_load_ushort v68, v[8:9], off offset:2568
	v_mov_b32_e32 v67, 0
	s_waitcnt vmcnt(0)
	v_and_b32_e32 v2, 0xffff, v68
	v_cmp_ne_u16_sdwa s[0:1], v68, v3 src0_sel:BYTE_0 src1_sel:DWORD
	v_mov_b32_e32 v68, 0
	s_and_saveexec_b64 s[40:41], s[0:1]
	s_cbranch_execz .LBB242_276
; %bb.271:                              ;   in Loop: Header=BB242_13 Depth=1
	v_cmp_ne_u16_sdwa s[0:1], v2, s52 src0_sel:BYTE_0 src1_sel:DWORD
	v_mov_b32_e32 v68, 0x8000
	s_and_saveexec_b64 s[42:43], s[0:1]
	s_cbranch_execz .LBB242_275
; %bb.272:                              ;   in Loop: Header=BB242_13 Depth=1
	v_and_b32_e32 v69, 0x7f, v2
	v_cmp_ne_u32_e64 s[0:1], s53, v69
	v_mov_b32_e32 v68, 0x7c01
	s_and_saveexec_b64 s[44:45], s[0:1]
	s_cbranch_execz .LBB242_274
; %bb.273:                              ;   in Loop: Header=BB242_13 Depth=1
	v_and_b32_e32 v68, 7, v2
	v_ffbh_u32_e32 v70, v68
	v_min_u32_e32 v73, 32, v70
	v_subrev_u32_e32 v70, 28, v73
	v_lshlrev_b64 v[70:71], v70, v[2:3]
	v_lshrrev_b32_e32 v72, 3, v69
	v_sub_u32_e32 v71, 29, v73
	v_cmp_gt_u32_e64 s[0:1], 8, v69
	v_and_b32_e32 v70, 7, v70
	s_nop 0
	v_cndmask_b32_e64 v69, v72, v71, s[0:1]
	v_lshl_add_u32 v69, v69, 10, v19
	v_lshlrev_b32_e32 v71, 8, v2
	v_and_b32_e32 v69, 0xfc00, v69
	v_cndmask_b32_e64 v68, v68, v70, s[0:1]
	v_and_or_b32 v69, v71, s54, v69
	v_lshl_or_b32 v68, v68, 7, v69
.LBB242_274:                            ;   in Loop: Header=BB242_13 Depth=1
	s_or_b64 exec, exec, s[44:45]
.LBB242_275:                            ;   in Loop: Header=BB242_13 Depth=1
	s_or_b64 exec, exec, s[42:43]
.LBB242_276:                            ;   in Loop: Header=BB242_13 Depth=1
	s_or_b64 exec, exec, s[40:41]
	v_lshrrev_b16_e32 v2, 8, v2
	v_cmp_ne_u16_e64 s[0:1], 0, v2
	s_and_saveexec_b64 s[40:41], s[0:1]
	s_cbranch_execz .LBB242_282
; %bb.277:                              ;   in Loop: Header=BB242_13 Depth=1
	v_cmp_ne_u16_e64 s[0:1], s52, v2
	v_bfrev_b32_e32 v67, 1
	s_and_saveexec_b64 s[42:43], s[0:1]
	s_cbranch_execz .LBB242_281
; %bb.278:                              ;   in Loop: Header=BB242_13 Depth=1
	v_and_b32_e32 v69, 0x7f, v2
	v_cmp_ne_u32_e64 s[0:1], s53, v69
	v_mov_b32_e32 v67, 0x7c010000
	s_and_saveexec_b64 s[44:45], s[0:1]
	s_cbranch_execz .LBB242_280
; %bb.279:                              ;   in Loop: Header=BB242_13 Depth=1
	v_and_b32_e32 v67, 7, v2
	v_ffbh_u32_e32 v70, v67
	v_min_u32_e32 v73, 32, v70
	v_subrev_u32_e32 v70, 28, v73
	v_lshlrev_b64 v[70:71], v70, v[2:3]
	v_lshrrev_b32_e32 v72, 3, v69
	v_sub_u32_e32 v71, 29, v73
	v_cmp_gt_u32_e64 s[0:1], 8, v69
	v_lshlrev_b32_e32 v2, 8, v2
	v_and_b32_e32 v70, 7, v70
	v_cndmask_b32_e64 v69, v72, v71, s[0:1]
	v_lshl_add_u32 v69, v69, 10, v19
	v_and_or_b32 v2, v2, s54, v69
	v_cndmask_b32_e64 v67, v67, v70, s[0:1]
	v_lshlrev_b32_e32 v2, 16, v2
	v_lshl_or_b32 v67, v67, 23, v2
.LBB242_280:                            ;   in Loop: Header=BB242_13 Depth=1
	s_or_b64 exec, exec, s[44:45]
.LBB242_281:                            ;   in Loop: Header=BB242_13 Depth=1
	s_or_b64 exec, exec, s[42:43]
.LBB242_282:                            ;   in Loop: Header=BB242_13 Depth=1
	s_or_b64 exec, exec, s[40:41]
	global_load_ushort v70, v[8:9], off offset:2816
	v_mov_b32_e32 v69, 0
	s_waitcnt vmcnt(0)
	v_and_b32_e32 v2, 0xffff, v70
	v_cmp_ne_u16_sdwa s[0:1], v70, v3 src0_sel:BYTE_0 src1_sel:DWORD
	v_mov_b32_e32 v70, 0
	s_and_saveexec_b64 s[40:41], s[0:1]
	s_cbranch_execz .LBB242_288
; %bb.283:                              ;   in Loop: Header=BB242_13 Depth=1
	v_cmp_ne_u16_sdwa s[0:1], v2, s52 src0_sel:BYTE_0 src1_sel:DWORD
	v_mov_b32_e32 v70, 0x8000
	s_and_saveexec_b64 s[42:43], s[0:1]
	s_cbranch_execz .LBB242_287
; %bb.284:                              ;   in Loop: Header=BB242_13 Depth=1
	v_and_b32_e32 v71, 0x7f, v2
	v_cmp_ne_u32_e64 s[0:1], s53, v71
	v_mov_b32_e32 v70, 0x7c01
	s_and_saveexec_b64 s[44:45], s[0:1]
	s_cbranch_execz .LBB242_286
; %bb.285:                              ;   in Loop: Header=BB242_13 Depth=1
	v_and_b32_e32 v70, 7, v2
	v_ffbh_u32_e32 v72, v70
	v_min_u32_e32 v75, 32, v72
	v_subrev_u32_e32 v72, 28, v75
	v_lshlrev_b64 v[72:73], v72, v[2:3]
	v_lshrrev_b32_e32 v74, 3, v71
	v_sub_u32_e32 v73, 29, v75
	v_cmp_gt_u32_e64 s[0:1], 8, v71
	v_and_b32_e32 v72, 7, v72
	s_nop 0
	v_cndmask_b32_e64 v71, v74, v73, s[0:1]
	v_lshl_add_u32 v71, v71, 10, v19
	v_lshlrev_b32_e32 v73, 8, v2
	v_and_b32_e32 v71, 0xfc00, v71
	v_cndmask_b32_e64 v70, v70, v72, s[0:1]
	v_and_or_b32 v71, v73, s54, v71
	v_lshl_or_b32 v70, v70, 7, v71
.LBB242_286:                            ;   in Loop: Header=BB242_13 Depth=1
	s_or_b64 exec, exec, s[44:45]
.LBB242_287:                            ;   in Loop: Header=BB242_13 Depth=1
	s_or_b64 exec, exec, s[42:43]
.LBB242_288:                            ;   in Loop: Header=BB242_13 Depth=1
	s_or_b64 exec, exec, s[40:41]
	v_lshrrev_b16_e32 v2, 8, v2
	v_cmp_ne_u16_e64 s[0:1], 0, v2
	s_and_saveexec_b64 s[40:41], s[0:1]
	s_cbranch_execz .LBB242_294
; %bb.289:                              ;   in Loop: Header=BB242_13 Depth=1
	v_cmp_ne_u16_e64 s[0:1], s52, v2
	v_bfrev_b32_e32 v69, 1
	s_and_saveexec_b64 s[42:43], s[0:1]
	s_cbranch_execz .LBB242_293
; %bb.290:                              ;   in Loop: Header=BB242_13 Depth=1
	v_and_b32_e32 v71, 0x7f, v2
	v_cmp_ne_u32_e64 s[0:1], s53, v71
	v_mov_b32_e32 v69, 0x7c010000
	s_and_saveexec_b64 s[44:45], s[0:1]
	s_cbranch_execz .LBB242_292
; %bb.291:                              ;   in Loop: Header=BB242_13 Depth=1
	v_and_b32_e32 v69, 7, v2
	v_ffbh_u32_e32 v72, v69
	v_min_u32_e32 v75, 32, v72
	v_subrev_u32_e32 v72, 28, v75
	v_lshlrev_b64 v[72:73], v72, v[2:3]
	v_lshrrev_b32_e32 v74, 3, v71
	v_sub_u32_e32 v73, 29, v75
	v_cmp_gt_u32_e64 s[0:1], 8, v71
	v_lshlrev_b32_e32 v2, 8, v2
	v_and_b32_e32 v72, 7, v72
	v_cndmask_b32_e64 v71, v74, v73, s[0:1]
	v_lshl_add_u32 v71, v71, 10, v19
	v_and_or_b32 v2, v2, s54, v71
	v_cndmask_b32_e64 v69, v69, v72, s[0:1]
	v_lshlrev_b32_e32 v2, 16, v2
	v_lshl_or_b32 v69, v69, 23, v2
.LBB242_292:                            ;   in Loop: Header=BB242_13 Depth=1
	s_or_b64 exec, exec, s[44:45]
.LBB242_293:                            ;   in Loop: Header=BB242_13 Depth=1
	s_or_b64 exec, exec, s[42:43]
.LBB242_294:                            ;   in Loop: Header=BB242_13 Depth=1
	s_or_b64 exec, exec, s[40:41]
	global_load_ushort v72, v[8:9], off offset:2824
	v_mov_b32_e32 v71, 0
	s_waitcnt vmcnt(0)
	v_and_b32_e32 v2, 0xffff, v72
	v_cmp_ne_u16_sdwa s[0:1], v72, v3 src0_sel:BYTE_0 src1_sel:DWORD
	v_mov_b32_e32 v72, 0
	s_and_saveexec_b64 s[40:41], s[0:1]
	s_cbranch_execz .LBB242_300
; %bb.295:                              ;   in Loop: Header=BB242_13 Depth=1
	v_cmp_ne_u16_sdwa s[0:1], v2, s52 src0_sel:BYTE_0 src1_sel:DWORD
	v_mov_b32_e32 v72, 0x8000
	s_and_saveexec_b64 s[42:43], s[0:1]
	s_cbranch_execz .LBB242_299
; %bb.296:                              ;   in Loop: Header=BB242_13 Depth=1
	v_and_b32_e32 v73, 0x7f, v2
	v_cmp_ne_u32_e64 s[0:1], s53, v73
	v_mov_b32_e32 v72, 0x7c01
	s_and_saveexec_b64 s[44:45], s[0:1]
	s_cbranch_execz .LBB242_298
; %bb.297:                              ;   in Loop: Header=BB242_13 Depth=1
	v_and_b32_e32 v72, 7, v2
	v_ffbh_u32_e32 v74, v72
	v_min_u32_e32 v77, 32, v74
	v_subrev_u32_e32 v74, 28, v77
	v_lshlrev_b64 v[74:75], v74, v[2:3]
	v_lshrrev_b32_e32 v76, 3, v73
	v_sub_u32_e32 v75, 29, v77
	v_cmp_gt_u32_e64 s[0:1], 8, v73
	v_and_b32_e32 v74, 7, v74
	s_nop 0
	v_cndmask_b32_e64 v73, v76, v75, s[0:1]
	v_lshl_add_u32 v73, v73, 10, v19
	v_lshlrev_b32_e32 v75, 8, v2
	v_and_b32_e32 v73, 0xfc00, v73
	v_cndmask_b32_e64 v72, v72, v74, s[0:1]
	v_and_or_b32 v73, v75, s54, v73
	v_lshl_or_b32 v72, v72, 7, v73
.LBB242_298:                            ;   in Loop: Header=BB242_13 Depth=1
	s_or_b64 exec, exec, s[44:45]
.LBB242_299:                            ;   in Loop: Header=BB242_13 Depth=1
	s_or_b64 exec, exec, s[42:43]
.LBB242_300:                            ;   in Loop: Header=BB242_13 Depth=1
	s_or_b64 exec, exec, s[40:41]
	v_lshrrev_b16_e32 v2, 8, v2
	v_cmp_ne_u16_e64 s[0:1], 0, v2
	s_and_saveexec_b64 s[40:41], s[0:1]
	s_cbranch_execz .LBB242_306
; %bb.301:                              ;   in Loop: Header=BB242_13 Depth=1
	v_cmp_ne_u16_e64 s[0:1], s52, v2
	v_bfrev_b32_e32 v71, 1
	s_and_saveexec_b64 s[42:43], s[0:1]
	s_cbranch_execz .LBB242_305
; %bb.302:                              ;   in Loop: Header=BB242_13 Depth=1
	v_and_b32_e32 v73, 0x7f, v2
	v_cmp_ne_u32_e64 s[0:1], s53, v73
	v_mov_b32_e32 v71, 0x7c010000
	s_and_saveexec_b64 s[44:45], s[0:1]
	s_cbranch_execz .LBB242_304
; %bb.303:                              ;   in Loop: Header=BB242_13 Depth=1
	v_and_b32_e32 v71, 7, v2
	v_ffbh_u32_e32 v74, v71
	v_min_u32_e32 v77, 32, v74
	v_subrev_u32_e32 v74, 28, v77
	v_lshlrev_b64 v[74:75], v74, v[2:3]
	v_lshrrev_b32_e32 v76, 3, v73
	v_sub_u32_e32 v75, 29, v77
	v_cmp_gt_u32_e64 s[0:1], 8, v73
	v_lshlrev_b32_e32 v2, 8, v2
	v_and_b32_e32 v74, 7, v74
	v_cndmask_b32_e64 v73, v76, v75, s[0:1]
	v_lshl_add_u32 v73, v73, 10, v19
	v_and_or_b32 v2, v2, s54, v73
	v_cndmask_b32_e64 v71, v71, v74, s[0:1]
	v_lshlrev_b32_e32 v2, 16, v2
	v_lshl_or_b32 v71, v71, 23, v2
.LBB242_304:                            ;   in Loop: Header=BB242_13 Depth=1
	s_or_b64 exec, exec, s[44:45]
.LBB242_305:                            ;   in Loop: Header=BB242_13 Depth=1
	s_or_b64 exec, exec, s[42:43]
.LBB242_306:                            ;   in Loop: Header=BB242_13 Depth=1
	s_or_b64 exec, exec, s[40:41]
	global_load_ushort v74, v[8:9], off offset:3072
	v_mov_b32_e32 v73, 0
	s_waitcnt vmcnt(0)
	v_and_b32_e32 v2, 0xffff, v74
	v_cmp_ne_u16_sdwa s[0:1], v74, v3 src0_sel:BYTE_0 src1_sel:DWORD
	v_mov_b32_e32 v74, 0
	s_and_saveexec_b64 s[40:41], s[0:1]
	s_cbranch_execz .LBB242_312
; %bb.307:                              ;   in Loop: Header=BB242_13 Depth=1
	v_cmp_ne_u16_sdwa s[0:1], v2, s52 src0_sel:BYTE_0 src1_sel:DWORD
	v_mov_b32_e32 v74, 0x8000
	s_and_saveexec_b64 s[42:43], s[0:1]
	s_cbranch_execz .LBB242_311
; %bb.308:                              ;   in Loop: Header=BB242_13 Depth=1
	v_and_b32_e32 v75, 0x7f, v2
	v_cmp_ne_u32_e64 s[0:1], s53, v75
	v_mov_b32_e32 v74, 0x7c01
	s_and_saveexec_b64 s[44:45], s[0:1]
	s_cbranch_execz .LBB242_310
; %bb.309:                              ;   in Loop: Header=BB242_13 Depth=1
	v_and_b32_e32 v74, 7, v2
	v_ffbh_u32_e32 v76, v74
	v_min_u32_e32 v79, 32, v76
	v_subrev_u32_e32 v76, 28, v79
	v_lshlrev_b64 v[76:77], v76, v[2:3]
	v_lshrrev_b32_e32 v78, 3, v75
	v_sub_u32_e32 v77, 29, v79
	v_cmp_gt_u32_e64 s[0:1], 8, v75
	v_and_b32_e32 v76, 7, v76
	s_nop 0
	v_cndmask_b32_e64 v75, v78, v77, s[0:1]
	v_lshl_add_u32 v75, v75, 10, v19
	v_lshlrev_b32_e32 v77, 8, v2
	v_and_b32_e32 v75, 0xfc00, v75
	v_cndmask_b32_e64 v74, v74, v76, s[0:1]
	v_and_or_b32 v75, v77, s54, v75
	v_lshl_or_b32 v74, v74, 7, v75
.LBB242_310:                            ;   in Loop: Header=BB242_13 Depth=1
	s_or_b64 exec, exec, s[44:45]
.LBB242_311:                            ;   in Loop: Header=BB242_13 Depth=1
	s_or_b64 exec, exec, s[42:43]
.LBB242_312:                            ;   in Loop: Header=BB242_13 Depth=1
	s_or_b64 exec, exec, s[40:41]
	v_lshrrev_b16_e32 v2, 8, v2
	v_cmp_ne_u16_e64 s[0:1], 0, v2
	s_and_saveexec_b64 s[40:41], s[0:1]
	s_cbranch_execz .LBB242_318
; %bb.313:                              ;   in Loop: Header=BB242_13 Depth=1
	v_cmp_ne_u16_e64 s[0:1], s52, v2
	v_bfrev_b32_e32 v73, 1
	s_and_saveexec_b64 s[42:43], s[0:1]
	s_cbranch_execz .LBB242_317
; %bb.314:                              ;   in Loop: Header=BB242_13 Depth=1
	v_and_b32_e32 v75, 0x7f, v2
	v_cmp_ne_u32_e64 s[0:1], s53, v75
	v_mov_b32_e32 v73, 0x7c010000
	s_and_saveexec_b64 s[44:45], s[0:1]
	s_cbranch_execz .LBB242_316
; %bb.315:                              ;   in Loop: Header=BB242_13 Depth=1
	v_and_b32_e32 v73, 7, v2
	v_ffbh_u32_e32 v76, v73
	v_min_u32_e32 v79, 32, v76
	v_subrev_u32_e32 v76, 28, v79
	v_lshlrev_b64 v[76:77], v76, v[2:3]
	v_lshrrev_b32_e32 v78, 3, v75
	v_sub_u32_e32 v77, 29, v79
	v_cmp_gt_u32_e64 s[0:1], 8, v75
	v_lshlrev_b32_e32 v2, 8, v2
	v_and_b32_e32 v76, 7, v76
	v_cndmask_b32_e64 v75, v78, v77, s[0:1]
	v_lshl_add_u32 v75, v75, 10, v19
	v_and_or_b32 v2, v2, s54, v75
	v_cndmask_b32_e64 v73, v73, v76, s[0:1]
	v_lshlrev_b32_e32 v2, 16, v2
	v_lshl_or_b32 v73, v73, 23, v2
.LBB242_316:                            ;   in Loop: Header=BB242_13 Depth=1
	s_or_b64 exec, exec, s[44:45]
.LBB242_317:                            ;   in Loop: Header=BB242_13 Depth=1
	s_or_b64 exec, exec, s[42:43]
.LBB242_318:                            ;   in Loop: Header=BB242_13 Depth=1
	s_or_b64 exec, exec, s[40:41]
	global_load_ushort v75, v[8:9], off offset:3080
	v_mov_b32_e32 v76, 0
	v_mov_b32_e32 v77, 0
	s_waitcnt vmcnt(0)
	v_and_b32_e32 v2, 0xffff, v75
	v_cmp_ne_u16_sdwa s[0:1], v75, v3 src0_sel:BYTE_0 src1_sel:DWORD
	s_and_saveexec_b64 s[40:41], s[0:1]
	s_cbranch_execz .LBB242_324
; %bb.319:                              ;   in Loop: Header=BB242_13 Depth=1
	v_cmp_ne_u16_sdwa s[0:1], v2, s52 src0_sel:BYTE_0 src1_sel:DWORD
	v_mov_b32_e32 v77, 0x8000
	s_and_saveexec_b64 s[42:43], s[0:1]
	s_cbranch_execz .LBB242_323
; %bb.320:                              ;   in Loop: Header=BB242_13 Depth=1
	v_and_b32_e32 v75, 0x7f, v2
	v_cmp_ne_u32_e64 s[0:1], s53, v75
	v_mov_b32_e32 v77, 0x7c01
	s_and_saveexec_b64 s[44:45], s[0:1]
	s_cbranch_execz .LBB242_322
; %bb.321:                              ;   in Loop: Header=BB242_13 Depth=1
	v_and_b32_e32 v77, 7, v2
	v_ffbh_u32_e32 v78, v77
	v_min_u32_e32 v81, 32, v78
	v_subrev_u32_e32 v78, 28, v81
	v_lshlrev_b64 v[78:79], v78, v[2:3]
	v_lshrrev_b32_e32 v80, 3, v75
	v_sub_u32_e32 v79, 29, v81
	v_cmp_gt_u32_e64 s[0:1], 8, v75
	v_and_b32_e32 v78, 7, v78
	s_nop 0
	v_cndmask_b32_e64 v75, v80, v79, s[0:1]
	v_lshl_add_u32 v75, v75, 10, v19
	v_lshlrev_b32_e32 v79, 8, v2
	v_and_b32_e32 v75, 0xfc00, v75
	v_cndmask_b32_e64 v77, v77, v78, s[0:1]
	v_and_or_b32 v75, v79, s54, v75
	v_lshl_or_b32 v77, v77, 7, v75
.LBB242_322:                            ;   in Loop: Header=BB242_13 Depth=1
	s_or_b64 exec, exec, s[44:45]
.LBB242_323:                            ;   in Loop: Header=BB242_13 Depth=1
	s_or_b64 exec, exec, s[42:43]
.LBB242_324:                            ;   in Loop: Header=BB242_13 Depth=1
	s_or_b64 exec, exec, s[40:41]
	v_lshrrev_b16_e32 v2, 8, v2
	v_cmp_ne_u16_e64 s[0:1], 0, v2
	s_and_saveexec_b64 s[40:41], s[0:1]
	s_cbranch_execz .LBB242_330
; %bb.325:                              ;   in Loop: Header=BB242_13 Depth=1
	v_cmp_ne_u16_e64 s[0:1], s52, v2
	v_bfrev_b32_e32 v76, 1
	s_and_saveexec_b64 s[42:43], s[0:1]
	s_cbranch_execz .LBB242_329
; %bb.326:                              ;   in Loop: Header=BB242_13 Depth=1
	v_and_b32_e32 v75, 0x7f, v2
	v_cmp_ne_u32_e64 s[0:1], s53, v75
	v_mov_b32_e32 v76, 0x7c010000
	s_and_saveexec_b64 s[44:45], s[0:1]
	s_cbranch_execz .LBB242_328
; %bb.327:                              ;   in Loop: Header=BB242_13 Depth=1
	v_and_b32_e32 v76, 7, v2
	v_ffbh_u32_e32 v78, v76
	v_min_u32_e32 v81, 32, v78
	v_subrev_u32_e32 v78, 28, v81
	v_lshlrev_b64 v[78:79], v78, v[2:3]
	v_lshrrev_b32_e32 v80, 3, v75
	v_sub_u32_e32 v79, 29, v81
	v_cmp_gt_u32_e64 s[0:1], 8, v75
	v_lshlrev_b32_e32 v2, 8, v2
	v_and_b32_e32 v78, 7, v78
	v_cndmask_b32_e64 v75, v80, v79, s[0:1]
	v_lshl_add_u32 v75, v75, 10, v19
	v_and_or_b32 v2, v2, s54, v75
	v_cndmask_b32_e64 v76, v76, v78, s[0:1]
	v_lshlrev_b32_e32 v2, 16, v2
	v_lshl_or_b32 v76, v76, 23, v2
.LBB242_328:                            ;   in Loop: Header=BB242_13 Depth=1
	s_or_b64 exec, exec, s[44:45]
.LBB242_329:                            ;   in Loop: Header=BB242_13 Depth=1
	s_or_b64 exec, exec, s[42:43]
.LBB242_330:                            ;   in Loop: Header=BB242_13 Depth=1
	s_or_b64 exec, exec, s[40:41]
	global_load_ushort v75, v[8:9], off offset:3328
	v_mov_b32_e32 v82, 0
	v_mov_b32_e32 v83, 0
	s_waitcnt vmcnt(0)
	v_and_b32_e32 v2, 0xffff, v75
	v_cmp_ne_u16_sdwa s[0:1], v75, v3 src0_sel:BYTE_0 src1_sel:DWORD
	s_and_saveexec_b64 s[40:41], s[0:1]
	s_cbranch_execz .LBB242_336
; %bb.331:                              ;   in Loop: Header=BB242_13 Depth=1
	v_cmp_ne_u16_sdwa s[0:1], v2, s52 src0_sel:BYTE_0 src1_sel:DWORD
	v_mov_b32_e32 v83, 0x8000
	s_and_saveexec_b64 s[42:43], s[0:1]
	s_cbranch_execz .LBB242_335
; %bb.332:                              ;   in Loop: Header=BB242_13 Depth=1
	v_and_b32_e32 v75, 0x7f, v2
	v_cmp_ne_u32_e64 s[0:1], s53, v75
	v_mov_b32_e32 v83, 0x7c01
	s_and_saveexec_b64 s[44:45], s[0:1]
	s_cbranch_execz .LBB242_334
; %bb.333:                              ;   in Loop: Header=BB242_13 Depth=1
	v_and_b32_e32 v80, 7, v2
	v_ffbh_u32_e32 v78, v80
	v_min_u32_e32 v83, 32, v78
	v_subrev_u32_e32 v78, 28, v83
	v_lshlrev_b64 v[78:79], v78, v[2:3]
	v_lshrrev_b32_e32 v81, 3, v75
	v_sub_u32_e32 v79, 29, v83
	v_cmp_gt_u32_e64 s[0:1], 8, v75
	v_and_b32_e32 v78, 7, v78
	s_nop 0
	v_cndmask_b32_e64 v75, v81, v79, s[0:1]
	v_lshl_add_u32 v75, v75, 10, v19
	v_lshlrev_b32_e32 v79, 8, v2
	v_and_b32_e32 v75, 0xfc00, v75
	v_cndmask_b32_e64 v78, v80, v78, s[0:1]
	v_and_or_b32 v75, v79, s54, v75
	v_lshl_or_b32 v83, v78, 7, v75
.LBB242_334:                            ;   in Loop: Header=BB242_13 Depth=1
	s_or_b64 exec, exec, s[44:45]
.LBB242_335:                            ;   in Loop: Header=BB242_13 Depth=1
	s_or_b64 exec, exec, s[42:43]
.LBB242_336:                            ;   in Loop: Header=BB242_13 Depth=1
	s_or_b64 exec, exec, s[40:41]
	v_lshrrev_b16_e32 v2, 8, v2
	v_cmp_ne_u16_e64 s[0:1], 0, v2
	s_and_saveexec_b64 s[40:41], s[0:1]
	s_cbranch_execz .LBB242_342
; %bb.337:                              ;   in Loop: Header=BB242_13 Depth=1
	v_cmp_ne_u16_e64 s[0:1], s52, v2
	v_bfrev_b32_e32 v82, 1
	s_and_saveexec_b64 s[42:43], s[0:1]
	s_cbranch_execz .LBB242_341
; %bb.338:                              ;   in Loop: Header=BB242_13 Depth=1
	v_and_b32_e32 v75, 0x7f, v2
	v_cmp_ne_u32_e64 s[0:1], s53, v75
	v_mov_b32_e32 v82, 0x7c010000
	s_and_saveexec_b64 s[44:45], s[0:1]
	s_cbranch_execz .LBB242_340
; %bb.339:                              ;   in Loop: Header=BB242_13 Depth=1
	v_and_b32_e32 v80, 7, v2
	v_ffbh_u32_e32 v78, v80
	v_min_u32_e32 v82, 32, v78
	v_subrev_u32_e32 v78, 28, v82
	v_lshlrev_b64 v[78:79], v78, v[2:3]
	v_lshrrev_b32_e32 v81, 3, v75
	v_sub_u32_e32 v79, 29, v82
	v_cmp_gt_u32_e64 s[0:1], 8, v75
	v_lshlrev_b32_e32 v2, 8, v2
	v_and_b32_e32 v78, 7, v78
	v_cndmask_b32_e64 v75, v81, v79, s[0:1]
	v_lshl_add_u32 v75, v75, 10, v19
	v_and_or_b32 v2, v2, s54, v75
	v_cndmask_b32_e64 v78, v80, v78, s[0:1]
	v_lshlrev_b32_e32 v2, 16, v2
	v_lshl_or_b32 v82, v78, 23, v2
.LBB242_340:                            ;   in Loop: Header=BB242_13 Depth=1
	s_or_b64 exec, exec, s[44:45]
.LBB242_341:                            ;   in Loop: Header=BB242_13 Depth=1
	s_or_b64 exec, exec, s[42:43]
.LBB242_342:                            ;   in Loop: Header=BB242_13 Depth=1
	s_or_b64 exec, exec, s[40:41]
	global_load_ushort v75, v[8:9], off offset:3336
	v_mov_b32_e32 v80, 0
	v_mov_b32_e32 v81, 0
	s_waitcnt vmcnt(0)
	v_and_b32_e32 v2, 0xffff, v75
	v_cmp_ne_u16_sdwa s[0:1], v75, v3 src0_sel:BYTE_0 src1_sel:DWORD
	s_and_saveexec_b64 s[40:41], s[0:1]
	s_cbranch_execz .LBB242_348
; %bb.343:                              ;   in Loop: Header=BB242_13 Depth=1
	v_cmp_ne_u16_sdwa s[0:1], v2, s52 src0_sel:BYTE_0 src1_sel:DWORD
	v_mov_b32_e32 v81, 0x8000
	s_and_saveexec_b64 s[42:43], s[0:1]
	s_cbranch_execz .LBB242_347
; %bb.344:                              ;   in Loop: Header=BB242_13 Depth=1
	v_and_b32_e32 v75, 0x7f, v2
	v_cmp_ne_u32_e64 s[0:1], s53, v75
	v_mov_b32_e32 v81, 0x7c01
	s_and_saveexec_b64 s[44:45], s[0:1]
	s_cbranch_execz .LBB242_346
; %bb.345:                              ;   in Loop: Header=BB242_13 Depth=1
	v_and_b32_e32 v81, 7, v2
	v_ffbh_u32_e32 v78, v81
	v_min_u32_e32 v85, 32, v78
	v_subrev_u32_e32 v78, 28, v85
	v_lshlrev_b64 v[78:79], v78, v[2:3]
	v_lshrrev_b32_e32 v84, 3, v75
	v_sub_u32_e32 v79, 29, v85
	v_cmp_gt_u32_e64 s[0:1], 8, v75
	v_and_b32_e32 v78, 7, v78
	s_nop 0
	v_cndmask_b32_e64 v75, v84, v79, s[0:1]
	v_lshl_add_u32 v75, v75, 10, v19
	v_lshlrev_b32_e32 v79, 8, v2
	v_and_b32_e32 v75, 0xfc00, v75
	v_cndmask_b32_e64 v78, v81, v78, s[0:1]
	v_and_or_b32 v75, v79, s54, v75
	v_lshl_or_b32 v81, v78, 7, v75
.LBB242_346:                            ;   in Loop: Header=BB242_13 Depth=1
	s_or_b64 exec, exec, s[44:45]
.LBB242_347:                            ;   in Loop: Header=BB242_13 Depth=1
	s_or_b64 exec, exec, s[42:43]
.LBB242_348:                            ;   in Loop: Header=BB242_13 Depth=1
	s_or_b64 exec, exec, s[40:41]
	v_lshrrev_b16_e32 v2, 8, v2
	v_cmp_ne_u16_e64 s[0:1], 0, v2
	s_and_saveexec_b64 s[40:41], s[0:1]
	s_cbranch_execz .LBB242_354
; %bb.349:                              ;   in Loop: Header=BB242_13 Depth=1
	v_cmp_ne_u16_e64 s[0:1], s52, v2
	v_bfrev_b32_e32 v80, 1
	s_and_saveexec_b64 s[42:43], s[0:1]
	s_cbranch_execz .LBB242_353
; %bb.350:                              ;   in Loop: Header=BB242_13 Depth=1
	v_and_b32_e32 v75, 0x7f, v2
	v_cmp_ne_u32_e64 s[0:1], s53, v75
	v_mov_b32_e32 v80, 0x7c010000
	s_and_saveexec_b64 s[44:45], s[0:1]
	s_cbranch_execz .LBB242_352
; %bb.351:                              ;   in Loop: Header=BB242_13 Depth=1
	v_and_b32_e32 v80, 7, v2
	v_ffbh_u32_e32 v78, v80
	v_min_u32_e32 v85, 32, v78
	v_subrev_u32_e32 v78, 28, v85
	v_lshlrev_b64 v[78:79], v78, v[2:3]
	v_lshrrev_b32_e32 v84, 3, v75
	v_sub_u32_e32 v79, 29, v85
	v_cmp_gt_u32_e64 s[0:1], 8, v75
	v_lshlrev_b32_e32 v2, 8, v2
	v_and_b32_e32 v78, 7, v78
	v_cndmask_b32_e64 v75, v84, v79, s[0:1]
	v_lshl_add_u32 v75, v75, 10, v19
	v_and_or_b32 v2, v2, s54, v75
	v_cndmask_b32_e64 v78, v80, v78, s[0:1]
	v_lshlrev_b32_e32 v2, 16, v2
	v_lshl_or_b32 v80, v78, 23, v2
.LBB242_352:                            ;   in Loop: Header=BB242_13 Depth=1
	s_or_b64 exec, exec, s[44:45]
.LBB242_353:                            ;   in Loop: Header=BB242_13 Depth=1
	s_or_b64 exec, exec, s[42:43]
.LBB242_354:                            ;   in Loop: Header=BB242_13 Depth=1
	s_or_b64 exec, exec, s[40:41]
	global_load_ushort v75, v[8:9], off offset:3584
	v_mov_b32_e32 v78, 0
	v_mov_b32_e32 v79, 0
	s_waitcnt vmcnt(0)
	v_and_b32_e32 v2, 0xffff, v75
	v_cmp_ne_u16_sdwa s[0:1], v75, v3 src0_sel:BYTE_0 src1_sel:DWORD
	s_and_saveexec_b64 s[40:41], s[0:1]
	s_cbranch_execz .LBB242_360
; %bb.355:                              ;   in Loop: Header=BB242_13 Depth=1
	v_cmp_ne_u16_sdwa s[0:1], v2, s52 src0_sel:BYTE_0 src1_sel:DWORD
	v_mov_b32_e32 v79, 0x8000
	s_and_saveexec_b64 s[42:43], s[0:1]
	s_cbranch_execz .LBB242_359
; %bb.356:                              ;   in Loop: Header=BB242_13 Depth=1
	v_and_b32_e32 v75, 0x7f, v2
	v_cmp_ne_u32_e64 s[0:1], s53, v75
	v_mov_b32_e32 v79, 0x7c01
	s_and_saveexec_b64 s[44:45], s[0:1]
	s_cbranch_execz .LBB242_358
; %bb.357:                              ;   in Loop: Header=BB242_13 Depth=1
	v_and_b32_e32 v79, 7, v2
	v_ffbh_u32_e32 v84, v79
	v_min_u32_e32 v87, 32, v84
	v_subrev_u32_e32 v84, 28, v87
	v_lshlrev_b64 v[84:85], v84, v[2:3]
	v_lshrrev_b32_e32 v86, 3, v75
	v_sub_u32_e32 v85, 29, v87
	v_cmp_gt_u32_e64 s[0:1], 8, v75
	v_and_b32_e32 v84, 7, v84
	s_nop 0
	v_cndmask_b32_e64 v75, v86, v85, s[0:1]
	v_lshl_add_u32 v75, v75, 10, v19
	v_lshlrev_b32_e32 v85, 8, v2
	v_and_b32_e32 v75, 0xfc00, v75
	v_cndmask_b32_e64 v79, v79, v84, s[0:1]
	v_and_or_b32 v75, v85, s54, v75
	v_lshl_or_b32 v79, v79, 7, v75
.LBB242_358:                            ;   in Loop: Header=BB242_13 Depth=1
	s_or_b64 exec, exec, s[44:45]
.LBB242_359:                            ;   in Loop: Header=BB242_13 Depth=1
	s_or_b64 exec, exec, s[42:43]
.LBB242_360:                            ;   in Loop: Header=BB242_13 Depth=1
	s_or_b64 exec, exec, s[40:41]
	v_lshrrev_b16_e32 v2, 8, v2
	v_cmp_ne_u16_e64 s[0:1], 0, v2
	s_and_saveexec_b64 s[40:41], s[0:1]
	s_cbranch_execz .LBB242_366
; %bb.361:                              ;   in Loop: Header=BB242_13 Depth=1
	v_cmp_ne_u16_e64 s[0:1], s52, v2
	v_bfrev_b32_e32 v78, 1
	s_and_saveexec_b64 s[42:43], s[0:1]
	s_cbranch_execz .LBB242_365
; %bb.362:                              ;   in Loop: Header=BB242_13 Depth=1
	v_and_b32_e32 v75, 0x7f, v2
	v_cmp_ne_u32_e64 s[0:1], s53, v75
	v_mov_b32_e32 v78, 0x7c010000
	s_and_saveexec_b64 s[44:45], s[0:1]
	s_cbranch_execz .LBB242_364
; %bb.363:                              ;   in Loop: Header=BB242_13 Depth=1
	v_and_b32_e32 v78, 7, v2
	v_ffbh_u32_e32 v84, v78
	v_min_u32_e32 v87, 32, v84
	v_subrev_u32_e32 v84, 28, v87
	v_lshlrev_b64 v[84:85], v84, v[2:3]
	v_lshrrev_b32_e32 v86, 3, v75
	v_sub_u32_e32 v85, 29, v87
	v_cmp_gt_u32_e64 s[0:1], 8, v75
	v_lshlrev_b32_e32 v2, 8, v2
	v_and_b32_e32 v84, 7, v84
	v_cndmask_b32_e64 v75, v86, v85, s[0:1]
	v_lshl_add_u32 v75, v75, 10, v19
	v_and_or_b32 v2, v2, s54, v75
	v_cndmask_b32_e64 v78, v78, v84, s[0:1]
	v_lshlrev_b32_e32 v2, 16, v2
	v_lshl_or_b32 v78, v78, 23, v2
.LBB242_364:                            ;   in Loop: Header=BB242_13 Depth=1
	s_or_b64 exec, exec, s[44:45]
.LBB242_365:                            ;   in Loop: Header=BB242_13 Depth=1
	s_or_b64 exec, exec, s[42:43]
.LBB242_366:                            ;   in Loop: Header=BB242_13 Depth=1
	s_or_b64 exec, exec, s[40:41]
	global_load_ushort v75, v[8:9], off offset:3592
	v_mov_b32_e32 v86, 0
	s_waitcnt vmcnt(0)
	v_and_b32_e32 v2, 0xffff, v75
	v_cmp_ne_u16_sdwa s[0:1], v75, v3 src0_sel:BYTE_0 src1_sel:DWORD
	v_mov_b32_e32 v75, 0
	s_and_saveexec_b64 s[40:41], s[0:1]
	s_cbranch_execz .LBB242_372
; %bb.367:                              ;   in Loop: Header=BB242_13 Depth=1
	v_cmp_ne_u16_sdwa s[0:1], v2, s52 src0_sel:BYTE_0 src1_sel:DWORD
	v_mov_b32_e32 v75, 0x8000
	s_and_saveexec_b64 s[42:43], s[0:1]
	s_cbranch_execz .LBB242_371
; %bb.368:                              ;   in Loop: Header=BB242_13 Depth=1
	v_and_b32_e32 v84, 0x7f, v2
	v_cmp_ne_u32_e64 s[0:1], s53, v84
	v_mov_b32_e32 v75, 0x7c01
	s_and_saveexec_b64 s[44:45], s[0:1]
	s_cbranch_execz .LBB242_370
; %bb.369:                              ;   in Loop: Header=BB242_13 Depth=1
	v_and_b32_e32 v75, 7, v2
	v_ffbh_u32_e32 v87, v75
	v_min_u32_e32 v87, 32, v87
	v_lshrrev_b32_e32 v85, 3, v84
	v_subrev_u32_e32 v88, 28, v87
	v_sub_u32_e32 v87, 29, v87
	v_cmp_gt_u32_e64 s[0:1], 8, v84
	v_lshlrev_b64 v[88:89], v88, v[2:3]
	s_nop 0
	v_cndmask_b32_e64 v84, v85, v87, s[0:1]
	v_lshl_add_u32 v84, v84, 10, v19
	v_lshlrev_b32_e32 v85, 8, v2
	v_and_b32_e32 v87, 7, v88
	v_and_b32_e32 v84, 0xfc00, v84
	v_cndmask_b32_e64 v75, v75, v87, s[0:1]
	v_and_or_b32 v84, v85, s54, v84
	v_lshl_or_b32 v75, v75, 7, v84
.LBB242_370:                            ;   in Loop: Header=BB242_13 Depth=1
	s_or_b64 exec, exec, s[44:45]
.LBB242_371:                            ;   in Loop: Header=BB242_13 Depth=1
	s_or_b64 exec, exec, s[42:43]
.LBB242_372:                            ;   in Loop: Header=BB242_13 Depth=1
	s_or_b64 exec, exec, s[40:41]
	v_lshrrev_b16_e32 v2, 8, v2
	v_cmp_ne_u16_e64 s[0:1], 0, v2
	s_and_saveexec_b64 s[40:41], s[0:1]
	s_cbranch_execz .LBB242_378
; %bb.373:                              ;   in Loop: Header=BB242_13 Depth=1
	v_cmp_ne_u16_e64 s[0:1], s52, v2
	v_bfrev_b32_e32 v86, 1
	s_and_saveexec_b64 s[42:43], s[0:1]
	s_cbranch_execz .LBB242_377
; %bb.374:                              ;   in Loop: Header=BB242_13 Depth=1
	v_and_b32_e32 v84, 0x7f, v2
	v_cmp_ne_u32_e64 s[0:1], s53, v84
	v_mov_b32_e32 v86, 0x7c010000
	s_and_saveexec_b64 s[44:45], s[0:1]
	s_cbranch_execz .LBB242_376
; %bb.375:                              ;   in Loop: Header=BB242_13 Depth=1
	v_and_b32_e32 v85, 7, v2
	v_ffbh_u32_e32 v86, v85
	v_min_u32_e32 v89, 32, v86
	v_subrev_u32_e32 v86, 28, v89
	v_lshlrev_b64 v[86:87], v86, v[2:3]
	v_lshrrev_b32_e32 v88, 3, v84
	v_sub_u32_e32 v87, 29, v89
	v_cmp_gt_u32_e64 s[0:1], 8, v84
	v_lshlrev_b32_e32 v2, 8, v2
	v_and_b32_e32 v86, 7, v86
	v_cndmask_b32_e64 v84, v88, v87, s[0:1]
	v_lshl_add_u32 v84, v84, 10, v19
	v_and_or_b32 v2, v2, s54, v84
	v_cndmask_b32_e64 v85, v85, v86, s[0:1]
	v_lshlrev_b32_e32 v2, 16, v2
	v_lshl_or_b32 v86, v85, 23, v2
.LBB242_376:                            ;   in Loop: Header=BB242_13 Depth=1
	s_or_b64 exec, exec, s[44:45]
.LBB242_377:                            ;   in Loop: Header=BB242_13 Depth=1
	s_or_b64 exec, exec, s[42:43]
.LBB242_378:                            ;   in Loop: Header=BB242_13 Depth=1
	s_or_b64 exec, exec, s[40:41]
	global_load_ushort v84, v[8:9], off offset:3840
	v_mov_b32_e32 v87, 0
	v_mov_b32_e32 v88, 0
	s_waitcnt vmcnt(0)
	v_and_b32_e32 v2, 0xffff, v84
	v_cmp_ne_u16_sdwa s[0:1], v84, v3 src0_sel:BYTE_0 src1_sel:DWORD
	s_and_saveexec_b64 s[40:41], s[0:1]
	s_cbranch_execz .LBB242_384
; %bb.379:                              ;   in Loop: Header=BB242_13 Depth=1
	v_cmp_ne_u16_sdwa s[0:1], v2, s52 src0_sel:BYTE_0 src1_sel:DWORD
	v_mov_b32_e32 v88, 0x8000
	s_and_saveexec_b64 s[42:43], s[0:1]
	s_cbranch_execz .LBB242_383
; %bb.380:                              ;   in Loop: Header=BB242_13 Depth=1
	v_and_b32_e32 v84, 0x7f, v2
	v_cmp_ne_u32_e64 s[0:1], s53, v84
	v_mov_b32_e32 v88, 0x7c01
	s_and_saveexec_b64 s[44:45], s[0:1]
	s_cbranch_execz .LBB242_382
; %bb.381:                              ;   in Loop: Header=BB242_13 Depth=1
	v_and_b32_e32 v85, 7, v2
	v_ffbh_u32_e32 v88, v85
	v_min_u32_e32 v91, 32, v88
	v_subrev_u32_e32 v88, 28, v91
	v_lshlrev_b64 v[88:89], v88, v[2:3]
	v_lshrrev_b32_e32 v90, 3, v84
	v_sub_u32_e32 v89, 29, v91
	v_cmp_gt_u32_e64 s[0:1], 8, v84
	v_and_b32_e32 v88, 7, v88
	s_nop 0
	v_cndmask_b32_e64 v84, v90, v89, s[0:1]
	v_lshl_add_u32 v84, v84, 10, v19
	v_lshlrev_b32_e32 v89, 8, v2
	v_and_b32_e32 v84, 0xfc00, v84
	v_cndmask_b32_e64 v85, v85, v88, s[0:1]
	v_and_or_b32 v84, v89, s54, v84
	v_lshl_or_b32 v88, v85, 7, v84
.LBB242_382:                            ;   in Loop: Header=BB242_13 Depth=1
	s_or_b64 exec, exec, s[44:45]
.LBB242_383:                            ;   in Loop: Header=BB242_13 Depth=1
	s_or_b64 exec, exec, s[42:43]
.LBB242_384:                            ;   in Loop: Header=BB242_13 Depth=1
	s_or_b64 exec, exec, s[40:41]
	v_lshrrev_b16_e32 v2, 8, v2
	v_cmp_ne_u16_e64 s[0:1], 0, v2
	s_and_saveexec_b64 s[40:41], s[0:1]
	s_cbranch_execz .LBB242_390
; %bb.385:                              ;   in Loop: Header=BB242_13 Depth=1
	v_cmp_ne_u16_e64 s[0:1], s52, v2
	v_bfrev_b32_e32 v87, 1
	s_and_saveexec_b64 s[42:43], s[0:1]
	s_cbranch_execz .LBB242_389
; %bb.386:                              ;   in Loop: Header=BB242_13 Depth=1
	v_and_b32_e32 v84, 0x7f, v2
	v_cmp_ne_u32_e64 s[0:1], s53, v84
	v_mov_b32_e32 v87, 0x7c010000
	s_and_saveexec_b64 s[44:45], s[0:1]
	s_cbranch_execz .LBB242_388
; %bb.387:                              ;   in Loop: Header=BB242_13 Depth=1
	v_and_b32_e32 v85, 7, v2
	v_ffbh_u32_e32 v89, v85
	v_min_u32_e32 v89, 32, v89
	v_lshrrev_b32_e32 v87, 3, v84
	v_subrev_u32_e32 v90, 28, v89
	v_sub_u32_e32 v89, 29, v89
	v_cmp_gt_u32_e64 s[0:1], 8, v84
	v_lshlrev_b64 v[90:91], v90, v[2:3]
	v_lshlrev_b32_e32 v2, 8, v2
	v_cndmask_b32_e64 v84, v87, v89, s[0:1]
	v_lshl_add_u32 v84, v84, 10, v19
	v_and_b32_e32 v87, 7, v90
	v_and_or_b32 v2, v2, s54, v84
	v_cndmask_b32_e64 v85, v85, v87, s[0:1]
	v_lshlrev_b32_e32 v2, 16, v2
	v_lshl_or_b32 v87, v85, 23, v2
.LBB242_388:                            ;   in Loop: Header=BB242_13 Depth=1
	s_or_b64 exec, exec, s[44:45]
.LBB242_389:                            ;   in Loop: Header=BB242_13 Depth=1
	s_or_b64 exec, exec, s[42:43]
.LBB242_390:                            ;   in Loop: Header=BB242_13 Depth=1
	s_or_b64 exec, exec, s[40:41]
	global_load_ushort v8, v[8:9], off offset:3848
	v_mov_b32_e32 v84, 0
	v_mov_b32_e32 v85, 0
	s_waitcnt vmcnt(0)
	v_and_b32_e32 v2, 0xffff, v8
	v_cmp_ne_u16_sdwa s[0:1], v8, v3 src0_sel:BYTE_0 src1_sel:DWORD
	s_and_saveexec_b64 s[40:41], s[0:1]
	s_cbranch_execz .LBB242_396
; %bb.391:                              ;   in Loop: Header=BB242_13 Depth=1
	v_cmp_ne_u16_sdwa s[0:1], v2, s52 src0_sel:BYTE_0 src1_sel:DWORD
	v_mov_b32_e32 v85, 0x8000
	s_and_saveexec_b64 s[42:43], s[0:1]
	s_cbranch_execz .LBB242_395
; %bb.392:                              ;   in Loop: Header=BB242_13 Depth=1
	v_and_b32_e32 v8, 0x7f, v2
	v_cmp_ne_u32_e64 s[0:1], s53, v8
	v_mov_b32_e32 v85, 0x7c01
	s_and_saveexec_b64 s[44:45], s[0:1]
	s_cbranch_execz .LBB242_394
; %bb.393:                              ;   in Loop: Header=BB242_13 Depth=1
	v_and_b32_e32 v9, 7, v2
	v_ffbh_u32_e32 v89, v9
	v_min_u32_e32 v89, 32, v89
	v_lshrrev_b32_e32 v85, 3, v8
	v_subrev_u32_e32 v90, 28, v89
	v_sub_u32_e32 v89, 29, v89
	v_cmp_gt_u32_e64 s[0:1], 8, v8
	v_lshlrev_b64 v[90:91], v90, v[2:3]
	s_nop 0
	v_cndmask_b32_e64 v8, v85, v89, s[0:1]
	v_lshl_add_u32 v8, v8, 10, v19
	v_lshlrev_b32_e32 v85, 8, v2
	v_and_b32_e32 v89, 7, v90
	v_and_b32_e32 v8, 0xfc00, v8
	v_cndmask_b32_e64 v9, v9, v89, s[0:1]
	v_and_or_b32 v8, v85, s54, v8
	v_lshl_or_b32 v85, v9, 7, v8
.LBB242_394:                            ;   in Loop: Header=BB242_13 Depth=1
	s_or_b64 exec, exec, s[44:45]
.LBB242_395:                            ;   in Loop: Header=BB242_13 Depth=1
	s_or_b64 exec, exec, s[42:43]
.LBB242_396:                            ;   in Loop: Header=BB242_13 Depth=1
	s_or_b64 exec, exec, s[40:41]
	v_lshrrev_b16_e32 v2, 8, v2
	v_cmp_ne_u16_e64 s[0:1], 0, v2
	s_and_saveexec_b64 s[40:41], s[0:1]
	s_cbranch_execz .LBB242_402
; %bb.397:                              ;   in Loop: Header=BB242_13 Depth=1
	v_cmp_ne_u16_e64 s[0:1], s52, v2
	v_bfrev_b32_e32 v84, 1
	s_and_saveexec_b64 s[42:43], s[0:1]
	s_cbranch_execz .LBB242_401
; %bb.398:                              ;   in Loop: Header=BB242_13 Depth=1
	v_and_b32_e32 v8, 0x7f, v2
	v_cmp_ne_u32_e64 s[0:1], s53, v8
	v_mov_b32_e32 v84, 0x7c010000
	s_and_saveexec_b64 s[44:45], s[0:1]
	s_cbranch_execz .LBB242_400
; %bb.399:                              ;   in Loop: Header=BB242_13 Depth=1
	v_and_b32_e32 v9, 7, v2
	v_ffbh_u32_e32 v89, v9
	v_min_u32_e32 v89, 32, v89
	v_lshrrev_b32_e32 v84, 3, v8
	v_subrev_u32_e32 v90, 28, v89
	v_sub_u32_e32 v89, 29, v89
	v_cmp_gt_u32_e64 s[0:1], 8, v8
	v_lshlrev_b64 v[90:91], v90, v[2:3]
	v_lshlrev_b32_e32 v2, 8, v2
	v_cndmask_b32_e64 v8, v84, v89, s[0:1]
	v_lshl_add_u32 v8, v8, 10, v19
	v_and_b32_e32 v84, 7, v90
	v_and_or_b32 v2, v2, s54, v8
	v_cndmask_b32_e64 v9, v9, v84, s[0:1]
	v_lshlrev_b32_e32 v2, 16, v2
	v_lshl_or_b32 v84, v9, 23, v2
.LBB242_400:                            ;   in Loop: Header=BB242_13 Depth=1
	s_or_b64 exec, exec, s[44:45]
.LBB242_401:                            ;   in Loop: Header=BB242_13 Depth=1
	s_or_b64 exec, exec, s[42:43]
.LBB242_402:                            ;   in Loop: Header=BB242_13 Depth=1
	s_or_b64 exec, exec, s[40:41]
	v_or_b32_e32 v9, v86, v75
	v_fma_mixlo_f16 v75, v22, v9, 0 op_sel_hi:[0,1,0]
	v_fma_mixlo_f16 v9, v22, v86, 0 op_sel:[0,1,0] op_sel_hi:[0,1,0]
	ds_read_b32 v86, v12
	v_or_b32_e32 v24, v23, v24
	v_fma_mixlo_f16 v24, v22, v24, 0 op_sel_hi:[0,1,0]
	v_or_b32_e32 v2, v87, v88
	v_fma_mixlo_f16 v23, v22, v23, 0 op_sel:[0,1,0] op_sel_hi:[0,1,0]
	v_and_b32_e32 v24, 0xffff, v24
	v_fma_mixlo_f16 v8, v22, v2, 0 op_sel_hi:[0,1,0]
	v_fma_mixlo_f16 v2, v22, v87, 0 op_sel:[0,1,0] op_sel_hi:[0,1,0]
	s_waitcnt lgkmcnt(0)
	v_lshrrev_b32_e32 v87, 16, v86
	v_and_b32_e32 v86, 0xffff, v86
	;;#ASMSTART
	v_cvt_f32_f16 v98, v86;
	;;#ASMEND
	;;#ASMSTART
	v_cvt_f32_f16 v95, v87;
	;;#ASMEND
	;; [unrolled: 3-line block ×3, first 2 shown]
	v_and_b32_e32 v23, 0xffff, v23
	;;#ASMSTART
	v_cvt_f32_f16 v96, v23;
	;;#ASMEND
	ds_read_b32 v24, v12 offset:4
	v_or_b32_e32 v26, v25, v26
	v_fma_mixlo_f16 v25, v22, v25, 0 op_sel:[0,1,0] op_sel_hi:[0,1,0]
	v_or_b32_e32 v70, v69, v70
	v_fma_mixlo_f16 v23, v22, v69, 0 op_sel:[0,1,0] op_sel_hi:[0,1,0]
	v_fma_mixlo_f16 v69, v22, v26, 0 op_sel_hi:[0,1,0]
	s_waitcnt lgkmcnt(0)
	v_lshrrev_b32_e32 v26, 16, v24
	v_and_b32_e32 v24, 0xffff, v24
	v_and_b32_e32 v25, 0xffff, v25
	;;#ASMSTART
	v_cvt_f32_f16 v24, v24;
	;;#ASMEND
	;;#ASMSTART
	v_cvt_f32_f16 v26, v26;
	;;#ASMEND
	v_and_b32_e32 v69, 0xffff, v69
	;;#ASMSTART
	v_cvt_f32_f16 v102, v69;
	;;#ASMEND
	;;#ASMSTART
	v_cvt_f32_f16 v101, v25;
	;;#ASMEND
	ds_read_b32 v25, v12 offset:8
	v_or_b32_e32 v30, v27, v30
	v_fma_mixlo_f16 v30, v22, v30, 0 op_sel_hi:[0,1,0]
	v_fma_mixlo_f16 v27, v22, v27, 0 op_sel:[0,1,0] op_sel_hi:[0,1,0]
	v_or_b32_e32 v68, v67, v68
	s_waitcnt lgkmcnt(0)
	v_lshrrev_b32_e32 v69, 16, v25
	v_and_b32_e32 v25, 0xffff, v25
	;;#ASMSTART
	v_cvt_f32_f16 v97, v25;
	;;#ASMEND
	v_and_b32_e32 v25, 0xffff, v30
	;;#ASMSTART
	v_cvt_f32_f16 v93, v69;
	;;#ASMEND
	;;#ASMSTART
	v_cvt_f32_f16 v100, v25;
	;;#ASMEND
	v_and_b32_e32 v25, 0xffff, v27
	;;#ASMSTART
	v_cvt_f32_f16 v94, v25;
	;;#ASMEND
	ds_read_b32 v27, v12 offset:12
	v_or_b32_e32 v30, v31, v32
	v_fma_mixlo_f16 v30, v22, v30, 0 op_sel_hi:[0,1,0]
	v_fma_mixlo_f16 v31, v22, v31, 0 op_sel:[0,1,0] op_sel_hi:[0,1,0]
	v_fma_mixlo_f16 v25, v22, v68, 0 op_sel_hi:[0,1,0]
	s_waitcnt lgkmcnt(0)
	v_lshrrev_b32_e32 v32, 16, v27
	v_and_b32_e32 v27, 0xffff, v27
	;;#ASMSTART
	v_cvt_f32_f16 v91, v27;
	;;#ASMEND
	v_and_b32_e32 v27, 0xffff, v30
	;;#ASMSTART
	v_cvt_f32_f16 v88, v32;
	;;#ASMEND
	;;#ASMSTART
	v_cvt_f32_f16 v92, v27;
	;;#ASMEND
	v_and_b32_e32 v27, 0xffff, v31
	;;#ASMSTART
	v_cvt_f32_f16 v89, v27;
	;;#ASMEND
	ds_read_b32 v30, v12 offset:16
	v_or_b32_e32 v31, v33, v34
	v_fma_mixlo_f16 v31, v22, v31, 0 op_sel_hi:[0,1,0]
	v_fma_mixlo_f16 v32, v22, v33, 0 op_sel:[0,1,0] op_sel_hi:[0,1,0]
	v_fma_mixlo_f16 v27, v22, v67, 0 op_sel:[0,1,0] op_sel_hi:[0,1,0]
	s_waitcnt lgkmcnt(0)
	v_lshrrev_b32_e32 v33, 16, v30
	v_and_b32_e32 v30, 0xffff, v30
	;;#ASMSTART
	v_cvt_f32_f16 v69, v30;
	;;#ASMEND
	v_and_b32_e32 v30, 0xffff, v31
	;;#ASMSTART
	v_cvt_f32_f16 v67, v33;
	;;#ASMEND
	;;#ASMSTART
	v_cvt_f32_f16 v87, v30;
	;;#ASMEND
	v_and_b32_e32 v30, 0xffff, v32
	;;#ASMSTART
	v_cvt_f32_f16 v68, v30;
	;;#ASMEND
	ds_read_b32 v30, v12 offset:20
	v_or_b32_e32 v31, v35, v36
	v_fma_mixlo_f16 v34, v22, v31, 0 op_sel_hi:[0,1,0]
	v_fma_mixlo_f16 v35, v22, v35, 0 op_sel:[0,1,0] op_sel_hi:[0,1,0]
	v_or_b32_e32 v33, v65, v66
	s_waitcnt lgkmcnt(0)
	v_lshrrev_b32_e32 v32, 16, v30
	v_and_b32_e32 v30, 0xffff, v30
	;;#ASMSTART
	v_cvt_f32_f16 v31, v30;
	;;#ASMEND
	v_and_b32_e32 v30, 0xffff, v34
	;;#ASMSTART
	v_cvt_f32_f16 v32, v32;
	;;#ASMEND
	;;#ASMSTART
	v_cvt_f32_f16 v34, v30;
	;;#ASMEND
	v_and_b32_e32 v30, 0xffff, v35
	;;#ASMSTART
	v_cvt_f32_f16 v35, v30;
	;;#ASMEND
	ds_read_b32 v36, v12 offset:24
	v_fma_mixlo_f16 v30, v22, v33, 0 op_sel_hi:[0,1,0]
	v_or_b32_e32 v33, v37, v38
	v_fma_mixlo_f16 v33, v22, v33, 0 op_sel_hi:[0,1,0]
	v_fma_mixlo_f16 v38, v22, v37, 0 op_sel:[0,1,0] op_sel_hi:[0,1,0]
	s_waitcnt lgkmcnt(0)
	v_lshrrev_b32_e32 v37, 16, v36
	v_and_b32_e32 v36, 0xffff, v36
	v_and_b32_e32 v33, 0xffff, v33
	;;#ASMSTART
	v_cvt_f32_f16 v36, v36;
	;;#ASMEND
	;;#ASMSTART
	v_cvt_f32_f16 v37, v37;
	;;#ASMEND
	;;#ASMSTART
	v_cvt_f32_f16 v66, v33;
	;;#ASMEND
	v_and_b32_e32 v33, 0xffff, v38
	;;#ASMSTART
	v_cvt_f32_f16 v86, v33;
	;;#ASMEND
	ds_read_b32 v38, v12 offset:28
	v_or_b32_e32 v40, v39, v40
	v_fma_mixlo_f16 v33, v22, v65, 0 op_sel:[0,1,0] op_sel_hi:[0,1,0]
	v_fma_mixlo_f16 v40, v22, v40, 0 op_sel_hi:[0,1,0]
	v_fma_mixlo_f16 v65, v22, v39, 0 op_sel:[0,1,0] op_sel_hi:[0,1,0]
	s_waitcnt lgkmcnt(0)
	v_lshrrev_b32_e32 v39, 16, v38
	v_and_b32_e32 v38, 0xffff, v38
	v_and_b32_e32 v40, 0xffff, v40
	;; [unrolled: 1-line block ×3, first 2 shown]
	;;#ASMSTART
	v_cvt_f32_f16 v38, v38;
	;;#ASMEND
	;;#ASMSTART
	v_cvt_f32_f16 v39, v39;
	;;#ASMEND
	;; [unrolled: 3-line block ×4, first 2 shown]
	ds_read_b32 v90, v12 offset:32
	v_or_b32_e32 v42, v41, v42
	v_or_b32_e32 v104, v63, v64
	v_fma_mixlo_f16 v64, v22, v42, 0 op_sel_hi:[0,1,0]
	v_fma_mixlo_f16 v103, v22, v41, 0 op_sel:[0,1,0] op_sel_hi:[0,1,0]
	s_waitcnt lgkmcnt(0)
	v_lshrrev_b32_e32 v42, 16, v90
	v_and_b32_e32 v41, 0xffff, v90
	v_and_b32_e32 v64, 0xffff, v64
	;; [unrolled: 1-line block ×3, first 2 shown]
	;;#ASMSTART
	v_cvt_f32_f16 v41, v41;
	;;#ASMEND
	;;#ASMSTART
	v_cvt_f32_f16 v42, v42;
	;;#ASMEND
	;; [unrolled: 3-line block ×4, first 2 shown]
	v_mul_f32_e32 v24, v24, v102
	ds_read_b32 v102, v12 offset:36
	v_or_b32_e32 v44, v43, v44
	v_fma_mixlo_f16 v103, v22, v44, 0 op_sel_hi:[0,1,0]
	v_fma_mixlo_f16 v105, v22, v43, 0 op_sel:[0,1,0] op_sel_hi:[0,1,0]
	v_fmac_f32_e32 v24, v98, v99
	s_waitcnt lgkmcnt(0)
	v_lshrrev_b32_e32 v44, 16, v102
	v_and_b32_e32 v43, 0xffff, v102
	v_and_b32_e32 v98, 0xffff, v103
	;; [unrolled: 1-line block ×3, first 2 shown]
	;;#ASMSTART
	v_cvt_f32_f16 v43, v43;
	;;#ASMEND
	;;#ASMSTART
	v_cvt_f32_f16 v44, v44;
	;;#ASMEND
	;; [unrolled: 3-line block ×4, first 2 shown]
	ds_read_b32 v102, v12 offset:40
	v_or_b32_e32 v46, v45, v46
	v_fma_mixlo_f16 v103, v22, v46, 0 op_sel_hi:[0,1,0]
	v_fma_mixlo_f16 v45, v22, v45, 0 op_sel:[0,1,0] op_sel_hi:[0,1,0]
	v_mul_f32_e32 v26, v26, v101
	s_waitcnt lgkmcnt(0)
	v_lshrrev_b32_e32 v101, 16, v102
	v_and_b32_e32 v46, 0xffff, v102
	v_and_b32_e32 v102, 0xffff, v103
	;; [unrolled: 1-line block ×3, first 2 shown]
	;;#ASMSTART
	v_cvt_f32_f16 v46, v46;
	;;#ASMEND
	;;#ASMSTART
	v_cvt_f32_f16 v101, v101;
	;;#ASMEND
	;; [unrolled: 3-line block ×4, first 2 shown]
	ds_read_b32 v45, v12 offset:44
	v_or_b32_e32 v48, v47, v48
	v_fmac_f32_e32 v26, v95, v96
	v_fma_mixlo_f16 v95, v22, v48, 0 op_sel_hi:[0,1,0]
	v_fma_mixlo_f16 v96, v22, v47, 0 op_sel:[0,1,0] op_sel_hi:[0,1,0]
	s_waitcnt lgkmcnt(0)
	v_lshrrev_b32_e32 v48, 16, v45
	v_and_b32_e32 v45, 0xffff, v45
	;;#ASMSTART
	v_cvt_f32_f16 v47, v45;
	;;#ASMEND
	v_and_b32_e32 v45, 0xffff, v95
	;;#ASMSTART
	v_cvt_f32_f16 v48, v48;
	;;#ASMEND
	;;#ASMSTART
	v_cvt_f32_f16 v95, v45;
	;;#ASMEND
	v_and_b32_e32 v45, 0xffff, v96
	;;#ASMSTART
	v_cvt_f32_f16 v96, v45;
	;;#ASMEND
	ds_read_b32 v45, v12 offset:48
	v_or_b32_e32 v50, v49, v50
	v_fmac_f32_e32 v24, v97, v100
	v_fma_mixlo_f16 v50, v22, v50, 0 op_sel_hi:[0,1,0]
	v_fma_mixlo_f16 v49, v22, v49, 0 op_sel:[0,1,0] op_sel_hi:[0,1,0]
	s_waitcnt lgkmcnt(0)
	v_lshrrev_b32_e32 v100, 16, v45
	v_and_b32_e32 v45, 0xffff, v45
	;;#ASMSTART
	v_cvt_f32_f16 v97, v45;
	;;#ASMEND
	v_and_b32_e32 v45, 0xffff, v50
	;;#ASMSTART
	v_cvt_f32_f16 v100, v100;
	;;#ASMEND
	;;#ASMSTART
	v_cvt_f32_f16 v50, v45;
	;;#ASMEND
	v_and_b32_e32 v45, 0xffff, v49
	;;#ASMSTART
	v_cvt_f32_f16 v49, v45;
	;;#ASMEND
	;; [unrolled: 22-line block ×5, first 2 shown]
	ds_read_b32 v45, v12 offset:64
	v_or_b32_e32 v58, v57, v58
	v_fma_mixlo_f16 v58, v22, v58, 0 op_sel_hi:[0,1,0]
	v_fma_mixlo_f16 v57, v22, v57, 0 op_sel:[0,1,0] op_sel_hi:[0,1,0]
	v_or_b32_e32 v60, v59, v60
	s_waitcnt lgkmcnt(0)
	v_lshrrev_b32_e32 v106, 16, v45
	v_and_b32_e32 v45, 0xffff, v45
	;;#ASMSTART
	v_cvt_f32_f16 v105, v45;
	;;#ASMEND
	v_and_b32_e32 v45, 0xffff, v58
	;;#ASMSTART
	v_cvt_f32_f16 v106, v106;
	;;#ASMEND
	;;#ASMSTART
	v_cvt_f32_f16 v58, v45;
	;;#ASMEND
	v_and_b32_e32 v45, 0xffff, v57
	;;#ASMSTART
	v_cvt_f32_f16 v57, v45;
	;;#ASMEND
	ds_read_b32 v45, v12 offset:68
	v_fmac_f32_e32 v24, v69, v87
	v_fma_mixlo_f16 v60, v22, v60, 0 op_sel_hi:[0,1,0]
	v_fma_mixlo_f16 v59, v22, v59, 0 op_sel:[0,1,0] op_sel_hi:[0,1,0]
	v_or_b32_e32 v62, v61, v62
	s_waitcnt lgkmcnt(0)
	v_lshrrev_b32_e32 v87, 16, v45
	v_and_b32_e32 v45, 0xffff, v45
	;;#ASMSTART
	v_cvt_f32_f16 v69, v45;
	;;#ASMEND
	v_and_b32_e32 v45, 0xffff, v60
	;;#ASMSTART
	v_cvt_f32_f16 v87, v87;
	;;#ASMEND
	;;#ASMSTART
	v_cvt_f32_f16 v60, v45;
	;;#ASMEND
	v_and_b32_e32 v45, 0xffff, v59
	;;#ASMSTART
	v_cvt_f32_f16 v59, v45;
	;;#ASMEND
	ds_read_b32 v107, v12 offset:72
	v_fma_mixlo_f16 v62, v22, v62, 0 op_sel_hi:[0,1,0]
	v_fma_mixlo_f16 v61, v22, v61, 0 op_sel:[0,1,0] op_sel_hi:[0,1,0]
	v_or_b32_e32 v79, v78, v79
	v_or_b32_e32 v81, v80, v81
	;; [unrolled: 1-line block ×6, first 2 shown]
	v_fmac_f32_e32 v26, v67, v68
	v_or_b32_e32 v45, v84, v85
	s_waitcnt lgkmcnt(0)
	v_lshrrev_b32_e32 v68, 16, v107
	v_and_b32_e32 v67, 0xffff, v107
	v_and_b32_e32 v62, 0xffff, v62
	;; [unrolled: 1-line block ×3, first 2 shown]
	v_fma_mixlo_f16 v79, v22, v79, 0 op_sel_hi:[0,1,0]
	v_fma_mixlo_f16 v78, v22, v78, 0 op_sel:[0,1,0] op_sel_hi:[0,1,0]
	v_fma_mixlo_f16 v81, v22, v81, 0 op_sel_hi:[0,1,0]
	v_fma_mixlo_f16 v80, v22, v80, 0 op_sel:[0,1,0] op_sel_hi:[0,1,0]
	;; [unrolled: 2-line block ×6, first 2 shown]
	v_fma_mixlo_f16 v70, v22, v70, 0 op_sel_hi:[0,1,0]
	v_fma_mixlo_f16 v104, v22, v104, 0 op_sel_hi:[0,1,0]
	v_fma_mixlo_f16 v63, v22, v63, 0 op_sel:[0,1,0] op_sel_hi:[0,1,0]
	v_fma_mixlo_f16 v45, v22, v45, 0 op_sel_hi:[0,1,0]
	v_fma_mixlo_f16 v22, v22, v84, 0 op_sel:[0,1,0] op_sel_hi:[0,1,0]
	;;#ASMSTART
	v_cvt_f32_f16 v67, v67;
	;;#ASMEND
	;;#ASMSTART
	v_cvt_f32_f16 v68, v68;
	;;#ASMEND
	;; [unrolled: 3-line block ×4, first 2 shown]
	ds_read_b32 v84, v12 offset:76
	v_fmac_f32_e32 v24, v31, v34
	v_fmac_f32_e32 v26, v32, v35
	v_and_b32_e32 v34, 0xffff, v104
	v_and_b32_e32 v35, 0xffff, v63
	s_waitcnt lgkmcnt(0)
	v_lshrrev_b32_e32 v32, 16, v84
	v_and_b32_e32 v31, 0xffff, v84
	v_fmac_f32_e32 v24, v36, v66
	;;#ASMSTART
	v_cvt_f32_f16 v31, v31;
	;;#ASMEND
	;;#ASMSTART
	v_cvt_f32_f16 v32, v32;
	;;#ASMEND
	;;#ASMSTART
	v_cvt_f32_f16 v34, v34;
	;;#ASMEND
	;;#ASMSTART
	v_cvt_f32_f16 v35, v35;
	;;#ASMEND
	ds_read_b32 v36, v12 offset:80
	v_fmac_f32_e32 v26, v37, v86
	v_and_b32_e32 v30, 0xffff, v30
	v_and_b32_e32 v33, 0xffff, v33
	v_fmac_f32_e32 v24, v38, v40
	s_waitcnt lgkmcnt(0)
	v_lshrrev_b32_e32 v37, 16, v36
	v_and_b32_e32 v36, 0xffff, v36
	;;#ASMSTART
	v_cvt_f32_f16 v36, v36;
	;;#ASMEND
	;;#ASMSTART
	v_cvt_f32_f16 v37, v37;
	;;#ASMEND
	;;#ASMSTART
	v_cvt_f32_f16 v30, v30;
	;;#ASMEND
	;;#ASMSTART
	v_cvt_f32_f16 v33, v33;
	;;#ASMEND
	ds_read_b32 v38, v12 offset:84
	v_fmac_f32_e32 v26, v39, v65
	v_and_b32_e32 v25, 0xffff, v25
	v_and_b32_e32 v27, 0xffff, v27
	v_fmac_f32_e32 v24, v41, v64
	s_waitcnt lgkmcnt(0)
	v_lshrrev_b32_e32 v39, 16, v38
	v_and_b32_e32 v38, 0xffff, v38
	;;#ASMSTART
	v_cvt_f32_f16 v38, v38;
	;;#ASMEND
	;;#ASMSTART
	v_cvt_f32_f16 v39, v39;
	;;#ASMEND
	;;#ASMSTART
	v_cvt_f32_f16 v25, v25;
	;;#ASMEND
	;;#ASMSTART
	v_cvt_f32_f16 v27, v27;
	;;#ASMEND
	ds_read_b32 v40, v12 offset:88
	v_fmac_f32_e32 v26, v42, v90
	v_and_b32_e32 v42, 0xffff, v70
	v_and_b32_e32 v23, 0xffff, v23
	v_fmac_f32_e32 v24, v43, v98
	s_waitcnt lgkmcnt(0)
	v_lshrrev_b32_e32 v41, 16, v40
	v_and_b32_e32 v40, 0xffff, v40
	;;#ASMSTART
	v_cvt_f32_f16 v40, v40;
	;;#ASMEND
	;;#ASMSTART
	v_cvt_f32_f16 v41, v41;
	;;#ASMEND
	;; [unrolled: 3-line block ×4, first 2 shown]
	ds_read_b32 v43, v12 offset:92
	v_fmac_f32_e32 v26, v44, v99
	v_fmac_f32_e32 v24, v46, v102
	;; [unrolled: 1-line block ×4, first 2 shown]
	s_waitcnt lgkmcnt(0)
	v_lshrrev_b32_e32 v44, 16, v43
	v_and_b32_e32 v43, 0xffff, v43
	v_and_b32_e32 v46, 0xffff, v72
	;; [unrolled: 1-line block ×3, first 2 shown]
	v_fmac_f32_e32 v26, v48, v96
	;;#ASMSTART
	v_cvt_f32_f16 v43, v43;
	;;#ASMEND
	;;#ASMSTART
	v_cvt_f32_f16 v44, v44;
	;;#ASMEND
	;; [unrolled: 3-line block ×4, first 2 shown]
	ds_read_b32 v48, v12 offset:96
	v_fmac_f32_e32 v26, v100, v49
	v_fmac_f32_e32 v24, v97, v50
	;; [unrolled: 1-line block ×3, first 2 shown]
	v_and_b32_e32 v50, 0xffff, v74
	s_waitcnt lgkmcnt(0)
	v_lshrrev_b32_e32 v49, 16, v48
	v_and_b32_e32 v48, 0xffff, v48
	v_and_b32_e32 v51, 0xffff, v73
	v_fmac_f32_e32 v24, v93, v52
	;;#ASMSTART
	v_cvt_f32_f16 v48, v48;
	;;#ASMEND
	;;#ASMSTART
	v_cvt_f32_f16 v49, v49;
	;;#ASMEND
	;; [unrolled: 3-line block ×4, first 2 shown]
	ds_read_b32 v52, v12 offset:100
	v_fmac_f32_e32 v26, v92, v53
	v_fmac_f32_e32 v24, v91, v54
	v_fmac_f32_e32 v26, v89, v55
	v_and_b32_e32 v54, 0xffff, v77
	s_waitcnt lgkmcnt(0)
	v_lshrrev_b32_e32 v53, 16, v52
	v_and_b32_e32 v52, 0xffff, v52
	v_and_b32_e32 v55, 0xffff, v76
	v_fmac_f32_e32 v24, v88, v56
	;;#ASMSTART
	v_cvt_f32_f16 v52, v52;
	;;#ASMEND
	;;#ASMSTART
	v_cvt_f32_f16 v53, v53;
	;;#ASMEND
	;; [unrolled: 3-line block ×4, first 2 shown]
	ds_read_b32 v56, v12 offset:104
	v_fmac_f32_e32 v24, v105, v58
	v_fmac_f32_e32 v26, v106, v57
	;; [unrolled: 1-line block ×10, first 2 shown]
	s_waitcnt lgkmcnt(0)
	v_lshrrev_b32_e32 v31, 16, v56
	v_and_b32_e32 v30, 0xffff, v56
	v_and_b32_e32 v32, 0xffff, v83
	;; [unrolled: 1-line block ×3, first 2 shown]
	;;#ASMSTART
	v_cvt_f32_f16 v30, v30;
	;;#ASMEND
	;;#ASMSTART
	v_cvt_f32_f16 v31, v31;
	;;#ASMEND
	;; [unrolled: 3-line block ×4, first 2 shown]
	ds_read_b32 v34, v12 offset:108
	v_fmac_f32_e32 v26, v39, v27
	v_fmac_f32_e32 v24, v38, v25
	;; [unrolled: 1-line block ×3, first 2 shown]
	v_and_b32_e32 v27, 0xffff, v81
	s_waitcnt lgkmcnt(0)
	v_lshrrev_b32_e32 v25, 16, v34
	v_and_b32_e32 v23, 0xffff, v34
	v_and_b32_e32 v34, 0xffff, v80
	;;#ASMSTART
	v_cvt_f32_f16 v23, v23;
	;;#ASMEND
	;;#ASMSTART
	v_cvt_f32_f16 v25, v25;
	;;#ASMEND
	;; [unrolled: 3-line block ×4, first 2 shown]
	ds_read_b32 v35, v12 offset:112
	v_and_b32_e32 v37, 0xffff, v79
	v_and_b32_e32 v38, 0xffff, v78
	v_fmac_f32_e32 v24, v40, v42
	v_fmac_f32_e32 v24, v43, v46
	s_waitcnt lgkmcnt(0)
	v_lshrrev_b32_e32 v36, 16, v35
	v_and_b32_e32 v35, 0xffff, v35
	;;#ASMSTART
	v_cvt_f32_f16 v35, v35;
	;;#ASMEND
	;;#ASMSTART
	v_cvt_f32_f16 v36, v36;
	;;#ASMEND
	;; [unrolled: 3-line block ×4, first 2 shown]
	ds_read_b32 v39, v12 offset:116
	v_fmac_f32_e32 v26, v44, v47
	v_fmac_f32_e32 v24, v48, v50
	v_fmac_f32_e32 v26, v49, v51
	v_fmac_f32_e32 v24, v52, v54
	v_fmac_f32_e32 v26, v53, v55
	v_fmac_f32_e32 v24, v30, v32
	v_fmac_f32_e32 v26, v31, v33
	s_waitcnt lgkmcnt(0)
	v_lshrrev_b32_e32 v31, 16, v39
	v_and_b32_e32 v30, 0xffff, v39
	v_and_b32_e32 v32, 0xffff, v75
	;; [unrolled: 1-line block ×3, first 2 shown]
	;;#ASMSTART
	v_cvt_f32_f16 v30, v30;
	;;#ASMEND
	;;#ASMSTART
	v_cvt_f32_f16 v31, v31;
	;;#ASMEND
	;; [unrolled: 3-line block ×4, first 2 shown]
	ds_read_b32 v33, v12 offset:120
	v_fmac_f32_e32 v24, v23, v27
	v_fmac_f32_e32 v26, v25, v34
	v_and_b32_e32 v8, 0xffff, v8
	v_and_b32_e32 v2, 0xffff, v2
	s_waitcnt lgkmcnt(0)
	v_lshrrev_b32_e32 v25, 16, v33
	v_and_b32_e32 v23, 0xffff, v33
	;;#ASMSTART
	v_cvt_f32_f16 v23, v23;
	;;#ASMEND
	;;#ASMSTART
	v_cvt_f32_f16 v25, v25;
	;;#ASMEND
	;;#ASMSTART
	v_cvt_f32_f16 v8, v8;
	;;#ASMEND
	;;#ASMSTART
	v_cvt_f32_f16 v2, v2;
	;;#ASMEND
	ds_read_b32 v27, v12 offset:124
	v_fmac_f32_e32 v24, v35, v37
	v_fmac_f32_e32 v26, v36, v38
	;; [unrolled: 1-line block ×6, first 2 shown]
	s_waitcnt lgkmcnt(0)
	v_lshrrev_b32_e32 v8, 16, v27
	v_and_b32_e32 v2, 0xffff, v27
	;;#ASMSTART
	v_cvt_f32_f16 v2, v2;
	;;#ASMEND
	;;#ASMSTART
	v_cvt_f32_f16 v8, v8;
	;;#ASMEND
	v_and_b32_e32 v9, 0xffff, v45
	v_and_b32_e32 v22, 0xffff, v22
	;;#ASMSTART
	v_cvt_f32_f16 v9, v9;
	;;#ASMEND
	;;#ASMSTART
	v_cvt_f32_f16 v22, v22;
	;;#ASMEND
	s_nop 0
	v_fmac_f32_e32 v26, v8, v22
	v_and_b32_e32 v8, 64, v20
	v_fmac_f32_e32 v24, v2, v9
	v_add_u32_e32 v8, 64, v8
	v_xor_b32_e32 v9, 2, v20
	v_cmp_lt_i32_e64 s[0:1], v9, v8
	v_add_f32_e32 v2, v24, v26
	s_nop 0
	v_cndmask_b32_e64 v9, v20, v9, s[0:1]
	v_lshlrev_b32_e32 v9, 2, v9
	ds_bpermute_b32 v9, v9, v2
	s_waitcnt lgkmcnt(0)
	v_add_f32_e32 v2, v2, v9
	v_xor_b32_e32 v9, 1, v20
	v_cmp_lt_i32_e64 s[0:1], v9, v8
	s_nop 1
	v_cndmask_b32_e64 v8, v20, v9, s[0:1]
	v_lshlrev_b32_e32 v8, 2, v8
	ds_bpermute_b32 v8, v8, v2
	s_and_saveexec_b64 s[40:41], vcc
	s_cbranch_execz .LBB242_11
; %bb.403:                              ;   in Loop: Header=BB242_13 Depth=1
	v_add_u32_e32 v9, v16, v15
	v_cvt_f32_i32_e32 v9, v9
	s_waitcnt lgkmcnt(0)
	v_add_f32_e32 v2, v2, v8
	v_add_u32_e32 v22, v11, v15
	v_cmp_gt_i32_e64 s[0:1], s33, v22
	v_mul_f32_e32 v8, s48, v9
	v_cndmask_b32_e64 v8, 0, v8, s[2:3]
	v_fmac_f32_e32 v8, s37, v2
	v_cndmask_b32_e64 v2, 0, v8, s[0:1]
	ds_write_b32 v17, v2
	v_max_f32_e32 v2, v13, v13
	v_max_f32_e32 v2, v2, v8
	v_cndmask_b32_e64 v13, v13, v2, s[0:1]
	s_branch .LBB242_11
.LBB242_404:
	s_or_b64 exec, exec, s[38:39]
.LBB242_405:
	s_or_b64 exec, exec, s[18:19]
	v_mbcnt_hi_u32_b32 v2, -1, v10
	v_and_b32_e32 v10, 64, v2
	v_add_u32_e32 v3, 64, v10
	v_xor_b32_e32 v4, 32, v2
	v_cmp_lt_i32_e32 vcc, v4, v3
	v_xor_b32_e32 v7, 16, v2
	v_max_f32_e32 v6, v13, v13
	v_cndmask_b32_e32 v4, v2, v4, vcc
	v_lshlrev_b32_e32 v4, 2, v4
	ds_bpermute_b32 v5, v4, v13
	v_cmp_lt_i32_e32 vcc, v7, v3
	s_waitcnt lgkmcnt(1)
	v_xor_b32_e32 v8, 8, v2
	v_xor_b32_e32 v9, 4, v2
	v_and_b32_e32 v30, 63, v0
	s_waitcnt lgkmcnt(0)
	v_max_f32_e32 v5, v5, v5
	v_max_f32_e32 v6, v6, v5
	v_cndmask_b32_e32 v5, v2, v7, vcc
	v_lshlrev_b32_e32 v5, 2, v5
	ds_bpermute_b32 v7, v5, v6
	v_cmp_lt_i32_e32 vcc, v8, v3
	s_waitcnt lgkmcnt(0)
	v_max_f32_e32 v7, v7, v7
	v_max_f32_e32 v6, v6, v7
	v_cndmask_b32_e32 v7, v2, v8, vcc
	v_lshlrev_b32_e32 v8, 2, v7
	ds_bpermute_b32 v7, v8, v6
	v_cmp_lt_i32_e32 vcc, v9, v3
	s_waitcnt lgkmcnt(0)
	v_max_f32_e32 v7, v7, v7
	v_max_f32_e32 v7, v6, v7
	v_cndmask_b32_e32 v6, v2, v9, vcc
	v_lshlrev_b32_e32 v9, 2, v6
	ds_bpermute_b32 v11, v9, v7
	v_cmp_eq_u32_e32 vcc, 0, v30
	v_lshlrev_b32_e32 v6, 2, v28
	s_and_saveexec_b64 s[0:1], vcc
	s_cbranch_execz .LBB242_407
; %bb.406:
	s_waitcnt lgkmcnt(0)
	v_max_f32_e32 v11, v11, v11
	v_max_f32_e32 v7, v7, v7
	;; [unrolled: 1-line block ×3, first 2 shown]
	ds_write_b32 v6, v7 offset:512
.LBB242_407:
	s_or_b64 exec, exec, s[0:1]
	v_cmp_gt_u32_e64 s[0:1], 2, v30
	s_waitcnt lgkmcnt(0)
	v_mov_b32_e32 v11, 0xff7fffff
	v_lshlrev_b32_e32 v7, 2, v30
	s_barrier
	s_and_saveexec_b64 s[2:3], s[0:1]
; %bb.408:
	ds_read_b32 v11, v7 offset:512
; %bb.409:
	s_or_b64 exec, exec, s[2:3]
	v_xor_b32_e32 v12, 1, v2
	v_cmp_lt_i32_e64 s[2:3], v12, v3
	v_lshlrev_b32_e32 v10, 2, v10
	s_nop 0
	v_cndmask_b32_e64 v12, v2, v12, s[2:3]
	v_lshlrev_b32_e32 v31, 2, v12
	s_waitcnt lgkmcnt(0)
	ds_bpermute_b32 v12, v31, v11
	v_max_f32_e32 v11, v11, v11
	s_lshl_b32 s2, s47, 4
	s_min_i32 s37, s2, s33
	v_cmp_gt_i32_e64 s[2:3], s37, v0
	s_waitcnt lgkmcnt(0)
	v_max_f32_e32 v12, v12, v12
	v_max_f32_e32 v11, v11, v12
	ds_bpermute_b32 v11, v10, v11
	v_mov_b32_e32 v10, 0
	s_and_saveexec_b64 s[12:13], s[2:3]
	s_cbranch_execz .LBB242_413
; %bb.410:
	v_mov_b32_e32 v10, 0x210
	v_lshl_add_u32 v12, v0, 2, v10
	v_mov_b32_e32 v10, 0
	s_mov_b64 s[18:19], 0
	v_mov_b32_e32 v13, v0
.LBB242_411:                            ; =>This Inner Loop Header: Depth=1
	ds_read_b32 v14, v12
	v_add_u32_e32 v13, 0x80, v13
	v_cmp_le_i32_e64 s[8:9], s37, v13
	s_or_b64 s[18:19], s[8:9], s[18:19]
	s_waitcnt lgkmcnt(0)
	v_sub_f32_e32 v14, v14, v11
	v_mul_f32_e32 v14, 0x3fb8aa3b, v14
	v_exp_f32_e32 v14, v14
	ds_write_b32 v12, v14
	v_add_f32_e32 v10, v10, v14
	v_add_u32_e32 v12, 0x200, v12
	s_andn2_b64 exec, exec, s[18:19]
	s_cbranch_execnz .LBB242_411
; %bb.412:
	s_or_b64 exec, exec, s[18:19]
.LBB242_413:
	s_or_b64 exec, exec, s[12:13]
	ds_bpermute_b32 v4, v4, v10
	s_waitcnt lgkmcnt(0)
	v_add_f32_e32 v4, v10, v4
	ds_bpermute_b32 v5, v5, v4
	s_waitcnt lgkmcnt(0)
	v_add_f32_e32 v4, v4, v5
	ds_bpermute_b32 v5, v8, v4
	v_xor_b32_e32 v8, 2, v2
	v_cmp_lt_i32_e64 s[8:9], v8, v3
	s_waitcnt lgkmcnt(0)
	v_add_f32_e32 v4, v4, v5
	ds_bpermute_b32 v5, v9, v4
	v_cndmask_b32_e64 v3, v2, v8, s[8:9]
	v_lshlrev_b32_e32 v3, 2, v3
	s_waitcnt lgkmcnt(0)
	v_add_f32_e32 v4, v4, v5
	ds_bpermute_b32 v3, v3, v4
	s_waitcnt lgkmcnt(0)
	v_add_f32_e32 v3, v4, v3
	ds_bpermute_b32 v4, v31, v3
	s_waitcnt lgkmcnt(0)
	v_add_f32_e32 v3, v3, v4
	s_and_saveexec_b64 s[8:9], vcc
; %bb.414:
	ds_write_b32 v6, v3 offset:520
; %bb.415:
	s_or_b64 exec, exec, s[8:9]
	s_waitcnt lgkmcnt(0)
	s_barrier
	s_and_saveexec_b64 s[8:9], s[0:1]
; %bb.416:
	ds_read_b32 v3, v7 offset:520
; %bb.417:
	s_or_b64 exec, exec, s[8:9]
	s_waitcnt lgkmcnt(0)
	ds_bpermute_b32 v4, v31, v3
	v_lshlrev_b32_e32 v2, 2, v2
	v_and_b32_e32 v2, 0x100, v2
	s_waitcnt lgkmcnt(0)
	v_add_f32_e32 v3, v3, v4
	ds_bpermute_b32 v2, v2, v3
	s_and_saveexec_b64 s[0:1], s[2:3]
	s_cbranch_execz .LBB242_430
; %bb.418:
	s_waitcnt lgkmcnt(0)
	v_add_f32_e32 v2, 0x358637bd, v2
	v_div_scale_f32 v3, s[2:3], v2, v2, 1.0
	v_rcp_f32_e32 v4, v3
	v_div_scale_f32 v5, vcc, 1.0, v2, 1.0
	s_movk_i32 s2, 0x7f
	v_fma_f32 v6, -v3, v4, 1.0
	v_fmac_f32_e32 v4, v6, v4
	v_mul_f32_e32 v6, v5, v4
	v_fma_f32 v7, -v3, v6, v5
	v_fmac_f32_e32 v6, v7, v4
	v_fma_f32 v3, -v3, v6, v5
	v_div_fmas_f32 v3, v3, v4, v6
	v_xad_u32 v4, v0, -1, s37
	v_div_fixup_f32 v2, v3, v2, 1.0
	v_cmp_lt_u32_e32 vcc, s2, v4
	s_mov_b64 s[8:9], -1
	v_mov_b32_e32 v3, v0
	s_and_saveexec_b64 s[2:3], vcc
	s_cbranch_execz .LBB242_427
; %bb.419:
	v_lshrrev_b32_e32 v4, 7, v4
	v_add_u32_e32 v6, -1, v4
	v_lshrrev_b32_e32 v5, 1, v6
	v_mov_b32_e32 v3, v2
	v_add_u32_e32 v5, 1, v5
	v_cmp_lt_u32_e32 vcc, 13, v6
	v_mov_b32_e32 v8, 0
	s_and_saveexec_b64 s[8:9], vcc
	s_cbranch_execz .LBB242_423
; %bb.420:
	v_mov_b32_e32 v7, 0x210
	v_and_b32_e32 v6, -8, v5
	v_lshl_add_u32 v7, v0, 2, v7
	s_mov_b32 s18, 0
	s_mov_b64 s[12:13], 0
.LBB242_421:                            ; =>This Inner Loop Header: Depth=1
	ds_read2st64_b32 v[8:9], v7 offset1:2
	ds_read2st64_b32 v[10:11], v7 offset0:4 offset1:6
	ds_read2st64_b32 v[12:13], v7 offset0:8 offset1:10
	ds_read2st64_b32 v[14:15], v7 offset0:12 offset1:14
	v_add_u32_e32 v6, -8, v6
	s_waitcnt lgkmcnt(3)
	v_pk_mul_f32 v[8:9], v[2:3], v[8:9]
	s_waitcnt lgkmcnt(2)
	v_pk_mul_f32 v[10:11], v[2:3], v[10:11]
	ds_write2st64_b32 v7, v8, v9 offset1:2
	ds_write2st64_b32 v7, v10, v11 offset0:4 offset1:6
	ds_read2st64_b32 v[10:11], v7 offset0:16 offset1:18
	s_waitcnt lgkmcnt(4)
	v_pk_mul_f32 v[8:9], v[2:3], v[12:13]
	ds_write2st64_b32 v7, v8, v9 offset0:8 offset1:10
	s_waitcnt lgkmcnt(4)
	v_pk_mul_f32 v[8:9], v[2:3], v[14:15]
	ds_write2st64_b32 v7, v8, v9 offset0:12 offset1:14
	ds_read2st64_b32 v[8:9], v7 offset0:20 offset1:22
	s_waitcnt lgkmcnt(3)
	v_pk_mul_f32 v[10:11], v[2:3], v[10:11]
	ds_read2st64_b32 v[12:13], v7 offset0:24 offset1:26
	ds_write2st64_b32 v7, v10, v11 offset0:16 offset1:18
	ds_read2st64_b32 v[10:11], v7 offset0:28 offset1:30
	s_waitcnt lgkmcnt(3)
	v_pk_mul_f32 v[8:9], v[2:3], v[8:9]
	ds_write2st64_b32 v7, v8, v9 offset0:20 offset1:22
	s_waitcnt lgkmcnt(3)
	v_pk_mul_f32 v[8:9], v[2:3], v[12:13]
	ds_write2st64_b32 v7, v8, v9 offset0:24 offset1:26
	s_waitcnt lgkmcnt(2)
	v_pk_mul_f32 v[8:9], v[2:3], v[10:11]
	s_add_i32 s18, s18, 16
	v_cmp_eq_u32_e32 vcc, 0, v6
	ds_write2st64_b32 v7, v8, v9 offset0:28 offset1:30
	v_add_u32_e32 v7, 0x2000, v7
	s_or_b64 s[12:13], vcc, s[12:13]
	v_mov_b32_e32 v8, s18
	s_andn2_b64 exec, exec, s[12:13]
	s_cbranch_execnz .LBB242_421
; %bb.422:
	s_or_b64 exec, exec, s[12:13]
.LBB242_423:
	s_or_b64 exec, exec, s[8:9]
	v_and_b32_e32 v5, 7, v5
	v_cmp_ne_u32_e32 vcc, 0, v5
	s_and_saveexec_b64 s[8:9], vcc
	s_cbranch_execz .LBB242_426
; %bb.424:
	v_lshlrev_b32_e32 v6, 9, v8
	v_lshlrev_b32_e32 v7, 2, v0
	s_movk_i32 s12, 0x210
	v_add3_u32 v6, v6, v7, s12
	s_mov_b64 s[12:13], 0
.LBB242_425:                            ; =>This Inner Loop Header: Depth=1
	ds_read2st64_b32 v[8:9], v6 offset1:2
	v_add_u32_e32 v5, -1, v5
	v_cmp_eq_u32_e32 vcc, 0, v5
	s_or_b64 s[12:13], vcc, s[12:13]
	s_waitcnt lgkmcnt(0)
	v_pk_mul_f32 v[8:9], v[2:3], v[8:9]
	ds_write2st64_b32 v6, v8, v9 offset1:2
	v_add_u32_e32 v6, 0x400, v6
	s_andn2_b64 exec, exec, s[12:13]
	s_cbranch_execnz .LBB242_425
.LBB242_426:
	s_or_b64 exec, exec, s[8:9]
	v_add_u32_e32 v4, 1, v4
	v_and_b32_e32 v5, 0x3fffffe, v4
	v_cmp_ne_u32_e32 vcc, v4, v5
	v_lshl_add_u32 v3, v5, 7, v0
	s_orn2_b64 s[8:9], vcc, exec
.LBB242_427:
	s_or_b64 exec, exec, s[2:3]
	s_and_b64 exec, exec, s[8:9]
	s_cbranch_execz .LBB242_430
; %bb.428:
	v_mov_b32_e32 v4, 0x210
	v_lshl_add_u32 v4, v3, 2, v4
	s_mov_b64 s[2:3], 0
.LBB242_429:                            ; =>This Inner Loop Header: Depth=1
	ds_read_b32 v5, v4
	v_add_u32_e32 v3, 0x80, v3
	v_cmp_le_i32_e32 vcc, s37, v3
	s_or_b64 s[2:3], vcc, s[2:3]
	s_waitcnt lgkmcnt(0)
	v_mul_f32_e32 v5, v2, v5
	ds_write_b32 v4, v5
	v_add_u32_e32 v4, 0x200, v4
	s_andn2_b64 exec, exec, s[2:3]
	s_cbranch_execnz .LBB242_429
.LBB242_430:
	s_or_b64 exec, exec, s[0:1]
	v_mov_b32_e32 v3, 0
	v_and_b32_e32 v32, 1, v0
	s_waitcnt lgkmcnt(0)
	v_mov_b32_e32 v2, v3
	v_mov_b32_e32 v5, v3
	v_mov_b32_e32 v4, v3
	v_mov_b32_e32 v7, v3
	v_mov_b32_e32 v6, v3
	v_mov_b32_e32 v9, v3
	v_mov_b32_e32 v8, v3
	s_barrier
	s_and_saveexec_b64 s[2:3], s[6:7]
	s_cbranch_execz .LBB242_836
; %bb.431:
	s_sub_i32 s37, s16, s21
	s_ashr_i32 s1, s20, 31
	s_add_u32 s0, s34, s20
	s_addc_u32 s1, s35, s1
	s_abs_i32 s22, s22
	v_cvt_f32_u32_e32 v3, s22
	v_lshlrev_b32_e32 v2, 3, v0
	v_and_b32_e32 v33, 8, v2
	v_and_b32_e32 v10, 0x1f8, v2
	v_rcp_iflag_f32_e32 v2, v3
	v_mov_b32_e32 v11, 0
	v_lshl_add_u64 v[12:13], s[0:1], 0, v[10:11]
	s_sub_i32 s0, 0, s22
	v_mul_f32_e32 v2, 0x4f7ffffe, v2
	v_cvt_u32_f32_e32 v2, v2
	s_add_i32 s35, s47, -1
	v_and_b32_e32 v10, 60, v1
	v_lshlrev_b32_e32 v1, 5, v32
	v_mul_lo_u32 v3, s0, v2
	s_lshl_b64 s[0:1], s[30:31], 2
	s_add_u32 s0, s28, s0
	s_mov_b32 s6, -1
	v_mul_hi_u32 v3, v2, v3
	s_addc_u32 s1, s29, s1
	v_lshl_or_b32 v1, v28, 6, v1
	s_mov_b32 s34, s17
	s_mov_b32 s7, 0xffffff
	;; [unrolled: 1-line block ×3, first 2 shown]
	v_add_u32_e32 v34, v2, v3
	v_lshl_add_u64 v[14:15], s[0:1], 0, v[10:11]
	v_add_u32_e32 v35, 0x210, v1
	s_mov_b64 s[8:9], 0
	s_movk_i32 s28, 0x80
	s_movk_i32 s29, 0x7f
	s_mov_b32 s30, 0x8000
	v_mov_b32_e32 v36, 0x2000
	v_mov_b32_e32 v8, 0
	;; [unrolled: 1-line block ×9, first 2 shown]
	s_branch .LBB242_434
.LBB242_432:                            ;   in Loop: Header=BB242_434 Depth=1
	s_or_b64 exec, exec, s[0:1]
	v_add_f32_e32 v17, v26, v27
	v_add_f32_e32 v2, v2, v17
	;; [unrolled: 1-line block ×13, first 2 shown]
	;;#ASMSTART
	v_pk_mul_f16 v1, v48, v1;

	;;#ASMEND
	v_add_f32_e32 v8, v8, v17
	;;#ASMSTART
	v_pk_mul_f16 v10, v47, v10;

	;;#ASMEND
	;;#ASMSTART
	v_pk_mul_f16 v17, v46, v21;

	;;#ASMEND
	;; [unrolled: 4-line block ×3, first 2 shown]
	s_nop 0
	;;#ASMSTART
	v_pk_add_f16 v1, v1, v10;

	;;#ASMEND
	s_nop 0
	;;#ASMSTART
	v_pk_add_f16 v1, v1, v17;

	;;#ASMEND
	;; [unrolled: 5-line block ×3, first 2 shown]
	s_nop 0
	v_lshrrev_b32_e32 v10, 16, v1
	v_and_b32_e32 v1, 0xffff, v1
	;;#ASMSTART
	v_cvt_f32_f16 v1, v1;
	;;#ASMEND
	;;#ASMSTART
	v_cvt_f32_f16 v10, v10;
	;;#ASMEND
	s_nop 0
	v_add_f32_e32 v1, v1, v10
	v_add_f32_e32 v3, v3, v1
.LBB242_433:                            ;   in Loop: Header=BB242_434 Depth=1
	s_or_b64 exec, exec, s[12:13]
	v_add_u32_e32 v28, 2, v28
	v_cmp_le_i32_e32 vcc, s47, v28
	v_lshl_add_u64 v[14:15], v[14:15], 0, 8
	v_add_u32_e32 v29, 32, v29
	s_or_b64 s[8:9], vcc, s[8:9]
	v_add_u32_e32 v35, 0x80, v35
	s_andn2_b64 exec, exec, s[8:9]
	s_cbranch_execz .LBB242_835
.LBB242_434:                            ; =>This Inner Loop Header: Depth=1
	v_mul_hi_u32 v1, v29, s46
	v_mul_lo_u32 v10, v1, s25
	v_sub_u32_e32 v10, v29, v10
	v_add_u32_e32 v16, 1, v1
	v_cmp_le_u32_e32 vcc, s25, v10
	s_nop 1
	v_cndmask_b32_e32 v1, v1, v16, vcc
	v_subrev_u32_e32 v16, s25, v10
	v_cndmask_b32_e32 v10, v10, v16, vcc
	v_add_u32_e32 v16, 1, v1
	v_cmp_le_u32_e32 vcc, s25, v10
	s_nop 1
	v_cndmask_b32_e32 v1, v1, v16, vcc
	v_xor_b32_e32 v1, s23, v1
	v_subrev_u32_e32 v1, s23, v1
	v_add_u32_e32 v10, s36, v1
	v_sub_u32_e32 v17, 0, v10
	v_ashrrev_i32_e32 v16, 31, v10
	v_max_i32_e32 v10, v10, v17
	v_mul_hi_u32 v17, v10, v34
	v_mul_lo_u32 v17, v17, s22
	v_sub_u32_e32 v10, v10, v17
	v_subrev_u32_e32 v17, s22, v10
	v_cmp_le_u32_e32 vcc, s22, v10
	v_cmp_lt_i32_e64 s[0:1], s37, v1
	s_nop 0
	v_cndmask_b32_e32 v10, v10, v17, vcc
	v_subrev_u32_e32 v17, s22, v10
	v_cmp_le_u32_e32 vcc, s22, v10
	s_nop 1
	v_cndmask_b32_e32 v10, v10, v17, vcc
	v_xor_b32_e32 v10, v10, v16
	v_sub_u32_e32 v10, v10, v16
	v_cmp_eq_u32_e32 vcc, 0, v10
	s_or_b64 s[0:1], vcc, s[0:1]
	s_and_saveexec_b64 s[12:13], s[0:1]
	s_cbranch_execz .LBB242_433
; %bb.435:                              ;   in Loop: Header=BB242_434 Depth=1
	global_load_dword v1, v[14:15], off
	ds_read2_b64 v[16:19], v35 offset1:1
	ds_read2_b64 v[20:23], v35 offset0:2 offset1:3
	s_waitcnt lgkmcnt(1)
	;;#ASMSTART
	v_cvt_f16_f32 v44, v16;

	;;#ASMEND
	;;#ASMSTART
	v_cvt_f16_f32 v46, v17;

	;;#ASMEND
	;; [unrolled: 4-line block ×4, first 2 shown]
	s_waitcnt lgkmcnt(0)
	;;#ASMSTART
	v_cvt_f16_f32 v50, v20;

	;;#ASMEND
	;;#ASMSTART
	v_cvt_f16_f32 v51, v21;

	;;#ASMEND
	;; [unrolled: 4-line block ×4, first 2 shown]
	v_mov_b32_e32 v19, 0
	s_waitcnt vmcnt(0)
	v_mad_i64_i32 v[16:17], s[0:1], v1, s34, v[12:13]
	global_load_dwordx2 v[20:21], v[16:17], off
	v_mov_b32_e32 v1, 0
	global_load_dword v18, v1, s[14:15]
	s_waitcnt vmcnt(1)
	v_cmp_ne_u16_sdwa s[16:17], v20, v11 src0_sel:BYTE_0 src1_sel:DWORD
	s_and_saveexec_b64 s[0:1], s[16:17]
	s_cbranch_execz .LBB242_441
; %bb.436:                              ;   in Loop: Header=BB242_434 Depth=1
	v_cmp_ne_u16_sdwa s[18:19], v20, s28 src0_sel:BYTE_0 src1_sel:DWORD
	v_mov_b32_e32 v19, 0x8000
	s_and_saveexec_b64 s[16:17], s[18:19]
	s_cbranch_execz .LBB242_440
; %bb.437:                              ;   in Loop: Header=BB242_434 Depth=1
	v_and_b32_e32 v10, 0x7f, v20
	v_cmp_ne_u32_e32 vcc, s29, v10
	v_mov_b32_e32 v19, 0x7c01
	s_and_saveexec_b64 s[18:19], vcc
	s_cbranch_execz .LBB242_439
; %bb.438:                              ;   in Loop: Header=BB242_434 Depth=1
	v_and_b32_e32 v19, 7, v20
	v_ffbh_u32_e32 v22, v19
	v_min_u32_e32 v25, 32, v22
	v_subrev_u32_e32 v22, 28, v25
	v_lshlrev_b64 v[22:23], v22, v[20:21]
	v_lshrrev_b32_e32 v24, 3, v10
	v_sub_u32_e32 v23, 29, v25
	v_cmp_gt_u32_e32 vcc, 8, v10
	v_and_b32_e32 v22, 7, v22
	s_nop 0
	v_cndmask_b32_e32 v10, v24, v23, vcc
	v_lshl_add_u32 v10, v10, 10, v36
	v_lshlrev_b32_e32 v23, 8, v20
	v_and_b32_e32 v10, 0xfc00, v10
	v_cndmask_b32_e32 v19, v19, v22, vcc
	v_and_or_b32 v10, v23, s30, v10
	v_lshl_or_b32 v19, v19, 7, v10
.LBB242_439:                            ;   in Loop: Header=BB242_434 Depth=1
	s_or_b64 exec, exec, s[18:19]
.LBB242_440:                            ;   in Loop: Header=BB242_434 Depth=1
	s_or_b64 exec, exec, s[16:17]
.LBB242_441:                            ;   in Loop: Header=BB242_434 Depth=1
	s_or_b64 exec, exec, s[0:1]
	v_lshrrev_b16_e32 v10, 8, v20
	v_cmp_ne_u16_e32 vcc, 0, v10
	s_and_saveexec_b64 s[0:1], vcc
	s_cbranch_execz .LBB242_447
; %bb.442:                              ;   in Loop: Header=BB242_434 Depth=1
	v_cmp_ne_u16_e32 vcc, s28, v10
	v_bfrev_b32_e32 v1, 1
	s_and_saveexec_b64 s[16:17], vcc
	s_cbranch_execz .LBB242_446
; %bb.443:                              ;   in Loop: Header=BB242_434 Depth=1
	v_and_b32_e32 v22, 0x7f, v10
	v_cmp_ne_u32_e32 vcc, s29, v22
	v_mov_b32_e32 v1, 0x7c010000
	s_and_saveexec_b64 s[18:19], vcc
	s_cbranch_execz .LBB242_445
; %bb.444:                              ;   in Loop: Header=BB242_434 Depth=1
	v_and_b32_e32 v1, 7, v10
	v_ffbh_u32_e32 v24, v1
	v_min_u32_e32 v26, 32, v24
	v_subrev_u32_e32 v24, 28, v26
	v_lshlrev_b64 v[24:25], v24, v[10:11]
	v_lshrrev_b32_e32 v23, 3, v22
	v_sub_u32_e32 v25, 29, v26
	v_cmp_gt_u32_e32 vcc, 8, v22
	v_lshlrev_b32_e32 v10, 8, v10
	s_nop 0
	v_cndmask_b32_e32 v22, v23, v25, vcc
	v_lshl_add_u32 v22, v22, 10, v36
	v_and_b32_e32 v23, 7, v24
	v_and_or_b32 v10, v10, s30, v22
	v_cndmask_b32_e32 v1, v1, v23, vcc
	v_lshlrev_b32_e32 v10, 16, v10
	v_lshl_or_b32 v1, v1, 23, v10
.LBB242_445:                            ;   in Loop: Header=BB242_434 Depth=1
	s_or_b64 exec, exec, s[18:19]
.LBB242_446:                            ;   in Loop: Header=BB242_434 Depth=1
	s_or_b64 exec, exec, s[16:17]
.LBB242_447:                            ;   in Loop: Header=BB242_434 Depth=1
	s_or_b64 exec, exec, s[0:1]
	v_lshrrev_b32_e32 v10, 16, v20
	v_cmp_ne_u16_sdwa s[16:17], v10, v11 src0_sel:BYTE_0 src1_sel:DWORD
	v_mov_b32_e32 v23, 0
	v_mov_b32_e32 v22, 0
	s_and_saveexec_b64 s[0:1], s[16:17]
	s_cbranch_execz .LBB242_453
; %bb.448:                              ;   in Loop: Header=BB242_434 Depth=1
	v_cmp_ne_u16_sdwa s[18:19], v10, s28 src0_sel:BYTE_0 src1_sel:DWORD
	v_mov_b32_e32 v22, 0x8000
	s_and_saveexec_b64 s[16:17], s[18:19]
	s_cbranch_execz .LBB242_452
; %bb.449:                              ;   in Loop: Header=BB242_434 Depth=1
	v_bfe_u32 v24, v20, 16, 7
	v_cmp_ne_u32_e32 vcc, s29, v24
	v_mov_b32_e32 v22, 0x7c01
	s_and_saveexec_b64 s[18:19], vcc
	s_cbranch_execz .LBB242_451
; %bb.450:                              ;   in Loop: Header=BB242_434 Depth=1
	v_and_b32_e32 v22, 7, v10
	v_ffbh_u32_e32 v26, v22
	v_min_u32_e32 v37, 32, v26
	v_subrev_u32_e32 v26, 28, v37
	v_lshlrev_b64 v[26:27], v26, v[10:11]
	v_lshrrev_b32_e32 v25, 3, v24
	v_sub_u32_e32 v27, 29, v37
	v_cmp_gt_u32_e32 vcc, 8, v24
	v_lshlrev_b32_e32 v10, 8, v10
	s_nop 0
	v_cndmask_b32_e32 v24, v25, v27, vcc
	v_lshl_add_u32 v24, v24, 10, v36
	v_and_b32_e32 v25, 7, v26
	v_and_b32_e32 v24, 0xfc00, v24
	v_cndmask_b32_e32 v22, v22, v25, vcc
	v_and_or_b32 v10, v10, s30, v24
	v_lshl_or_b32 v22, v22, 7, v10
.LBB242_451:                            ;   in Loop: Header=BB242_434 Depth=1
	s_or_b64 exec, exec, s[18:19]
.LBB242_452:                            ;   in Loop: Header=BB242_434 Depth=1
	s_or_b64 exec, exec, s[16:17]
.LBB242_453:                            ;   in Loop: Header=BB242_434 Depth=1
	s_or_b64 exec, exec, s[0:1]
	v_cmp_lt_u32_e32 vcc, s7, v20
	s_and_saveexec_b64 s[0:1], vcc
	s_cbranch_execz .LBB242_459
; %bb.454:                              ;   in Loop: Header=BB242_434 Depth=1
	v_lshrrev_b32_e32 v10, 24, v20
	v_cmp_ne_u32_e32 vcc, s28, v10
	v_bfrev_b32_e32 v23, 1
	s_and_saveexec_b64 s[16:17], vcc
	s_cbranch_execz .LBB242_458
; %bb.455:                              ;   in Loop: Header=BB242_434 Depth=1
	v_and_b32_e32 v24, 0x7f, v10
	v_cmp_ne_u32_e32 vcc, s29, v24
	v_mov_b32_e32 v23, 0x7c010000
	s_and_saveexec_b64 s[18:19], vcc
	s_cbranch_execz .LBB242_457
; %bb.456:                              ;   in Loop: Header=BB242_434 Depth=1
	v_and_b32_e32 v23, 7, v10
	v_ffbh_u32_e32 v26, v23
	v_min_u32_e32 v37, 32, v26
	v_subrev_u32_e32 v26, 28, v37
	v_lshlrev_b64 v[26:27], v26, v[10:11]
	v_lshrrev_b32_e32 v25, 3, v24
	v_sub_u32_e32 v27, 29, v37
	v_cmp_gt_u32_e32 vcc, 8, v24
	v_lshlrev_b32_e32 v10, 8, v10
	s_nop 0
	v_cndmask_b32_e32 v24, v25, v27, vcc
	v_lshl_add_u32 v24, v24, 10, v36
	v_and_b32_e32 v25, 7, v26
	v_and_or_b32 v10, v10, s30, v24
	v_cndmask_b32_e32 v23, v23, v25, vcc
	v_lshlrev_b32_e32 v10, 16, v10
	v_lshl_or_b32 v23, v23, 23, v10
.LBB242_457:                            ;   in Loop: Header=BB242_434 Depth=1
	s_or_b64 exec, exec, s[18:19]
.LBB242_458:                            ;   in Loop: Header=BB242_434 Depth=1
	s_or_b64 exec, exec, s[16:17]
.LBB242_459:                            ;   in Loop: Header=BB242_434 Depth=1
	s_or_b64 exec, exec, s[0:1]
	v_mov_b32_e32 v10, v21
	v_cmp_ne_u16_sdwa s[16:17], v21, v11 src0_sel:BYTE_0 src1_sel:DWORD
	v_mov_b32_e32 v24, 0
	v_mov_b32_e32 v25, 0
	s_and_saveexec_b64 s[0:1], s[16:17]
	s_cbranch_execz .LBB242_465
; %bb.460:                              ;   in Loop: Header=BB242_434 Depth=1
	v_cmp_ne_u16_sdwa s[18:19], v21, s28 src0_sel:BYTE_0 src1_sel:DWORD
	v_mov_b32_e32 v25, 0x8000
	s_and_saveexec_b64 s[16:17], s[18:19]
	s_cbranch_execz .LBB242_464
; %bb.461:                              ;   in Loop: Header=BB242_434 Depth=1
	v_and_b32_e32 v26, 0x7f, v21
	v_cmp_ne_u32_e32 vcc, s29, v26
	v_mov_b32_e32 v25, 0x7c01
	s_and_saveexec_b64 s[18:19], vcc
	s_cbranch_execz .LBB242_463
; %bb.462:                              ;   in Loop: Header=BB242_434 Depth=1
	v_and_b32_e32 v25, 7, v21
	v_ffbh_u32_e32 v37, v25
	v_min_u32_e32 v37, 32, v37
	v_lshrrev_b32_e32 v27, 3, v26
	v_subrev_u32_e32 v38, 28, v37
	v_sub_u32_e32 v37, 29, v37
	v_cmp_gt_u32_e32 vcc, 8, v26
	v_lshlrev_b64 v[38:39], v38, v[10:11]
	s_nop 0
	v_cndmask_b32_e32 v26, v27, v37, vcc
	v_lshl_add_u32 v26, v26, 10, v36
	v_lshlrev_b32_e32 v27, 8, v21
	v_and_b32_e32 v37, 7, v38
	v_and_b32_e32 v26, 0xfc00, v26
	v_cndmask_b32_e32 v25, v25, v37, vcc
	v_and_or_b32 v26, v27, s30, v26
	v_lshl_or_b32 v25, v25, 7, v26
.LBB242_463:                            ;   in Loop: Header=BB242_434 Depth=1
	s_or_b64 exec, exec, s[18:19]
.LBB242_464:                            ;   in Loop: Header=BB242_434 Depth=1
	s_or_b64 exec, exec, s[16:17]
.LBB242_465:                            ;   in Loop: Header=BB242_434 Depth=1
	s_or_b64 exec, exec, s[0:1]
	v_lshrrev_b16_e32 v10, 8, v10
	v_cmp_ne_u16_e32 vcc, 0, v10
	v_mov_b32_e32 v26, 0
	s_and_saveexec_b64 s[0:1], vcc
	s_cbranch_execz .LBB242_471
; %bb.466:                              ;   in Loop: Header=BB242_434 Depth=1
	v_cmp_ne_u16_e32 vcc, s28, v10
	v_bfrev_b32_e32 v26, 1
	s_and_saveexec_b64 s[16:17], vcc
	s_cbranch_execz .LBB242_470
; %bb.467:                              ;   in Loop: Header=BB242_434 Depth=1
	v_and_b32_e32 v27, 0x7f, v10
	v_cmp_ne_u32_e32 vcc, s29, v27
	v_mov_b32_e32 v26, 0x7c010000
	s_and_saveexec_b64 s[18:19], vcc
	s_cbranch_execz .LBB242_469
; %bb.468:                              ;   in Loop: Header=BB242_434 Depth=1
	v_and_b32_e32 v26, 7, v10
	v_ffbh_u32_e32 v38, v26
	v_min_u32_e32 v40, 32, v38
	v_subrev_u32_e32 v38, 28, v40
	v_lshlrev_b64 v[38:39], v38, v[10:11]
	v_lshrrev_b32_e32 v37, 3, v27
	v_sub_u32_e32 v39, 29, v40
	v_cmp_gt_u32_e32 vcc, 8, v27
	v_lshlrev_b32_e32 v10, 8, v10
	s_nop 0
	v_cndmask_b32_e32 v27, v37, v39, vcc
	v_lshl_add_u32 v27, v27, 10, v36
	v_and_b32_e32 v37, 7, v38
	v_and_or_b32 v10, v10, s30, v27
	v_cndmask_b32_e32 v26, v26, v37, vcc
	v_lshlrev_b32_e32 v10, 16, v10
	v_lshl_or_b32 v26, v26, 23, v10
.LBB242_469:                            ;   in Loop: Header=BB242_434 Depth=1
	s_or_b64 exec, exec, s[18:19]
.LBB242_470:                            ;   in Loop: Header=BB242_434 Depth=1
	s_or_b64 exec, exec, s[16:17]
.LBB242_471:                            ;   in Loop: Header=BB242_434 Depth=1
	s_or_b64 exec, exec, s[0:1]
	v_lshrrev_b32_e32 v10, 16, v21
	v_cmp_ne_u16_sdwa s[16:17], v10, v11 src0_sel:BYTE_0 src1_sel:DWORD
	s_and_saveexec_b64 s[0:1], s[16:17]
	s_cbranch_execz .LBB242_477
; %bb.472:                              ;   in Loop: Header=BB242_434 Depth=1
	v_cmp_ne_u16_sdwa s[18:19], v10, s28 src0_sel:BYTE_0 src1_sel:DWORD
	v_mov_b32_e32 v24, 0x8000
	s_and_saveexec_b64 s[16:17], s[18:19]
	s_cbranch_execz .LBB242_476
; %bb.473:                              ;   in Loop: Header=BB242_434 Depth=1
	v_bfe_u32 v27, v21, 16, 7
	v_cmp_ne_u32_e32 vcc, s29, v27
	v_mov_b32_e32 v24, 0x7c01
	s_and_saveexec_b64 s[18:19], vcc
	s_cbranch_execz .LBB242_475
; %bb.474:                              ;   in Loop: Header=BB242_434 Depth=1
	v_and_b32_e32 v24, 7, v10
	v_ffbh_u32_e32 v38, v24
	v_min_u32_e32 v40, 32, v38
	v_subrev_u32_e32 v38, 28, v40
	v_lshlrev_b64 v[38:39], v38, v[10:11]
	v_lshrrev_b32_e32 v37, 3, v27
	v_sub_u32_e32 v39, 29, v40
	v_cmp_gt_u32_e32 vcc, 8, v27
	v_lshlrev_b32_e32 v10, 8, v10
	s_nop 0
	v_cndmask_b32_e32 v27, v37, v39, vcc
	v_lshl_add_u32 v27, v27, 10, v36
	v_and_b32_e32 v37, 7, v38
	v_and_b32_e32 v27, 0xfc00, v27
	v_cndmask_b32_e32 v24, v24, v37, vcc
	v_and_or_b32 v10, v10, s30, v27
	v_lshl_or_b32 v24, v24, 7, v10
.LBB242_475:                            ;   in Loop: Header=BB242_434 Depth=1
	s_or_b64 exec, exec, s[18:19]
.LBB242_476:                            ;   in Loop: Header=BB242_434 Depth=1
	s_or_b64 exec, exec, s[16:17]
.LBB242_477:                            ;   in Loop: Header=BB242_434 Depth=1
	s_or_b64 exec, exec, s[0:1]
	v_cmp_lt_u64_e32 vcc, s[6:7], v[20:21]
	v_mov_b32_e32 v27, 0
	s_and_saveexec_b64 s[0:1], vcc
	s_cbranch_execz .LBB242_483
; %bb.478:                              ;   in Loop: Header=BB242_434 Depth=1
	v_lshrrev_b32_e32 v10, 24, v21
	v_cmp_ne_u32_e32 vcc, s28, v10
	v_bfrev_b32_e32 v27, 1
	s_and_saveexec_b64 s[16:17], vcc
	s_cbranch_execz .LBB242_482
; %bb.479:                              ;   in Loop: Header=BB242_434 Depth=1
	v_and_b32_e32 v20, 0x7f, v10
	v_cmp_ne_u32_e32 vcc, s29, v20
	v_mov_b32_e32 v27, 0x7c010000
	s_and_saveexec_b64 s[18:19], vcc
	s_cbranch_execz .LBB242_481
; %bb.480:                              ;   in Loop: Header=BB242_434 Depth=1
	v_and_b32_e32 v21, 7, v10
	v_ffbh_u32_e32 v37, v21
	v_min_u32_e32 v37, 32, v37
	v_lshrrev_b32_e32 v27, 3, v20
	v_subrev_u32_e32 v38, 28, v37
	v_sub_u32_e32 v37, 29, v37
	v_cmp_gt_u32_e32 vcc, 8, v20
	v_lshlrev_b64 v[38:39], v38, v[10:11]
	v_lshlrev_b32_e32 v10, 8, v10
	v_cndmask_b32_e32 v20, v27, v37, vcc
	v_lshl_add_u32 v20, v20, 10, v36
	v_and_b32_e32 v27, 7, v38
	v_and_or_b32 v10, v10, s30, v20
	v_cndmask_b32_e32 v21, v21, v27, vcc
	v_lshlrev_b32_e32 v10, 16, v10
	v_lshl_or_b32 v27, v21, 23, v10
.LBB242_481:                            ;   in Loop: Header=BB242_434 Depth=1
	s_or_b64 exec, exec, s[18:19]
.LBB242_482:                            ;   in Loop: Header=BB242_434 Depth=1
	s_or_b64 exec, exec, s[16:17]
.LBB242_483:                            ;   in Loop: Header=BB242_434 Depth=1
	s_or_b64 exec, exec, s[0:1]
	v_cvt_f32_f16_sdwa v21, v1 dst_sel:DWORD dst_unused:UNUSED_PAD src0_sel:WORD_1
	v_cvt_f32_f16_sdwa v20, v23 dst_sel:DWORD dst_unused:UNUSED_PAD src0_sel:WORD_1
	v_or_b32_e32 v1, v1, v19
	v_or_b32_e32 v10, v23, v22
	v_cvt_f32_f16_e32 v22, v10
	v_cvt_f32_f16_e32 v23, v1
	s_waitcnt vmcnt(0)
	v_pk_mul_f32 v[20:21], v[18:19], v[20:21] op_sel_hi:[0,1]
	v_cvt_pk_f16_f32 v1, v20, v21
	v_and_b32_e32 v19, 0xffff0000, v1
	v_pk_mul_f32 v[22:23], v[18:19], v[22:23] op_sel_hi:[0,1]
	v_lshlrev_b32_e32 v20, 16, v1
	v_cvt_pk_f16_f32 v1, v22, v23
	v_or_b32_e32 v10, v26, v25
	v_or_b32_e32 v23, v27, v24
	v_cvt_f32_f16_e32 v24, v23
	v_cvt_f32_f16_e32 v25, v10
	v_cvt_f32_f16_sdwa v39, v26 dst_sel:DWORD dst_unused:UNUSED_PAD src0_sel:WORD_1
	v_cvt_f32_f16_sdwa v38, v27 dst_sel:DWORD dst_unused:UNUSED_PAD src0_sel:WORD_1
	v_add_u32_e32 v37, v33, v29
	v_pk_mul_f32 v[24:25], v[18:19], v[24:25] op_sel_hi:[0,1]
	v_cvt_pk_f16_f32 v26, v24, v25
	v_pk_mul_f32 v[24:25], v[18:19], v[38:39] op_sel_hi:[0,1]
	v_cvt_pk_f16_f32 v18, v24, v25
	v_lshrrev_b32_e32 v21, 16, v1
	v_and_b32_e32 v22, 0xffff, v1
	v_and_b32_e32 v23, 0xffff0000, v18
	v_lshlrev_b32_e32 v18, 16, v18
	v_lshrrev_b32_e32 v27, 16, v26
	v_and_b32_e32 v26, 0xffff, v26
	v_cmp_eq_u32_e32 vcc, s35, v28
	v_or_b32_e32 v1, v19, v21
	v_or_b32_e32 v10, v20, v22
	;; [unrolled: 1-line block ×4, first 2 shown]
	v_add_u32_e32 v45, 2, v37
	v_or_b32_e32 v43, 1, v37
	v_or_b32_e32 v42, 3, v37
	;; [unrolled: 1-line block ×6, first 2 shown]
	s_and_saveexec_b64 s[16:17], vcc
	s_cbranch_execz .LBB242_485
; %bb.484:                              ;   in Loop: Header=BB242_434 Depth=1
	v_cmp_gt_i32_e64 s[0:1], s38, v37
	s_nop 1
	v_cndmask_b32_e64 v1, 0, v21, s[0:1]
	v_cmp_gt_i32_e64 s[0:1], s33, v45
	s_nop 1
	v_cndmask_b32_e64 v10, 0, v22, s[0:1]
	;; [unrolled: 3-line block ×3, first 2 shown]
	v_cmp_gt_i32_e64 s[0:1], s33, v42
	v_or_b32_e32 v1, v19, v1
	s_nop 0
	v_cndmask_b32_e64 v20, 0, v20, s[0:1]
	v_cmp_gt_i32_e64 s[0:1], s38, v41
	v_or_b32_e32 v10, v20, v10
	s_nop 0
	v_cndmask_b32_e64 v19, 0, v27, s[0:1]
	v_cmp_gt_i32_e64 s[0:1], s33, v40
	s_nop 1
	v_cndmask_b32_e64 v20, 0, v26, s[0:1]
	v_cmp_gt_i32_e64 s[0:1], s38, v39
	;; [unrolled: 3-line block ×3, first 2 shown]
	v_or_b32_e32 v25, v21, v19
	s_nop 0
	v_cndmask_b32_e64 v18, 0, v18, s[0:1]
	v_or_b32_e32 v24, v18, v20
.LBB242_485:                            ;   in Loop: Header=BB242_434 Depth=1
	s_or_b64 exec, exec, s[16:17]
	v_and_b32_e32 v18, 0xffff, v44
	v_lshl_or_b32 v48, v46, 16, v18
	v_and_b32_e32 v18, 0xffff, v47
	v_lshl_or_b32 v47, v49, 16, v18
	;; [unrolled: 2-line block ×3, first 2 shown]
	v_and_b32_e32 v18, 0xffff, v52
	;;#ASMSTART
	v_pk_mul_f16 v1, v48, v1;

	;;#ASMEND
	v_lshl_or_b32 v44, v53, 16, v18
	;;#ASMSTART
	v_pk_mul_f16 v10, v47, v10;

	;;#ASMEND
	;;#ASMSTART
	v_pk_mul_f16 v18, v46, v25;

	;;#ASMEND
	;; [unrolled: 4-line block ×3, first 2 shown]
	s_nop 0
	;;#ASMSTART
	v_pk_add_f16 v1, v1, v10;

	;;#ASMEND
	s_nop 0
	;;#ASMSTART
	v_pk_add_f16 v1, v1, v18;

	;;#ASMEND
	;; [unrolled: 5-line block ×3, first 2 shown]
	v_mov_b32_e32 v19, 0
	v_lshrrev_b32_e32 v10, 16, v1
	v_and_b32_e32 v1, 0xffff, v1
	;;#ASMSTART
	v_cvt_f32_f16 v49, v1;
	;;#ASMEND
	;;#ASMSTART
	v_cvt_f32_f16 v50, v10;
	;;#ASMEND
	global_load_dwordx2 v[20:21], v[16:17], off offset:512
	v_mov_b32_e32 v1, 0
	global_load_dword v18, v1, s[14:15]
	s_waitcnt vmcnt(1)
	v_cmp_ne_u16_sdwa s[0:1], v20, v11 src0_sel:BYTE_0 src1_sel:DWORD
	s_and_saveexec_b64 s[16:17], s[0:1]
	s_cbranch_execz .LBB242_491
; %bb.486:                              ;   in Loop: Header=BB242_434 Depth=1
	v_cmp_ne_u16_sdwa s[0:1], v20, s28 src0_sel:BYTE_0 src1_sel:DWORD
	v_mov_b32_e32 v19, 0x8000
	s_and_saveexec_b64 s[18:19], s[0:1]
	s_cbranch_execz .LBB242_490
; %bb.487:                              ;   in Loop: Header=BB242_434 Depth=1
	v_and_b32_e32 v10, 0x7f, v20
	v_cmp_ne_u32_e64 s[0:1], s29, v10
	v_mov_b32_e32 v19, 0x7c01
	s_and_saveexec_b64 s[20:21], s[0:1]
	s_cbranch_execz .LBB242_489
; %bb.488:                              ;   in Loop: Header=BB242_434 Depth=1
	v_and_b32_e32 v19, 7, v20
	v_ffbh_u32_e32 v22, v19
	v_min_u32_e32 v25, 32, v22
	v_subrev_u32_e32 v22, 28, v25
	v_lshlrev_b64 v[22:23], v22, v[20:21]
	v_lshrrev_b32_e32 v24, 3, v10
	v_sub_u32_e32 v23, 29, v25
	v_cmp_gt_u32_e64 s[0:1], 8, v10
	v_and_b32_e32 v22, 7, v22
	s_nop 0
	v_cndmask_b32_e64 v10, v24, v23, s[0:1]
	v_lshl_add_u32 v10, v10, 10, v36
	v_lshlrev_b32_e32 v23, 8, v20
	v_and_b32_e32 v10, 0xfc00, v10
	v_cndmask_b32_e64 v19, v19, v22, s[0:1]
	v_and_or_b32 v10, v23, s30, v10
	v_lshl_or_b32 v19, v19, 7, v10
.LBB242_489:                            ;   in Loop: Header=BB242_434 Depth=1
	s_or_b64 exec, exec, s[20:21]
.LBB242_490:                            ;   in Loop: Header=BB242_434 Depth=1
	s_or_b64 exec, exec, s[18:19]
.LBB242_491:                            ;   in Loop: Header=BB242_434 Depth=1
	s_or_b64 exec, exec, s[16:17]
	v_lshrrev_b16_e32 v10, 8, v20
	v_cmp_ne_u16_e64 s[0:1], 0, v10
	s_and_saveexec_b64 s[16:17], s[0:1]
	s_cbranch_execz .LBB242_497
; %bb.492:                              ;   in Loop: Header=BB242_434 Depth=1
	v_cmp_ne_u16_e64 s[0:1], s28, v10
	v_bfrev_b32_e32 v1, 1
	s_and_saveexec_b64 s[18:19], s[0:1]
	s_cbranch_execz .LBB242_496
; %bb.493:                              ;   in Loop: Header=BB242_434 Depth=1
	v_and_b32_e32 v22, 0x7f, v10
	v_cmp_ne_u32_e64 s[0:1], s29, v22
	v_mov_b32_e32 v1, 0x7c010000
	s_and_saveexec_b64 s[20:21], s[0:1]
	s_cbranch_execz .LBB242_495
; %bb.494:                              ;   in Loop: Header=BB242_434 Depth=1
	v_and_b32_e32 v1, 7, v10
	v_ffbh_u32_e32 v24, v1
	v_min_u32_e32 v26, 32, v24
	v_subrev_u32_e32 v24, 28, v26
	v_lshlrev_b64 v[24:25], v24, v[10:11]
	v_lshrrev_b32_e32 v23, 3, v22
	v_sub_u32_e32 v25, 29, v26
	v_cmp_gt_u32_e64 s[0:1], 8, v22
	v_lshlrev_b32_e32 v10, 8, v10
	s_nop 0
	v_cndmask_b32_e64 v22, v23, v25, s[0:1]
	v_lshl_add_u32 v22, v22, 10, v36
	v_and_b32_e32 v23, 7, v24
	v_and_or_b32 v10, v10, s30, v22
	v_cndmask_b32_e64 v1, v1, v23, s[0:1]
	v_lshlrev_b32_e32 v10, 16, v10
	v_lshl_or_b32 v1, v1, 23, v10
.LBB242_495:                            ;   in Loop: Header=BB242_434 Depth=1
	s_or_b64 exec, exec, s[20:21]
.LBB242_496:                            ;   in Loop: Header=BB242_434 Depth=1
	s_or_b64 exec, exec, s[18:19]
.LBB242_497:                            ;   in Loop: Header=BB242_434 Depth=1
	s_or_b64 exec, exec, s[16:17]
	v_lshrrev_b32_e32 v10, 16, v20
	v_cmp_ne_u16_sdwa s[0:1], v10, v11 src0_sel:BYTE_0 src1_sel:DWORD
	v_mov_b32_e32 v23, 0
	v_mov_b32_e32 v22, 0
	s_and_saveexec_b64 s[16:17], s[0:1]
	s_cbranch_execz .LBB242_503
; %bb.498:                              ;   in Loop: Header=BB242_434 Depth=1
	v_cmp_ne_u16_sdwa s[0:1], v10, s28 src0_sel:BYTE_0 src1_sel:DWORD
	v_mov_b32_e32 v22, 0x8000
	s_and_saveexec_b64 s[18:19], s[0:1]
	s_cbranch_execz .LBB242_502
; %bb.499:                              ;   in Loop: Header=BB242_434 Depth=1
	v_bfe_u32 v24, v20, 16, 7
	v_cmp_ne_u32_e64 s[0:1], s29, v24
	v_mov_b32_e32 v22, 0x7c01
	s_and_saveexec_b64 s[20:21], s[0:1]
	s_cbranch_execz .LBB242_501
; %bb.500:                              ;   in Loop: Header=BB242_434 Depth=1
	v_and_b32_e32 v22, 7, v10
	v_ffbh_u32_e32 v26, v22
	v_min_u32_e32 v51, 32, v26
	v_subrev_u32_e32 v26, 28, v51
	v_lshlrev_b64 v[26:27], v26, v[10:11]
	v_lshrrev_b32_e32 v25, 3, v24
	v_sub_u32_e32 v27, 29, v51
	v_cmp_gt_u32_e64 s[0:1], 8, v24
	v_lshlrev_b32_e32 v10, 8, v10
	s_nop 0
	v_cndmask_b32_e64 v24, v25, v27, s[0:1]
	v_lshl_add_u32 v24, v24, 10, v36
	v_and_b32_e32 v25, 7, v26
	v_and_b32_e32 v24, 0xfc00, v24
	v_cndmask_b32_e64 v22, v22, v25, s[0:1]
	v_and_or_b32 v10, v10, s30, v24
	v_lshl_or_b32 v22, v22, 7, v10
.LBB242_501:                            ;   in Loop: Header=BB242_434 Depth=1
	s_or_b64 exec, exec, s[20:21]
.LBB242_502:                            ;   in Loop: Header=BB242_434 Depth=1
	s_or_b64 exec, exec, s[18:19]
.LBB242_503:                            ;   in Loop: Header=BB242_434 Depth=1
	s_or_b64 exec, exec, s[16:17]
	v_cmp_lt_u32_e64 s[0:1], s7, v20
	s_and_saveexec_b64 s[16:17], s[0:1]
	s_cbranch_execz .LBB242_509
; %bb.504:                              ;   in Loop: Header=BB242_434 Depth=1
	v_lshrrev_b32_e32 v10, 24, v20
	v_cmp_ne_u32_e64 s[0:1], s28, v10
	v_bfrev_b32_e32 v23, 1
	s_and_saveexec_b64 s[18:19], s[0:1]
	s_cbranch_execz .LBB242_508
; %bb.505:                              ;   in Loop: Header=BB242_434 Depth=1
	v_and_b32_e32 v24, 0x7f, v10
	v_cmp_ne_u32_e64 s[0:1], s29, v24
	v_mov_b32_e32 v23, 0x7c010000
	s_and_saveexec_b64 s[20:21], s[0:1]
	s_cbranch_execz .LBB242_507
; %bb.506:                              ;   in Loop: Header=BB242_434 Depth=1
	v_and_b32_e32 v23, 7, v10
	v_ffbh_u32_e32 v26, v23
	v_min_u32_e32 v51, 32, v26
	v_subrev_u32_e32 v26, 28, v51
	v_lshlrev_b64 v[26:27], v26, v[10:11]
	v_lshrrev_b32_e32 v25, 3, v24
	v_sub_u32_e32 v27, 29, v51
	v_cmp_gt_u32_e64 s[0:1], 8, v24
	v_lshlrev_b32_e32 v10, 8, v10
	s_nop 0
	v_cndmask_b32_e64 v24, v25, v27, s[0:1]
	v_lshl_add_u32 v24, v24, 10, v36
	v_and_b32_e32 v25, 7, v26
	v_and_or_b32 v10, v10, s30, v24
	v_cndmask_b32_e64 v23, v23, v25, s[0:1]
	v_lshlrev_b32_e32 v10, 16, v10
	v_lshl_or_b32 v23, v23, 23, v10
.LBB242_507:                            ;   in Loop: Header=BB242_434 Depth=1
	s_or_b64 exec, exec, s[20:21]
.LBB242_508:                            ;   in Loop: Header=BB242_434 Depth=1
	s_or_b64 exec, exec, s[18:19]
.LBB242_509:                            ;   in Loop: Header=BB242_434 Depth=1
	s_or_b64 exec, exec, s[16:17]
	v_mov_b32_e32 v10, v21
	v_cmp_ne_u16_sdwa s[0:1], v21, v11 src0_sel:BYTE_0 src1_sel:DWORD
	v_mov_b32_e32 v24, 0
	v_mov_b32_e32 v25, 0
	s_and_saveexec_b64 s[16:17], s[0:1]
	s_cbranch_execz .LBB242_515
; %bb.510:                              ;   in Loop: Header=BB242_434 Depth=1
	v_cmp_ne_u16_sdwa s[0:1], v21, s28 src0_sel:BYTE_0 src1_sel:DWORD
	v_mov_b32_e32 v25, 0x8000
	s_and_saveexec_b64 s[18:19], s[0:1]
	s_cbranch_execz .LBB242_514
; %bb.511:                              ;   in Loop: Header=BB242_434 Depth=1
	v_and_b32_e32 v26, 0x7f, v21
	v_cmp_ne_u32_e64 s[0:1], s29, v26
	v_mov_b32_e32 v25, 0x7c01
	s_and_saveexec_b64 s[20:21], s[0:1]
	s_cbranch_execz .LBB242_513
; %bb.512:                              ;   in Loop: Header=BB242_434 Depth=1
	v_and_b32_e32 v25, 7, v21
	v_ffbh_u32_e32 v51, v25
	v_min_u32_e32 v51, 32, v51
	v_lshrrev_b32_e32 v27, 3, v26
	v_subrev_u32_e32 v52, 28, v51
	v_sub_u32_e32 v51, 29, v51
	v_cmp_gt_u32_e64 s[0:1], 8, v26
	v_lshlrev_b64 v[52:53], v52, v[10:11]
	s_nop 0
	v_cndmask_b32_e64 v26, v27, v51, s[0:1]
	v_lshl_add_u32 v26, v26, 10, v36
	v_lshlrev_b32_e32 v27, 8, v21
	v_and_b32_e32 v51, 7, v52
	v_and_b32_e32 v26, 0xfc00, v26
	v_cndmask_b32_e64 v25, v25, v51, s[0:1]
	v_and_or_b32 v26, v27, s30, v26
	v_lshl_or_b32 v25, v25, 7, v26
.LBB242_513:                            ;   in Loop: Header=BB242_434 Depth=1
	s_or_b64 exec, exec, s[20:21]
.LBB242_514:                            ;   in Loop: Header=BB242_434 Depth=1
	s_or_b64 exec, exec, s[18:19]
.LBB242_515:                            ;   in Loop: Header=BB242_434 Depth=1
	s_or_b64 exec, exec, s[16:17]
	v_lshrrev_b16_e32 v10, 8, v10
	v_cmp_ne_u16_e64 s[0:1], 0, v10
	v_mov_b32_e32 v26, 0
	s_and_saveexec_b64 s[16:17], s[0:1]
	s_cbranch_execz .LBB242_521
; %bb.516:                              ;   in Loop: Header=BB242_434 Depth=1
	v_cmp_ne_u16_e64 s[0:1], s28, v10
	v_bfrev_b32_e32 v26, 1
	s_and_saveexec_b64 s[18:19], s[0:1]
	s_cbranch_execz .LBB242_520
; %bb.517:                              ;   in Loop: Header=BB242_434 Depth=1
	v_and_b32_e32 v27, 0x7f, v10
	v_cmp_ne_u32_e64 s[0:1], s29, v27
	v_mov_b32_e32 v26, 0x7c010000
	s_and_saveexec_b64 s[20:21], s[0:1]
	s_cbranch_execz .LBB242_519
; %bb.518:                              ;   in Loop: Header=BB242_434 Depth=1
	v_and_b32_e32 v26, 7, v10
	v_ffbh_u32_e32 v52, v26
	v_min_u32_e32 v54, 32, v52
	v_subrev_u32_e32 v52, 28, v54
	v_lshlrev_b64 v[52:53], v52, v[10:11]
	v_lshrrev_b32_e32 v51, 3, v27
	v_sub_u32_e32 v53, 29, v54
	v_cmp_gt_u32_e64 s[0:1], 8, v27
	v_lshlrev_b32_e32 v10, 8, v10
	s_nop 0
	v_cndmask_b32_e64 v27, v51, v53, s[0:1]
	v_lshl_add_u32 v27, v27, 10, v36
	v_and_b32_e32 v51, 7, v52
	v_and_or_b32 v10, v10, s30, v27
	v_cndmask_b32_e64 v26, v26, v51, s[0:1]
	v_lshlrev_b32_e32 v10, 16, v10
	v_lshl_or_b32 v26, v26, 23, v10
.LBB242_519:                            ;   in Loop: Header=BB242_434 Depth=1
	s_or_b64 exec, exec, s[20:21]
.LBB242_520:                            ;   in Loop: Header=BB242_434 Depth=1
	s_or_b64 exec, exec, s[18:19]
.LBB242_521:                            ;   in Loop: Header=BB242_434 Depth=1
	s_or_b64 exec, exec, s[16:17]
	v_lshrrev_b32_e32 v10, 16, v21
	v_cmp_ne_u16_sdwa s[0:1], v10, v11 src0_sel:BYTE_0 src1_sel:DWORD
	s_and_saveexec_b64 s[16:17], s[0:1]
	s_cbranch_execz .LBB242_527
; %bb.522:                              ;   in Loop: Header=BB242_434 Depth=1
	v_cmp_ne_u16_sdwa s[0:1], v10, s28 src0_sel:BYTE_0 src1_sel:DWORD
	v_mov_b32_e32 v24, 0x8000
	s_and_saveexec_b64 s[18:19], s[0:1]
	s_cbranch_execz .LBB242_526
; %bb.523:                              ;   in Loop: Header=BB242_434 Depth=1
	v_bfe_u32 v27, v21, 16, 7
	v_cmp_ne_u32_e64 s[0:1], s29, v27
	v_mov_b32_e32 v24, 0x7c01
	s_and_saveexec_b64 s[20:21], s[0:1]
	s_cbranch_execz .LBB242_525
; %bb.524:                              ;   in Loop: Header=BB242_434 Depth=1
	v_and_b32_e32 v24, 7, v10
	v_ffbh_u32_e32 v52, v24
	v_min_u32_e32 v54, 32, v52
	v_subrev_u32_e32 v52, 28, v54
	v_lshlrev_b64 v[52:53], v52, v[10:11]
	v_lshrrev_b32_e32 v51, 3, v27
	v_sub_u32_e32 v53, 29, v54
	v_cmp_gt_u32_e64 s[0:1], 8, v27
	v_lshlrev_b32_e32 v10, 8, v10
	s_nop 0
	v_cndmask_b32_e64 v27, v51, v53, s[0:1]
	v_lshl_add_u32 v27, v27, 10, v36
	v_and_b32_e32 v51, 7, v52
	v_and_b32_e32 v27, 0xfc00, v27
	v_cndmask_b32_e64 v24, v24, v51, s[0:1]
	v_and_or_b32 v10, v10, s30, v27
	v_lshl_or_b32 v24, v24, 7, v10
.LBB242_525:                            ;   in Loop: Header=BB242_434 Depth=1
	s_or_b64 exec, exec, s[20:21]
.LBB242_526:                            ;   in Loop: Header=BB242_434 Depth=1
	s_or_b64 exec, exec, s[18:19]
.LBB242_527:                            ;   in Loop: Header=BB242_434 Depth=1
	s_or_b64 exec, exec, s[16:17]
	v_cmp_lt_u64_e64 s[0:1], s[6:7], v[20:21]
	v_mov_b32_e32 v20, 0
	s_and_saveexec_b64 s[16:17], s[0:1]
	s_cbranch_execz .LBB242_533
; %bb.528:                              ;   in Loop: Header=BB242_434 Depth=1
	v_lshrrev_b32_e32 v10, 24, v21
	v_cmp_ne_u32_e64 s[0:1], s28, v10
	v_bfrev_b32_e32 v20, 1
	s_and_saveexec_b64 s[18:19], s[0:1]
	s_cbranch_execz .LBB242_532
; %bb.529:                              ;   in Loop: Header=BB242_434 Depth=1
	v_and_b32_e32 v21, 0x7f, v10
	v_cmp_ne_u32_e64 s[0:1], s29, v21
	v_mov_b32_e32 v20, 0x7c010000
	s_and_saveexec_b64 s[20:21], s[0:1]
	s_cbranch_execz .LBB242_531
; %bb.530:                              ;   in Loop: Header=BB242_434 Depth=1
	v_and_b32_e32 v20, 7, v10
	v_ffbh_u32_e32 v51, v20
	v_min_u32_e32 v51, 32, v51
	v_lshrrev_b32_e32 v27, 3, v21
	v_subrev_u32_e32 v52, 28, v51
	v_sub_u32_e32 v51, 29, v51
	v_cmp_gt_u32_e64 s[0:1], 8, v21
	v_lshlrev_b64 v[52:53], v52, v[10:11]
	v_lshlrev_b32_e32 v10, 8, v10
	v_cndmask_b32_e64 v21, v27, v51, s[0:1]
	v_lshl_add_u32 v21, v21, 10, v36
	v_and_b32_e32 v27, 7, v52
	v_and_or_b32 v10, v10, s30, v21
	v_cndmask_b32_e64 v20, v20, v27, s[0:1]
	v_lshlrev_b32_e32 v10, 16, v10
	v_lshl_or_b32 v20, v20, 23, v10
.LBB242_531:                            ;   in Loop: Header=BB242_434 Depth=1
	s_or_b64 exec, exec, s[20:21]
.LBB242_532:                            ;   in Loop: Header=BB242_434 Depth=1
	s_or_b64 exec, exec, s[18:19]
.LBB242_533:                            ;   in Loop: Header=BB242_434 Depth=1
	s_or_b64 exec, exec, s[16:17]
	v_cvt_f32_f16_sdwa v53, v1 dst_sel:DWORD dst_unused:UNUSED_PAD src0_sel:WORD_1
	v_cvt_f32_f16_sdwa v52, v23 dst_sel:DWORD dst_unused:UNUSED_PAD src0_sel:WORD_1
	v_or_b32_e32 v1, v1, v19
	v_or_b32_e32 v10, v23, v22
	;; [unrolled: 1-line block ×3, first 2 shown]
	s_waitcnt vmcnt(0)
	v_pk_mul_f32 v[22:23], v[18:19], v[52:53] op_sel_hi:[0,1]
	v_cvt_f32_f16_e32 v52, v10
	v_cvt_f32_f16_e32 v53, v1
	v_cvt_pk_f16_f32 v1, v22, v23
	v_and_b32_e32 v19, 0xffff0000, v1
	v_lshlrev_b32_e32 v10, 16, v1
	v_pk_mul_f32 v[22:23], v[18:19], v[52:53] op_sel_hi:[0,1]
	v_cvt_pk_f16_f32 v1, v22, v23
	v_or_b32_e32 v23, v26, v25
	v_cvt_f32_f16_e32 v24, v24
	v_cvt_f32_f16_e32 v25, v23
	v_cvt_f32_f16_sdwa v27, v26 dst_sel:DWORD dst_unused:UNUSED_PAD src0_sel:WORD_1
	v_cvt_f32_f16_sdwa v26, v20 dst_sel:DWORD dst_unused:UNUSED_PAD src0_sel:WORD_1
	v_lshrrev_b32_e32 v21, 16, v1
	v_pk_mul_f32 v[24:25], v[18:19], v[24:25] op_sel_hi:[0,1]
	v_cvt_pk_f16_f32 v51, v24, v25
	v_pk_mul_f32 v[24:25], v[18:19], v[26:27] op_sel_hi:[0,1]
	v_cvt_pk_f16_f32 v18, v24, v25
	v_and_b32_e32 v22, 0xffff, v1
	v_and_b32_e32 v23, 0xffff0000, v18
	v_lshlrev_b32_e32 v18, 16, v18
	v_lshrrev_b32_e32 v25, 16, v51
	v_and_b32_e32 v24, 0xffff, v51
	v_or_b32_e32 v1, v19, v21
	v_or_b32_e32 v20, v10, v22
	;; [unrolled: 1-line block ×4, first 2 shown]
	s_and_saveexec_b64 s[16:17], vcc
	s_cbranch_execz .LBB242_535
; %bb.534:                              ;   in Loop: Header=BB242_434 Depth=1
	v_cmp_gt_i32_e64 s[0:1], s38, v37
	s_nop 1
	v_cndmask_b32_e64 v1, 0, v21, s[0:1]
	v_cmp_gt_i32_e64 s[0:1], s33, v45
	s_nop 1
	v_cndmask_b32_e64 v20, 0, v22, s[0:1]
	;; [unrolled: 3-line block ×3, first 2 shown]
	v_cmp_gt_i32_e64 s[0:1], s33, v42
	v_or_b32_e32 v1, v19, v1
	s_nop 0
	v_cndmask_b32_e64 v10, 0, v10, s[0:1]
	v_cmp_gt_i32_e64 s[0:1], s38, v41
	v_or_b32_e32 v20, v10, v20
	s_nop 0
	v_cndmask_b32_e64 v10, 0, v25, s[0:1]
	v_cmp_gt_i32_e64 s[0:1], s33, v40
	s_nop 1
	v_cndmask_b32_e64 v19, 0, v24, s[0:1]
	v_cmp_gt_i32_e64 s[0:1], s38, v39
	;; [unrolled: 3-line block ×3, first 2 shown]
	v_or_b32_e32 v27, v21, v10
	s_nop 0
	v_cndmask_b32_e64 v18, 0, v18, s[0:1]
	v_or_b32_e32 v26, v18, v19
.LBB242_535:                            ;   in Loop: Header=BB242_434 Depth=1
	s_or_b64 exec, exec, s[16:17]
	;;#ASMSTART
	v_pk_mul_f16 v1, v48, v1;

	;;#ASMEND
	;;#ASMSTART
	v_pk_mul_f16 v10, v47, v20;

	;;#ASMEND
	;; [unrolled: 4-line block ×4, first 2 shown]
	s_nop 0
	;;#ASMSTART
	v_pk_add_f16 v1, v1, v10;

	;;#ASMEND
	s_nop 0
	;;#ASMSTART
	v_pk_add_f16 v1, v1, v18;

	;;#ASMEND
	;; [unrolled: 5-line block ×3, first 2 shown]
	v_mov_b32_e32 v19, 0
	v_lshrrev_b32_e32 v10, 16, v1
	v_and_b32_e32 v1, 0xffff, v1
	;;#ASMSTART
	v_cvt_f32_f16 v51, v1;
	;;#ASMEND
	;;#ASMSTART
	v_cvt_f32_f16 v52, v10;
	;;#ASMEND
	global_load_dwordx2 v[20:21], v[16:17], off offset:1024
	v_mov_b32_e32 v1, 0
	global_load_dword v18, v1, s[14:15]
	s_waitcnt vmcnt(1)
	v_cmp_ne_u16_sdwa s[0:1], v20, v11 src0_sel:BYTE_0 src1_sel:DWORD
	s_and_saveexec_b64 s[16:17], s[0:1]
	s_cbranch_execz .LBB242_541
; %bb.536:                              ;   in Loop: Header=BB242_434 Depth=1
	v_cmp_ne_u16_sdwa s[0:1], v20, s28 src0_sel:BYTE_0 src1_sel:DWORD
	v_mov_b32_e32 v19, 0x8000
	s_and_saveexec_b64 s[18:19], s[0:1]
	s_cbranch_execz .LBB242_540
; %bb.537:                              ;   in Loop: Header=BB242_434 Depth=1
	v_and_b32_e32 v10, 0x7f, v20
	v_cmp_ne_u32_e64 s[0:1], s29, v10
	v_mov_b32_e32 v19, 0x7c01
	s_and_saveexec_b64 s[20:21], s[0:1]
	s_cbranch_execz .LBB242_539
; %bb.538:                              ;   in Loop: Header=BB242_434 Depth=1
	v_and_b32_e32 v19, 7, v20
	v_ffbh_u32_e32 v22, v19
	v_min_u32_e32 v25, 32, v22
	v_subrev_u32_e32 v22, 28, v25
	v_lshlrev_b64 v[22:23], v22, v[20:21]
	v_lshrrev_b32_e32 v24, 3, v10
	v_sub_u32_e32 v23, 29, v25
	v_cmp_gt_u32_e64 s[0:1], 8, v10
	v_and_b32_e32 v22, 7, v22
	s_nop 0
	v_cndmask_b32_e64 v10, v24, v23, s[0:1]
	v_lshl_add_u32 v10, v10, 10, v36
	v_lshlrev_b32_e32 v23, 8, v20
	v_and_b32_e32 v10, 0xfc00, v10
	v_cndmask_b32_e64 v19, v19, v22, s[0:1]
	v_and_or_b32 v10, v23, s30, v10
	v_lshl_or_b32 v19, v19, 7, v10
.LBB242_539:                            ;   in Loop: Header=BB242_434 Depth=1
	s_or_b64 exec, exec, s[20:21]
.LBB242_540:                            ;   in Loop: Header=BB242_434 Depth=1
	s_or_b64 exec, exec, s[18:19]
.LBB242_541:                            ;   in Loop: Header=BB242_434 Depth=1
	s_or_b64 exec, exec, s[16:17]
	v_lshrrev_b16_e32 v10, 8, v20
	v_cmp_ne_u16_e64 s[0:1], 0, v10
	s_and_saveexec_b64 s[16:17], s[0:1]
	s_cbranch_execz .LBB242_547
; %bb.542:                              ;   in Loop: Header=BB242_434 Depth=1
	v_cmp_ne_u16_e64 s[0:1], s28, v10
	v_bfrev_b32_e32 v1, 1
	s_and_saveexec_b64 s[18:19], s[0:1]
	s_cbranch_execz .LBB242_546
; %bb.543:                              ;   in Loop: Header=BB242_434 Depth=1
	v_and_b32_e32 v22, 0x7f, v10
	v_cmp_ne_u32_e64 s[0:1], s29, v22
	v_mov_b32_e32 v1, 0x7c010000
	s_and_saveexec_b64 s[20:21], s[0:1]
	s_cbranch_execz .LBB242_545
; %bb.544:                              ;   in Loop: Header=BB242_434 Depth=1
	v_and_b32_e32 v1, 7, v10
	v_ffbh_u32_e32 v24, v1
	v_min_u32_e32 v26, 32, v24
	v_subrev_u32_e32 v24, 28, v26
	v_lshlrev_b64 v[24:25], v24, v[10:11]
	v_lshrrev_b32_e32 v23, 3, v22
	v_sub_u32_e32 v25, 29, v26
	v_cmp_gt_u32_e64 s[0:1], 8, v22
	v_lshlrev_b32_e32 v10, 8, v10
	s_nop 0
	v_cndmask_b32_e64 v22, v23, v25, s[0:1]
	v_lshl_add_u32 v22, v22, 10, v36
	v_and_b32_e32 v23, 7, v24
	v_and_or_b32 v10, v10, s30, v22
	v_cndmask_b32_e64 v1, v1, v23, s[0:1]
	v_lshlrev_b32_e32 v10, 16, v10
	v_lshl_or_b32 v1, v1, 23, v10
.LBB242_545:                            ;   in Loop: Header=BB242_434 Depth=1
	s_or_b64 exec, exec, s[20:21]
.LBB242_546:                            ;   in Loop: Header=BB242_434 Depth=1
	s_or_b64 exec, exec, s[18:19]
.LBB242_547:                            ;   in Loop: Header=BB242_434 Depth=1
	s_or_b64 exec, exec, s[16:17]
	v_lshrrev_b32_e32 v10, 16, v20
	v_cmp_ne_u16_sdwa s[0:1], v10, v11 src0_sel:BYTE_0 src1_sel:DWORD
	v_mov_b32_e32 v23, 0
	v_mov_b32_e32 v22, 0
	s_and_saveexec_b64 s[16:17], s[0:1]
	s_cbranch_execz .LBB242_553
; %bb.548:                              ;   in Loop: Header=BB242_434 Depth=1
	v_cmp_ne_u16_sdwa s[0:1], v10, s28 src0_sel:BYTE_0 src1_sel:DWORD
	v_mov_b32_e32 v22, 0x8000
	s_and_saveexec_b64 s[18:19], s[0:1]
	s_cbranch_execz .LBB242_552
; %bb.549:                              ;   in Loop: Header=BB242_434 Depth=1
	v_bfe_u32 v24, v20, 16, 7
	v_cmp_ne_u32_e64 s[0:1], s29, v24
	v_mov_b32_e32 v22, 0x7c01
	s_and_saveexec_b64 s[20:21], s[0:1]
	s_cbranch_execz .LBB242_551
; %bb.550:                              ;   in Loop: Header=BB242_434 Depth=1
	v_and_b32_e32 v22, 7, v10
	v_ffbh_u32_e32 v26, v22
	v_min_u32_e32 v53, 32, v26
	v_subrev_u32_e32 v26, 28, v53
	v_lshlrev_b64 v[26:27], v26, v[10:11]
	v_lshrrev_b32_e32 v25, 3, v24
	v_sub_u32_e32 v27, 29, v53
	v_cmp_gt_u32_e64 s[0:1], 8, v24
	v_lshlrev_b32_e32 v10, 8, v10
	s_nop 0
	v_cndmask_b32_e64 v24, v25, v27, s[0:1]
	v_lshl_add_u32 v24, v24, 10, v36
	v_and_b32_e32 v25, 7, v26
	v_and_b32_e32 v24, 0xfc00, v24
	v_cndmask_b32_e64 v22, v22, v25, s[0:1]
	v_and_or_b32 v10, v10, s30, v24
	v_lshl_or_b32 v22, v22, 7, v10
.LBB242_551:                            ;   in Loop: Header=BB242_434 Depth=1
	s_or_b64 exec, exec, s[20:21]
.LBB242_552:                            ;   in Loop: Header=BB242_434 Depth=1
	s_or_b64 exec, exec, s[18:19]
.LBB242_553:                            ;   in Loop: Header=BB242_434 Depth=1
	s_or_b64 exec, exec, s[16:17]
	v_cmp_lt_u32_e64 s[0:1], s7, v20
	s_and_saveexec_b64 s[16:17], s[0:1]
	s_cbranch_execz .LBB242_559
; %bb.554:                              ;   in Loop: Header=BB242_434 Depth=1
	v_lshrrev_b32_e32 v10, 24, v20
	v_cmp_ne_u32_e64 s[0:1], s28, v10
	v_bfrev_b32_e32 v23, 1
	s_and_saveexec_b64 s[18:19], s[0:1]
	s_cbranch_execz .LBB242_558
; %bb.555:                              ;   in Loop: Header=BB242_434 Depth=1
	v_and_b32_e32 v24, 0x7f, v10
	v_cmp_ne_u32_e64 s[0:1], s29, v24
	v_mov_b32_e32 v23, 0x7c010000
	s_and_saveexec_b64 s[20:21], s[0:1]
	s_cbranch_execz .LBB242_557
; %bb.556:                              ;   in Loop: Header=BB242_434 Depth=1
	v_and_b32_e32 v23, 7, v10
	v_ffbh_u32_e32 v26, v23
	v_min_u32_e32 v53, 32, v26
	v_subrev_u32_e32 v26, 28, v53
	v_lshlrev_b64 v[26:27], v26, v[10:11]
	v_lshrrev_b32_e32 v25, 3, v24
	v_sub_u32_e32 v27, 29, v53
	v_cmp_gt_u32_e64 s[0:1], 8, v24
	v_lshlrev_b32_e32 v10, 8, v10
	s_nop 0
	v_cndmask_b32_e64 v24, v25, v27, s[0:1]
	v_lshl_add_u32 v24, v24, 10, v36
	v_and_b32_e32 v25, 7, v26
	v_and_or_b32 v10, v10, s30, v24
	v_cndmask_b32_e64 v23, v23, v25, s[0:1]
	v_lshlrev_b32_e32 v10, 16, v10
	v_lshl_or_b32 v23, v23, 23, v10
.LBB242_557:                            ;   in Loop: Header=BB242_434 Depth=1
	s_or_b64 exec, exec, s[20:21]
.LBB242_558:                            ;   in Loop: Header=BB242_434 Depth=1
	s_or_b64 exec, exec, s[18:19]
.LBB242_559:                            ;   in Loop: Header=BB242_434 Depth=1
	s_or_b64 exec, exec, s[16:17]
	v_mov_b32_e32 v10, v21
	v_cmp_ne_u16_sdwa s[0:1], v21, v11 src0_sel:BYTE_0 src1_sel:DWORD
	v_mov_b32_e32 v24, 0
	v_mov_b32_e32 v25, 0
	s_and_saveexec_b64 s[16:17], s[0:1]
	s_cbranch_execz .LBB242_565
; %bb.560:                              ;   in Loop: Header=BB242_434 Depth=1
	v_cmp_ne_u16_sdwa s[0:1], v21, s28 src0_sel:BYTE_0 src1_sel:DWORD
	v_mov_b32_e32 v25, 0x8000
	s_and_saveexec_b64 s[18:19], s[0:1]
	s_cbranch_execz .LBB242_564
; %bb.561:                              ;   in Loop: Header=BB242_434 Depth=1
	v_and_b32_e32 v26, 0x7f, v21
	v_cmp_ne_u32_e64 s[0:1], s29, v26
	v_mov_b32_e32 v25, 0x7c01
	s_and_saveexec_b64 s[20:21], s[0:1]
	s_cbranch_execz .LBB242_563
; %bb.562:                              ;   in Loop: Header=BB242_434 Depth=1
	v_and_b32_e32 v25, 7, v21
	v_ffbh_u32_e32 v53, v25
	v_min_u32_e32 v53, 32, v53
	v_lshrrev_b32_e32 v27, 3, v26
	v_subrev_u32_e32 v54, 28, v53
	v_sub_u32_e32 v53, 29, v53
	v_cmp_gt_u32_e64 s[0:1], 8, v26
	v_lshlrev_b64 v[54:55], v54, v[10:11]
	s_nop 0
	v_cndmask_b32_e64 v26, v27, v53, s[0:1]
	v_lshl_add_u32 v26, v26, 10, v36
	v_lshlrev_b32_e32 v27, 8, v21
	v_and_b32_e32 v53, 7, v54
	v_and_b32_e32 v26, 0xfc00, v26
	v_cndmask_b32_e64 v25, v25, v53, s[0:1]
	v_and_or_b32 v26, v27, s30, v26
	v_lshl_or_b32 v25, v25, 7, v26
.LBB242_563:                            ;   in Loop: Header=BB242_434 Depth=1
	s_or_b64 exec, exec, s[20:21]
.LBB242_564:                            ;   in Loop: Header=BB242_434 Depth=1
	s_or_b64 exec, exec, s[18:19]
.LBB242_565:                            ;   in Loop: Header=BB242_434 Depth=1
	s_or_b64 exec, exec, s[16:17]
	v_lshrrev_b16_e32 v10, 8, v10
	v_cmp_ne_u16_e64 s[0:1], 0, v10
	v_mov_b32_e32 v26, 0
	s_and_saveexec_b64 s[16:17], s[0:1]
	s_cbranch_execz .LBB242_571
; %bb.566:                              ;   in Loop: Header=BB242_434 Depth=1
	v_cmp_ne_u16_e64 s[0:1], s28, v10
	v_bfrev_b32_e32 v26, 1
	s_and_saveexec_b64 s[18:19], s[0:1]
	s_cbranch_execz .LBB242_570
; %bb.567:                              ;   in Loop: Header=BB242_434 Depth=1
	v_and_b32_e32 v27, 0x7f, v10
	v_cmp_ne_u32_e64 s[0:1], s29, v27
	v_mov_b32_e32 v26, 0x7c010000
	s_and_saveexec_b64 s[20:21], s[0:1]
	s_cbranch_execz .LBB242_569
; %bb.568:                              ;   in Loop: Header=BB242_434 Depth=1
	v_and_b32_e32 v26, 7, v10
	v_ffbh_u32_e32 v54, v26
	v_min_u32_e32 v56, 32, v54
	v_subrev_u32_e32 v54, 28, v56
	v_lshlrev_b64 v[54:55], v54, v[10:11]
	v_lshrrev_b32_e32 v53, 3, v27
	v_sub_u32_e32 v55, 29, v56
	v_cmp_gt_u32_e64 s[0:1], 8, v27
	v_lshlrev_b32_e32 v10, 8, v10
	s_nop 0
	v_cndmask_b32_e64 v27, v53, v55, s[0:1]
	v_lshl_add_u32 v27, v27, 10, v36
	v_and_b32_e32 v53, 7, v54
	v_and_or_b32 v10, v10, s30, v27
	v_cndmask_b32_e64 v26, v26, v53, s[0:1]
	v_lshlrev_b32_e32 v10, 16, v10
	v_lshl_or_b32 v26, v26, 23, v10
.LBB242_569:                            ;   in Loop: Header=BB242_434 Depth=1
	s_or_b64 exec, exec, s[20:21]
.LBB242_570:                            ;   in Loop: Header=BB242_434 Depth=1
	s_or_b64 exec, exec, s[18:19]
.LBB242_571:                            ;   in Loop: Header=BB242_434 Depth=1
	s_or_b64 exec, exec, s[16:17]
	v_lshrrev_b32_e32 v10, 16, v21
	v_cmp_ne_u16_sdwa s[0:1], v10, v11 src0_sel:BYTE_0 src1_sel:DWORD
	s_and_saveexec_b64 s[16:17], s[0:1]
	s_cbranch_execz .LBB242_577
; %bb.572:                              ;   in Loop: Header=BB242_434 Depth=1
	v_cmp_ne_u16_sdwa s[0:1], v10, s28 src0_sel:BYTE_0 src1_sel:DWORD
	v_mov_b32_e32 v24, 0x8000
	s_and_saveexec_b64 s[18:19], s[0:1]
	s_cbranch_execz .LBB242_576
; %bb.573:                              ;   in Loop: Header=BB242_434 Depth=1
	v_bfe_u32 v27, v21, 16, 7
	v_cmp_ne_u32_e64 s[0:1], s29, v27
	v_mov_b32_e32 v24, 0x7c01
	s_and_saveexec_b64 s[20:21], s[0:1]
	s_cbranch_execz .LBB242_575
; %bb.574:                              ;   in Loop: Header=BB242_434 Depth=1
	v_and_b32_e32 v24, 7, v10
	v_ffbh_u32_e32 v54, v24
	v_min_u32_e32 v56, 32, v54
	v_subrev_u32_e32 v54, 28, v56
	v_lshlrev_b64 v[54:55], v54, v[10:11]
	v_lshrrev_b32_e32 v53, 3, v27
	v_sub_u32_e32 v55, 29, v56
	v_cmp_gt_u32_e64 s[0:1], 8, v27
	v_lshlrev_b32_e32 v10, 8, v10
	s_nop 0
	v_cndmask_b32_e64 v27, v53, v55, s[0:1]
	v_lshl_add_u32 v27, v27, 10, v36
	v_and_b32_e32 v53, 7, v54
	v_and_b32_e32 v27, 0xfc00, v27
	v_cndmask_b32_e64 v24, v24, v53, s[0:1]
	v_and_or_b32 v10, v10, s30, v27
	v_lshl_or_b32 v24, v24, 7, v10
.LBB242_575:                            ;   in Loop: Header=BB242_434 Depth=1
	s_or_b64 exec, exec, s[20:21]
.LBB242_576:                            ;   in Loop: Header=BB242_434 Depth=1
	s_or_b64 exec, exec, s[18:19]
.LBB242_577:                            ;   in Loop: Header=BB242_434 Depth=1
	s_or_b64 exec, exec, s[16:17]
	v_cmp_lt_u64_e64 s[0:1], s[6:7], v[20:21]
	v_mov_b32_e32 v20, 0
	s_and_saveexec_b64 s[16:17], s[0:1]
	s_cbranch_execz .LBB242_583
; %bb.578:                              ;   in Loop: Header=BB242_434 Depth=1
	v_lshrrev_b32_e32 v10, 24, v21
	v_cmp_ne_u32_e64 s[0:1], s28, v10
	v_bfrev_b32_e32 v20, 1
	s_and_saveexec_b64 s[18:19], s[0:1]
	s_cbranch_execz .LBB242_582
; %bb.579:                              ;   in Loop: Header=BB242_434 Depth=1
	v_and_b32_e32 v21, 0x7f, v10
	v_cmp_ne_u32_e64 s[0:1], s29, v21
	v_mov_b32_e32 v20, 0x7c010000
	s_and_saveexec_b64 s[20:21], s[0:1]
	s_cbranch_execz .LBB242_581
; %bb.580:                              ;   in Loop: Header=BB242_434 Depth=1
	v_and_b32_e32 v20, 7, v10
	v_ffbh_u32_e32 v53, v20
	v_min_u32_e32 v53, 32, v53
	v_lshrrev_b32_e32 v27, 3, v21
	v_subrev_u32_e32 v54, 28, v53
	v_sub_u32_e32 v53, 29, v53
	v_cmp_gt_u32_e64 s[0:1], 8, v21
	v_lshlrev_b64 v[54:55], v54, v[10:11]
	v_lshlrev_b32_e32 v10, 8, v10
	v_cndmask_b32_e64 v21, v27, v53, s[0:1]
	v_lshl_add_u32 v21, v21, 10, v36
	v_and_b32_e32 v27, 7, v54
	v_and_or_b32 v10, v10, s30, v21
	v_cndmask_b32_e64 v20, v20, v27, s[0:1]
	v_lshlrev_b32_e32 v10, 16, v10
	v_lshl_or_b32 v20, v20, 23, v10
.LBB242_581:                            ;   in Loop: Header=BB242_434 Depth=1
	s_or_b64 exec, exec, s[20:21]
.LBB242_582:                            ;   in Loop: Header=BB242_434 Depth=1
	s_or_b64 exec, exec, s[18:19]
.LBB242_583:                            ;   in Loop: Header=BB242_434 Depth=1
	s_or_b64 exec, exec, s[16:17]
	v_cvt_f32_f16_sdwa v55, v1 dst_sel:DWORD dst_unused:UNUSED_PAD src0_sel:WORD_1
	v_cvt_f32_f16_sdwa v54, v23 dst_sel:DWORD dst_unused:UNUSED_PAD src0_sel:WORD_1
	v_or_b32_e32 v1, v1, v19
	v_or_b32_e32 v10, v23, v22
	;; [unrolled: 1-line block ×3, first 2 shown]
	s_waitcnt vmcnt(0)
	v_pk_mul_f32 v[22:23], v[18:19], v[54:55] op_sel_hi:[0,1]
	v_cvt_f32_f16_e32 v54, v10
	v_cvt_f32_f16_e32 v55, v1
	v_cvt_pk_f16_f32 v1, v22, v23
	v_and_b32_e32 v19, 0xffff0000, v1
	v_lshlrev_b32_e32 v10, 16, v1
	v_pk_mul_f32 v[22:23], v[18:19], v[54:55] op_sel_hi:[0,1]
	v_cvt_pk_f16_f32 v1, v22, v23
	v_or_b32_e32 v23, v26, v25
	v_cvt_f32_f16_e32 v24, v24
	v_cvt_f32_f16_e32 v25, v23
	v_cvt_f32_f16_sdwa v27, v26 dst_sel:DWORD dst_unused:UNUSED_PAD src0_sel:WORD_1
	v_cvt_f32_f16_sdwa v26, v20 dst_sel:DWORD dst_unused:UNUSED_PAD src0_sel:WORD_1
	v_lshrrev_b32_e32 v21, 16, v1
	v_pk_mul_f32 v[24:25], v[18:19], v[24:25] op_sel_hi:[0,1]
	v_cvt_pk_f16_f32 v53, v24, v25
	v_pk_mul_f32 v[24:25], v[18:19], v[26:27] op_sel_hi:[0,1]
	v_cvt_pk_f16_f32 v18, v24, v25
	v_and_b32_e32 v22, 0xffff, v1
	v_and_b32_e32 v23, 0xffff0000, v18
	v_lshlrev_b32_e32 v18, 16, v18
	v_lshrrev_b32_e32 v25, 16, v53
	v_and_b32_e32 v24, 0xffff, v53
	v_or_b32_e32 v1, v19, v21
	v_or_b32_e32 v20, v10, v22
	;; [unrolled: 1-line block ×4, first 2 shown]
	s_and_saveexec_b64 s[16:17], vcc
	s_cbranch_execz .LBB242_585
; %bb.584:                              ;   in Loop: Header=BB242_434 Depth=1
	v_cmp_gt_i32_e64 s[0:1], s38, v37
	s_nop 1
	v_cndmask_b32_e64 v1, 0, v21, s[0:1]
	v_cmp_gt_i32_e64 s[0:1], s33, v45
	s_nop 1
	v_cndmask_b32_e64 v20, 0, v22, s[0:1]
	;; [unrolled: 3-line block ×3, first 2 shown]
	v_cmp_gt_i32_e64 s[0:1], s33, v42
	v_or_b32_e32 v1, v19, v1
	s_nop 0
	v_cndmask_b32_e64 v10, 0, v10, s[0:1]
	v_cmp_gt_i32_e64 s[0:1], s38, v41
	v_or_b32_e32 v20, v10, v20
	s_nop 0
	v_cndmask_b32_e64 v10, 0, v25, s[0:1]
	v_cmp_gt_i32_e64 s[0:1], s33, v40
	s_nop 1
	v_cndmask_b32_e64 v19, 0, v24, s[0:1]
	v_cmp_gt_i32_e64 s[0:1], s38, v39
	;; [unrolled: 3-line block ×3, first 2 shown]
	v_or_b32_e32 v27, v21, v10
	s_nop 0
	v_cndmask_b32_e64 v18, 0, v18, s[0:1]
	v_or_b32_e32 v26, v18, v19
.LBB242_585:                            ;   in Loop: Header=BB242_434 Depth=1
	s_or_b64 exec, exec, s[16:17]
	;;#ASMSTART
	v_pk_mul_f16 v1, v48, v1;

	;;#ASMEND
	;;#ASMSTART
	v_pk_mul_f16 v10, v47, v20;

	;;#ASMEND
	;; [unrolled: 4-line block ×4, first 2 shown]
	s_nop 0
	;;#ASMSTART
	v_pk_add_f16 v1, v1, v10;

	;;#ASMEND
	s_nop 0
	;;#ASMSTART
	v_pk_add_f16 v1, v1, v18;

	;;#ASMEND
	;; [unrolled: 5-line block ×3, first 2 shown]
	v_mov_b32_e32 v19, 0
	v_lshrrev_b32_e32 v10, 16, v1
	v_and_b32_e32 v1, 0xffff, v1
	;;#ASMSTART
	v_cvt_f32_f16 v53, v1;
	;;#ASMEND
	;;#ASMSTART
	v_cvt_f32_f16 v54, v10;
	;;#ASMEND
	global_load_dwordx2 v[20:21], v[16:17], off offset:1536
	v_mov_b32_e32 v1, 0
	global_load_dword v18, v1, s[14:15]
	s_waitcnt vmcnt(1)
	v_cmp_ne_u16_sdwa s[0:1], v20, v11 src0_sel:BYTE_0 src1_sel:DWORD
	s_and_saveexec_b64 s[16:17], s[0:1]
	s_cbranch_execz .LBB242_591
; %bb.586:                              ;   in Loop: Header=BB242_434 Depth=1
	v_cmp_ne_u16_sdwa s[0:1], v20, s28 src0_sel:BYTE_0 src1_sel:DWORD
	v_mov_b32_e32 v19, 0x8000
	s_and_saveexec_b64 s[18:19], s[0:1]
	s_cbranch_execz .LBB242_590
; %bb.587:                              ;   in Loop: Header=BB242_434 Depth=1
	v_and_b32_e32 v10, 0x7f, v20
	v_cmp_ne_u32_e64 s[0:1], s29, v10
	v_mov_b32_e32 v19, 0x7c01
	s_and_saveexec_b64 s[20:21], s[0:1]
	s_cbranch_execz .LBB242_589
; %bb.588:                              ;   in Loop: Header=BB242_434 Depth=1
	v_and_b32_e32 v19, 7, v20
	v_ffbh_u32_e32 v22, v19
	v_min_u32_e32 v25, 32, v22
	v_subrev_u32_e32 v22, 28, v25
	v_lshlrev_b64 v[22:23], v22, v[20:21]
	v_lshrrev_b32_e32 v24, 3, v10
	v_sub_u32_e32 v23, 29, v25
	v_cmp_gt_u32_e64 s[0:1], 8, v10
	v_and_b32_e32 v22, 7, v22
	s_nop 0
	v_cndmask_b32_e64 v10, v24, v23, s[0:1]
	v_lshl_add_u32 v10, v10, 10, v36
	v_lshlrev_b32_e32 v23, 8, v20
	v_and_b32_e32 v10, 0xfc00, v10
	v_cndmask_b32_e64 v19, v19, v22, s[0:1]
	v_and_or_b32 v10, v23, s30, v10
	v_lshl_or_b32 v19, v19, 7, v10
.LBB242_589:                            ;   in Loop: Header=BB242_434 Depth=1
	s_or_b64 exec, exec, s[20:21]
.LBB242_590:                            ;   in Loop: Header=BB242_434 Depth=1
	s_or_b64 exec, exec, s[18:19]
.LBB242_591:                            ;   in Loop: Header=BB242_434 Depth=1
	s_or_b64 exec, exec, s[16:17]
	v_lshrrev_b16_e32 v10, 8, v20
	v_cmp_ne_u16_e64 s[0:1], 0, v10
	s_and_saveexec_b64 s[16:17], s[0:1]
	s_cbranch_execz .LBB242_597
; %bb.592:                              ;   in Loop: Header=BB242_434 Depth=1
	v_cmp_ne_u16_e64 s[0:1], s28, v10
	v_bfrev_b32_e32 v1, 1
	s_and_saveexec_b64 s[18:19], s[0:1]
	s_cbranch_execz .LBB242_596
; %bb.593:                              ;   in Loop: Header=BB242_434 Depth=1
	v_and_b32_e32 v22, 0x7f, v10
	v_cmp_ne_u32_e64 s[0:1], s29, v22
	v_mov_b32_e32 v1, 0x7c010000
	s_and_saveexec_b64 s[20:21], s[0:1]
	s_cbranch_execz .LBB242_595
; %bb.594:                              ;   in Loop: Header=BB242_434 Depth=1
	v_and_b32_e32 v1, 7, v10
	v_ffbh_u32_e32 v24, v1
	v_min_u32_e32 v26, 32, v24
	v_subrev_u32_e32 v24, 28, v26
	v_lshlrev_b64 v[24:25], v24, v[10:11]
	v_lshrrev_b32_e32 v23, 3, v22
	v_sub_u32_e32 v25, 29, v26
	v_cmp_gt_u32_e64 s[0:1], 8, v22
	v_lshlrev_b32_e32 v10, 8, v10
	s_nop 0
	v_cndmask_b32_e64 v22, v23, v25, s[0:1]
	v_lshl_add_u32 v22, v22, 10, v36
	v_and_b32_e32 v23, 7, v24
	v_and_or_b32 v10, v10, s30, v22
	v_cndmask_b32_e64 v1, v1, v23, s[0:1]
	v_lshlrev_b32_e32 v10, 16, v10
	v_lshl_or_b32 v1, v1, 23, v10
.LBB242_595:                            ;   in Loop: Header=BB242_434 Depth=1
	s_or_b64 exec, exec, s[20:21]
.LBB242_596:                            ;   in Loop: Header=BB242_434 Depth=1
	s_or_b64 exec, exec, s[18:19]
.LBB242_597:                            ;   in Loop: Header=BB242_434 Depth=1
	s_or_b64 exec, exec, s[16:17]
	v_lshrrev_b32_e32 v10, 16, v20
	v_cmp_ne_u16_sdwa s[0:1], v10, v11 src0_sel:BYTE_0 src1_sel:DWORD
	v_mov_b32_e32 v23, 0
	v_mov_b32_e32 v22, 0
	s_and_saveexec_b64 s[16:17], s[0:1]
	s_cbranch_execz .LBB242_603
; %bb.598:                              ;   in Loop: Header=BB242_434 Depth=1
	v_cmp_ne_u16_sdwa s[0:1], v10, s28 src0_sel:BYTE_0 src1_sel:DWORD
	v_mov_b32_e32 v22, 0x8000
	s_and_saveexec_b64 s[18:19], s[0:1]
	s_cbranch_execz .LBB242_602
; %bb.599:                              ;   in Loop: Header=BB242_434 Depth=1
	v_bfe_u32 v24, v20, 16, 7
	v_cmp_ne_u32_e64 s[0:1], s29, v24
	v_mov_b32_e32 v22, 0x7c01
	s_and_saveexec_b64 s[20:21], s[0:1]
	s_cbranch_execz .LBB242_601
; %bb.600:                              ;   in Loop: Header=BB242_434 Depth=1
	v_and_b32_e32 v22, 7, v10
	v_ffbh_u32_e32 v26, v22
	v_min_u32_e32 v55, 32, v26
	v_subrev_u32_e32 v26, 28, v55
	v_lshlrev_b64 v[26:27], v26, v[10:11]
	v_lshrrev_b32_e32 v25, 3, v24
	v_sub_u32_e32 v27, 29, v55
	v_cmp_gt_u32_e64 s[0:1], 8, v24
	v_lshlrev_b32_e32 v10, 8, v10
	s_nop 0
	v_cndmask_b32_e64 v24, v25, v27, s[0:1]
	v_lshl_add_u32 v24, v24, 10, v36
	v_and_b32_e32 v25, 7, v26
	v_and_b32_e32 v24, 0xfc00, v24
	v_cndmask_b32_e64 v22, v22, v25, s[0:1]
	v_and_or_b32 v10, v10, s30, v24
	v_lshl_or_b32 v22, v22, 7, v10
.LBB242_601:                            ;   in Loop: Header=BB242_434 Depth=1
	s_or_b64 exec, exec, s[20:21]
.LBB242_602:                            ;   in Loop: Header=BB242_434 Depth=1
	s_or_b64 exec, exec, s[18:19]
.LBB242_603:                            ;   in Loop: Header=BB242_434 Depth=1
	s_or_b64 exec, exec, s[16:17]
	v_cmp_lt_u32_e64 s[0:1], s7, v20
	s_and_saveexec_b64 s[16:17], s[0:1]
	s_cbranch_execz .LBB242_609
; %bb.604:                              ;   in Loop: Header=BB242_434 Depth=1
	v_lshrrev_b32_e32 v10, 24, v20
	v_cmp_ne_u32_e64 s[0:1], s28, v10
	v_bfrev_b32_e32 v23, 1
	s_and_saveexec_b64 s[18:19], s[0:1]
	s_cbranch_execz .LBB242_608
; %bb.605:                              ;   in Loop: Header=BB242_434 Depth=1
	v_and_b32_e32 v24, 0x7f, v10
	v_cmp_ne_u32_e64 s[0:1], s29, v24
	v_mov_b32_e32 v23, 0x7c010000
	s_and_saveexec_b64 s[20:21], s[0:1]
	s_cbranch_execz .LBB242_607
; %bb.606:                              ;   in Loop: Header=BB242_434 Depth=1
	v_and_b32_e32 v23, 7, v10
	v_ffbh_u32_e32 v26, v23
	v_min_u32_e32 v55, 32, v26
	v_subrev_u32_e32 v26, 28, v55
	v_lshlrev_b64 v[26:27], v26, v[10:11]
	v_lshrrev_b32_e32 v25, 3, v24
	v_sub_u32_e32 v27, 29, v55
	v_cmp_gt_u32_e64 s[0:1], 8, v24
	v_lshlrev_b32_e32 v10, 8, v10
	s_nop 0
	v_cndmask_b32_e64 v24, v25, v27, s[0:1]
	v_lshl_add_u32 v24, v24, 10, v36
	v_and_b32_e32 v25, 7, v26
	v_and_or_b32 v10, v10, s30, v24
	v_cndmask_b32_e64 v23, v23, v25, s[0:1]
	v_lshlrev_b32_e32 v10, 16, v10
	v_lshl_or_b32 v23, v23, 23, v10
.LBB242_607:                            ;   in Loop: Header=BB242_434 Depth=1
	s_or_b64 exec, exec, s[20:21]
.LBB242_608:                            ;   in Loop: Header=BB242_434 Depth=1
	s_or_b64 exec, exec, s[18:19]
.LBB242_609:                            ;   in Loop: Header=BB242_434 Depth=1
	s_or_b64 exec, exec, s[16:17]
	v_mov_b32_e32 v10, v21
	v_cmp_ne_u16_sdwa s[0:1], v21, v11 src0_sel:BYTE_0 src1_sel:DWORD
	v_mov_b32_e32 v24, 0
	v_mov_b32_e32 v25, 0
	s_and_saveexec_b64 s[16:17], s[0:1]
	s_cbranch_execz .LBB242_615
; %bb.610:                              ;   in Loop: Header=BB242_434 Depth=1
	v_cmp_ne_u16_sdwa s[0:1], v21, s28 src0_sel:BYTE_0 src1_sel:DWORD
	v_mov_b32_e32 v25, 0x8000
	s_and_saveexec_b64 s[18:19], s[0:1]
	s_cbranch_execz .LBB242_614
; %bb.611:                              ;   in Loop: Header=BB242_434 Depth=1
	v_and_b32_e32 v26, 0x7f, v21
	v_cmp_ne_u32_e64 s[0:1], s29, v26
	v_mov_b32_e32 v25, 0x7c01
	s_and_saveexec_b64 s[20:21], s[0:1]
	s_cbranch_execz .LBB242_613
; %bb.612:                              ;   in Loop: Header=BB242_434 Depth=1
	v_and_b32_e32 v25, 7, v21
	v_ffbh_u32_e32 v55, v25
	v_min_u32_e32 v55, 32, v55
	v_lshrrev_b32_e32 v27, 3, v26
	v_subrev_u32_e32 v56, 28, v55
	v_sub_u32_e32 v55, 29, v55
	v_cmp_gt_u32_e64 s[0:1], 8, v26
	v_lshlrev_b64 v[56:57], v56, v[10:11]
	s_nop 0
	v_cndmask_b32_e64 v26, v27, v55, s[0:1]
	v_lshl_add_u32 v26, v26, 10, v36
	v_lshlrev_b32_e32 v27, 8, v21
	v_and_b32_e32 v55, 7, v56
	v_and_b32_e32 v26, 0xfc00, v26
	v_cndmask_b32_e64 v25, v25, v55, s[0:1]
	v_and_or_b32 v26, v27, s30, v26
	v_lshl_or_b32 v25, v25, 7, v26
.LBB242_613:                            ;   in Loop: Header=BB242_434 Depth=1
	s_or_b64 exec, exec, s[20:21]
.LBB242_614:                            ;   in Loop: Header=BB242_434 Depth=1
	s_or_b64 exec, exec, s[18:19]
.LBB242_615:                            ;   in Loop: Header=BB242_434 Depth=1
	s_or_b64 exec, exec, s[16:17]
	v_lshrrev_b16_e32 v10, 8, v10
	v_cmp_ne_u16_e64 s[0:1], 0, v10
	v_mov_b32_e32 v26, 0
	s_and_saveexec_b64 s[16:17], s[0:1]
	s_cbranch_execz .LBB242_621
; %bb.616:                              ;   in Loop: Header=BB242_434 Depth=1
	v_cmp_ne_u16_e64 s[0:1], s28, v10
	v_bfrev_b32_e32 v26, 1
	s_and_saveexec_b64 s[18:19], s[0:1]
	s_cbranch_execz .LBB242_620
; %bb.617:                              ;   in Loop: Header=BB242_434 Depth=1
	v_and_b32_e32 v27, 0x7f, v10
	v_cmp_ne_u32_e64 s[0:1], s29, v27
	v_mov_b32_e32 v26, 0x7c010000
	s_and_saveexec_b64 s[20:21], s[0:1]
	s_cbranch_execz .LBB242_619
; %bb.618:                              ;   in Loop: Header=BB242_434 Depth=1
	v_and_b32_e32 v26, 7, v10
	v_ffbh_u32_e32 v56, v26
	v_min_u32_e32 v58, 32, v56
	v_subrev_u32_e32 v56, 28, v58
	v_lshlrev_b64 v[56:57], v56, v[10:11]
	v_lshrrev_b32_e32 v55, 3, v27
	v_sub_u32_e32 v57, 29, v58
	v_cmp_gt_u32_e64 s[0:1], 8, v27
	v_lshlrev_b32_e32 v10, 8, v10
	s_nop 0
	v_cndmask_b32_e64 v27, v55, v57, s[0:1]
	v_lshl_add_u32 v27, v27, 10, v36
	v_and_b32_e32 v55, 7, v56
	v_and_or_b32 v10, v10, s30, v27
	v_cndmask_b32_e64 v26, v26, v55, s[0:1]
	v_lshlrev_b32_e32 v10, 16, v10
	v_lshl_or_b32 v26, v26, 23, v10
.LBB242_619:                            ;   in Loop: Header=BB242_434 Depth=1
	s_or_b64 exec, exec, s[20:21]
.LBB242_620:                            ;   in Loop: Header=BB242_434 Depth=1
	s_or_b64 exec, exec, s[18:19]
.LBB242_621:                            ;   in Loop: Header=BB242_434 Depth=1
	s_or_b64 exec, exec, s[16:17]
	v_lshrrev_b32_e32 v10, 16, v21
	v_cmp_ne_u16_sdwa s[0:1], v10, v11 src0_sel:BYTE_0 src1_sel:DWORD
	s_and_saveexec_b64 s[16:17], s[0:1]
	s_cbranch_execz .LBB242_627
; %bb.622:                              ;   in Loop: Header=BB242_434 Depth=1
	v_cmp_ne_u16_sdwa s[0:1], v10, s28 src0_sel:BYTE_0 src1_sel:DWORD
	v_mov_b32_e32 v24, 0x8000
	s_and_saveexec_b64 s[18:19], s[0:1]
	s_cbranch_execz .LBB242_626
; %bb.623:                              ;   in Loop: Header=BB242_434 Depth=1
	v_bfe_u32 v27, v21, 16, 7
	v_cmp_ne_u32_e64 s[0:1], s29, v27
	v_mov_b32_e32 v24, 0x7c01
	s_and_saveexec_b64 s[20:21], s[0:1]
	s_cbranch_execz .LBB242_625
; %bb.624:                              ;   in Loop: Header=BB242_434 Depth=1
	v_and_b32_e32 v24, 7, v10
	v_ffbh_u32_e32 v56, v24
	v_min_u32_e32 v58, 32, v56
	v_subrev_u32_e32 v56, 28, v58
	v_lshlrev_b64 v[56:57], v56, v[10:11]
	v_lshrrev_b32_e32 v55, 3, v27
	v_sub_u32_e32 v57, 29, v58
	v_cmp_gt_u32_e64 s[0:1], 8, v27
	v_lshlrev_b32_e32 v10, 8, v10
	s_nop 0
	v_cndmask_b32_e64 v27, v55, v57, s[0:1]
	v_lshl_add_u32 v27, v27, 10, v36
	v_and_b32_e32 v55, 7, v56
	v_and_b32_e32 v27, 0xfc00, v27
	v_cndmask_b32_e64 v24, v24, v55, s[0:1]
	v_and_or_b32 v10, v10, s30, v27
	v_lshl_or_b32 v24, v24, 7, v10
.LBB242_625:                            ;   in Loop: Header=BB242_434 Depth=1
	s_or_b64 exec, exec, s[20:21]
.LBB242_626:                            ;   in Loop: Header=BB242_434 Depth=1
	s_or_b64 exec, exec, s[18:19]
.LBB242_627:                            ;   in Loop: Header=BB242_434 Depth=1
	s_or_b64 exec, exec, s[16:17]
	v_cmp_lt_u64_e64 s[0:1], s[6:7], v[20:21]
	v_mov_b32_e32 v20, 0
	s_and_saveexec_b64 s[16:17], s[0:1]
	s_cbranch_execz .LBB242_633
; %bb.628:                              ;   in Loop: Header=BB242_434 Depth=1
	v_lshrrev_b32_e32 v10, 24, v21
	v_cmp_ne_u32_e64 s[0:1], s28, v10
	v_bfrev_b32_e32 v20, 1
	s_and_saveexec_b64 s[18:19], s[0:1]
	s_cbranch_execz .LBB242_632
; %bb.629:                              ;   in Loop: Header=BB242_434 Depth=1
	v_and_b32_e32 v21, 0x7f, v10
	v_cmp_ne_u32_e64 s[0:1], s29, v21
	v_mov_b32_e32 v20, 0x7c010000
	s_and_saveexec_b64 s[20:21], s[0:1]
	s_cbranch_execz .LBB242_631
; %bb.630:                              ;   in Loop: Header=BB242_434 Depth=1
	v_and_b32_e32 v20, 7, v10
	v_ffbh_u32_e32 v55, v20
	v_min_u32_e32 v55, 32, v55
	v_lshrrev_b32_e32 v27, 3, v21
	v_subrev_u32_e32 v56, 28, v55
	v_sub_u32_e32 v55, 29, v55
	v_cmp_gt_u32_e64 s[0:1], 8, v21
	v_lshlrev_b64 v[56:57], v56, v[10:11]
	v_lshlrev_b32_e32 v10, 8, v10
	v_cndmask_b32_e64 v21, v27, v55, s[0:1]
	v_lshl_add_u32 v21, v21, 10, v36
	v_and_b32_e32 v27, 7, v56
	v_and_or_b32 v10, v10, s30, v21
	v_cndmask_b32_e64 v20, v20, v27, s[0:1]
	v_lshlrev_b32_e32 v10, 16, v10
	v_lshl_or_b32 v20, v20, 23, v10
.LBB242_631:                            ;   in Loop: Header=BB242_434 Depth=1
	s_or_b64 exec, exec, s[20:21]
.LBB242_632:                            ;   in Loop: Header=BB242_434 Depth=1
	s_or_b64 exec, exec, s[18:19]
.LBB242_633:                            ;   in Loop: Header=BB242_434 Depth=1
	s_or_b64 exec, exec, s[16:17]
	v_cvt_f32_f16_sdwa v57, v1 dst_sel:DWORD dst_unused:UNUSED_PAD src0_sel:WORD_1
	v_cvt_f32_f16_sdwa v56, v23 dst_sel:DWORD dst_unused:UNUSED_PAD src0_sel:WORD_1
	v_or_b32_e32 v1, v1, v19
	v_or_b32_e32 v10, v23, v22
	;; [unrolled: 1-line block ×3, first 2 shown]
	s_waitcnt vmcnt(0)
	v_pk_mul_f32 v[22:23], v[18:19], v[56:57] op_sel_hi:[0,1]
	v_cvt_f32_f16_e32 v56, v10
	v_cvt_f32_f16_e32 v57, v1
	v_cvt_pk_f16_f32 v1, v22, v23
	v_and_b32_e32 v19, 0xffff0000, v1
	v_lshlrev_b32_e32 v10, 16, v1
	v_pk_mul_f32 v[22:23], v[18:19], v[56:57] op_sel_hi:[0,1]
	v_cvt_pk_f16_f32 v1, v22, v23
	v_or_b32_e32 v23, v26, v25
	v_cvt_f32_f16_e32 v24, v24
	v_cvt_f32_f16_e32 v25, v23
	v_cvt_f32_f16_sdwa v27, v26 dst_sel:DWORD dst_unused:UNUSED_PAD src0_sel:WORD_1
	v_cvt_f32_f16_sdwa v26, v20 dst_sel:DWORD dst_unused:UNUSED_PAD src0_sel:WORD_1
	v_lshrrev_b32_e32 v21, 16, v1
	v_pk_mul_f32 v[24:25], v[18:19], v[24:25] op_sel_hi:[0,1]
	v_cvt_pk_f16_f32 v55, v24, v25
	v_pk_mul_f32 v[24:25], v[18:19], v[26:27] op_sel_hi:[0,1]
	v_cvt_pk_f16_f32 v18, v24, v25
	v_and_b32_e32 v22, 0xffff, v1
	v_and_b32_e32 v23, 0xffff0000, v18
	v_lshlrev_b32_e32 v18, 16, v18
	v_lshrrev_b32_e32 v25, 16, v55
	v_and_b32_e32 v24, 0xffff, v55
	v_or_b32_e32 v1, v19, v21
	v_or_b32_e32 v20, v10, v22
	;; [unrolled: 1-line block ×4, first 2 shown]
	s_and_saveexec_b64 s[16:17], vcc
	s_cbranch_execz .LBB242_635
; %bb.634:                              ;   in Loop: Header=BB242_434 Depth=1
	v_cmp_gt_i32_e64 s[0:1], s38, v37
	s_nop 1
	v_cndmask_b32_e64 v1, 0, v21, s[0:1]
	v_cmp_gt_i32_e64 s[0:1], s33, v45
	s_nop 1
	v_cndmask_b32_e64 v20, 0, v22, s[0:1]
	;; [unrolled: 3-line block ×3, first 2 shown]
	v_cmp_gt_i32_e64 s[0:1], s33, v42
	v_or_b32_e32 v1, v19, v1
	s_nop 0
	v_cndmask_b32_e64 v10, 0, v10, s[0:1]
	v_cmp_gt_i32_e64 s[0:1], s38, v41
	v_or_b32_e32 v20, v10, v20
	s_nop 0
	v_cndmask_b32_e64 v10, 0, v25, s[0:1]
	v_cmp_gt_i32_e64 s[0:1], s33, v40
	s_nop 1
	v_cndmask_b32_e64 v19, 0, v24, s[0:1]
	v_cmp_gt_i32_e64 s[0:1], s38, v39
	;; [unrolled: 3-line block ×3, first 2 shown]
	v_or_b32_e32 v27, v21, v10
	s_nop 0
	v_cndmask_b32_e64 v18, 0, v18, s[0:1]
	v_or_b32_e32 v26, v18, v19
.LBB242_635:                            ;   in Loop: Header=BB242_434 Depth=1
	s_or_b64 exec, exec, s[16:17]
	;;#ASMSTART
	v_pk_mul_f16 v1, v48, v1;

	;;#ASMEND
	;;#ASMSTART
	v_pk_mul_f16 v10, v47, v20;

	;;#ASMEND
	;;#ASMSTART
	v_pk_mul_f16 v18, v46, v27;

	;;#ASMEND
	;;#ASMSTART
	v_pk_mul_f16 v19, v44, v26;

	;;#ASMEND
	s_nop 0
	;;#ASMSTART
	v_pk_add_f16 v1, v1, v10;

	;;#ASMEND
	s_nop 0
	;;#ASMSTART
	v_pk_add_f16 v1, v1, v18;

	;;#ASMEND
	;; [unrolled: 5-line block ×3, first 2 shown]
	v_mov_b32_e32 v19, 0
	v_lshrrev_b32_e32 v10, 16, v1
	v_and_b32_e32 v1, 0xffff, v1
	;;#ASMSTART
	v_cvt_f32_f16 v55, v1;
	;;#ASMEND
	;;#ASMSTART
	v_cvt_f32_f16 v56, v10;
	;;#ASMEND
	global_load_dwordx2 v[20:21], v[16:17], off offset:2048
	v_mov_b32_e32 v1, 0
	global_load_dword v18, v1, s[14:15]
	s_waitcnt vmcnt(1)
	v_cmp_ne_u16_sdwa s[0:1], v20, v11 src0_sel:BYTE_0 src1_sel:DWORD
	s_and_saveexec_b64 s[16:17], s[0:1]
	s_cbranch_execz .LBB242_641
; %bb.636:                              ;   in Loop: Header=BB242_434 Depth=1
	v_cmp_ne_u16_sdwa s[0:1], v20, s28 src0_sel:BYTE_0 src1_sel:DWORD
	v_mov_b32_e32 v19, 0x8000
	s_and_saveexec_b64 s[18:19], s[0:1]
	s_cbranch_execz .LBB242_640
; %bb.637:                              ;   in Loop: Header=BB242_434 Depth=1
	v_and_b32_e32 v10, 0x7f, v20
	v_cmp_ne_u32_e64 s[0:1], s29, v10
	v_mov_b32_e32 v19, 0x7c01
	s_and_saveexec_b64 s[20:21], s[0:1]
	s_cbranch_execz .LBB242_639
; %bb.638:                              ;   in Loop: Header=BB242_434 Depth=1
	v_and_b32_e32 v19, 7, v20
	v_ffbh_u32_e32 v22, v19
	v_min_u32_e32 v25, 32, v22
	v_subrev_u32_e32 v22, 28, v25
	v_lshlrev_b64 v[22:23], v22, v[20:21]
	v_lshrrev_b32_e32 v24, 3, v10
	v_sub_u32_e32 v23, 29, v25
	v_cmp_gt_u32_e64 s[0:1], 8, v10
	v_and_b32_e32 v22, 7, v22
	s_nop 0
	v_cndmask_b32_e64 v10, v24, v23, s[0:1]
	v_lshl_add_u32 v10, v10, 10, v36
	v_lshlrev_b32_e32 v23, 8, v20
	v_and_b32_e32 v10, 0xfc00, v10
	v_cndmask_b32_e64 v19, v19, v22, s[0:1]
	v_and_or_b32 v10, v23, s30, v10
	v_lshl_or_b32 v19, v19, 7, v10
.LBB242_639:                            ;   in Loop: Header=BB242_434 Depth=1
	s_or_b64 exec, exec, s[20:21]
.LBB242_640:                            ;   in Loop: Header=BB242_434 Depth=1
	s_or_b64 exec, exec, s[18:19]
.LBB242_641:                            ;   in Loop: Header=BB242_434 Depth=1
	s_or_b64 exec, exec, s[16:17]
	v_lshrrev_b16_e32 v10, 8, v20
	v_cmp_ne_u16_e64 s[0:1], 0, v10
	s_and_saveexec_b64 s[16:17], s[0:1]
	s_cbranch_execz .LBB242_647
; %bb.642:                              ;   in Loop: Header=BB242_434 Depth=1
	v_cmp_ne_u16_e64 s[0:1], s28, v10
	v_bfrev_b32_e32 v1, 1
	s_and_saveexec_b64 s[18:19], s[0:1]
	s_cbranch_execz .LBB242_646
; %bb.643:                              ;   in Loop: Header=BB242_434 Depth=1
	v_and_b32_e32 v22, 0x7f, v10
	v_cmp_ne_u32_e64 s[0:1], s29, v22
	v_mov_b32_e32 v1, 0x7c010000
	s_and_saveexec_b64 s[20:21], s[0:1]
	s_cbranch_execz .LBB242_645
; %bb.644:                              ;   in Loop: Header=BB242_434 Depth=1
	v_and_b32_e32 v1, 7, v10
	v_ffbh_u32_e32 v24, v1
	v_min_u32_e32 v26, 32, v24
	v_subrev_u32_e32 v24, 28, v26
	v_lshlrev_b64 v[24:25], v24, v[10:11]
	v_lshrrev_b32_e32 v23, 3, v22
	v_sub_u32_e32 v25, 29, v26
	v_cmp_gt_u32_e64 s[0:1], 8, v22
	v_lshlrev_b32_e32 v10, 8, v10
	s_nop 0
	v_cndmask_b32_e64 v22, v23, v25, s[0:1]
	v_lshl_add_u32 v22, v22, 10, v36
	v_and_b32_e32 v23, 7, v24
	v_and_or_b32 v10, v10, s30, v22
	v_cndmask_b32_e64 v1, v1, v23, s[0:1]
	v_lshlrev_b32_e32 v10, 16, v10
	v_lshl_or_b32 v1, v1, 23, v10
.LBB242_645:                            ;   in Loop: Header=BB242_434 Depth=1
	s_or_b64 exec, exec, s[20:21]
.LBB242_646:                            ;   in Loop: Header=BB242_434 Depth=1
	s_or_b64 exec, exec, s[18:19]
.LBB242_647:                            ;   in Loop: Header=BB242_434 Depth=1
	s_or_b64 exec, exec, s[16:17]
	v_lshrrev_b32_e32 v10, 16, v20
	v_cmp_ne_u16_sdwa s[0:1], v10, v11 src0_sel:BYTE_0 src1_sel:DWORD
	v_mov_b32_e32 v23, 0
	v_mov_b32_e32 v22, 0
	s_and_saveexec_b64 s[16:17], s[0:1]
	s_cbranch_execz .LBB242_653
; %bb.648:                              ;   in Loop: Header=BB242_434 Depth=1
	v_cmp_ne_u16_sdwa s[0:1], v10, s28 src0_sel:BYTE_0 src1_sel:DWORD
	v_mov_b32_e32 v22, 0x8000
	s_and_saveexec_b64 s[18:19], s[0:1]
	s_cbranch_execz .LBB242_652
; %bb.649:                              ;   in Loop: Header=BB242_434 Depth=1
	v_bfe_u32 v24, v20, 16, 7
	v_cmp_ne_u32_e64 s[0:1], s29, v24
	v_mov_b32_e32 v22, 0x7c01
	s_and_saveexec_b64 s[20:21], s[0:1]
	s_cbranch_execz .LBB242_651
; %bb.650:                              ;   in Loop: Header=BB242_434 Depth=1
	v_and_b32_e32 v22, 7, v10
	v_ffbh_u32_e32 v26, v22
	v_min_u32_e32 v57, 32, v26
	v_subrev_u32_e32 v26, 28, v57
	v_lshlrev_b64 v[26:27], v26, v[10:11]
	v_lshrrev_b32_e32 v25, 3, v24
	v_sub_u32_e32 v27, 29, v57
	v_cmp_gt_u32_e64 s[0:1], 8, v24
	v_lshlrev_b32_e32 v10, 8, v10
	s_nop 0
	v_cndmask_b32_e64 v24, v25, v27, s[0:1]
	v_lshl_add_u32 v24, v24, 10, v36
	v_and_b32_e32 v25, 7, v26
	v_and_b32_e32 v24, 0xfc00, v24
	v_cndmask_b32_e64 v22, v22, v25, s[0:1]
	v_and_or_b32 v10, v10, s30, v24
	v_lshl_or_b32 v22, v22, 7, v10
.LBB242_651:                            ;   in Loop: Header=BB242_434 Depth=1
	s_or_b64 exec, exec, s[20:21]
.LBB242_652:                            ;   in Loop: Header=BB242_434 Depth=1
	s_or_b64 exec, exec, s[18:19]
.LBB242_653:                            ;   in Loop: Header=BB242_434 Depth=1
	s_or_b64 exec, exec, s[16:17]
	v_cmp_lt_u32_e64 s[0:1], s7, v20
	s_and_saveexec_b64 s[16:17], s[0:1]
	s_cbranch_execz .LBB242_659
; %bb.654:                              ;   in Loop: Header=BB242_434 Depth=1
	v_lshrrev_b32_e32 v10, 24, v20
	v_cmp_ne_u32_e64 s[0:1], s28, v10
	v_bfrev_b32_e32 v23, 1
	s_and_saveexec_b64 s[18:19], s[0:1]
	s_cbranch_execz .LBB242_658
; %bb.655:                              ;   in Loop: Header=BB242_434 Depth=1
	v_and_b32_e32 v24, 0x7f, v10
	v_cmp_ne_u32_e64 s[0:1], s29, v24
	v_mov_b32_e32 v23, 0x7c010000
	s_and_saveexec_b64 s[20:21], s[0:1]
	s_cbranch_execz .LBB242_657
; %bb.656:                              ;   in Loop: Header=BB242_434 Depth=1
	v_and_b32_e32 v23, 7, v10
	v_ffbh_u32_e32 v26, v23
	v_min_u32_e32 v57, 32, v26
	v_subrev_u32_e32 v26, 28, v57
	v_lshlrev_b64 v[26:27], v26, v[10:11]
	v_lshrrev_b32_e32 v25, 3, v24
	v_sub_u32_e32 v27, 29, v57
	v_cmp_gt_u32_e64 s[0:1], 8, v24
	v_lshlrev_b32_e32 v10, 8, v10
	s_nop 0
	v_cndmask_b32_e64 v24, v25, v27, s[0:1]
	v_lshl_add_u32 v24, v24, 10, v36
	v_and_b32_e32 v25, 7, v26
	v_and_or_b32 v10, v10, s30, v24
	v_cndmask_b32_e64 v23, v23, v25, s[0:1]
	v_lshlrev_b32_e32 v10, 16, v10
	v_lshl_or_b32 v23, v23, 23, v10
.LBB242_657:                            ;   in Loop: Header=BB242_434 Depth=1
	s_or_b64 exec, exec, s[20:21]
.LBB242_658:                            ;   in Loop: Header=BB242_434 Depth=1
	s_or_b64 exec, exec, s[18:19]
.LBB242_659:                            ;   in Loop: Header=BB242_434 Depth=1
	s_or_b64 exec, exec, s[16:17]
	v_mov_b32_e32 v10, v21
	v_cmp_ne_u16_sdwa s[0:1], v21, v11 src0_sel:BYTE_0 src1_sel:DWORD
	v_mov_b32_e32 v24, 0
	v_mov_b32_e32 v25, 0
	s_and_saveexec_b64 s[16:17], s[0:1]
	s_cbranch_execz .LBB242_665
; %bb.660:                              ;   in Loop: Header=BB242_434 Depth=1
	v_cmp_ne_u16_sdwa s[0:1], v21, s28 src0_sel:BYTE_0 src1_sel:DWORD
	v_mov_b32_e32 v25, 0x8000
	s_and_saveexec_b64 s[18:19], s[0:1]
	s_cbranch_execz .LBB242_664
; %bb.661:                              ;   in Loop: Header=BB242_434 Depth=1
	v_and_b32_e32 v26, 0x7f, v21
	v_cmp_ne_u32_e64 s[0:1], s29, v26
	v_mov_b32_e32 v25, 0x7c01
	s_and_saveexec_b64 s[20:21], s[0:1]
	s_cbranch_execz .LBB242_663
; %bb.662:                              ;   in Loop: Header=BB242_434 Depth=1
	v_and_b32_e32 v25, 7, v21
	v_ffbh_u32_e32 v57, v25
	v_min_u32_e32 v57, 32, v57
	v_lshrrev_b32_e32 v27, 3, v26
	v_subrev_u32_e32 v58, 28, v57
	v_sub_u32_e32 v57, 29, v57
	v_cmp_gt_u32_e64 s[0:1], 8, v26
	v_lshlrev_b64 v[58:59], v58, v[10:11]
	s_nop 0
	v_cndmask_b32_e64 v26, v27, v57, s[0:1]
	v_lshl_add_u32 v26, v26, 10, v36
	v_lshlrev_b32_e32 v27, 8, v21
	v_and_b32_e32 v57, 7, v58
	v_and_b32_e32 v26, 0xfc00, v26
	v_cndmask_b32_e64 v25, v25, v57, s[0:1]
	v_and_or_b32 v26, v27, s30, v26
	v_lshl_or_b32 v25, v25, 7, v26
.LBB242_663:                            ;   in Loop: Header=BB242_434 Depth=1
	s_or_b64 exec, exec, s[20:21]
.LBB242_664:                            ;   in Loop: Header=BB242_434 Depth=1
	s_or_b64 exec, exec, s[18:19]
.LBB242_665:                            ;   in Loop: Header=BB242_434 Depth=1
	s_or_b64 exec, exec, s[16:17]
	v_lshrrev_b16_e32 v10, 8, v10
	v_cmp_ne_u16_e64 s[0:1], 0, v10
	v_mov_b32_e32 v26, 0
	s_and_saveexec_b64 s[16:17], s[0:1]
	s_cbranch_execz .LBB242_671
; %bb.666:                              ;   in Loop: Header=BB242_434 Depth=1
	v_cmp_ne_u16_e64 s[0:1], s28, v10
	v_bfrev_b32_e32 v26, 1
	s_and_saveexec_b64 s[18:19], s[0:1]
	s_cbranch_execz .LBB242_670
; %bb.667:                              ;   in Loop: Header=BB242_434 Depth=1
	v_and_b32_e32 v27, 0x7f, v10
	v_cmp_ne_u32_e64 s[0:1], s29, v27
	v_mov_b32_e32 v26, 0x7c010000
	s_and_saveexec_b64 s[20:21], s[0:1]
	s_cbranch_execz .LBB242_669
; %bb.668:                              ;   in Loop: Header=BB242_434 Depth=1
	v_and_b32_e32 v26, 7, v10
	v_ffbh_u32_e32 v58, v26
	v_min_u32_e32 v60, 32, v58
	v_subrev_u32_e32 v58, 28, v60
	v_lshlrev_b64 v[58:59], v58, v[10:11]
	v_lshrrev_b32_e32 v57, 3, v27
	v_sub_u32_e32 v59, 29, v60
	v_cmp_gt_u32_e64 s[0:1], 8, v27
	v_lshlrev_b32_e32 v10, 8, v10
	s_nop 0
	v_cndmask_b32_e64 v27, v57, v59, s[0:1]
	v_lshl_add_u32 v27, v27, 10, v36
	v_and_b32_e32 v57, 7, v58
	v_and_or_b32 v10, v10, s30, v27
	v_cndmask_b32_e64 v26, v26, v57, s[0:1]
	v_lshlrev_b32_e32 v10, 16, v10
	v_lshl_or_b32 v26, v26, 23, v10
.LBB242_669:                            ;   in Loop: Header=BB242_434 Depth=1
	s_or_b64 exec, exec, s[20:21]
.LBB242_670:                            ;   in Loop: Header=BB242_434 Depth=1
	s_or_b64 exec, exec, s[18:19]
.LBB242_671:                            ;   in Loop: Header=BB242_434 Depth=1
	s_or_b64 exec, exec, s[16:17]
	v_lshrrev_b32_e32 v10, 16, v21
	v_cmp_ne_u16_sdwa s[0:1], v10, v11 src0_sel:BYTE_0 src1_sel:DWORD
	s_and_saveexec_b64 s[16:17], s[0:1]
	s_cbranch_execz .LBB242_677
; %bb.672:                              ;   in Loop: Header=BB242_434 Depth=1
	v_cmp_ne_u16_sdwa s[0:1], v10, s28 src0_sel:BYTE_0 src1_sel:DWORD
	v_mov_b32_e32 v24, 0x8000
	s_and_saveexec_b64 s[18:19], s[0:1]
	s_cbranch_execz .LBB242_676
; %bb.673:                              ;   in Loop: Header=BB242_434 Depth=1
	v_bfe_u32 v27, v21, 16, 7
	v_cmp_ne_u32_e64 s[0:1], s29, v27
	v_mov_b32_e32 v24, 0x7c01
	s_and_saveexec_b64 s[20:21], s[0:1]
	s_cbranch_execz .LBB242_675
; %bb.674:                              ;   in Loop: Header=BB242_434 Depth=1
	v_and_b32_e32 v24, 7, v10
	v_ffbh_u32_e32 v58, v24
	v_min_u32_e32 v60, 32, v58
	v_subrev_u32_e32 v58, 28, v60
	v_lshlrev_b64 v[58:59], v58, v[10:11]
	v_lshrrev_b32_e32 v57, 3, v27
	v_sub_u32_e32 v59, 29, v60
	v_cmp_gt_u32_e64 s[0:1], 8, v27
	v_lshlrev_b32_e32 v10, 8, v10
	s_nop 0
	v_cndmask_b32_e64 v27, v57, v59, s[0:1]
	v_lshl_add_u32 v27, v27, 10, v36
	v_and_b32_e32 v57, 7, v58
	v_and_b32_e32 v27, 0xfc00, v27
	v_cndmask_b32_e64 v24, v24, v57, s[0:1]
	v_and_or_b32 v10, v10, s30, v27
	v_lshl_or_b32 v24, v24, 7, v10
.LBB242_675:                            ;   in Loop: Header=BB242_434 Depth=1
	s_or_b64 exec, exec, s[20:21]
.LBB242_676:                            ;   in Loop: Header=BB242_434 Depth=1
	s_or_b64 exec, exec, s[18:19]
.LBB242_677:                            ;   in Loop: Header=BB242_434 Depth=1
	s_or_b64 exec, exec, s[16:17]
	v_cmp_lt_u64_e64 s[0:1], s[6:7], v[20:21]
	v_mov_b32_e32 v20, 0
	s_and_saveexec_b64 s[16:17], s[0:1]
	s_cbranch_execz .LBB242_683
; %bb.678:                              ;   in Loop: Header=BB242_434 Depth=1
	v_lshrrev_b32_e32 v10, 24, v21
	v_cmp_ne_u32_e64 s[0:1], s28, v10
	v_bfrev_b32_e32 v20, 1
	s_and_saveexec_b64 s[18:19], s[0:1]
	s_cbranch_execz .LBB242_682
; %bb.679:                              ;   in Loop: Header=BB242_434 Depth=1
	v_and_b32_e32 v21, 0x7f, v10
	v_cmp_ne_u32_e64 s[0:1], s29, v21
	v_mov_b32_e32 v20, 0x7c010000
	s_and_saveexec_b64 s[20:21], s[0:1]
	s_cbranch_execz .LBB242_681
; %bb.680:                              ;   in Loop: Header=BB242_434 Depth=1
	v_and_b32_e32 v20, 7, v10
	v_ffbh_u32_e32 v57, v20
	v_min_u32_e32 v57, 32, v57
	v_lshrrev_b32_e32 v27, 3, v21
	v_subrev_u32_e32 v58, 28, v57
	v_sub_u32_e32 v57, 29, v57
	v_cmp_gt_u32_e64 s[0:1], 8, v21
	v_lshlrev_b64 v[58:59], v58, v[10:11]
	v_lshlrev_b32_e32 v10, 8, v10
	v_cndmask_b32_e64 v21, v27, v57, s[0:1]
	v_lshl_add_u32 v21, v21, 10, v36
	v_and_b32_e32 v27, 7, v58
	v_and_or_b32 v10, v10, s30, v21
	v_cndmask_b32_e64 v20, v20, v27, s[0:1]
	v_lshlrev_b32_e32 v10, 16, v10
	v_lshl_or_b32 v20, v20, 23, v10
.LBB242_681:                            ;   in Loop: Header=BB242_434 Depth=1
	s_or_b64 exec, exec, s[20:21]
.LBB242_682:                            ;   in Loop: Header=BB242_434 Depth=1
	s_or_b64 exec, exec, s[18:19]
.LBB242_683:                            ;   in Loop: Header=BB242_434 Depth=1
	s_or_b64 exec, exec, s[16:17]
	v_cvt_f32_f16_sdwa v59, v1 dst_sel:DWORD dst_unused:UNUSED_PAD src0_sel:WORD_1
	v_cvt_f32_f16_sdwa v58, v23 dst_sel:DWORD dst_unused:UNUSED_PAD src0_sel:WORD_1
	v_or_b32_e32 v1, v1, v19
	v_or_b32_e32 v10, v23, v22
	;; [unrolled: 1-line block ×3, first 2 shown]
	s_waitcnt vmcnt(0)
	v_pk_mul_f32 v[22:23], v[18:19], v[58:59] op_sel_hi:[0,1]
	v_cvt_f32_f16_e32 v58, v10
	v_cvt_f32_f16_e32 v59, v1
	v_cvt_pk_f16_f32 v1, v22, v23
	v_and_b32_e32 v19, 0xffff0000, v1
	v_lshlrev_b32_e32 v10, 16, v1
	v_pk_mul_f32 v[22:23], v[18:19], v[58:59] op_sel_hi:[0,1]
	v_cvt_pk_f16_f32 v1, v22, v23
	v_or_b32_e32 v23, v26, v25
	v_cvt_f32_f16_e32 v24, v24
	v_cvt_f32_f16_e32 v25, v23
	v_cvt_f32_f16_sdwa v27, v26 dst_sel:DWORD dst_unused:UNUSED_PAD src0_sel:WORD_1
	v_cvt_f32_f16_sdwa v26, v20 dst_sel:DWORD dst_unused:UNUSED_PAD src0_sel:WORD_1
	v_lshrrev_b32_e32 v21, 16, v1
	v_pk_mul_f32 v[24:25], v[18:19], v[24:25] op_sel_hi:[0,1]
	v_cvt_pk_f16_f32 v57, v24, v25
	v_pk_mul_f32 v[24:25], v[18:19], v[26:27] op_sel_hi:[0,1]
	v_cvt_pk_f16_f32 v18, v24, v25
	v_and_b32_e32 v22, 0xffff, v1
	v_and_b32_e32 v23, 0xffff0000, v18
	v_lshlrev_b32_e32 v18, 16, v18
	v_lshrrev_b32_e32 v25, 16, v57
	v_and_b32_e32 v24, 0xffff, v57
	v_or_b32_e32 v1, v19, v21
	v_or_b32_e32 v20, v10, v22
	;; [unrolled: 1-line block ×4, first 2 shown]
	s_and_saveexec_b64 s[16:17], vcc
	s_cbranch_execz .LBB242_685
; %bb.684:                              ;   in Loop: Header=BB242_434 Depth=1
	v_cmp_gt_i32_e64 s[0:1], s38, v37
	s_nop 1
	v_cndmask_b32_e64 v1, 0, v21, s[0:1]
	v_cmp_gt_i32_e64 s[0:1], s33, v45
	s_nop 1
	v_cndmask_b32_e64 v20, 0, v22, s[0:1]
	;; [unrolled: 3-line block ×3, first 2 shown]
	v_cmp_gt_i32_e64 s[0:1], s33, v42
	v_or_b32_e32 v1, v19, v1
	s_nop 0
	v_cndmask_b32_e64 v10, 0, v10, s[0:1]
	v_cmp_gt_i32_e64 s[0:1], s38, v41
	v_or_b32_e32 v20, v10, v20
	s_nop 0
	v_cndmask_b32_e64 v10, 0, v25, s[0:1]
	v_cmp_gt_i32_e64 s[0:1], s33, v40
	s_nop 1
	v_cndmask_b32_e64 v19, 0, v24, s[0:1]
	v_cmp_gt_i32_e64 s[0:1], s38, v39
	;; [unrolled: 3-line block ×3, first 2 shown]
	v_or_b32_e32 v27, v21, v10
	s_nop 0
	v_cndmask_b32_e64 v18, 0, v18, s[0:1]
	v_or_b32_e32 v26, v18, v19
.LBB242_685:                            ;   in Loop: Header=BB242_434 Depth=1
	s_or_b64 exec, exec, s[16:17]
	;;#ASMSTART
	v_pk_mul_f16 v1, v48, v1;

	;;#ASMEND
	;;#ASMSTART
	v_pk_mul_f16 v10, v47, v20;

	;;#ASMEND
	;; [unrolled: 4-line block ×4, first 2 shown]
	s_nop 0
	;;#ASMSTART
	v_pk_add_f16 v1, v1, v10;

	;;#ASMEND
	s_nop 0
	;;#ASMSTART
	v_pk_add_f16 v1, v1, v18;

	;;#ASMEND
	;; [unrolled: 5-line block ×3, first 2 shown]
	v_mov_b32_e32 v19, 0
	v_lshrrev_b32_e32 v10, 16, v1
	v_and_b32_e32 v1, 0xffff, v1
	;;#ASMSTART
	v_cvt_f32_f16 v57, v1;
	;;#ASMEND
	;;#ASMSTART
	v_cvt_f32_f16 v58, v10;
	;;#ASMEND
	global_load_dwordx2 v[20:21], v[16:17], off offset:2560
	v_mov_b32_e32 v1, 0
	global_load_dword v18, v1, s[14:15]
	s_waitcnt vmcnt(1)
	v_cmp_ne_u16_sdwa s[0:1], v20, v11 src0_sel:BYTE_0 src1_sel:DWORD
	s_and_saveexec_b64 s[16:17], s[0:1]
	s_cbranch_execz .LBB242_691
; %bb.686:                              ;   in Loop: Header=BB242_434 Depth=1
	v_cmp_ne_u16_sdwa s[0:1], v20, s28 src0_sel:BYTE_0 src1_sel:DWORD
	v_mov_b32_e32 v19, 0x8000
	s_and_saveexec_b64 s[18:19], s[0:1]
	s_cbranch_execz .LBB242_690
; %bb.687:                              ;   in Loop: Header=BB242_434 Depth=1
	v_and_b32_e32 v10, 0x7f, v20
	v_cmp_ne_u32_e64 s[0:1], s29, v10
	v_mov_b32_e32 v19, 0x7c01
	s_and_saveexec_b64 s[20:21], s[0:1]
	s_cbranch_execz .LBB242_689
; %bb.688:                              ;   in Loop: Header=BB242_434 Depth=1
	v_and_b32_e32 v19, 7, v20
	v_ffbh_u32_e32 v22, v19
	v_min_u32_e32 v25, 32, v22
	v_subrev_u32_e32 v22, 28, v25
	v_lshlrev_b64 v[22:23], v22, v[20:21]
	v_lshrrev_b32_e32 v24, 3, v10
	v_sub_u32_e32 v23, 29, v25
	v_cmp_gt_u32_e64 s[0:1], 8, v10
	v_and_b32_e32 v22, 7, v22
	s_nop 0
	v_cndmask_b32_e64 v10, v24, v23, s[0:1]
	v_lshl_add_u32 v10, v10, 10, v36
	v_lshlrev_b32_e32 v23, 8, v20
	v_and_b32_e32 v10, 0xfc00, v10
	v_cndmask_b32_e64 v19, v19, v22, s[0:1]
	v_and_or_b32 v10, v23, s30, v10
	v_lshl_or_b32 v19, v19, 7, v10
.LBB242_689:                            ;   in Loop: Header=BB242_434 Depth=1
	s_or_b64 exec, exec, s[20:21]
.LBB242_690:                            ;   in Loop: Header=BB242_434 Depth=1
	s_or_b64 exec, exec, s[18:19]
.LBB242_691:                            ;   in Loop: Header=BB242_434 Depth=1
	s_or_b64 exec, exec, s[16:17]
	v_lshrrev_b16_e32 v10, 8, v20
	v_cmp_ne_u16_e64 s[0:1], 0, v10
	s_and_saveexec_b64 s[16:17], s[0:1]
	s_cbranch_execz .LBB242_697
; %bb.692:                              ;   in Loop: Header=BB242_434 Depth=1
	v_cmp_ne_u16_e64 s[0:1], s28, v10
	v_bfrev_b32_e32 v1, 1
	s_and_saveexec_b64 s[18:19], s[0:1]
	s_cbranch_execz .LBB242_696
; %bb.693:                              ;   in Loop: Header=BB242_434 Depth=1
	v_and_b32_e32 v22, 0x7f, v10
	v_cmp_ne_u32_e64 s[0:1], s29, v22
	v_mov_b32_e32 v1, 0x7c010000
	s_and_saveexec_b64 s[20:21], s[0:1]
	s_cbranch_execz .LBB242_695
; %bb.694:                              ;   in Loop: Header=BB242_434 Depth=1
	v_and_b32_e32 v1, 7, v10
	v_ffbh_u32_e32 v24, v1
	v_min_u32_e32 v26, 32, v24
	v_subrev_u32_e32 v24, 28, v26
	v_lshlrev_b64 v[24:25], v24, v[10:11]
	v_lshrrev_b32_e32 v23, 3, v22
	v_sub_u32_e32 v25, 29, v26
	v_cmp_gt_u32_e64 s[0:1], 8, v22
	v_lshlrev_b32_e32 v10, 8, v10
	s_nop 0
	v_cndmask_b32_e64 v22, v23, v25, s[0:1]
	v_lshl_add_u32 v22, v22, 10, v36
	v_and_b32_e32 v23, 7, v24
	v_and_or_b32 v10, v10, s30, v22
	v_cndmask_b32_e64 v1, v1, v23, s[0:1]
	v_lshlrev_b32_e32 v10, 16, v10
	v_lshl_or_b32 v1, v1, 23, v10
.LBB242_695:                            ;   in Loop: Header=BB242_434 Depth=1
	s_or_b64 exec, exec, s[20:21]
.LBB242_696:                            ;   in Loop: Header=BB242_434 Depth=1
	s_or_b64 exec, exec, s[18:19]
.LBB242_697:                            ;   in Loop: Header=BB242_434 Depth=1
	s_or_b64 exec, exec, s[16:17]
	v_lshrrev_b32_e32 v10, 16, v20
	v_cmp_ne_u16_sdwa s[0:1], v10, v11 src0_sel:BYTE_0 src1_sel:DWORD
	v_mov_b32_e32 v23, 0
	v_mov_b32_e32 v22, 0
	s_and_saveexec_b64 s[16:17], s[0:1]
	s_cbranch_execz .LBB242_703
; %bb.698:                              ;   in Loop: Header=BB242_434 Depth=1
	v_cmp_ne_u16_sdwa s[0:1], v10, s28 src0_sel:BYTE_0 src1_sel:DWORD
	v_mov_b32_e32 v22, 0x8000
	s_and_saveexec_b64 s[18:19], s[0:1]
	s_cbranch_execz .LBB242_702
; %bb.699:                              ;   in Loop: Header=BB242_434 Depth=1
	v_bfe_u32 v24, v20, 16, 7
	v_cmp_ne_u32_e64 s[0:1], s29, v24
	v_mov_b32_e32 v22, 0x7c01
	s_and_saveexec_b64 s[20:21], s[0:1]
	s_cbranch_execz .LBB242_701
; %bb.700:                              ;   in Loop: Header=BB242_434 Depth=1
	v_and_b32_e32 v22, 7, v10
	v_ffbh_u32_e32 v26, v22
	v_min_u32_e32 v59, 32, v26
	v_subrev_u32_e32 v26, 28, v59
	v_lshlrev_b64 v[26:27], v26, v[10:11]
	v_lshrrev_b32_e32 v25, 3, v24
	v_sub_u32_e32 v27, 29, v59
	v_cmp_gt_u32_e64 s[0:1], 8, v24
	v_lshlrev_b32_e32 v10, 8, v10
	s_nop 0
	v_cndmask_b32_e64 v24, v25, v27, s[0:1]
	v_lshl_add_u32 v24, v24, 10, v36
	v_and_b32_e32 v25, 7, v26
	v_and_b32_e32 v24, 0xfc00, v24
	v_cndmask_b32_e64 v22, v22, v25, s[0:1]
	v_and_or_b32 v10, v10, s30, v24
	v_lshl_or_b32 v22, v22, 7, v10
.LBB242_701:                            ;   in Loop: Header=BB242_434 Depth=1
	s_or_b64 exec, exec, s[20:21]
.LBB242_702:                            ;   in Loop: Header=BB242_434 Depth=1
	s_or_b64 exec, exec, s[18:19]
.LBB242_703:                            ;   in Loop: Header=BB242_434 Depth=1
	s_or_b64 exec, exec, s[16:17]
	v_cmp_lt_u32_e64 s[0:1], s7, v20
	s_and_saveexec_b64 s[16:17], s[0:1]
	s_cbranch_execz .LBB242_709
; %bb.704:                              ;   in Loop: Header=BB242_434 Depth=1
	v_lshrrev_b32_e32 v10, 24, v20
	v_cmp_ne_u32_e64 s[0:1], s28, v10
	v_bfrev_b32_e32 v23, 1
	s_and_saveexec_b64 s[18:19], s[0:1]
	s_cbranch_execz .LBB242_708
; %bb.705:                              ;   in Loop: Header=BB242_434 Depth=1
	v_and_b32_e32 v24, 0x7f, v10
	v_cmp_ne_u32_e64 s[0:1], s29, v24
	v_mov_b32_e32 v23, 0x7c010000
	s_and_saveexec_b64 s[20:21], s[0:1]
	s_cbranch_execz .LBB242_707
; %bb.706:                              ;   in Loop: Header=BB242_434 Depth=1
	v_and_b32_e32 v23, 7, v10
	v_ffbh_u32_e32 v26, v23
	v_min_u32_e32 v59, 32, v26
	v_subrev_u32_e32 v26, 28, v59
	v_lshlrev_b64 v[26:27], v26, v[10:11]
	v_lshrrev_b32_e32 v25, 3, v24
	v_sub_u32_e32 v27, 29, v59
	v_cmp_gt_u32_e64 s[0:1], 8, v24
	v_lshlrev_b32_e32 v10, 8, v10
	s_nop 0
	v_cndmask_b32_e64 v24, v25, v27, s[0:1]
	v_lshl_add_u32 v24, v24, 10, v36
	v_and_b32_e32 v25, 7, v26
	v_and_or_b32 v10, v10, s30, v24
	v_cndmask_b32_e64 v23, v23, v25, s[0:1]
	v_lshlrev_b32_e32 v10, 16, v10
	v_lshl_or_b32 v23, v23, 23, v10
.LBB242_707:                            ;   in Loop: Header=BB242_434 Depth=1
	s_or_b64 exec, exec, s[20:21]
.LBB242_708:                            ;   in Loop: Header=BB242_434 Depth=1
	s_or_b64 exec, exec, s[18:19]
.LBB242_709:                            ;   in Loop: Header=BB242_434 Depth=1
	s_or_b64 exec, exec, s[16:17]
	v_mov_b32_e32 v10, v21
	v_cmp_ne_u16_sdwa s[0:1], v21, v11 src0_sel:BYTE_0 src1_sel:DWORD
	v_mov_b32_e32 v24, 0
	v_mov_b32_e32 v25, 0
	s_and_saveexec_b64 s[16:17], s[0:1]
	s_cbranch_execz .LBB242_715
; %bb.710:                              ;   in Loop: Header=BB242_434 Depth=1
	v_cmp_ne_u16_sdwa s[0:1], v21, s28 src0_sel:BYTE_0 src1_sel:DWORD
	v_mov_b32_e32 v25, 0x8000
	s_and_saveexec_b64 s[18:19], s[0:1]
	s_cbranch_execz .LBB242_714
; %bb.711:                              ;   in Loop: Header=BB242_434 Depth=1
	v_and_b32_e32 v26, 0x7f, v21
	v_cmp_ne_u32_e64 s[0:1], s29, v26
	v_mov_b32_e32 v25, 0x7c01
	s_and_saveexec_b64 s[20:21], s[0:1]
	s_cbranch_execz .LBB242_713
; %bb.712:                              ;   in Loop: Header=BB242_434 Depth=1
	v_and_b32_e32 v25, 7, v21
	v_ffbh_u32_e32 v59, v25
	v_min_u32_e32 v59, 32, v59
	v_lshrrev_b32_e32 v27, 3, v26
	v_subrev_u32_e32 v60, 28, v59
	v_sub_u32_e32 v59, 29, v59
	v_cmp_gt_u32_e64 s[0:1], 8, v26
	v_lshlrev_b64 v[60:61], v60, v[10:11]
	s_nop 0
	v_cndmask_b32_e64 v26, v27, v59, s[0:1]
	v_lshl_add_u32 v26, v26, 10, v36
	v_lshlrev_b32_e32 v27, 8, v21
	v_and_b32_e32 v59, 7, v60
	v_and_b32_e32 v26, 0xfc00, v26
	v_cndmask_b32_e64 v25, v25, v59, s[0:1]
	v_and_or_b32 v26, v27, s30, v26
	v_lshl_or_b32 v25, v25, 7, v26
.LBB242_713:                            ;   in Loop: Header=BB242_434 Depth=1
	s_or_b64 exec, exec, s[20:21]
.LBB242_714:                            ;   in Loop: Header=BB242_434 Depth=1
	s_or_b64 exec, exec, s[18:19]
.LBB242_715:                            ;   in Loop: Header=BB242_434 Depth=1
	s_or_b64 exec, exec, s[16:17]
	v_lshrrev_b16_e32 v10, 8, v10
	v_cmp_ne_u16_e64 s[0:1], 0, v10
	v_mov_b32_e32 v26, 0
	s_and_saveexec_b64 s[16:17], s[0:1]
	s_cbranch_execz .LBB242_721
; %bb.716:                              ;   in Loop: Header=BB242_434 Depth=1
	v_cmp_ne_u16_e64 s[0:1], s28, v10
	v_bfrev_b32_e32 v26, 1
	s_and_saveexec_b64 s[18:19], s[0:1]
	s_cbranch_execz .LBB242_720
; %bb.717:                              ;   in Loop: Header=BB242_434 Depth=1
	v_and_b32_e32 v27, 0x7f, v10
	v_cmp_ne_u32_e64 s[0:1], s29, v27
	v_mov_b32_e32 v26, 0x7c010000
	s_and_saveexec_b64 s[20:21], s[0:1]
	s_cbranch_execz .LBB242_719
; %bb.718:                              ;   in Loop: Header=BB242_434 Depth=1
	v_and_b32_e32 v26, 7, v10
	v_ffbh_u32_e32 v60, v26
	v_min_u32_e32 v62, 32, v60
	v_subrev_u32_e32 v60, 28, v62
	v_lshlrev_b64 v[60:61], v60, v[10:11]
	v_lshrrev_b32_e32 v59, 3, v27
	v_sub_u32_e32 v61, 29, v62
	v_cmp_gt_u32_e64 s[0:1], 8, v27
	v_lshlrev_b32_e32 v10, 8, v10
	s_nop 0
	v_cndmask_b32_e64 v27, v59, v61, s[0:1]
	v_lshl_add_u32 v27, v27, 10, v36
	v_and_b32_e32 v59, 7, v60
	v_and_or_b32 v10, v10, s30, v27
	v_cndmask_b32_e64 v26, v26, v59, s[0:1]
	v_lshlrev_b32_e32 v10, 16, v10
	v_lshl_or_b32 v26, v26, 23, v10
.LBB242_719:                            ;   in Loop: Header=BB242_434 Depth=1
	s_or_b64 exec, exec, s[20:21]
.LBB242_720:                            ;   in Loop: Header=BB242_434 Depth=1
	s_or_b64 exec, exec, s[18:19]
.LBB242_721:                            ;   in Loop: Header=BB242_434 Depth=1
	s_or_b64 exec, exec, s[16:17]
	v_lshrrev_b32_e32 v10, 16, v21
	v_cmp_ne_u16_sdwa s[0:1], v10, v11 src0_sel:BYTE_0 src1_sel:DWORD
	s_and_saveexec_b64 s[16:17], s[0:1]
	s_cbranch_execz .LBB242_727
; %bb.722:                              ;   in Loop: Header=BB242_434 Depth=1
	v_cmp_ne_u16_sdwa s[0:1], v10, s28 src0_sel:BYTE_0 src1_sel:DWORD
	v_mov_b32_e32 v24, 0x8000
	s_and_saveexec_b64 s[18:19], s[0:1]
	s_cbranch_execz .LBB242_726
; %bb.723:                              ;   in Loop: Header=BB242_434 Depth=1
	v_bfe_u32 v27, v21, 16, 7
	v_cmp_ne_u32_e64 s[0:1], s29, v27
	v_mov_b32_e32 v24, 0x7c01
	s_and_saveexec_b64 s[20:21], s[0:1]
	s_cbranch_execz .LBB242_725
; %bb.724:                              ;   in Loop: Header=BB242_434 Depth=1
	v_and_b32_e32 v24, 7, v10
	v_ffbh_u32_e32 v60, v24
	v_min_u32_e32 v62, 32, v60
	v_subrev_u32_e32 v60, 28, v62
	v_lshlrev_b64 v[60:61], v60, v[10:11]
	v_lshrrev_b32_e32 v59, 3, v27
	v_sub_u32_e32 v61, 29, v62
	v_cmp_gt_u32_e64 s[0:1], 8, v27
	v_lshlrev_b32_e32 v10, 8, v10
	s_nop 0
	v_cndmask_b32_e64 v27, v59, v61, s[0:1]
	v_lshl_add_u32 v27, v27, 10, v36
	v_and_b32_e32 v59, 7, v60
	v_and_b32_e32 v27, 0xfc00, v27
	v_cndmask_b32_e64 v24, v24, v59, s[0:1]
	v_and_or_b32 v10, v10, s30, v27
	v_lshl_or_b32 v24, v24, 7, v10
.LBB242_725:                            ;   in Loop: Header=BB242_434 Depth=1
	s_or_b64 exec, exec, s[20:21]
.LBB242_726:                            ;   in Loop: Header=BB242_434 Depth=1
	s_or_b64 exec, exec, s[18:19]
.LBB242_727:                            ;   in Loop: Header=BB242_434 Depth=1
	s_or_b64 exec, exec, s[16:17]
	v_cmp_lt_u64_e64 s[0:1], s[6:7], v[20:21]
	v_mov_b32_e32 v20, 0
	s_and_saveexec_b64 s[16:17], s[0:1]
	s_cbranch_execz .LBB242_733
; %bb.728:                              ;   in Loop: Header=BB242_434 Depth=1
	v_lshrrev_b32_e32 v10, 24, v21
	v_cmp_ne_u32_e64 s[0:1], s28, v10
	v_bfrev_b32_e32 v20, 1
	s_and_saveexec_b64 s[18:19], s[0:1]
	s_cbranch_execz .LBB242_732
; %bb.729:                              ;   in Loop: Header=BB242_434 Depth=1
	v_and_b32_e32 v21, 0x7f, v10
	v_cmp_ne_u32_e64 s[0:1], s29, v21
	v_mov_b32_e32 v20, 0x7c010000
	s_and_saveexec_b64 s[20:21], s[0:1]
	s_cbranch_execz .LBB242_731
; %bb.730:                              ;   in Loop: Header=BB242_434 Depth=1
	v_and_b32_e32 v20, 7, v10
	v_ffbh_u32_e32 v59, v20
	v_min_u32_e32 v59, 32, v59
	v_lshrrev_b32_e32 v27, 3, v21
	v_subrev_u32_e32 v60, 28, v59
	v_sub_u32_e32 v59, 29, v59
	v_cmp_gt_u32_e64 s[0:1], 8, v21
	v_lshlrev_b64 v[60:61], v60, v[10:11]
	v_lshlrev_b32_e32 v10, 8, v10
	v_cndmask_b32_e64 v21, v27, v59, s[0:1]
	v_lshl_add_u32 v21, v21, 10, v36
	v_and_b32_e32 v27, 7, v60
	v_and_or_b32 v10, v10, s30, v21
	v_cndmask_b32_e64 v20, v20, v27, s[0:1]
	v_lshlrev_b32_e32 v10, 16, v10
	v_lshl_or_b32 v20, v20, 23, v10
.LBB242_731:                            ;   in Loop: Header=BB242_434 Depth=1
	s_or_b64 exec, exec, s[20:21]
.LBB242_732:                            ;   in Loop: Header=BB242_434 Depth=1
	s_or_b64 exec, exec, s[18:19]
.LBB242_733:                            ;   in Loop: Header=BB242_434 Depth=1
	s_or_b64 exec, exec, s[16:17]
	v_cvt_f32_f16_sdwa v61, v1 dst_sel:DWORD dst_unused:UNUSED_PAD src0_sel:WORD_1
	v_cvt_f32_f16_sdwa v60, v23 dst_sel:DWORD dst_unused:UNUSED_PAD src0_sel:WORD_1
	v_or_b32_e32 v1, v1, v19
	v_or_b32_e32 v10, v23, v22
	;; [unrolled: 1-line block ×3, first 2 shown]
	s_waitcnt vmcnt(0)
	v_pk_mul_f32 v[22:23], v[18:19], v[60:61] op_sel_hi:[0,1]
	v_cvt_f32_f16_e32 v60, v10
	v_cvt_f32_f16_e32 v61, v1
	v_cvt_pk_f16_f32 v1, v22, v23
	v_and_b32_e32 v19, 0xffff0000, v1
	v_lshlrev_b32_e32 v10, 16, v1
	v_pk_mul_f32 v[22:23], v[18:19], v[60:61] op_sel_hi:[0,1]
	v_cvt_pk_f16_f32 v1, v22, v23
	v_or_b32_e32 v23, v26, v25
	v_cvt_f32_f16_e32 v24, v24
	v_cvt_f32_f16_e32 v25, v23
	v_cvt_f32_f16_sdwa v27, v26 dst_sel:DWORD dst_unused:UNUSED_PAD src0_sel:WORD_1
	v_cvt_f32_f16_sdwa v26, v20 dst_sel:DWORD dst_unused:UNUSED_PAD src0_sel:WORD_1
	v_lshrrev_b32_e32 v21, 16, v1
	v_pk_mul_f32 v[24:25], v[18:19], v[24:25] op_sel_hi:[0,1]
	v_cvt_pk_f16_f32 v59, v24, v25
	v_pk_mul_f32 v[24:25], v[18:19], v[26:27] op_sel_hi:[0,1]
	v_cvt_pk_f16_f32 v18, v24, v25
	v_and_b32_e32 v22, 0xffff, v1
	v_and_b32_e32 v23, 0xffff0000, v18
	v_lshlrev_b32_e32 v18, 16, v18
	v_lshrrev_b32_e32 v25, 16, v59
	v_and_b32_e32 v24, 0xffff, v59
	v_or_b32_e32 v1, v19, v21
	v_or_b32_e32 v20, v10, v22
	;; [unrolled: 1-line block ×4, first 2 shown]
	s_and_saveexec_b64 s[16:17], vcc
	s_cbranch_execz .LBB242_735
; %bb.734:                              ;   in Loop: Header=BB242_434 Depth=1
	v_cmp_gt_i32_e64 s[0:1], s38, v37
	s_nop 1
	v_cndmask_b32_e64 v1, 0, v21, s[0:1]
	v_cmp_gt_i32_e64 s[0:1], s33, v45
	s_nop 1
	v_cndmask_b32_e64 v20, 0, v22, s[0:1]
	;; [unrolled: 3-line block ×3, first 2 shown]
	v_cmp_gt_i32_e64 s[0:1], s33, v42
	v_or_b32_e32 v1, v19, v1
	s_nop 0
	v_cndmask_b32_e64 v10, 0, v10, s[0:1]
	v_cmp_gt_i32_e64 s[0:1], s38, v41
	v_or_b32_e32 v20, v10, v20
	s_nop 0
	v_cndmask_b32_e64 v10, 0, v25, s[0:1]
	v_cmp_gt_i32_e64 s[0:1], s33, v40
	s_nop 1
	v_cndmask_b32_e64 v19, 0, v24, s[0:1]
	v_cmp_gt_i32_e64 s[0:1], s38, v39
	;; [unrolled: 3-line block ×3, first 2 shown]
	v_or_b32_e32 v27, v21, v10
	s_nop 0
	v_cndmask_b32_e64 v18, 0, v18, s[0:1]
	v_or_b32_e32 v26, v18, v19
.LBB242_735:                            ;   in Loop: Header=BB242_434 Depth=1
	s_or_b64 exec, exec, s[16:17]
	;;#ASMSTART
	v_pk_mul_f16 v1, v48, v1;

	;;#ASMEND
	;;#ASMSTART
	v_pk_mul_f16 v10, v47, v20;

	;;#ASMEND
	;; [unrolled: 4-line block ×4, first 2 shown]
	s_nop 0
	;;#ASMSTART
	v_pk_add_f16 v1, v1, v10;

	;;#ASMEND
	s_nop 0
	;;#ASMSTART
	v_pk_add_f16 v1, v1, v18;

	;;#ASMEND
	s_nop 0
	;;#ASMSTART
	v_pk_add_f16 v1, v1, v19;

	;;#ASMEND
	v_mov_b32_e32 v19, 0
	v_lshrrev_b32_e32 v10, 16, v1
	v_and_b32_e32 v1, 0xffff, v1
	;;#ASMSTART
	v_cvt_f32_f16 v59, v1;
	;;#ASMEND
	;;#ASMSTART
	v_cvt_f32_f16 v60, v10;
	;;#ASMEND
	global_load_dwordx2 v[20:21], v[16:17], off offset:3072
	v_mov_b32_e32 v1, 0
	global_load_dword v18, v1, s[14:15]
	s_waitcnt vmcnt(1)
	v_cmp_ne_u16_sdwa s[0:1], v20, v11 src0_sel:BYTE_0 src1_sel:DWORD
	s_and_saveexec_b64 s[16:17], s[0:1]
	s_cbranch_execz .LBB242_741
; %bb.736:                              ;   in Loop: Header=BB242_434 Depth=1
	v_cmp_ne_u16_sdwa s[0:1], v20, s28 src0_sel:BYTE_0 src1_sel:DWORD
	v_mov_b32_e32 v19, 0x8000
	s_and_saveexec_b64 s[18:19], s[0:1]
	s_cbranch_execz .LBB242_740
; %bb.737:                              ;   in Loop: Header=BB242_434 Depth=1
	v_and_b32_e32 v10, 0x7f, v20
	v_cmp_ne_u32_e64 s[0:1], s29, v10
	v_mov_b32_e32 v19, 0x7c01
	s_and_saveexec_b64 s[20:21], s[0:1]
	s_cbranch_execz .LBB242_739
; %bb.738:                              ;   in Loop: Header=BB242_434 Depth=1
	v_and_b32_e32 v19, 7, v20
	v_ffbh_u32_e32 v22, v19
	v_min_u32_e32 v25, 32, v22
	v_subrev_u32_e32 v22, 28, v25
	v_lshlrev_b64 v[22:23], v22, v[20:21]
	v_lshrrev_b32_e32 v24, 3, v10
	v_sub_u32_e32 v23, 29, v25
	v_cmp_gt_u32_e64 s[0:1], 8, v10
	v_and_b32_e32 v22, 7, v22
	s_nop 0
	v_cndmask_b32_e64 v10, v24, v23, s[0:1]
	v_lshl_add_u32 v10, v10, 10, v36
	v_lshlrev_b32_e32 v23, 8, v20
	v_and_b32_e32 v10, 0xfc00, v10
	v_cndmask_b32_e64 v19, v19, v22, s[0:1]
	v_and_or_b32 v10, v23, s30, v10
	v_lshl_or_b32 v19, v19, 7, v10
.LBB242_739:                            ;   in Loop: Header=BB242_434 Depth=1
	s_or_b64 exec, exec, s[20:21]
.LBB242_740:                            ;   in Loop: Header=BB242_434 Depth=1
	s_or_b64 exec, exec, s[18:19]
.LBB242_741:                            ;   in Loop: Header=BB242_434 Depth=1
	s_or_b64 exec, exec, s[16:17]
	v_lshrrev_b16_e32 v10, 8, v20
	v_cmp_ne_u16_e64 s[0:1], 0, v10
	s_and_saveexec_b64 s[16:17], s[0:1]
	s_cbranch_execz .LBB242_747
; %bb.742:                              ;   in Loop: Header=BB242_434 Depth=1
	v_cmp_ne_u16_e64 s[0:1], s28, v10
	v_bfrev_b32_e32 v1, 1
	s_and_saveexec_b64 s[18:19], s[0:1]
	s_cbranch_execz .LBB242_746
; %bb.743:                              ;   in Loop: Header=BB242_434 Depth=1
	v_and_b32_e32 v22, 0x7f, v10
	v_cmp_ne_u32_e64 s[0:1], s29, v22
	v_mov_b32_e32 v1, 0x7c010000
	s_and_saveexec_b64 s[20:21], s[0:1]
	s_cbranch_execz .LBB242_745
; %bb.744:                              ;   in Loop: Header=BB242_434 Depth=1
	v_and_b32_e32 v1, 7, v10
	v_ffbh_u32_e32 v24, v1
	v_min_u32_e32 v26, 32, v24
	v_subrev_u32_e32 v24, 28, v26
	v_lshlrev_b64 v[24:25], v24, v[10:11]
	v_lshrrev_b32_e32 v23, 3, v22
	v_sub_u32_e32 v25, 29, v26
	v_cmp_gt_u32_e64 s[0:1], 8, v22
	v_lshlrev_b32_e32 v10, 8, v10
	s_nop 0
	v_cndmask_b32_e64 v22, v23, v25, s[0:1]
	v_lshl_add_u32 v22, v22, 10, v36
	v_and_b32_e32 v23, 7, v24
	v_and_or_b32 v10, v10, s30, v22
	v_cndmask_b32_e64 v1, v1, v23, s[0:1]
	v_lshlrev_b32_e32 v10, 16, v10
	v_lshl_or_b32 v1, v1, 23, v10
.LBB242_745:                            ;   in Loop: Header=BB242_434 Depth=1
	s_or_b64 exec, exec, s[20:21]
.LBB242_746:                            ;   in Loop: Header=BB242_434 Depth=1
	s_or_b64 exec, exec, s[18:19]
.LBB242_747:                            ;   in Loop: Header=BB242_434 Depth=1
	s_or_b64 exec, exec, s[16:17]
	v_lshrrev_b32_e32 v10, 16, v20
	v_cmp_ne_u16_sdwa s[0:1], v10, v11 src0_sel:BYTE_0 src1_sel:DWORD
	v_mov_b32_e32 v23, 0
	v_mov_b32_e32 v22, 0
	s_and_saveexec_b64 s[16:17], s[0:1]
	s_cbranch_execz .LBB242_753
; %bb.748:                              ;   in Loop: Header=BB242_434 Depth=1
	v_cmp_ne_u16_sdwa s[0:1], v10, s28 src0_sel:BYTE_0 src1_sel:DWORD
	v_mov_b32_e32 v22, 0x8000
	s_and_saveexec_b64 s[18:19], s[0:1]
	s_cbranch_execz .LBB242_752
; %bb.749:                              ;   in Loop: Header=BB242_434 Depth=1
	v_bfe_u32 v24, v20, 16, 7
	v_cmp_ne_u32_e64 s[0:1], s29, v24
	v_mov_b32_e32 v22, 0x7c01
	s_and_saveexec_b64 s[20:21], s[0:1]
	s_cbranch_execz .LBB242_751
; %bb.750:                              ;   in Loop: Header=BB242_434 Depth=1
	v_and_b32_e32 v22, 7, v10
	v_ffbh_u32_e32 v26, v22
	v_min_u32_e32 v61, 32, v26
	v_subrev_u32_e32 v26, 28, v61
	v_lshlrev_b64 v[26:27], v26, v[10:11]
	v_lshrrev_b32_e32 v25, 3, v24
	v_sub_u32_e32 v27, 29, v61
	v_cmp_gt_u32_e64 s[0:1], 8, v24
	v_lshlrev_b32_e32 v10, 8, v10
	s_nop 0
	v_cndmask_b32_e64 v24, v25, v27, s[0:1]
	v_lshl_add_u32 v24, v24, 10, v36
	v_and_b32_e32 v25, 7, v26
	v_and_b32_e32 v24, 0xfc00, v24
	v_cndmask_b32_e64 v22, v22, v25, s[0:1]
	v_and_or_b32 v10, v10, s30, v24
	v_lshl_or_b32 v22, v22, 7, v10
.LBB242_751:                            ;   in Loop: Header=BB242_434 Depth=1
	s_or_b64 exec, exec, s[20:21]
.LBB242_752:                            ;   in Loop: Header=BB242_434 Depth=1
	s_or_b64 exec, exec, s[18:19]
.LBB242_753:                            ;   in Loop: Header=BB242_434 Depth=1
	s_or_b64 exec, exec, s[16:17]
	v_cmp_lt_u32_e64 s[0:1], s7, v20
	s_and_saveexec_b64 s[16:17], s[0:1]
	s_cbranch_execz .LBB242_759
; %bb.754:                              ;   in Loop: Header=BB242_434 Depth=1
	v_lshrrev_b32_e32 v10, 24, v20
	v_cmp_ne_u32_e64 s[0:1], s28, v10
	v_bfrev_b32_e32 v23, 1
	s_and_saveexec_b64 s[18:19], s[0:1]
	s_cbranch_execz .LBB242_758
; %bb.755:                              ;   in Loop: Header=BB242_434 Depth=1
	v_and_b32_e32 v24, 0x7f, v10
	v_cmp_ne_u32_e64 s[0:1], s29, v24
	v_mov_b32_e32 v23, 0x7c010000
	s_and_saveexec_b64 s[20:21], s[0:1]
	s_cbranch_execz .LBB242_757
; %bb.756:                              ;   in Loop: Header=BB242_434 Depth=1
	v_and_b32_e32 v23, 7, v10
	v_ffbh_u32_e32 v26, v23
	v_min_u32_e32 v61, 32, v26
	v_subrev_u32_e32 v26, 28, v61
	v_lshlrev_b64 v[26:27], v26, v[10:11]
	v_lshrrev_b32_e32 v25, 3, v24
	v_sub_u32_e32 v27, 29, v61
	v_cmp_gt_u32_e64 s[0:1], 8, v24
	v_lshlrev_b32_e32 v10, 8, v10
	s_nop 0
	v_cndmask_b32_e64 v24, v25, v27, s[0:1]
	v_lshl_add_u32 v24, v24, 10, v36
	v_and_b32_e32 v25, 7, v26
	v_and_or_b32 v10, v10, s30, v24
	v_cndmask_b32_e64 v23, v23, v25, s[0:1]
	v_lshlrev_b32_e32 v10, 16, v10
	v_lshl_or_b32 v23, v23, 23, v10
.LBB242_757:                            ;   in Loop: Header=BB242_434 Depth=1
	s_or_b64 exec, exec, s[20:21]
.LBB242_758:                            ;   in Loop: Header=BB242_434 Depth=1
	s_or_b64 exec, exec, s[18:19]
.LBB242_759:                            ;   in Loop: Header=BB242_434 Depth=1
	s_or_b64 exec, exec, s[16:17]
	v_mov_b32_e32 v10, v21
	v_cmp_ne_u16_sdwa s[0:1], v21, v11 src0_sel:BYTE_0 src1_sel:DWORD
	v_mov_b32_e32 v24, 0
	v_mov_b32_e32 v25, 0
	s_and_saveexec_b64 s[16:17], s[0:1]
	s_cbranch_execz .LBB242_765
; %bb.760:                              ;   in Loop: Header=BB242_434 Depth=1
	v_cmp_ne_u16_sdwa s[0:1], v21, s28 src0_sel:BYTE_0 src1_sel:DWORD
	v_mov_b32_e32 v25, 0x8000
	s_and_saveexec_b64 s[18:19], s[0:1]
	s_cbranch_execz .LBB242_764
; %bb.761:                              ;   in Loop: Header=BB242_434 Depth=1
	v_and_b32_e32 v26, 0x7f, v21
	v_cmp_ne_u32_e64 s[0:1], s29, v26
	v_mov_b32_e32 v25, 0x7c01
	s_and_saveexec_b64 s[20:21], s[0:1]
	s_cbranch_execz .LBB242_763
; %bb.762:                              ;   in Loop: Header=BB242_434 Depth=1
	v_and_b32_e32 v25, 7, v21
	v_ffbh_u32_e32 v61, v25
	v_min_u32_e32 v61, 32, v61
	v_lshrrev_b32_e32 v27, 3, v26
	v_subrev_u32_e32 v62, 28, v61
	v_sub_u32_e32 v61, 29, v61
	v_cmp_gt_u32_e64 s[0:1], 8, v26
	v_lshlrev_b64 v[62:63], v62, v[10:11]
	s_nop 0
	v_cndmask_b32_e64 v26, v27, v61, s[0:1]
	v_lshl_add_u32 v26, v26, 10, v36
	v_lshlrev_b32_e32 v27, 8, v21
	v_and_b32_e32 v61, 7, v62
	v_and_b32_e32 v26, 0xfc00, v26
	v_cndmask_b32_e64 v25, v25, v61, s[0:1]
	v_and_or_b32 v26, v27, s30, v26
	v_lshl_or_b32 v25, v25, 7, v26
.LBB242_763:                            ;   in Loop: Header=BB242_434 Depth=1
	s_or_b64 exec, exec, s[20:21]
.LBB242_764:                            ;   in Loop: Header=BB242_434 Depth=1
	s_or_b64 exec, exec, s[18:19]
.LBB242_765:                            ;   in Loop: Header=BB242_434 Depth=1
	s_or_b64 exec, exec, s[16:17]
	v_lshrrev_b16_e32 v10, 8, v10
	v_cmp_ne_u16_e64 s[0:1], 0, v10
	v_mov_b32_e32 v26, 0
	s_and_saveexec_b64 s[16:17], s[0:1]
	s_cbranch_execz .LBB242_771
; %bb.766:                              ;   in Loop: Header=BB242_434 Depth=1
	v_cmp_ne_u16_e64 s[0:1], s28, v10
	v_bfrev_b32_e32 v26, 1
	s_and_saveexec_b64 s[18:19], s[0:1]
	s_cbranch_execz .LBB242_770
; %bb.767:                              ;   in Loop: Header=BB242_434 Depth=1
	v_and_b32_e32 v27, 0x7f, v10
	v_cmp_ne_u32_e64 s[0:1], s29, v27
	v_mov_b32_e32 v26, 0x7c010000
	s_and_saveexec_b64 s[20:21], s[0:1]
	s_cbranch_execz .LBB242_769
; %bb.768:                              ;   in Loop: Header=BB242_434 Depth=1
	v_and_b32_e32 v26, 7, v10
	v_ffbh_u32_e32 v62, v26
	v_min_u32_e32 v64, 32, v62
	v_subrev_u32_e32 v62, 28, v64
	v_lshlrev_b64 v[62:63], v62, v[10:11]
	v_lshrrev_b32_e32 v61, 3, v27
	v_sub_u32_e32 v63, 29, v64
	v_cmp_gt_u32_e64 s[0:1], 8, v27
	v_lshlrev_b32_e32 v10, 8, v10
	s_nop 0
	v_cndmask_b32_e64 v27, v61, v63, s[0:1]
	v_lshl_add_u32 v27, v27, 10, v36
	v_and_b32_e32 v61, 7, v62
	v_and_or_b32 v10, v10, s30, v27
	v_cndmask_b32_e64 v26, v26, v61, s[0:1]
	v_lshlrev_b32_e32 v10, 16, v10
	v_lshl_or_b32 v26, v26, 23, v10
.LBB242_769:                            ;   in Loop: Header=BB242_434 Depth=1
	s_or_b64 exec, exec, s[20:21]
.LBB242_770:                            ;   in Loop: Header=BB242_434 Depth=1
	s_or_b64 exec, exec, s[18:19]
.LBB242_771:                            ;   in Loop: Header=BB242_434 Depth=1
	s_or_b64 exec, exec, s[16:17]
	v_lshrrev_b32_e32 v10, 16, v21
	v_cmp_ne_u16_sdwa s[0:1], v10, v11 src0_sel:BYTE_0 src1_sel:DWORD
	s_and_saveexec_b64 s[16:17], s[0:1]
	s_cbranch_execz .LBB242_777
; %bb.772:                              ;   in Loop: Header=BB242_434 Depth=1
	v_cmp_ne_u16_sdwa s[0:1], v10, s28 src0_sel:BYTE_0 src1_sel:DWORD
	v_mov_b32_e32 v24, 0x8000
	s_and_saveexec_b64 s[18:19], s[0:1]
	s_cbranch_execz .LBB242_776
; %bb.773:                              ;   in Loop: Header=BB242_434 Depth=1
	v_bfe_u32 v27, v21, 16, 7
	v_cmp_ne_u32_e64 s[0:1], s29, v27
	v_mov_b32_e32 v24, 0x7c01
	s_and_saveexec_b64 s[20:21], s[0:1]
	s_cbranch_execz .LBB242_775
; %bb.774:                              ;   in Loop: Header=BB242_434 Depth=1
	v_and_b32_e32 v24, 7, v10
	v_ffbh_u32_e32 v62, v24
	v_min_u32_e32 v64, 32, v62
	v_subrev_u32_e32 v62, 28, v64
	v_lshlrev_b64 v[62:63], v62, v[10:11]
	v_lshrrev_b32_e32 v61, 3, v27
	v_sub_u32_e32 v63, 29, v64
	v_cmp_gt_u32_e64 s[0:1], 8, v27
	v_lshlrev_b32_e32 v10, 8, v10
	s_nop 0
	v_cndmask_b32_e64 v27, v61, v63, s[0:1]
	v_lshl_add_u32 v27, v27, 10, v36
	v_and_b32_e32 v61, 7, v62
	v_and_b32_e32 v27, 0xfc00, v27
	v_cndmask_b32_e64 v24, v24, v61, s[0:1]
	v_and_or_b32 v10, v10, s30, v27
	v_lshl_or_b32 v24, v24, 7, v10
.LBB242_775:                            ;   in Loop: Header=BB242_434 Depth=1
	s_or_b64 exec, exec, s[20:21]
.LBB242_776:                            ;   in Loop: Header=BB242_434 Depth=1
	s_or_b64 exec, exec, s[18:19]
.LBB242_777:                            ;   in Loop: Header=BB242_434 Depth=1
	s_or_b64 exec, exec, s[16:17]
	v_cmp_lt_u64_e64 s[0:1], s[6:7], v[20:21]
	v_mov_b32_e32 v20, 0
	s_and_saveexec_b64 s[16:17], s[0:1]
	s_cbranch_execz .LBB242_783
; %bb.778:                              ;   in Loop: Header=BB242_434 Depth=1
	v_lshrrev_b32_e32 v10, 24, v21
	v_cmp_ne_u32_e64 s[0:1], s28, v10
	v_bfrev_b32_e32 v20, 1
	s_and_saveexec_b64 s[18:19], s[0:1]
	s_cbranch_execz .LBB242_782
; %bb.779:                              ;   in Loop: Header=BB242_434 Depth=1
	v_and_b32_e32 v21, 0x7f, v10
	v_cmp_ne_u32_e64 s[0:1], s29, v21
	v_mov_b32_e32 v20, 0x7c010000
	s_and_saveexec_b64 s[20:21], s[0:1]
	s_cbranch_execz .LBB242_781
; %bb.780:                              ;   in Loop: Header=BB242_434 Depth=1
	v_and_b32_e32 v20, 7, v10
	v_ffbh_u32_e32 v61, v20
	v_min_u32_e32 v61, 32, v61
	v_lshrrev_b32_e32 v27, 3, v21
	v_subrev_u32_e32 v62, 28, v61
	v_sub_u32_e32 v61, 29, v61
	v_cmp_gt_u32_e64 s[0:1], 8, v21
	v_lshlrev_b64 v[62:63], v62, v[10:11]
	v_lshlrev_b32_e32 v10, 8, v10
	v_cndmask_b32_e64 v21, v27, v61, s[0:1]
	v_lshl_add_u32 v21, v21, 10, v36
	v_and_b32_e32 v27, 7, v62
	v_and_or_b32 v10, v10, s30, v21
	v_cndmask_b32_e64 v20, v20, v27, s[0:1]
	v_lshlrev_b32_e32 v10, 16, v10
	v_lshl_or_b32 v20, v20, 23, v10
.LBB242_781:                            ;   in Loop: Header=BB242_434 Depth=1
	s_or_b64 exec, exec, s[20:21]
.LBB242_782:                            ;   in Loop: Header=BB242_434 Depth=1
	s_or_b64 exec, exec, s[18:19]
.LBB242_783:                            ;   in Loop: Header=BB242_434 Depth=1
	s_or_b64 exec, exec, s[16:17]
	v_cvt_f32_f16_sdwa v63, v1 dst_sel:DWORD dst_unused:UNUSED_PAD src0_sel:WORD_1
	v_cvt_f32_f16_sdwa v62, v23 dst_sel:DWORD dst_unused:UNUSED_PAD src0_sel:WORD_1
	v_or_b32_e32 v1, v1, v19
	v_or_b32_e32 v10, v23, v22
	;; [unrolled: 1-line block ×3, first 2 shown]
	s_waitcnt vmcnt(0)
	v_pk_mul_f32 v[22:23], v[18:19], v[62:63] op_sel_hi:[0,1]
	v_cvt_f32_f16_e32 v62, v10
	v_cvt_f32_f16_e32 v63, v1
	v_cvt_pk_f16_f32 v1, v22, v23
	v_and_b32_e32 v19, 0xffff0000, v1
	v_lshlrev_b32_e32 v10, 16, v1
	v_pk_mul_f32 v[22:23], v[18:19], v[62:63] op_sel_hi:[0,1]
	v_cvt_pk_f16_f32 v1, v22, v23
	v_or_b32_e32 v23, v26, v25
	v_cvt_f32_f16_e32 v24, v24
	v_cvt_f32_f16_e32 v25, v23
	v_cvt_f32_f16_sdwa v27, v26 dst_sel:DWORD dst_unused:UNUSED_PAD src0_sel:WORD_1
	v_cvt_f32_f16_sdwa v26, v20 dst_sel:DWORD dst_unused:UNUSED_PAD src0_sel:WORD_1
	v_lshrrev_b32_e32 v21, 16, v1
	v_pk_mul_f32 v[24:25], v[18:19], v[24:25] op_sel_hi:[0,1]
	v_cvt_pk_f16_f32 v61, v24, v25
	v_pk_mul_f32 v[24:25], v[18:19], v[26:27] op_sel_hi:[0,1]
	v_cvt_pk_f16_f32 v18, v24, v25
	v_and_b32_e32 v22, 0xffff, v1
	v_and_b32_e32 v23, 0xffff0000, v18
	v_lshlrev_b32_e32 v18, 16, v18
	v_lshrrev_b32_e32 v25, 16, v61
	v_and_b32_e32 v24, 0xffff, v61
	v_or_b32_e32 v1, v19, v21
	v_or_b32_e32 v20, v10, v22
	;; [unrolled: 1-line block ×4, first 2 shown]
	s_and_saveexec_b64 s[16:17], vcc
	s_cbranch_execz .LBB242_785
; %bb.784:                              ;   in Loop: Header=BB242_434 Depth=1
	v_cmp_gt_i32_e64 s[0:1], s38, v37
	s_nop 1
	v_cndmask_b32_e64 v1, 0, v21, s[0:1]
	v_cmp_gt_i32_e64 s[0:1], s33, v45
	s_nop 1
	v_cndmask_b32_e64 v20, 0, v22, s[0:1]
	;; [unrolled: 3-line block ×3, first 2 shown]
	v_cmp_gt_i32_e64 s[0:1], s33, v42
	v_or_b32_e32 v1, v19, v1
	s_nop 0
	v_cndmask_b32_e64 v10, 0, v10, s[0:1]
	v_cmp_gt_i32_e64 s[0:1], s38, v41
	v_or_b32_e32 v20, v10, v20
	s_nop 0
	v_cndmask_b32_e64 v10, 0, v25, s[0:1]
	v_cmp_gt_i32_e64 s[0:1], s33, v40
	s_nop 1
	v_cndmask_b32_e64 v19, 0, v24, s[0:1]
	v_cmp_gt_i32_e64 s[0:1], s38, v39
	;; [unrolled: 3-line block ×3, first 2 shown]
	v_or_b32_e32 v27, v21, v10
	s_nop 0
	v_cndmask_b32_e64 v18, 0, v18, s[0:1]
	v_or_b32_e32 v26, v18, v19
.LBB242_785:                            ;   in Loop: Header=BB242_434 Depth=1
	s_or_b64 exec, exec, s[16:17]
	;;#ASMSTART
	v_pk_mul_f16 v1, v48, v1;

	;;#ASMEND
	;;#ASMSTART
	v_pk_mul_f16 v10, v47, v20;

	;;#ASMEND
	;; [unrolled: 4-line block ×4, first 2 shown]
	s_nop 0
	;;#ASMSTART
	v_pk_add_f16 v1, v1, v10;

	;;#ASMEND
	s_nop 0
	;;#ASMSTART
	v_pk_add_f16 v1, v1, v18;

	;;#ASMEND
	s_nop 0
	;;#ASMSTART
	v_pk_add_f16 v1, v1, v19;

	;;#ASMEND
	s_nop 0
	v_lshrrev_b32_e32 v10, 16, v1
	v_and_b32_e32 v1, 0xffff, v1
	;;#ASMSTART
	v_cvt_f32_f16 v26, v1;
	;;#ASMEND
	;;#ASMSTART
	v_cvt_f32_f16 v27, v10;
	;;#ASMEND
	global_load_dwordx2 v[18:19], v[16:17], off offset:3584
	v_mov_b32_e32 v1, 0
	global_load_dword v16, v1, s[14:15]
	v_mov_b32_e32 v17, 0
	s_waitcnt vmcnt(1)
	v_cmp_ne_u16_sdwa s[0:1], v18, v11 src0_sel:BYTE_0 src1_sel:DWORD
	s_and_saveexec_b64 s[16:17], s[0:1]
	s_cbranch_execz .LBB242_791
; %bb.786:                              ;   in Loop: Header=BB242_434 Depth=1
	v_cmp_ne_u16_sdwa s[0:1], v18, s28 src0_sel:BYTE_0 src1_sel:DWORD
	v_mov_b32_e32 v17, 0x8000
	s_and_saveexec_b64 s[18:19], s[0:1]
	s_cbranch_execz .LBB242_790
; %bb.787:                              ;   in Loop: Header=BB242_434 Depth=1
	v_and_b32_e32 v10, 0x7f, v18
	v_cmp_ne_u32_e64 s[0:1], s29, v10
	v_mov_b32_e32 v17, 0x7c01
	s_and_saveexec_b64 s[20:21], s[0:1]
	s_cbranch_execz .LBB242_789
; %bb.788:                              ;   in Loop: Header=BB242_434 Depth=1
	v_and_b32_e32 v17, 7, v18
	v_ffbh_u32_e32 v20, v17
	v_min_u32_e32 v23, 32, v20
	v_subrev_u32_e32 v20, 28, v23
	v_lshlrev_b64 v[20:21], v20, v[18:19]
	v_lshrrev_b32_e32 v22, 3, v10
	v_sub_u32_e32 v21, 29, v23
	v_cmp_gt_u32_e64 s[0:1], 8, v10
	v_and_b32_e32 v20, 7, v20
	s_nop 0
	v_cndmask_b32_e64 v10, v22, v21, s[0:1]
	v_lshl_add_u32 v10, v10, 10, v36
	v_lshlrev_b32_e32 v21, 8, v18
	v_and_b32_e32 v10, 0xfc00, v10
	v_cndmask_b32_e64 v17, v17, v20, s[0:1]
	v_and_or_b32 v10, v21, s30, v10
	v_lshl_or_b32 v17, v17, 7, v10
.LBB242_789:                            ;   in Loop: Header=BB242_434 Depth=1
	s_or_b64 exec, exec, s[20:21]
.LBB242_790:                            ;   in Loop: Header=BB242_434 Depth=1
	s_or_b64 exec, exec, s[18:19]
.LBB242_791:                            ;   in Loop: Header=BB242_434 Depth=1
	s_or_b64 exec, exec, s[16:17]
	v_lshrrev_b16_e32 v10, 8, v18
	v_cmp_ne_u16_e64 s[0:1], 0, v10
	s_and_saveexec_b64 s[16:17], s[0:1]
	s_cbranch_execz .LBB242_797
; %bb.792:                              ;   in Loop: Header=BB242_434 Depth=1
	v_cmp_ne_u16_e64 s[0:1], s28, v10
	v_bfrev_b32_e32 v1, 1
	s_and_saveexec_b64 s[18:19], s[0:1]
	s_cbranch_execz .LBB242_796
; %bb.793:                              ;   in Loop: Header=BB242_434 Depth=1
	v_and_b32_e32 v20, 0x7f, v10
	v_cmp_ne_u32_e64 s[0:1], s29, v20
	v_mov_b32_e32 v1, 0x7c010000
	s_and_saveexec_b64 s[20:21], s[0:1]
	s_cbranch_execz .LBB242_795
; %bb.794:                              ;   in Loop: Header=BB242_434 Depth=1
	v_and_b32_e32 v1, 7, v10
	v_ffbh_u32_e32 v22, v1
	v_min_u32_e32 v24, 32, v22
	v_subrev_u32_e32 v22, 28, v24
	v_lshlrev_b64 v[22:23], v22, v[10:11]
	v_lshrrev_b32_e32 v21, 3, v20
	v_sub_u32_e32 v23, 29, v24
	v_cmp_gt_u32_e64 s[0:1], 8, v20
	v_lshlrev_b32_e32 v10, 8, v10
	s_nop 0
	v_cndmask_b32_e64 v20, v21, v23, s[0:1]
	v_lshl_add_u32 v20, v20, 10, v36
	v_and_b32_e32 v21, 7, v22
	v_and_or_b32 v10, v10, s30, v20
	v_cndmask_b32_e64 v1, v1, v21, s[0:1]
	v_lshlrev_b32_e32 v10, 16, v10
	v_lshl_or_b32 v1, v1, 23, v10
.LBB242_795:                            ;   in Loop: Header=BB242_434 Depth=1
	s_or_b64 exec, exec, s[20:21]
.LBB242_796:                            ;   in Loop: Header=BB242_434 Depth=1
	s_or_b64 exec, exec, s[18:19]
.LBB242_797:                            ;   in Loop: Header=BB242_434 Depth=1
	s_or_b64 exec, exec, s[16:17]
	v_lshrrev_b32_e32 v10, 16, v18
	v_cmp_ne_u16_sdwa s[0:1], v10, v11 src0_sel:BYTE_0 src1_sel:DWORD
	v_mov_b32_e32 v21, 0
	v_mov_b32_e32 v20, 0
	s_and_saveexec_b64 s[16:17], s[0:1]
	s_cbranch_execz .LBB242_803
; %bb.798:                              ;   in Loop: Header=BB242_434 Depth=1
	v_cmp_ne_u16_sdwa s[0:1], v10, s28 src0_sel:BYTE_0 src1_sel:DWORD
	v_mov_b32_e32 v20, 0x8000
	s_and_saveexec_b64 s[18:19], s[0:1]
	s_cbranch_execz .LBB242_802
; %bb.799:                              ;   in Loop: Header=BB242_434 Depth=1
	v_bfe_u32 v22, v18, 16, 7
	v_cmp_ne_u32_e64 s[0:1], s29, v22
	v_mov_b32_e32 v20, 0x7c01
	s_and_saveexec_b64 s[20:21], s[0:1]
	s_cbranch_execz .LBB242_801
; %bb.800:                              ;   in Loop: Header=BB242_434 Depth=1
	v_and_b32_e32 v20, 7, v10
	v_ffbh_u32_e32 v24, v20
	v_min_u32_e32 v61, 32, v24
	v_subrev_u32_e32 v24, 28, v61
	v_lshlrev_b64 v[24:25], v24, v[10:11]
	v_lshrrev_b32_e32 v23, 3, v22
	v_sub_u32_e32 v25, 29, v61
	v_cmp_gt_u32_e64 s[0:1], 8, v22
	v_lshlrev_b32_e32 v10, 8, v10
	s_nop 0
	v_cndmask_b32_e64 v22, v23, v25, s[0:1]
	v_lshl_add_u32 v22, v22, 10, v36
	v_and_b32_e32 v23, 7, v24
	v_and_b32_e32 v22, 0xfc00, v22
	v_cndmask_b32_e64 v20, v20, v23, s[0:1]
	v_and_or_b32 v10, v10, s30, v22
	v_lshl_or_b32 v20, v20, 7, v10
.LBB242_801:                            ;   in Loop: Header=BB242_434 Depth=1
	s_or_b64 exec, exec, s[20:21]
.LBB242_802:                            ;   in Loop: Header=BB242_434 Depth=1
	s_or_b64 exec, exec, s[18:19]
.LBB242_803:                            ;   in Loop: Header=BB242_434 Depth=1
	s_or_b64 exec, exec, s[16:17]
	v_cmp_lt_u32_e64 s[0:1], s7, v18
	s_and_saveexec_b64 s[16:17], s[0:1]
	s_cbranch_execz .LBB242_809
; %bb.804:                              ;   in Loop: Header=BB242_434 Depth=1
	v_lshrrev_b32_e32 v10, 24, v18
	v_cmp_ne_u32_e64 s[0:1], s28, v10
	v_bfrev_b32_e32 v21, 1
	s_and_saveexec_b64 s[18:19], s[0:1]
	s_cbranch_execz .LBB242_808
; %bb.805:                              ;   in Loop: Header=BB242_434 Depth=1
	v_and_b32_e32 v22, 0x7f, v10
	v_cmp_ne_u32_e64 s[0:1], s29, v22
	v_mov_b32_e32 v21, 0x7c010000
	s_and_saveexec_b64 s[20:21], s[0:1]
	s_cbranch_execz .LBB242_807
; %bb.806:                              ;   in Loop: Header=BB242_434 Depth=1
	v_and_b32_e32 v21, 7, v10
	v_ffbh_u32_e32 v24, v21
	v_min_u32_e32 v61, 32, v24
	v_subrev_u32_e32 v24, 28, v61
	v_lshlrev_b64 v[24:25], v24, v[10:11]
	v_lshrrev_b32_e32 v23, 3, v22
	v_sub_u32_e32 v25, 29, v61
	v_cmp_gt_u32_e64 s[0:1], 8, v22
	v_lshlrev_b32_e32 v10, 8, v10
	s_nop 0
	v_cndmask_b32_e64 v22, v23, v25, s[0:1]
	v_lshl_add_u32 v22, v22, 10, v36
	v_and_b32_e32 v23, 7, v24
	v_and_or_b32 v10, v10, s30, v22
	v_cndmask_b32_e64 v21, v21, v23, s[0:1]
	v_lshlrev_b32_e32 v10, 16, v10
	v_lshl_or_b32 v21, v21, 23, v10
.LBB242_807:                            ;   in Loop: Header=BB242_434 Depth=1
	s_or_b64 exec, exec, s[20:21]
.LBB242_808:                            ;   in Loop: Header=BB242_434 Depth=1
	s_or_b64 exec, exec, s[18:19]
.LBB242_809:                            ;   in Loop: Header=BB242_434 Depth=1
	s_or_b64 exec, exec, s[16:17]
	v_mov_b32_e32 v10, v19
	v_cmp_ne_u16_sdwa s[0:1], v19, v11 src0_sel:BYTE_0 src1_sel:DWORD
	v_mov_b32_e32 v22, 0
	v_mov_b32_e32 v23, 0
	s_and_saveexec_b64 s[16:17], s[0:1]
	s_cbranch_execz .LBB242_815
; %bb.810:                              ;   in Loop: Header=BB242_434 Depth=1
	v_cmp_ne_u16_sdwa s[0:1], v19, s28 src0_sel:BYTE_0 src1_sel:DWORD
	v_mov_b32_e32 v23, 0x8000
	s_and_saveexec_b64 s[18:19], s[0:1]
	s_cbranch_execz .LBB242_814
; %bb.811:                              ;   in Loop: Header=BB242_434 Depth=1
	v_and_b32_e32 v24, 0x7f, v19
	v_cmp_ne_u32_e64 s[0:1], s29, v24
	v_mov_b32_e32 v23, 0x7c01
	s_and_saveexec_b64 s[20:21], s[0:1]
	s_cbranch_execz .LBB242_813
; %bb.812:                              ;   in Loop: Header=BB242_434 Depth=1
	v_and_b32_e32 v23, 7, v19
	v_ffbh_u32_e32 v61, v23
	v_min_u32_e32 v61, 32, v61
	v_lshrrev_b32_e32 v25, 3, v24
	v_subrev_u32_e32 v62, 28, v61
	v_sub_u32_e32 v61, 29, v61
	v_cmp_gt_u32_e64 s[0:1], 8, v24
	v_lshlrev_b64 v[62:63], v62, v[10:11]
	s_nop 0
	v_cndmask_b32_e64 v24, v25, v61, s[0:1]
	v_lshl_add_u32 v24, v24, 10, v36
	v_lshlrev_b32_e32 v25, 8, v19
	v_and_b32_e32 v61, 7, v62
	v_and_b32_e32 v24, 0xfc00, v24
	v_cndmask_b32_e64 v23, v23, v61, s[0:1]
	v_and_or_b32 v24, v25, s30, v24
	v_lshl_or_b32 v23, v23, 7, v24
.LBB242_813:                            ;   in Loop: Header=BB242_434 Depth=1
	s_or_b64 exec, exec, s[20:21]
.LBB242_814:                            ;   in Loop: Header=BB242_434 Depth=1
	s_or_b64 exec, exec, s[18:19]
.LBB242_815:                            ;   in Loop: Header=BB242_434 Depth=1
	s_or_b64 exec, exec, s[16:17]
	v_lshrrev_b16_e32 v10, 8, v10
	v_cmp_ne_u16_e64 s[0:1], 0, v10
	v_mov_b32_e32 v24, 0
	s_and_saveexec_b64 s[16:17], s[0:1]
	s_cbranch_execz .LBB242_821
; %bb.816:                              ;   in Loop: Header=BB242_434 Depth=1
	v_cmp_ne_u16_e64 s[0:1], s28, v10
	v_bfrev_b32_e32 v24, 1
	s_and_saveexec_b64 s[18:19], s[0:1]
	s_cbranch_execz .LBB242_820
; %bb.817:                              ;   in Loop: Header=BB242_434 Depth=1
	v_and_b32_e32 v25, 0x7f, v10
	v_cmp_ne_u32_e64 s[0:1], s29, v25
	v_mov_b32_e32 v24, 0x7c010000
	s_and_saveexec_b64 s[20:21], s[0:1]
	s_cbranch_execz .LBB242_819
; %bb.818:                              ;   in Loop: Header=BB242_434 Depth=1
	v_and_b32_e32 v24, 7, v10
	v_ffbh_u32_e32 v62, v24
	v_min_u32_e32 v64, 32, v62
	v_subrev_u32_e32 v62, 28, v64
	v_lshlrev_b64 v[62:63], v62, v[10:11]
	v_lshrrev_b32_e32 v61, 3, v25
	v_sub_u32_e32 v63, 29, v64
	v_cmp_gt_u32_e64 s[0:1], 8, v25
	v_lshlrev_b32_e32 v10, 8, v10
	s_nop 0
	v_cndmask_b32_e64 v25, v61, v63, s[0:1]
	v_lshl_add_u32 v25, v25, 10, v36
	v_and_b32_e32 v61, 7, v62
	v_and_or_b32 v10, v10, s30, v25
	v_cndmask_b32_e64 v24, v24, v61, s[0:1]
	v_lshlrev_b32_e32 v10, 16, v10
	v_lshl_or_b32 v24, v24, 23, v10
.LBB242_819:                            ;   in Loop: Header=BB242_434 Depth=1
	s_or_b64 exec, exec, s[20:21]
.LBB242_820:                            ;   in Loop: Header=BB242_434 Depth=1
	s_or_b64 exec, exec, s[18:19]
.LBB242_821:                            ;   in Loop: Header=BB242_434 Depth=1
	s_or_b64 exec, exec, s[16:17]
	v_lshrrev_b32_e32 v10, 16, v19
	v_cmp_ne_u16_sdwa s[0:1], v10, v11 src0_sel:BYTE_0 src1_sel:DWORD
	s_and_saveexec_b64 s[16:17], s[0:1]
	s_cbranch_execz .LBB242_827
; %bb.822:                              ;   in Loop: Header=BB242_434 Depth=1
	v_cmp_ne_u16_sdwa s[0:1], v10, s28 src0_sel:BYTE_0 src1_sel:DWORD
	v_mov_b32_e32 v22, 0x8000
	s_and_saveexec_b64 s[18:19], s[0:1]
	s_cbranch_execz .LBB242_826
; %bb.823:                              ;   in Loop: Header=BB242_434 Depth=1
	v_bfe_u32 v25, v19, 16, 7
	v_cmp_ne_u32_e64 s[0:1], s29, v25
	v_mov_b32_e32 v22, 0x7c01
	s_and_saveexec_b64 s[20:21], s[0:1]
	s_cbranch_execz .LBB242_825
; %bb.824:                              ;   in Loop: Header=BB242_434 Depth=1
	v_and_b32_e32 v22, 7, v10
	v_ffbh_u32_e32 v62, v22
	v_min_u32_e32 v64, 32, v62
	v_subrev_u32_e32 v62, 28, v64
	v_lshlrev_b64 v[62:63], v62, v[10:11]
	v_lshrrev_b32_e32 v61, 3, v25
	v_sub_u32_e32 v63, 29, v64
	v_cmp_gt_u32_e64 s[0:1], 8, v25
	v_lshlrev_b32_e32 v10, 8, v10
	s_nop 0
	v_cndmask_b32_e64 v25, v61, v63, s[0:1]
	v_lshl_add_u32 v25, v25, 10, v36
	v_and_b32_e32 v61, 7, v62
	v_and_b32_e32 v25, 0xfc00, v25
	v_cndmask_b32_e64 v22, v22, v61, s[0:1]
	v_and_or_b32 v10, v10, s30, v25
	v_lshl_or_b32 v22, v22, 7, v10
.LBB242_825:                            ;   in Loop: Header=BB242_434 Depth=1
	s_or_b64 exec, exec, s[20:21]
.LBB242_826:                            ;   in Loop: Header=BB242_434 Depth=1
	s_or_b64 exec, exec, s[18:19]
.LBB242_827:                            ;   in Loop: Header=BB242_434 Depth=1
	s_or_b64 exec, exec, s[16:17]
	v_cmp_lt_u64_e64 s[0:1], s[6:7], v[18:19]
	v_mov_b32_e32 v25, 0
	s_and_saveexec_b64 s[16:17], s[0:1]
	s_cbranch_execz .LBB242_833
; %bb.828:                              ;   in Loop: Header=BB242_434 Depth=1
	v_lshrrev_b32_e32 v10, 24, v19
	v_cmp_ne_u32_e64 s[0:1], s28, v10
	v_bfrev_b32_e32 v25, 1
	s_and_saveexec_b64 s[18:19], s[0:1]
	s_cbranch_execz .LBB242_832
; %bb.829:                              ;   in Loop: Header=BB242_434 Depth=1
	v_and_b32_e32 v18, 0x7f, v10
	v_cmp_ne_u32_e64 s[0:1], s29, v18
	v_mov_b32_e32 v25, 0x7c010000
	s_and_saveexec_b64 s[20:21], s[0:1]
	s_cbranch_execz .LBB242_831
; %bb.830:                              ;   in Loop: Header=BB242_434 Depth=1
	v_and_b32_e32 v19, 7, v10
	v_ffbh_u32_e32 v61, v19
	v_min_u32_e32 v61, 32, v61
	v_lshrrev_b32_e32 v25, 3, v18
	v_subrev_u32_e32 v62, 28, v61
	v_sub_u32_e32 v61, 29, v61
	v_cmp_gt_u32_e64 s[0:1], 8, v18
	v_lshlrev_b64 v[62:63], v62, v[10:11]
	v_lshlrev_b32_e32 v10, 8, v10
	v_cndmask_b32_e64 v18, v25, v61, s[0:1]
	v_lshl_add_u32 v18, v18, 10, v36
	v_and_b32_e32 v25, 7, v62
	v_and_or_b32 v10, v10, s30, v18
	v_cndmask_b32_e64 v19, v19, v25, s[0:1]
	v_lshlrev_b32_e32 v10, 16, v10
	v_lshl_or_b32 v25, v19, 23, v10
.LBB242_831:                            ;   in Loop: Header=BB242_434 Depth=1
	s_or_b64 exec, exec, s[20:21]
.LBB242_832:                            ;   in Loop: Header=BB242_434 Depth=1
	s_or_b64 exec, exec, s[18:19]
.LBB242_833:                            ;   in Loop: Header=BB242_434 Depth=1
	s_or_b64 exec, exec, s[16:17]
	v_cvt_f32_f16_sdwa v19, v1 dst_sel:DWORD dst_unused:UNUSED_PAD src0_sel:WORD_1
	v_cvt_f32_f16_sdwa v18, v21 dst_sel:DWORD dst_unused:UNUSED_PAD src0_sel:WORD_1
	v_or_b32_e32 v1, v1, v17
	v_or_b32_e32 v10, v21, v20
	v_cvt_f32_f16_e32 v20, v10
	v_cvt_f32_f16_e32 v21, v1
	s_waitcnt vmcnt(0)
	v_pk_mul_f32 v[18:19], v[16:17], v[18:19] op_sel_hi:[0,1]
	v_cvt_pk_f16_f32 v1, v18, v19
	v_and_b32_e32 v17, 0xffff0000, v1
	v_pk_mul_f32 v[20:21], v[16:17], v[20:21] op_sel_hi:[0,1]
	v_lshlrev_b32_e32 v18, 16, v1
	v_cvt_pk_f16_f32 v1, v20, v21
	v_or_b32_e32 v10, v24, v23
	v_or_b32_e32 v21, v25, v22
	v_cvt_f32_f16_e32 v22, v21
	v_cvt_f32_f16_e32 v23, v10
	v_cvt_f32_f16_sdwa v63, v24 dst_sel:DWORD dst_unused:UNUSED_PAD src0_sel:WORD_1
	v_cvt_f32_f16_sdwa v62, v25 dst_sel:DWORD dst_unused:UNUSED_PAD src0_sel:WORD_1
	v_lshrrev_b32_e32 v19, 16, v1
	v_pk_mul_f32 v[22:23], v[16:17], v[22:23] op_sel_hi:[0,1]
	v_cvt_pk_f16_f32 v21, v22, v23
	v_pk_mul_f32 v[22:23], v[16:17], v[62:63] op_sel_hi:[0,1]
	v_cvt_pk_f16_f32 v16, v22, v23
	v_and_b32_e32 v20, 0xffff, v1
	v_and_b32_e32 v23, 0xffff0000, v16
	v_lshlrev_b32_e32 v22, 16, v16
	v_lshrrev_b32_e32 v25, 16, v21
	v_and_b32_e32 v24, 0xffff, v21
	v_or_b32_e32 v1, v17, v19
	v_or_b32_e32 v10, v18, v20
	;; [unrolled: 1-line block ×4, first 2 shown]
	s_and_saveexec_b64 s[0:1], vcc
	s_cbranch_execz .LBB242_432
; %bb.834:                              ;   in Loop: Header=BB242_434 Depth=1
	v_cmp_gt_i32_e32 vcc, s38, v37
	s_nop 1
	v_cndmask_b32_e32 v1, 0, v19, vcc
	v_cmp_gt_i32_e32 vcc, s33, v45
	s_nop 1
	v_cndmask_b32_e32 v10, 0, v20, vcc
	;; [unrolled: 3-line block ×3, first 2 shown]
	v_cmp_gt_i32_e32 vcc, s33, v42
	v_or_b32_e32 v1, v16, v1
	s_nop 0
	v_cndmask_b32_e32 v17, 0, v18, vcc
	v_cmp_gt_i32_e32 vcc, s38, v41
	v_or_b32_e32 v10, v17, v10
	s_nop 0
	v_cndmask_b32_e32 v16, 0, v25, vcc
	v_cmp_gt_i32_e32 vcc, s33, v40
	s_nop 1
	v_cndmask_b32_e32 v17, 0, v24, vcc
	v_cmp_gt_i32_e32 vcc, s38, v39
	s_nop 1
	v_cndmask_b32_e32 v18, 0, v23, vcc
	v_cmp_gt_i32_e32 vcc, s33, v38
	v_or_b32_e32 v21, v18, v16
	s_nop 0
	v_cndmask_b32_e32 v19, 0, v22, vcc
	v_or_b32_e32 v16, v19, v17
	s_branch .LBB242_432
.LBB242_835:
	s_or_b64 exec, exec, s[8:9]
.LBB242_836:
	s_or_b64 exec, exec, s[2:3]
	ds_bpermute_b32 v10, v31, v8
	ds_bpermute_b32 v11, v31, v9
	;; [unrolled: 1-line block ×6, first 2 shown]
	s_waitcnt lgkmcnt(4)
	v_pk_add_f32 v[8:9], v[8:9], v[10:11]
	ds_bpermute_b32 v10, v31, v2
	ds_bpermute_b32 v11, v31, v3
	v_and_b32_e32 v1, 0x3c1, v0
	s_waitcnt lgkmcnt(4)
	v_pk_add_f32 v[6:7], v[6:7], v[12:13]
	s_waitcnt lgkmcnt(2)
	v_pk_add_f32 v[4:5], v[4:5], v[14:15]
	v_cmp_ne_u32_e32 vcc, 64, v1
	s_waitcnt lgkmcnt(0)
	s_barrier
	s_and_saveexec_b64 s[0:1], vcc
	s_xor_b64 s[0:1], exec, s[0:1]
; %bb.837:
                                        ; implicit-def: $vgpr30
; %bb.838:
	s_or_saveexec_b64 s[0:1], s[0:1]
	v_pk_add_f32 v[2:3], v[2:3], v[10:11]
	s_xor_b64 exec, exec, s[0:1]
	s_cbranch_execz .LBB242_840
; %bb.839:
	v_mov_b32_e32 v10, 0x210
	v_lshl_add_u32 v10, v30, 1, v10
	ds_write2_b32 v10, v8, v9 offset1:32
	ds_write2_b32 v10, v6, v7 offset0:64 offset1:96
	ds_write2_b32 v10, v4, v5 offset0:128 offset1:160
	;; [unrolled: 1-line block ×3, first 2 shown]
.LBB242_840:
	s_or_b64 exec, exec, s[0:1]
	v_cmp_gt_u32_e32 vcc, 64, v0
	v_lshrrev_b32_e32 v0, 1, v0
	s_waitcnt lgkmcnt(0)
	s_barrier
	s_and_saveexec_b64 s[0:1], vcc
	s_cbranch_execz .LBB242_851
; %bb.841:
	v_mov_b32_e32 v10, 0x210
	v_cmp_eq_u32_e32 vcc, 0, v32
	v_lshl_add_u32 v10, v0, 2, v10
	s_and_saveexec_b64 s[2:3], vcc
	s_cbranch_execnz .LBB242_854
; %bb.842:
	s_or_b64 exec, exec, s[2:3]
	s_and_saveexec_b64 s[2:3], vcc
	s_cbranch_execnz .LBB242_855
.LBB242_843:
	s_or_b64 exec, exec, s[2:3]
	s_and_saveexec_b64 s[2:3], vcc
	s_cbranch_execnz .LBB242_856
.LBB242_844:
	s_or_b64 exec, exec, s[2:3]
	s_and_saveexec_b64 s[2:3], vcc
	s_cbranch_execnz .LBB242_857
.LBB242_845:
	s_or_b64 exec, exec, s[2:3]
	s_and_saveexec_b64 s[2:3], vcc
	s_cbranch_execnz .LBB242_858
.LBB242_846:
	s_or_b64 exec, exec, s[2:3]
	s_and_saveexec_b64 s[2:3], vcc
	s_cbranch_execnz .LBB242_859
.LBB242_847:
	s_or_b64 exec, exec, s[2:3]
	s_and_saveexec_b64 s[2:3], vcc
	s_cbranch_execnz .LBB242_860
.LBB242_848:
	s_or_b64 exec, exec, s[2:3]
	s_and_saveexec_b64 s[2:3], vcc
	s_cbranch_execz .LBB242_850
.LBB242_849:
	ds_read_b32 v10, v10 offset:896
	s_waitcnt lgkmcnt(0)
	v_add_f32_e32 v3, v3, v10
.LBB242_850:
	s_or_b64 exec, exec, s[2:3]
.LBB242_851:
	s_or_b64 exec, exec, s[0:1]
	v_cmp_eq_u32_e32 vcc, 0, v1
	s_barrier
	s_and_saveexec_b64 s[0:1], vcc
	s_cbranch_execz .LBB242_853
; %bb.852:
	s_mul_i32 s0, s10, s11
	s_mul_i32 s0, s0, s5
	s_lshl_b32 s0, s0, 8
	s_ashr_i32 s1, s0, 31
	s_lshl_b64 s[0:1], s[0:1], 1
	s_add_u32 s2, s26, s0
	s_mul_i32 s0, s11, s24
	s_addc_u32 s3, s27, s1
	s_ashr_i32 s1, s0, 31
	s_lshl_b64 s[0:1], s[0:1], 1
	s_add_u32 s2, s2, s0
	s_addc_u32 s3, s3, s1
	s_lshl_b32 s0, s4, 8
	s_ashr_i32 s1, s0, 31
	s_lshl_b64 s[0:1], s[0:1], 1
	s_add_u32 s0, s2, s0
	s_addc_u32 s1, s3, s1
	v_lshlrev_b32_e32 v0, 1, v0
	;;#ASMSTART
	v_cvt_f16_f32 v1, v8;

	;;#ASMEND
	global_store_short v0, v1, s[0:1]
	;;#ASMSTART
	v_cvt_f16_f32 v1, v9;

	;;#ASMEND
	global_store_short v0, v1, s[0:1] offset:64
	;;#ASMSTART
	v_cvt_f16_f32 v1, v6;

	;;#ASMEND
	global_store_short v0, v1, s[0:1] offset:128
	;; [unrolled: 5-line block ×7, first 2 shown]
.LBB242_853:
	s_endpgm
.LBB242_854:
	ds_read_b32 v11, v10
	s_waitcnt lgkmcnt(0)
	v_add_f32_e32 v8, v8, v11
	s_or_b64 exec, exec, s[2:3]
	s_and_saveexec_b64 s[2:3], vcc
	s_cbranch_execz .LBB242_843
.LBB242_855:
	ds_read_b32 v11, v10 offset:128
	s_waitcnt lgkmcnt(0)
	v_add_f32_e32 v9, v9, v11
	s_or_b64 exec, exec, s[2:3]
	s_and_saveexec_b64 s[2:3], vcc
	s_cbranch_execz .LBB242_844
.LBB242_856:
	ds_read_b32 v11, v10 offset:256
	s_waitcnt lgkmcnt(0)
	v_add_f32_e32 v6, v6, v11
	s_or_b64 exec, exec, s[2:3]
	s_and_saveexec_b64 s[2:3], vcc
	s_cbranch_execz .LBB242_845
.LBB242_857:
	ds_read_b32 v11, v10 offset:384
	s_waitcnt lgkmcnt(0)
	v_add_f32_e32 v7, v7, v11
	s_or_b64 exec, exec, s[2:3]
	s_and_saveexec_b64 s[2:3], vcc
	s_cbranch_execz .LBB242_846
.LBB242_858:
	ds_read_b32 v11, v10 offset:512
	s_waitcnt lgkmcnt(0)
	v_add_f32_e32 v4, v4, v11
	s_or_b64 exec, exec, s[2:3]
	s_and_saveexec_b64 s[2:3], vcc
	s_cbranch_execz .LBB242_847
.LBB242_859:
	ds_read_b32 v11, v10 offset:640
	s_waitcnt lgkmcnt(0)
	v_add_f32_e32 v5, v5, v11
	s_or_b64 exec, exec, s[2:3]
	s_and_saveexec_b64 s[2:3], vcc
	s_cbranch_execz .LBB242_848
.LBB242_860:
	ds_read_b32 v11, v10 offset:768
	s_waitcnt lgkmcnt(0)
	v_add_f32_e32 v2, v2, v11
	s_or_b64 exec, exec, s[2:3]
	s_and_saveexec_b64 s[2:3], vcc
	s_cbranch_execnz .LBB242_849
	s_branch .LBB242_850
	.section	.rodata,"a",@progbits
	.p2align	6, 0x0
	.amdhsa_kernel _ZN4vllm25paged_attention_v1_kernelIthLi256ELi16ELi128ELNS_18Fp8KVCacheDataTypeE1ELb1EEEvPT_PKS2_PKT0_S8_ifPKiSA_iPKfiiiSC_SC_iiiii
		.amdhsa_group_segment_fixed_size 528
		.amdhsa_private_segment_fixed_size 0
		.amdhsa_kernarg_size 384
		.amdhsa_user_sgpr_count 2
		.amdhsa_user_sgpr_dispatch_ptr 0
		.amdhsa_user_sgpr_queue_ptr 0
		.amdhsa_user_sgpr_kernarg_segment_ptr 1
		.amdhsa_user_sgpr_dispatch_id 0
		.amdhsa_user_sgpr_kernarg_preload_length 0
		.amdhsa_user_sgpr_kernarg_preload_offset 0
		.amdhsa_user_sgpr_private_segment_size 0
		.amdhsa_uses_dynamic_stack 0
		.amdhsa_enable_private_segment 0
		.amdhsa_system_sgpr_workgroup_id_x 1
		.amdhsa_system_sgpr_workgroup_id_y 1
		.amdhsa_system_sgpr_workgroup_id_z 1
		.amdhsa_system_sgpr_workgroup_info 0
		.amdhsa_system_vgpr_workitem_id 0
		.amdhsa_next_free_vgpr 108
		.amdhsa_next_free_sgpr 55
		.amdhsa_accum_offset 108
		.amdhsa_reserve_vcc 1
		.amdhsa_float_round_mode_32 0
		.amdhsa_float_round_mode_16_64 0
		.amdhsa_float_denorm_mode_32 3
		.amdhsa_float_denorm_mode_16_64 3
		.amdhsa_dx10_clamp 1
		.amdhsa_ieee_mode 1
		.amdhsa_fp16_overflow 0
		.amdhsa_tg_split 0
		.amdhsa_exception_fp_ieee_invalid_op 0
		.amdhsa_exception_fp_denorm_src 0
		.amdhsa_exception_fp_ieee_div_zero 0
		.amdhsa_exception_fp_ieee_overflow 0
		.amdhsa_exception_fp_ieee_underflow 0
		.amdhsa_exception_fp_ieee_inexact 0
		.amdhsa_exception_int_div_zero 0
	.end_amdhsa_kernel
	.section	.text._ZN4vllm25paged_attention_v1_kernelIthLi256ELi16ELi128ELNS_18Fp8KVCacheDataTypeE1ELb1EEEvPT_PKS2_PKT0_S8_ifPKiSA_iPKfiiiSC_SC_iiiii,"axG",@progbits,_ZN4vllm25paged_attention_v1_kernelIthLi256ELi16ELi128ELNS_18Fp8KVCacheDataTypeE1ELb1EEEvPT_PKS2_PKT0_S8_ifPKiSA_iPKfiiiSC_SC_iiiii,comdat
.Lfunc_end242:
	.size	_ZN4vllm25paged_attention_v1_kernelIthLi256ELi16ELi128ELNS_18Fp8KVCacheDataTypeE1ELb1EEEvPT_PKS2_PKT0_S8_ifPKiSA_iPKfiiiSC_SC_iiiii, .Lfunc_end242-_ZN4vllm25paged_attention_v1_kernelIthLi256ELi16ELi128ELNS_18Fp8KVCacheDataTypeE1ELb1EEEvPT_PKS2_PKT0_S8_ifPKiSA_iPKfiiiSC_SC_iiiii
                                        ; -- End function
	.set _ZN4vllm25paged_attention_v1_kernelIthLi256ELi16ELi128ELNS_18Fp8KVCacheDataTypeE1ELb1EEEvPT_PKS2_PKT0_S8_ifPKiSA_iPKfiiiSC_SC_iiiii.num_vgpr, 108
	.set _ZN4vllm25paged_attention_v1_kernelIthLi256ELi16ELi128ELNS_18Fp8KVCacheDataTypeE1ELb1EEEvPT_PKS2_PKT0_S8_ifPKiSA_iPKfiiiSC_SC_iiiii.num_agpr, 0
	.set _ZN4vllm25paged_attention_v1_kernelIthLi256ELi16ELi128ELNS_18Fp8KVCacheDataTypeE1ELb1EEEvPT_PKS2_PKT0_S8_ifPKiSA_iPKfiiiSC_SC_iiiii.numbered_sgpr, 55
	.set _ZN4vllm25paged_attention_v1_kernelIthLi256ELi16ELi128ELNS_18Fp8KVCacheDataTypeE1ELb1EEEvPT_PKS2_PKT0_S8_ifPKiSA_iPKfiiiSC_SC_iiiii.num_named_barrier, 0
	.set _ZN4vllm25paged_attention_v1_kernelIthLi256ELi16ELi128ELNS_18Fp8KVCacheDataTypeE1ELb1EEEvPT_PKS2_PKT0_S8_ifPKiSA_iPKfiiiSC_SC_iiiii.private_seg_size, 0
	.set _ZN4vllm25paged_attention_v1_kernelIthLi256ELi16ELi128ELNS_18Fp8KVCacheDataTypeE1ELb1EEEvPT_PKS2_PKT0_S8_ifPKiSA_iPKfiiiSC_SC_iiiii.uses_vcc, 1
	.set _ZN4vllm25paged_attention_v1_kernelIthLi256ELi16ELi128ELNS_18Fp8KVCacheDataTypeE1ELb1EEEvPT_PKS2_PKT0_S8_ifPKiSA_iPKfiiiSC_SC_iiiii.uses_flat_scratch, 0
	.set _ZN4vllm25paged_attention_v1_kernelIthLi256ELi16ELi128ELNS_18Fp8KVCacheDataTypeE1ELb1EEEvPT_PKS2_PKT0_S8_ifPKiSA_iPKfiiiSC_SC_iiiii.has_dyn_sized_stack, 0
	.set _ZN4vllm25paged_attention_v1_kernelIthLi256ELi16ELi128ELNS_18Fp8KVCacheDataTypeE1ELb1EEEvPT_PKS2_PKT0_S8_ifPKiSA_iPKfiiiSC_SC_iiiii.has_recursion, 0
	.set _ZN4vllm25paged_attention_v1_kernelIthLi256ELi16ELi128ELNS_18Fp8KVCacheDataTypeE1ELb1EEEvPT_PKS2_PKT0_S8_ifPKiSA_iPKfiiiSC_SC_iiiii.has_indirect_call, 0
	.section	.AMDGPU.csdata,"",@progbits
; Kernel info:
; codeLenInByte = 37532
; TotalNumSgprs: 61
; NumVgprs: 108
; NumAgprs: 0
; TotalNumVgprs: 108
; ScratchSize: 0
; MemoryBound: 0
; FloatMode: 240
; IeeeMode: 1
; LDSByteSize: 528 bytes/workgroup (compile time only)
; SGPRBlocks: 7
; VGPRBlocks: 13
; NumSGPRsForWavesPerEU: 61
; NumVGPRsForWavesPerEU: 108
; AccumOffset: 108
; Occupancy: 4
; WaveLimiterHint : 1
; COMPUTE_PGM_RSRC2:SCRATCH_EN: 0
; COMPUTE_PGM_RSRC2:USER_SGPR: 2
; COMPUTE_PGM_RSRC2:TRAP_HANDLER: 0
; COMPUTE_PGM_RSRC2:TGID_X_EN: 1
; COMPUTE_PGM_RSRC2:TGID_Y_EN: 1
; COMPUTE_PGM_RSRC2:TGID_Z_EN: 1
; COMPUTE_PGM_RSRC2:TIDIG_COMP_CNT: 0
; COMPUTE_PGM_RSRC3_GFX90A:ACCUM_OFFSET: 26
; COMPUTE_PGM_RSRC3_GFX90A:TG_SPLIT: 0
	.section	.text._ZN4vllm25paged_attention_v1_kernelIthLi32ELi16ELi128ELNS_18Fp8KVCacheDataTypeE1ELb0EEEvPT_PKS2_PKT0_S8_ifPKiSA_iPKfiiiSC_SC_iiiii,"axG",@progbits,_ZN4vllm25paged_attention_v1_kernelIthLi32ELi16ELi128ELNS_18Fp8KVCacheDataTypeE1ELb0EEEvPT_PKS2_PKT0_S8_ifPKiSA_iPKfiiiSC_SC_iiiii,comdat
	.protected	_ZN4vllm25paged_attention_v1_kernelIthLi32ELi16ELi128ELNS_18Fp8KVCacheDataTypeE1ELb0EEEvPT_PKS2_PKT0_S8_ifPKiSA_iPKfiiiSC_SC_iiiii ; -- Begin function _ZN4vllm25paged_attention_v1_kernelIthLi32ELi16ELi128ELNS_18Fp8KVCacheDataTypeE1ELb0EEEvPT_PKS2_PKT0_S8_ifPKiSA_iPKfiiiSC_SC_iiiii
	.globl	_ZN4vllm25paged_attention_v1_kernelIthLi32ELi16ELi128ELNS_18Fp8KVCacheDataTypeE1ELb0EEEvPT_PKS2_PKT0_S8_ifPKiSA_iPKfiiiSC_SC_iiiii
	.p2align	8
	.type	_ZN4vllm25paged_attention_v1_kernelIthLi32ELi16ELi128ELNS_18Fp8KVCacheDataTypeE1ELb0EEEvPT_PKS2_PKT0_S8_ifPKiSA_iPKfiiiSC_SC_iiiii,@function
_ZN4vllm25paged_attention_v1_kernelIthLi32ELi16ELi128ELNS_18Fp8KVCacheDataTypeE1ELb0EEEvPT_PKS2_PKT0_S8_ifPKiSA_iPKfiiiSC_SC_iiiii: ; @_ZN4vllm25paged_attention_v1_kernelIthLi32ELi16ELi128ELNS_18Fp8KVCacheDataTypeE1ELb0EEEvPT_PKS2_PKT0_S8_ifPKiSA_iPKfiiiSC_SC_iiiii
; %bb.0:
	s_load_dword s5, s[0:1], 0x80
	s_load_dwordx2 s[6:7], s[0:1], 0x30
	s_load_dwordx2 s[28:29], s[0:1], 0x20
	s_mov_b32 s16, s3
	s_ashr_i32 s17, s3, 31
	s_lshl_b64 s[8:9], s[16:17], 2
	s_waitcnt lgkmcnt(0)
	s_add_u32 s6, s6, s8
	s_addc_u32 s7, s7, s9
	s_abs_i32 s3, s28
	v_cvt_f32_u32_e32 v1, s3
	s_sub_i32 s10, 0, s3
	s_abs_i32 s9, s5
	s_xor_b32 s8, s5, s28
	v_rcp_iflag_f32_e32 v1, v1
	s_ashr_i32 s8, s8, 31
	s_mov_b32 s28, 0
	v_mul_f32_e32 v1, 0x4f7ffffe, v1
	v_cvt_u32_f32_e32 v1, v1
	s_nop 0
	v_readfirstlane_b32 s11, v1
	s_mul_i32 s10, s10, s11
	s_mul_hi_u32 s10, s11, s10
	s_add_i32 s11, s11, s10
	s_mul_hi_u32 s10, s9, s11
	s_mul_i32 s11, s10, s3
	s_sub_i32 s9, s9, s11
	s_add_i32 s11, s10, 1
	s_sub_i32 s12, s9, s3
	s_cmp_ge_u32 s9, s3
	s_cselect_b32 s10, s11, s10
	s_cselect_b32 s9, s12, s9
	s_add_i32 s11, s10, 1
	s_cmp_ge_u32 s9, s3
	s_cselect_b32 s3, s11, s10
	s_xor_b32 s3, s3, s8
	s_sub_i32 s18, s3, s8
	s_abs_i32 s10, s18
	v_cvt_f32_u32_e32 v1, s10
	s_load_dwordx2 s[8:9], s[0:1], 0x40
	s_sub_i32 s3, 0, s10
	s_abs_i32 s11, s2
	v_rcp_iflag_f32_e32 v1, v1
	s_nop 0
	v_mul_f32_e32 v1, 0x4f7ffffe, v1
	v_cvt_u32_f32_e32 v1, v1
	s_nop 0
	v_readfirstlane_b32 s12, v1
	s_mul_i32 s3, s3, s12
	s_mul_hi_u32 s3, s12, s3
	s_add_i32 s12, s12, s3
	s_waitcnt lgkmcnt(0)
	s_cmp_eq_u64 s[8:9], 0
	s_mul_hi_u32 s20, s11, s12
	s_cbranch_scc1 .LBB243_2
; %bb.1:
	s_ashr_i32 s3, s2, 31
	s_lshl_b64 s[12:13], s[2:3], 2
	s_add_u32 s8, s8, s12
	s_addc_u32 s9, s9, s13
	s_load_dword s28, s[8:9], 0x0
.LBB243_2:
	s_load_dword s17, s[6:7], 0x0
	s_load_dwordx4 s[12:15], s[0:1], 0x48
	s_ashr_i32 s6, s2, 31
	s_ashr_i32 s7, s18, 31
	v_and_b32_e32 v4, 3, v0
	s_lshl_b32 s18, s2, 5
	v_cmp_gt_u32_e32 vcc, 16, v0
	s_and_saveexec_b64 s[2:3], vcc
	s_cbranch_execz .LBB243_4
; %bb.3:
	s_load_dwordx2 s[8:9], s[0:1], 0x8
	s_waitcnt lgkmcnt(0)
	s_mul_i32 s22, s12, s16
	s_ashr_i32 s23, s22, 31
	s_lshl_b64 s[22:23], s[22:23], 1
	v_lshlrev_b32_e32 v1, 2, v0
	s_add_u32 s12, s8, s22
	s_addc_u32 s15, s9, s23
	s_ashr_i32 s19, s18, 31
	s_lshl_b64 s[8:9], s[18:19], 1
	s_add_u32 s8, s12, s8
	s_addc_u32 s9, s15, s9
	global_load_dword v1, v1, s[8:9]
	v_and_b32_e32 v2, 0x3fc, v0
	v_lshl_add_u32 v2, v4, 4, v2
	s_waitcnt vmcnt(0)
	ds_write_b32 v2, v1
.LBB243_4:
	s_or_b64 exec, exec, s[2:3]
	s_waitcnt lgkmcnt(0)
	s_add_i32 s3, s17, 15
	s_ashr_i32 s8, s3, 31
	s_lshr_b32 s8, s8, 28
	s_add_i32 s3, s3, s8
	s_ashr_i32 s33, s3, 4
	s_xor_b32 s3, s6, s7
	s_mul_i32 s6, s20, s10
	s_sub_i32 s6, s11, s6
	s_add_i32 s7, s20, 1
	s_sub_i32 s8, s6, s10
	s_load_dwordx2 s[22:23], s[0:1], 0x28
	s_load_dword s2, s[0:1], 0x38
	s_cmp_ge_u32 s6, s10
	s_cselect_b32 s7, s7, s20
	s_cselect_b32 s6, s8, s6
	s_add_i32 s8, s7, 1
	s_cmp_ge_u32 s6, s10
	s_cselect_b32 s6, s8, s7
	v_lshrrev_b32_e32 v18, 6, v0
	s_xor_b32 s6, s6, s3
	s_waitcnt lgkmcnt(0)
	s_mul_i32 s24, s2, s16
	s_sub_i32 s12, s6, s3
	s_ashr_i32 s25, s24, 31
	v_cmp_gt_i32_e64 s[6:7], s33, v18
	v_cmp_le_i32_e32 vcc, s33, v18
	v_mbcnt_lo_u32_b32 v9, -1, 0
	s_barrier
                                        ; implicit-def: $vgpr10
                                        ; implicit-def: $vgpr8
                                        ; implicit-def: $vgpr2
	s_and_saveexec_b64 s[2:3], vcc
	s_xor_b64 s[2:3], exec, s[2:3]
; %bb.5:
	v_mbcnt_hi_u32_b32 v10, -1, v9
	v_and_b32_e32 v8, 64, v10
	v_add_u32_e32 v2, 64, v8
                                        ; implicit-def: $vgpr4
                                        ; implicit-def: $vgpr9
; %bb.6:
	s_or_saveexec_b64 s[30:31], s[2:3]
	s_load_dwordx2 s[20:21], s[0:1], 0x0
	s_load_dwordx2 s[26:27], s[0:1], 0x18
	s_load_dword s19, s[0:1], 0x88
	s_load_dwordx4 s[8:11], s[0:1], 0x58
	v_mov_b32_e32 v11, 0xff7fffff
	s_mul_i32 s12, s12, s14
	v_lshrrev_b32_e32 v1, 4, v0
	s_xor_b64 exec, exec, s[30:31]
	s_cbranch_execz .LBB243_60
; %bb.7:
	s_load_dwordx2 s[0:1], s[0:1], 0x10
	s_ashr_i32 s2, s12, 31
	v_bfe_u32 v8, v0, 2, 4
	v_lshlrev_b32_e32 v2, 4, v8
	v_mov_b32_e32 v3, 0
	s_waitcnt lgkmcnt(0)
	s_add_u32 s0, s0, s12
	s_addc_u32 s1, s1, s2
	v_lshl_add_u64 v[6:7], s[0:1], 0, v[2:3]
	v_lshlrev_b32_e32 v2, 1, v4
	v_lshlrev_b32_e32 v12, 4, v4
	v_cmp_eq_u32_e32 vcc, 0, v4
	v_lshl_add_u64 v[4:5], v[6:7], 0, v[2:3]
	s_sub_i32 s41, 1, s17
	v_lshlrev_b32_e32 v2, 2, v8
	s_lshl_b64 s[0:1], s[24:25], 2
	v_lshl_or_b32 v2, v18, 6, v2
	s_add_u32 s0, s22, s0
	v_add_u32_e32 v14, 0x50, v2
	v_and_b32_e32 v2, 60, v1
	s_addc_u32 s1, s23, s1
	s_mov_b32 s40, s13
	v_cmp_neq_f32_e64 s[2:3], s28, 0
	v_lshl_or_b32 v13, v18, 4, v8
	v_lshl_add_u64 v[6:7], s[0:1], 0, v[2:3]
	v_mov_b32_e32 v11, 0xff7fffff
	s_mov_b64 s[14:15], 0
	s_movk_i32 s42, 0x80
	s_movk_i32 s43, 0x7f
	s_mov_b32 s44, 0x8000
	v_mbcnt_hi_u32_b32 v10, -1, v9
	v_mov_b32_e32 v15, 0x2000
	v_mov_b32_e32 v16, v18
	s_branch .LBB243_9
.LBB243_8:                              ;   in Loop: Header=BB243_9 Depth=1
	s_or_b64 exec, exec, s[34:35]
	v_add_u32_e32 v16, 2, v16
	v_cmp_le_i32_e64 s[0:1], s33, v16
	v_add_u32_e32 v13, 32, v13
	v_add_u32_e32 v14, 0x80, v14
	s_or_b64 s[14:15], s[0:1], s[14:15]
	v_lshl_add_u64 v[6:7], v[6:7], 0, 8
	s_andn2_b64 exec, exec, s[14:15]
	s_cbranch_execz .LBB243_59
.LBB243_9:                              ; =>This Inner Loop Header: Depth=1
	global_load_dword v2, v[6:7], off
	s_waitcnt vmcnt(0)
	v_mad_i64_i32 v[8:9], s[0:1], v2, s40, v[4:5]
	global_load_ushort v19, v[8:9], off
	s_waitcnt lgkmcnt(0)
	global_load_dword v17, v3, s[8:9]
	s_waitcnt vmcnt(1)
	v_and_b32_e32 v2, 0xffff, v19
	v_cmp_ne_u16_sdwa s[0:1], v19, v3 src0_sel:BYTE_0 src1_sel:DWORD
	v_mov_b32_e32 v19, 0
	s_and_saveexec_b64 s[34:35], s[0:1]
	s_cbranch_execz .LBB243_15
; %bb.10:                               ;   in Loop: Header=BB243_9 Depth=1
	v_cmp_ne_u16_sdwa s[0:1], v2, s42 src0_sel:BYTE_0 src1_sel:DWORD
	v_mov_b32_e32 v19, 0x8000
	s_and_saveexec_b64 s[36:37], s[0:1]
	s_cbranch_execz .LBB243_14
; %bb.11:                               ;   in Loop: Header=BB243_9 Depth=1
	v_and_b32_e32 v20, 0x7f, v2
	v_cmp_ne_u32_e64 s[0:1], s43, v20
	v_mov_b32_e32 v19, 0x7c01
	s_and_saveexec_b64 s[38:39], s[0:1]
	s_cbranch_execz .LBB243_13
; %bb.12:                               ;   in Loop: Header=BB243_9 Depth=1
	v_and_b32_e32 v19, 7, v2
	v_ffbh_u32_e32 v22, v19
	v_min_u32_e32 v24, 32, v22
	v_subrev_u32_e32 v22, 28, v24
	v_lshlrev_b64 v[22:23], v22, v[2:3]
	v_lshrrev_b32_e32 v21, 3, v20
	v_sub_u32_e32 v23, 29, v24
	v_cmp_gt_u32_e64 s[0:1], 8, v20
	v_and_b32_e32 v22, 7, v22
	s_nop 0
	v_cndmask_b32_e64 v20, v21, v23, s[0:1]
	v_lshl_add_u32 v20, v20, 10, v15
	v_lshlrev_b32_e32 v21, 8, v2
	v_and_b32_e32 v20, 0xfc00, v20
	v_cndmask_b32_e64 v19, v19, v22, s[0:1]
	v_and_or_b32 v20, v21, s44, v20
	v_lshl_or_b32 v19, v19, 7, v20
.LBB243_13:                             ;   in Loop: Header=BB243_9 Depth=1
	s_or_b64 exec, exec, s[38:39]
.LBB243_14:                             ;   in Loop: Header=BB243_9 Depth=1
	s_or_b64 exec, exec, s[36:37]
.LBB243_15:                             ;   in Loop: Header=BB243_9 Depth=1
	s_or_b64 exec, exec, s[34:35]
	v_lshrrev_b16_e32 v2, 8, v2
	v_cmp_ne_u16_e64 s[0:1], 0, v2
	v_mov_b32_e32 v20, 0
	v_mov_b32_e32 v21, 0
	s_and_saveexec_b64 s[34:35], s[0:1]
	s_cbranch_execz .LBB243_21
; %bb.16:                               ;   in Loop: Header=BB243_9 Depth=1
	v_cmp_ne_u16_e64 s[0:1], s42, v2
	v_bfrev_b32_e32 v21, 1
	s_and_saveexec_b64 s[36:37], s[0:1]
	s_cbranch_execz .LBB243_20
; %bb.17:                               ;   in Loop: Header=BB243_9 Depth=1
	v_and_b32_e32 v22, 0x7f, v2
	v_cmp_ne_u32_e64 s[0:1], s43, v22
	v_mov_b32_e32 v21, 0x7c010000
	s_and_saveexec_b64 s[38:39], s[0:1]
	s_cbranch_execz .LBB243_19
; %bb.18:                               ;   in Loop: Header=BB243_9 Depth=1
	v_and_b32_e32 v21, 7, v2
	v_ffbh_u32_e32 v24, v21
	v_min_u32_e32 v26, 32, v24
	v_subrev_u32_e32 v24, 28, v26
	v_lshlrev_b64 v[24:25], v24, v[2:3]
	v_lshrrev_b32_e32 v23, 3, v22
	v_sub_u32_e32 v25, 29, v26
	v_cmp_gt_u32_e64 s[0:1], 8, v22
	v_lshlrev_b32_e32 v2, 8, v2
	s_nop 0
	v_cndmask_b32_e64 v22, v23, v25, s[0:1]
	v_lshl_add_u32 v22, v22, 10, v15
	v_and_b32_e32 v23, 7, v24
	v_and_or_b32 v2, v2, s44, v22
	v_cndmask_b32_e64 v21, v21, v23, s[0:1]
	v_lshlrev_b32_e32 v2, 16, v2
	v_lshl_or_b32 v21, v21, 23, v2
.LBB243_19:                             ;   in Loop: Header=BB243_9 Depth=1
	s_or_b64 exec, exec, s[38:39]
.LBB243_20:                             ;   in Loop: Header=BB243_9 Depth=1
	s_or_b64 exec, exec, s[36:37]
.LBB243_21:                             ;   in Loop: Header=BB243_9 Depth=1
	s_or_b64 exec, exec, s[34:35]
	global_load_ushort v22, v[8:9], off offset:8
	s_waitcnt vmcnt(0)
	v_and_b32_e32 v2, 0xffff, v22
	v_cmp_ne_u16_sdwa s[0:1], v22, v3 src0_sel:BYTE_0 src1_sel:DWORD
	s_and_saveexec_b64 s[34:35], s[0:1]
	s_cbranch_execz .LBB243_27
; %bb.22:                               ;   in Loop: Header=BB243_9 Depth=1
	v_cmp_ne_u16_sdwa s[0:1], v2, s42 src0_sel:BYTE_0 src1_sel:DWORD
	v_mov_b32_e32 v20, 0x8000
	s_and_saveexec_b64 s[36:37], s[0:1]
	s_cbranch_execz .LBB243_26
; %bb.23:                               ;   in Loop: Header=BB243_9 Depth=1
	v_and_b32_e32 v22, 0x7f, v2
	v_cmp_ne_u32_e64 s[0:1], s43, v22
	v_mov_b32_e32 v20, 0x7c01
	s_and_saveexec_b64 s[38:39], s[0:1]
	s_cbranch_execz .LBB243_25
; %bb.24:                               ;   in Loop: Header=BB243_9 Depth=1
	v_and_b32_e32 v20, 7, v2
	v_ffbh_u32_e32 v24, v20
	v_min_u32_e32 v26, 32, v24
	v_subrev_u32_e32 v24, 28, v26
	v_lshlrev_b64 v[24:25], v24, v[2:3]
	v_lshrrev_b32_e32 v23, 3, v22
	v_sub_u32_e32 v25, 29, v26
	v_cmp_gt_u32_e64 s[0:1], 8, v22
	v_and_b32_e32 v24, 7, v24
	s_nop 0
	v_cndmask_b32_e64 v22, v23, v25, s[0:1]
	v_lshl_add_u32 v22, v22, 10, v15
	v_lshlrev_b32_e32 v23, 8, v2
	v_and_b32_e32 v22, 0xfc00, v22
	v_cndmask_b32_e64 v20, v20, v24, s[0:1]
	v_and_or_b32 v22, v23, s44, v22
	v_lshl_or_b32 v20, v20, 7, v22
.LBB243_25:                             ;   in Loop: Header=BB243_9 Depth=1
	s_or_b64 exec, exec, s[38:39]
.LBB243_26:                             ;   in Loop: Header=BB243_9 Depth=1
	s_or_b64 exec, exec, s[36:37]
.LBB243_27:                             ;   in Loop: Header=BB243_9 Depth=1
	s_or_b64 exec, exec, s[34:35]
	v_lshrrev_b16_e32 v2, 8, v2
	v_cmp_ne_u16_e64 s[0:1], 0, v2
	v_mov_b32_e32 v22, 0
	v_mov_b32_e32 v23, 0
	s_and_saveexec_b64 s[34:35], s[0:1]
	s_cbranch_execz .LBB243_33
; %bb.28:                               ;   in Loop: Header=BB243_9 Depth=1
	v_cmp_ne_u16_e64 s[0:1], s42, v2
	v_bfrev_b32_e32 v23, 1
	s_and_saveexec_b64 s[36:37], s[0:1]
	s_cbranch_execz .LBB243_32
; %bb.29:                               ;   in Loop: Header=BB243_9 Depth=1
	v_and_b32_e32 v24, 0x7f, v2
	v_cmp_ne_u32_e64 s[0:1], s43, v24
	v_mov_b32_e32 v23, 0x7c010000
	s_and_saveexec_b64 s[38:39], s[0:1]
	s_cbranch_execz .LBB243_31
; %bb.30:                               ;   in Loop: Header=BB243_9 Depth=1
	v_and_b32_e32 v23, 7, v2
	v_ffbh_u32_e32 v26, v23
	v_min_u32_e32 v28, 32, v26
	v_subrev_u32_e32 v26, 28, v28
	v_lshlrev_b64 v[26:27], v26, v[2:3]
	v_lshrrev_b32_e32 v25, 3, v24
	v_sub_u32_e32 v27, 29, v28
	v_cmp_gt_u32_e64 s[0:1], 8, v24
	v_lshlrev_b32_e32 v2, 8, v2
	s_nop 0
	v_cndmask_b32_e64 v24, v25, v27, s[0:1]
	v_lshl_add_u32 v24, v24, 10, v15
	v_and_b32_e32 v25, 7, v26
	v_and_or_b32 v2, v2, s44, v24
	v_cndmask_b32_e64 v23, v23, v25, s[0:1]
	v_lshlrev_b32_e32 v2, 16, v2
	v_lshl_or_b32 v23, v23, 23, v2
.LBB243_31:                             ;   in Loop: Header=BB243_9 Depth=1
	s_or_b64 exec, exec, s[38:39]
.LBB243_32:                             ;   in Loop: Header=BB243_9 Depth=1
	s_or_b64 exec, exec, s[36:37]
.LBB243_33:                             ;   in Loop: Header=BB243_9 Depth=1
	s_or_b64 exec, exec, s[34:35]
	global_load_ushort v24, v[8:9], off offset:256
	s_waitcnt vmcnt(0)
	v_and_b32_e32 v2, 0xffff, v24
	v_cmp_ne_u16_sdwa s[0:1], v24, v3 src0_sel:BYTE_0 src1_sel:DWORD
	s_and_saveexec_b64 s[34:35], s[0:1]
	s_cbranch_execz .LBB243_39
; %bb.34:                               ;   in Loop: Header=BB243_9 Depth=1
	v_cmp_ne_u16_sdwa s[0:1], v2, s42 src0_sel:BYTE_0 src1_sel:DWORD
	v_mov_b32_e32 v22, 0x8000
	s_and_saveexec_b64 s[36:37], s[0:1]
	s_cbranch_execz .LBB243_38
; %bb.35:                               ;   in Loop: Header=BB243_9 Depth=1
	v_and_b32_e32 v24, 0x7f, v2
	v_cmp_ne_u32_e64 s[0:1], s43, v24
	v_mov_b32_e32 v22, 0x7c01
	s_and_saveexec_b64 s[38:39], s[0:1]
	s_cbranch_execz .LBB243_37
; %bb.36:                               ;   in Loop: Header=BB243_9 Depth=1
	v_and_b32_e32 v22, 7, v2
	v_ffbh_u32_e32 v26, v22
	v_min_u32_e32 v28, 32, v26
	v_subrev_u32_e32 v26, 28, v28
	v_lshlrev_b64 v[26:27], v26, v[2:3]
	v_lshrrev_b32_e32 v25, 3, v24
	v_sub_u32_e32 v27, 29, v28
	v_cmp_gt_u32_e64 s[0:1], 8, v24
	v_and_b32_e32 v26, 7, v26
	s_nop 0
	v_cndmask_b32_e64 v24, v25, v27, s[0:1]
	v_lshl_add_u32 v24, v24, 10, v15
	v_lshlrev_b32_e32 v25, 8, v2
	v_and_b32_e32 v24, 0xfc00, v24
	v_cndmask_b32_e64 v22, v22, v26, s[0:1]
	v_and_or_b32 v24, v25, s44, v24
	v_lshl_or_b32 v22, v22, 7, v24
.LBB243_37:                             ;   in Loop: Header=BB243_9 Depth=1
	s_or_b64 exec, exec, s[38:39]
.LBB243_38:                             ;   in Loop: Header=BB243_9 Depth=1
	s_or_b64 exec, exec, s[36:37]
.LBB243_39:                             ;   in Loop: Header=BB243_9 Depth=1
	s_or_b64 exec, exec, s[34:35]
	v_lshrrev_b16_e32 v2, 8, v2
	v_cmp_ne_u16_e64 s[0:1], 0, v2
	v_mov_b32_e32 v24, 0
	v_mov_b32_e32 v25, 0
	s_and_saveexec_b64 s[34:35], s[0:1]
	s_cbranch_execz .LBB243_45
; %bb.40:                               ;   in Loop: Header=BB243_9 Depth=1
	v_cmp_ne_u16_e64 s[0:1], s42, v2
	v_bfrev_b32_e32 v25, 1
	s_and_saveexec_b64 s[36:37], s[0:1]
	s_cbranch_execz .LBB243_44
; %bb.41:                               ;   in Loop: Header=BB243_9 Depth=1
	v_and_b32_e32 v26, 0x7f, v2
	v_cmp_ne_u32_e64 s[0:1], s43, v26
	v_mov_b32_e32 v25, 0x7c010000
	s_and_saveexec_b64 s[38:39], s[0:1]
	s_cbranch_execz .LBB243_43
; %bb.42:                               ;   in Loop: Header=BB243_9 Depth=1
	v_and_b32_e32 v25, 7, v2
	v_ffbh_u32_e32 v28, v25
	v_min_u32_e32 v30, 32, v28
	v_subrev_u32_e32 v28, 28, v30
	v_lshlrev_b64 v[28:29], v28, v[2:3]
	v_lshrrev_b32_e32 v27, 3, v26
	v_sub_u32_e32 v29, 29, v30
	v_cmp_gt_u32_e64 s[0:1], 8, v26
	v_lshlrev_b32_e32 v2, 8, v2
	s_nop 0
	v_cndmask_b32_e64 v26, v27, v29, s[0:1]
	v_lshl_add_u32 v26, v26, 10, v15
	v_and_b32_e32 v27, 7, v28
	v_and_or_b32 v2, v2, s44, v26
	v_cndmask_b32_e64 v25, v25, v27, s[0:1]
	v_lshlrev_b32_e32 v2, 16, v2
	v_lshl_or_b32 v25, v25, 23, v2
.LBB243_43:                             ;   in Loop: Header=BB243_9 Depth=1
	s_or_b64 exec, exec, s[38:39]
.LBB243_44:                             ;   in Loop: Header=BB243_9 Depth=1
	s_or_b64 exec, exec, s[36:37]
.LBB243_45:                             ;   in Loop: Header=BB243_9 Depth=1
	s_or_b64 exec, exec, s[34:35]
	global_load_ushort v8, v[8:9], off offset:264
	s_waitcnt vmcnt(0)
	v_and_b32_e32 v2, 0xffff, v8
	v_cmp_ne_u16_sdwa s[0:1], v8, v3 src0_sel:BYTE_0 src1_sel:DWORD
	s_and_saveexec_b64 s[34:35], s[0:1]
	s_cbranch_execz .LBB243_51
; %bb.46:                               ;   in Loop: Header=BB243_9 Depth=1
	v_cmp_ne_u16_sdwa s[0:1], v2, s42 src0_sel:BYTE_0 src1_sel:DWORD
	v_mov_b32_e32 v24, 0x8000
	s_and_saveexec_b64 s[36:37], s[0:1]
	s_cbranch_execz .LBB243_50
; %bb.47:                               ;   in Loop: Header=BB243_9 Depth=1
	v_and_b32_e32 v8, 0x7f, v2
	v_cmp_ne_u32_e64 s[0:1], s43, v8
	v_mov_b32_e32 v24, 0x7c01
	s_and_saveexec_b64 s[38:39], s[0:1]
	s_cbranch_execz .LBB243_49
; %bb.48:                               ;   in Loop: Header=BB243_9 Depth=1
	v_and_b32_e32 v9, 7, v2
	v_ffbh_u32_e32 v26, v9
	v_min_u32_e32 v28, 32, v26
	v_subrev_u32_e32 v26, 28, v28
	v_lshlrev_b64 v[26:27], v26, v[2:3]
	v_lshrrev_b32_e32 v24, 3, v8
	v_sub_u32_e32 v27, 29, v28
	v_cmp_gt_u32_e64 s[0:1], 8, v8
	v_and_b32_e32 v26, 7, v26
	s_nop 0
	v_cndmask_b32_e64 v8, v24, v27, s[0:1]
	v_lshl_add_u32 v8, v8, 10, v15
	v_lshlrev_b32_e32 v24, 8, v2
	v_and_b32_e32 v8, 0xfc00, v8
	v_cndmask_b32_e64 v9, v9, v26, s[0:1]
	v_and_or_b32 v8, v24, s44, v8
	v_lshl_or_b32 v24, v9, 7, v8
.LBB243_49:                             ;   in Loop: Header=BB243_9 Depth=1
	s_or_b64 exec, exec, s[38:39]
.LBB243_50:                             ;   in Loop: Header=BB243_9 Depth=1
	s_or_b64 exec, exec, s[36:37]
.LBB243_51:                             ;   in Loop: Header=BB243_9 Depth=1
	s_or_b64 exec, exec, s[34:35]
	v_lshrrev_b16_e32 v2, 8, v2
	v_cmp_ne_u16_e64 s[0:1], 0, v2
	v_mov_b32_e32 v8, 0
	s_and_saveexec_b64 s[34:35], s[0:1]
	s_cbranch_execz .LBB243_57
; %bb.52:                               ;   in Loop: Header=BB243_9 Depth=1
	v_cmp_ne_u16_e64 s[0:1], s42, v2
	v_bfrev_b32_e32 v8, 1
	s_and_saveexec_b64 s[36:37], s[0:1]
	s_cbranch_execz .LBB243_56
; %bb.53:                               ;   in Loop: Header=BB243_9 Depth=1
	v_and_b32_e32 v9, 0x7f, v2
	v_cmp_ne_u32_e64 s[0:1], s43, v9
	v_mov_b32_e32 v8, 0x7c010000
	s_and_saveexec_b64 s[38:39], s[0:1]
	s_cbranch_execz .LBB243_55
; %bb.54:                               ;   in Loop: Header=BB243_9 Depth=1
	v_and_b32_e32 v8, 7, v2
	v_ffbh_u32_e32 v26, v8
	v_min_u32_e32 v29, 32, v26
	v_subrev_u32_e32 v26, 28, v29
	v_lshlrev_b64 v[26:27], v26, v[2:3]
	v_lshrrev_b32_e32 v28, 3, v9
	v_sub_u32_e32 v27, 29, v29
	v_cmp_gt_u32_e64 s[0:1], 8, v9
	v_lshlrev_b32_e32 v2, 8, v2
	v_and_b32_e32 v26, 7, v26
	v_cndmask_b32_e64 v9, v28, v27, s[0:1]
	v_lshl_add_u32 v9, v9, 10, v15
	v_and_or_b32 v2, v2, s44, v9
	v_cndmask_b32_e64 v8, v8, v26, s[0:1]
	v_lshlrev_b32_e32 v2, 16, v2
	v_lshl_or_b32 v8, v8, 23, v2
.LBB243_55:                             ;   in Loop: Header=BB243_9 Depth=1
	s_or_b64 exec, exec, s[38:39]
.LBB243_56:                             ;   in Loop: Header=BB243_9 Depth=1
	s_or_b64 exec, exec, s[36:37]
.LBB243_57:                             ;   in Loop: Header=BB243_9 Depth=1
	s_or_b64 exec, exec, s[34:35]
	v_or_b32_e32 v2, v21, v19
	v_or_b32_e32 v19, v23, v20
	ds_read_b32 v20, v12
	v_fma_mixlo_f16 v2, v17, v2, 0 op_sel_hi:[0,1,0]
	v_fma_mixlo_f16 v9, v17, v21, 0 op_sel:[0,1,0] op_sel_hi:[0,1,0]
	v_fma_mixlo_f16 v19, v17, v19, 0 op_sel_hi:[0,1,0]
	v_and_b32_e32 v27, 0xffff, v19
	v_or_b32_e32 v19, v25, v22
	s_waitcnt lgkmcnt(0)
	v_lshrrev_b32_e32 v22, 16, v20
	v_and_b32_e32 v20, 0xffff, v20
	v_and_b32_e32 v9, 0xffff, v9
	;; [unrolled: 1-line block ×3, first 2 shown]
	v_fma_mixlo_f16 v21, v17, v23, 0 op_sel:[0,1,0] op_sel_hi:[0,1,0]
	;;#ASMSTART
	v_cvt_f32_f16 v20, v20;
	;;#ASMEND
	;;#ASMSTART
	v_cvt_f32_f16 v22, v22;
	;;#ASMEND
	;; [unrolled: 3-line block ×4, first 2 shown]
	ds_read_b32 v23, v12 offset:4
	v_and_b32_e32 v28, 0xffff, v21
	v_or_b32_e32 v24, v8, v24
	v_fma_mixlo_f16 v19, v17, v19, 0 op_sel_hi:[0,1,0]
	v_fma_mixlo_f16 v25, v17, v25, 0 op_sel:[0,1,0] op_sel_hi:[0,1,0]
	s_waitcnt lgkmcnt(0)
	v_lshrrev_b32_e32 v26, 16, v23
	v_and_b32_e32 v23, 0xffff, v23
	;;#ASMSTART
	v_cvt_f32_f16 v23, v23;
	;;#ASMEND
	;;#ASMSTART
	v_cvt_f32_f16 v26, v26;
	;;#ASMEND
	;; [unrolled: 3-line block ×4, first 2 shown]
	ds_read_b32 v28, v12 offset:8
	v_fma_mixlo_f16 v24, v17, v24, 0 op_sel_hi:[0,1,0]
	v_fma_mixlo_f16 v8, v17, v8, 0 op_sel:[0,1,0] op_sel_hi:[0,1,0]
	v_mul_f32_e32 v17, v23, v21
	v_fmac_f32_e32 v17, v20, v2
	s_waitcnt lgkmcnt(0)
	v_lshrrev_b32_e32 v20, 16, v28
	v_and_b32_e32 v2, 0xffff, v28
	v_and_b32_e32 v21, 0xffff, v25
	;; [unrolled: 1-line block ×3, first 2 shown]
	;;#ASMSTART
	v_cvt_f32_f16 v2, v2;
	;;#ASMEND
	;;#ASMSTART
	v_cvt_f32_f16 v20, v20;
	;;#ASMEND
	;; [unrolled: 3-line block ×4, first 2 shown]
	ds_read_b32 v23, v12 offset:12
	v_and_b32_e32 v29, 0xffff, v24
	v_mul_f32_e32 v24, v26, v27
	v_fmac_f32_e32 v24, v22, v9
	v_fmac_f32_e32 v17, v2, v19
	s_waitcnt lgkmcnt(0)
	v_lshrrev_b32_e32 v9, 16, v23
	v_and_b32_e32 v2, 0xffff, v23
	v_fmac_f32_e32 v24, v20, v21
	;;#ASMSTART
	v_cvt_f32_f16 v2, v2;
	;;#ASMEND
	;;#ASMSTART
	v_cvt_f32_f16 v9, v9;
	;;#ASMEND
	v_and_b32_e32 v19, 0xffff, v8
	;;#ASMSTART
	v_cvt_f32_f16 v8, v29;
	;;#ASMEND
	;;#ASMSTART
	v_cvt_f32_f16 v19, v19;
	;;#ASMEND
	s_nop 0
	v_fmac_f32_e32 v17, v2, v8
	v_fmac_f32_e32 v24, v9, v19
	v_and_b32_e32 v8, 64, v10
	v_add_f32_e32 v9, v17, v24
	v_add_u32_e32 v2, 64, v8
	v_xor_b32_e32 v17, 2, v10
	v_cmp_lt_i32_e64 s[0:1], v17, v2
	s_nop 1
	v_cndmask_b32_e64 v17, v10, v17, s[0:1]
	v_lshlrev_b32_e32 v17, 2, v17
	ds_bpermute_b32 v17, v17, v9
	s_waitcnt lgkmcnt(0)
	v_add_f32_e32 v9, v9, v17
	v_xor_b32_e32 v17, 1, v10
	v_cmp_lt_i32_e64 s[0:1], v17, v2
	s_nop 1
	v_cndmask_b32_e64 v17, v10, v17, s[0:1]
	v_lshlrev_b32_e32 v17, 2, v17
	ds_bpermute_b32 v17, v17, v9
	s_and_saveexec_b64 s[34:35], vcc
	s_cbranch_execz .LBB243_8
; %bb.58:                               ;   in Loop: Header=BB243_9 Depth=1
	v_add_u32_e32 v19, s41, v13
	v_cvt_f32_i32_e32 v19, v19
	s_waitcnt lgkmcnt(0)
	v_add_f32_e32 v9, v9, v17
	v_cmp_gt_i32_e64 s[0:1], s17, v13
	v_max_f32_e32 v17, v11, v11
	v_mul_f32_e32 v19, s28, v19
	v_cndmask_b32_e64 v19, 0, v19, s[2:3]
	v_fmac_f32_e32 v19, s29, v9
	v_cndmask_b32_e64 v9, 0, v19, s[0:1]
	ds_write_b32 v14, v9
	v_max_f32_e32 v9, v17, v19
	v_cndmask_b32_e64 v11, v11, v9, s[0:1]
	s_branch .LBB243_8
.LBB243_59:
	s_or_b64 exec, exec, s[14:15]
.LBB243_60:
	s_or_b64 exec, exec, s[30:31]
	v_xor_b32_e32 v3, 32, v10
	v_cmp_lt_i32_e32 vcc, v3, v2
	v_xor_b32_e32 v6, 16, v10
	v_max_f32_e32 v5, v11, v11
	v_cndmask_b32_e32 v3, v10, v3, vcc
	v_lshlrev_b32_e32 v3, 2, v3
	ds_bpermute_b32 v4, v3, v11
	v_cmp_lt_i32_e32 vcc, v6, v2
	v_xor_b32_e32 v7, 8, v10
	v_xor_b32_e32 v9, 4, v10
	v_and_b32_e32 v19, 63, v0
	s_waitcnt lgkmcnt(0)
	v_max_f32_e32 v4, v4, v4
	v_max_f32_e32 v5, v5, v4
	v_cndmask_b32_e32 v4, v10, v6, vcc
	v_lshlrev_b32_e32 v4, 2, v4
	ds_bpermute_b32 v6, v4, v5
	v_cmp_lt_i32_e32 vcc, v7, v2
	s_waitcnt lgkmcnt(0)
	v_max_f32_e32 v6, v6, v6
	v_max_f32_e32 v5, v5, v6
	v_cndmask_b32_e32 v6, v10, v7, vcc
	v_lshlrev_b32_e32 v7, 2, v6
	ds_bpermute_b32 v6, v7, v5
	v_cmp_lt_i32_e32 vcc, v9, v2
	s_waitcnt lgkmcnt(0)
	v_max_f32_e32 v6, v6, v6
	v_max_f32_e32 v6, v5, v6
	v_cndmask_b32_e32 v5, v10, v9, vcc
	v_lshlrev_b32_e32 v9, 2, v5
	ds_bpermute_b32 v11, v9, v6
	v_cmp_eq_u32_e32 vcc, 0, v19
	v_lshlrev_b32_e32 v5, 2, v18
	s_and_saveexec_b64 s[0:1], vcc
	s_cbranch_execz .LBB243_62
; %bb.61:
	s_waitcnt lgkmcnt(0)
	v_max_f32_e32 v11, v11, v11
	v_max_f32_e32 v6, v6, v6
	;; [unrolled: 1-line block ×3, first 2 shown]
	ds_write_b32 v5, v6 offset:64
.LBB243_62:
	s_or_b64 exec, exec, s[0:1]
	v_cmp_gt_u32_e64 s[0:1], 2, v19
	s_waitcnt lgkmcnt(0)
	v_mov_b32_e32 v11, 0xff7fffff
	v_lshlrev_b32_e32 v6, 2, v19
	s_barrier
	s_and_saveexec_b64 s[2:3], s[0:1]
; %bb.63:
	ds_read_b32 v11, v6 offset:64
; %bb.64:
	s_or_b64 exec, exec, s[2:3]
	v_xor_b32_e32 v12, 1, v10
	v_cmp_lt_i32_e64 s[2:3], v12, v2
	v_lshlrev_b32_e32 v8, 2, v8
	s_nop 0
	v_cndmask_b32_e64 v12, v10, v12, s[2:3]
	v_lshlrev_b32_e32 v20, 2, v12
	s_waitcnt lgkmcnt(0)
	ds_bpermute_b32 v12, v20, v11
	v_max_f32_e32 v11, v11, v11
	s_lshl_b32 s2, s33, 4
	s_min_i32 s30, s2, s17
	v_cmp_gt_i32_e64 s[2:3], s30, v0
	s_waitcnt lgkmcnt(0)
	v_max_f32_e32 v12, v12, v12
	v_max_f32_e32 v11, v11, v12
	ds_bpermute_b32 v11, v8, v11
	v_mov_b32_e32 v8, 0
	s_and_saveexec_b64 s[14:15], s[2:3]
	s_cbranch_execz .LBB243_68
; %bb.65:
	v_mov_b32_e32 v8, 0x50
	v_lshl_add_u32 v12, v0, 2, v8
	v_mov_b32_e32 v8, 0
	s_mov_b64 s[28:29], 0
	v_mov_b32_e32 v13, v0
.LBB243_66:                             ; =>This Inner Loop Header: Depth=1
	ds_read_b32 v14, v12
	v_add_u32_e32 v13, 0x80, v13
	v_cmp_le_i32_e64 s[8:9], s30, v13
	s_or_b64 s[28:29], s[8:9], s[28:29]
	s_waitcnt lgkmcnt(0)
	v_sub_f32_e32 v14, v14, v11
	v_mul_f32_e32 v14, 0x3fb8aa3b, v14
	v_exp_f32_e32 v14, v14
	ds_write_b32 v12, v14
	v_add_f32_e32 v8, v8, v14
	v_add_u32_e32 v12, 0x200, v12
	s_andn2_b64 exec, exec, s[28:29]
	s_cbranch_execnz .LBB243_66
; %bb.67:
	s_or_b64 exec, exec, s[28:29]
.LBB243_68:
	s_or_b64 exec, exec, s[14:15]
	ds_bpermute_b32 v3, v3, v8
	s_waitcnt lgkmcnt(0)
	v_add_f32_e32 v3, v8, v3
	ds_bpermute_b32 v4, v4, v3
	s_waitcnt lgkmcnt(0)
	v_add_f32_e32 v3, v3, v4
	ds_bpermute_b32 v4, v7, v3
	v_xor_b32_e32 v7, 2, v10
	v_cmp_lt_i32_e64 s[8:9], v7, v2
	s_waitcnt lgkmcnt(0)
	v_add_f32_e32 v3, v3, v4
	ds_bpermute_b32 v4, v9, v3
	v_cndmask_b32_e64 v2, v10, v7, s[8:9]
	v_lshlrev_b32_e32 v2, 2, v2
	s_waitcnt lgkmcnt(0)
	v_add_f32_e32 v3, v3, v4
	ds_bpermute_b32 v2, v2, v3
	s_waitcnt lgkmcnt(0)
	v_add_f32_e32 v2, v3, v2
	ds_bpermute_b32 v3, v20, v2
	s_waitcnt lgkmcnt(0)
	v_add_f32_e32 v2, v2, v3
	s_and_saveexec_b64 s[8:9], vcc
; %bb.69:
	ds_write_b32 v5, v2 offset:72
; %bb.70:
	s_or_b64 exec, exec, s[8:9]
	s_waitcnt lgkmcnt(0)
	s_barrier
	s_and_saveexec_b64 s[8:9], s[0:1]
; %bb.71:
	ds_read_b32 v2, v6 offset:72
; %bb.72:
	s_or_b64 exec, exec, s[8:9]
	s_waitcnt lgkmcnt(0)
	ds_bpermute_b32 v3, v20, v2
	v_lshlrev_b32_e32 v4, 2, v10
	s_waitcnt lgkmcnt(0)
	v_add_f32_e32 v2, v2, v3
	v_and_b32_e32 v3, 0xffffff00, v4
	ds_bpermute_b32 v2, v3, v2
	s_and_saveexec_b64 s[0:1], s[2:3]
	s_cbranch_execz .LBB243_85
; %bb.73:
	s_waitcnt lgkmcnt(0)
	v_add_f32_e32 v2, 0x358637bd, v2
	v_div_scale_f32 v3, s[2:3], v2, v2, 1.0
	v_rcp_f32_e32 v4, v3
	v_div_scale_f32 v5, vcc, 1.0, v2, 1.0
	s_movk_i32 s2, 0x7f
	v_fma_f32 v6, -v3, v4, 1.0
	v_fmac_f32_e32 v4, v6, v4
	v_mul_f32_e32 v6, v5, v4
	v_fma_f32 v7, -v3, v6, v5
	v_fmac_f32_e32 v6, v7, v4
	v_fma_f32 v3, -v3, v6, v5
	v_div_fmas_f32 v3, v3, v4, v6
	v_xad_u32 v4, v0, -1, s30
	v_div_fixup_f32 v2, v3, v2, 1.0
	v_cmp_lt_u32_e32 vcc, s2, v4
	s_mov_b64 s[8:9], -1
	v_mov_b32_e32 v3, v0
	s_and_saveexec_b64 s[2:3], vcc
	s_cbranch_execz .LBB243_82
; %bb.74:
	v_lshrrev_b32_e32 v4, 7, v4
	v_add_u32_e32 v6, -1, v4
	v_lshrrev_b32_e32 v5, 1, v6
	v_mov_b32_e32 v3, v2
	v_add_u32_e32 v5, 1, v5
	v_cmp_lt_u32_e32 vcc, 13, v6
	v_mov_b32_e32 v8, 0
	s_and_saveexec_b64 s[8:9], vcc
	s_cbranch_execz .LBB243_78
; %bb.75:
	v_mov_b32_e32 v7, 0x50
	v_and_b32_e32 v6, -8, v5
	v_lshl_add_u32 v7, v0, 2, v7
	s_mov_b32 s28, 0
	s_mov_b64 s[14:15], 0
.LBB243_76:                             ; =>This Inner Loop Header: Depth=1
	ds_read2st64_b32 v[8:9], v7 offset1:2
	ds_read2st64_b32 v[10:11], v7 offset0:4 offset1:6
	ds_read2st64_b32 v[12:13], v7 offset0:8 offset1:10
	;; [unrolled: 1-line block ×3, first 2 shown]
	v_add_u32_e32 v6, -8, v6
	s_waitcnt lgkmcnt(3)
	v_pk_mul_f32 v[8:9], v[2:3], v[8:9]
	s_waitcnt lgkmcnt(2)
	v_pk_mul_f32 v[10:11], v[2:3], v[10:11]
	ds_write2st64_b32 v7, v8, v9 offset1:2
	ds_write2st64_b32 v7, v10, v11 offset0:4 offset1:6
	ds_read2st64_b32 v[10:11], v7 offset0:16 offset1:18
	s_waitcnt lgkmcnt(4)
	v_pk_mul_f32 v[8:9], v[2:3], v[12:13]
	ds_write2st64_b32 v7, v8, v9 offset0:8 offset1:10
	s_waitcnt lgkmcnt(4)
	v_pk_mul_f32 v[8:9], v[2:3], v[14:15]
	ds_write2st64_b32 v7, v8, v9 offset0:12 offset1:14
	ds_read2st64_b32 v[8:9], v7 offset0:20 offset1:22
	s_waitcnt lgkmcnt(3)
	v_pk_mul_f32 v[10:11], v[2:3], v[10:11]
	ds_read2st64_b32 v[12:13], v7 offset0:24 offset1:26
	ds_write2st64_b32 v7, v10, v11 offset0:16 offset1:18
	ds_read2st64_b32 v[10:11], v7 offset0:28 offset1:30
	s_waitcnt lgkmcnt(3)
	v_pk_mul_f32 v[8:9], v[2:3], v[8:9]
	ds_write2st64_b32 v7, v8, v9 offset0:20 offset1:22
	s_waitcnt lgkmcnt(3)
	v_pk_mul_f32 v[8:9], v[2:3], v[12:13]
	ds_write2st64_b32 v7, v8, v9 offset0:24 offset1:26
	s_waitcnt lgkmcnt(2)
	v_pk_mul_f32 v[8:9], v[2:3], v[10:11]
	s_add_i32 s28, s28, 16
	v_cmp_eq_u32_e32 vcc, 0, v6
	ds_write2st64_b32 v7, v8, v9 offset0:28 offset1:30
	v_add_u32_e32 v7, 0x2000, v7
	s_or_b64 s[14:15], vcc, s[14:15]
	v_mov_b32_e32 v8, s28
	s_andn2_b64 exec, exec, s[14:15]
	s_cbranch_execnz .LBB243_76
; %bb.77:
	s_or_b64 exec, exec, s[14:15]
.LBB243_78:
	s_or_b64 exec, exec, s[8:9]
	v_and_b32_e32 v5, 7, v5
	v_cmp_ne_u32_e32 vcc, 0, v5
	s_and_saveexec_b64 s[8:9], vcc
	s_cbranch_execz .LBB243_81
; %bb.79:
	v_lshlrev_b32_e32 v6, 9, v8
	v_lshlrev_b32_e32 v7, 2, v0
	s_movk_i32 s14, 0x50
	v_add3_u32 v6, v6, v7, s14
	s_mov_b64 s[14:15], 0
.LBB243_80:                             ; =>This Inner Loop Header: Depth=1
	ds_read2st64_b32 v[8:9], v6 offset1:2
	v_add_u32_e32 v5, -1, v5
	v_cmp_eq_u32_e32 vcc, 0, v5
	s_or_b64 s[14:15], vcc, s[14:15]
	s_waitcnt lgkmcnt(0)
	v_pk_mul_f32 v[8:9], v[2:3], v[8:9]
	ds_write2st64_b32 v6, v8, v9 offset1:2
	v_add_u32_e32 v6, 0x400, v6
	s_andn2_b64 exec, exec, s[14:15]
	s_cbranch_execnz .LBB243_80
.LBB243_81:
	s_or_b64 exec, exec, s[8:9]
	v_add_u32_e32 v4, 1, v4
	v_and_b32_e32 v5, 0x3fffffe, v4
	v_cmp_ne_u32_e32 vcc, v4, v5
	v_lshl_add_u32 v3, v5, 7, v0
	s_orn2_b64 s[8:9], vcc, exec
.LBB243_82:
	s_or_b64 exec, exec, s[2:3]
	s_and_b64 exec, exec, s[8:9]
	s_cbranch_execz .LBB243_85
; %bb.83:
	v_mov_b32_e32 v4, 0x50
	v_lshl_add_u32 v4, v3, 2, v4
	s_mov_b64 s[2:3], 0
.LBB243_84:                             ; =>This Inner Loop Header: Depth=1
	ds_read_b32 v5, v4
	v_add_u32_e32 v3, 0x80, v3
	v_cmp_le_i32_e32 vcc, s30, v3
	s_or_b64 s[2:3], vcc, s[2:3]
	s_waitcnt lgkmcnt(0)
	v_mul_f32_e32 v5, v2, v5
	ds_write_b32 v4, v5
	v_add_u32_e32 v4, 0x200, v4
	s_andn2_b64 exec, exec, s[2:3]
	s_cbranch_execnz .LBB243_84
.LBB243_85:
	s_or_b64 exec, exec, s[0:1]
	v_mov_b32_e32 v23, 0
	s_waitcnt lgkmcnt(0)
	s_barrier
	s_and_saveexec_b64 s[2:3], s[6:7]
	s_cbranch_execz .LBB243_139
; %bb.86:
	s_ashr_i32 s1, s12, 31
	v_lshlrev_b32_e32 v2, 3, v0
	s_add_u32 s0, s26, s12
	v_and_b32_e32 v6, 8, v2
	s_addc_u32 s1, s27, s1
	v_and_b32_e32 v2, 0x1f8, v2
	v_mov_b32_e32 v3, 0
	v_lshl_add_u64 v[4:5], s[0:1], 0, v[2:3]
	v_and_b32_e32 v2, 1, v0
	s_add_i32 s26, s33, -1
	v_lshlrev_b32_e32 v2, 5, v2
	s_lshl_b64 s[0:1], s[24:25], 2
	v_lshl_or_b32 v2, v18, 6, v2
	s_add_u32 s0, s22, s0
	s_mov_b32 s6, -1
	v_add_u32_e32 v22, 0x50, v2
	v_and_b32_e32 v2, 60, v1
	s_addc_u32 s1, s23, s1
	s_mov_b32 s28, s13
	s_mov_b32 s7, 0xffffff
	s_mov_b32 s27, s17
	v_lshl_or_b32 v21, v18, 4, v6
	v_lshl_add_u64 v[6:7], s[0:1], 0, v[2:3]
	s_mov_b64 s[8:9], 0
	s_movk_i32 s22, 0x7f
	s_movk_i32 s23, 0x80
	s_mov_b32 s24, 0xffff
	s_mov_b32 s25, 0x8000
	v_mov_b32_e32 v24, 0x2000
	v_mov_b32_e32 v25, 0x7c01
	;; [unrolled: 1-line block ×3, first 2 shown]
	v_bfrev_b32_e32 v27, 1
	v_mov_b32_e32 v23, 0
	s_branch .LBB243_88
.LBB243_87:                             ;   in Loop: Header=BB243_88 Depth=1
	s_or_b64 exec, exec, s[0:1]
	v_and_b32_e32 v8, 0xffff, v28
	v_and_b32_e32 v9, 0xffff, v30
	v_lshl_or_b32 v8, v29, 16, v8
	v_lshl_or_b32 v9, v31, 16, v9
	v_and_b32_e32 v10, 0xffff, v32
	v_and_b32_e32 v11, 0xffff, v34
	;;#ASMSTART
	v_pk_mul_f16 v1, v8, v1;

	;;#ASMEND
	v_lshl_or_b32 v10, v33, 16, v10
	v_lshl_or_b32 v11, v35, 16, v11
	;;#ASMSTART
	v_pk_mul_f16 v2, v9, v2;

	;;#ASMEND
	;;#ASMSTART
	v_pk_mul_f16 v8, v10, v17;

	;;#ASMEND
	;; [unrolled: 4-line block ×3, first 2 shown]
	v_add_u32_e32 v18, 2, v18
	;;#ASMSTART
	v_pk_add_f16 v1, v1, v2;

	;;#ASMEND
	v_cmp_le_i32_e32 vcc, s33, v18
	;;#ASMSTART
	v_pk_add_f16 v1, v1, v8;

	;;#ASMEND
	v_add_u32_e32 v21, 32, v21
	;;#ASMSTART
	v_pk_add_f16 v1, v1, v9;

	;;#ASMEND
	v_add_u32_e32 v22, 0x80, v22
	v_lshrrev_b32_e32 v2, 16, v1
	v_and_b32_e32 v1, 0xffff, v1
	;;#ASMSTART
	v_cvt_f32_f16 v1, v1;
	;;#ASMEND
	;;#ASMSTART
	v_cvt_f32_f16 v2, v2;
	;;#ASMEND
	s_or_b64 s[8:9], vcc, s[8:9]
	v_add_f32_e32 v1, v1, v2
	v_add_f32_e32 v23, v23, v1
	v_lshl_add_u64 v[6:7], v[6:7], 0, 8
	s_andn2_b64 exec, exec, s[8:9]
	s_cbranch_execz .LBB243_138
.LBB243_88:                             ; =>This Inner Loop Header: Depth=1
	ds_read2_b64 v[8:11], v22 offset1:1
	ds_read2_b64 v[12:15], v22 offset0:2 offset1:3
	s_waitcnt lgkmcnt(1)
	;;#ASMSTART
	v_cvt_f16_f32 v28, v8;

	;;#ASMEND
	;;#ASMSTART
	v_cvt_f16_f32 v29, v9;

	;;#ASMEND
	;; [unrolled: 4-line block ×4, first 2 shown]
	s_waitcnt lgkmcnt(0)
	;;#ASMSTART
	v_cvt_f16_f32 v32, v12;

	;;#ASMEND
	;;#ASMSTART
	v_cvt_f16_f32 v33, v13;

	;;#ASMEND
	;; [unrolled: 4-line block ×4, first 2 shown]
	global_load_dword v1, v[6:7], off
	s_waitcnt vmcnt(0)
	v_mad_i64_i32 v[12:13], s[0:1], v1, s28, v[4:5]
	global_load_dwordx2 v[10:11], v[12:13], off
	global_load_dword v8, v3, s[10:11]
	s_mov_b64 s[0:1], 0
	s_waitcnt vmcnt(1)
	v_cmp_gt_i16_sdwa s[12:13], v10, s22 src0_sel:BYTE_0 src1_sel:DWORD
	s_and_saveexec_b64 s[14:15], s[12:13]
	s_xor_b64 s[12:13], exec, s[14:15]
	s_cbranch_execnz .LBB243_114
; %bb.89:                               ;   in Loop: Header=BB243_88 Depth=1
	s_or_saveexec_b64 s[12:13], s[12:13]
	v_mov_b32_e32 v1, 0x8000
	s_xor_b64 exec, exec, s[12:13]
	s_cbranch_execnz .LBB243_117
.LBB243_90:                             ;   in Loop: Header=BB243_88 Depth=1
	s_or_b64 exec, exec, s[12:13]
	s_and_saveexec_b64 s[12:13], s[0:1]
	s_cbranch_execz .LBB243_92
.LBB243_91:                             ;   in Loop: Header=BB243_88 Depth=1
	v_and_b32_e32 v2, 7, v10
	v_ffbh_u32_e32 v9, v2
	v_min_u32_e32 v9, 32, v9
	v_subrev_u32_e32 v12, 28, v9
	v_and_b32_e32 v1, 0x7f, v10
	v_lshlrev_b64 v[12:13], v12, v[10:11]
	v_cmp_gt_u32_e32 vcc, 8, v1
	v_sub_u32_e32 v9, 29, v9
	v_bfe_u32 v13, v10, 3, 4
	v_cndmask_b32_e32 v9, v13, v9, vcc
	v_and_b32_e32 v12, 7, v12
	v_lshl_add_u32 v9, v9, 10, v24
	v_cndmask_b32_e32 v2, v2, v12, vcc
	v_lshlrev_b32_e32 v12, 8, v10
	v_and_b32_e32 v9, 0xfc00, v9
	v_and_or_b32 v9, v12, s25, v9
	v_lshl_or_b32 v2, v2, 7, v9
	v_cmp_ne_u32_e32 vcc, s22, v1
	s_nop 1
	v_cndmask_b32_e32 v1, v25, v2, vcc
.LBB243_92:                             ;   in Loop: Header=BB243_88 Depth=1
	s_or_b64 exec, exec, s[12:13]
	v_lshrrev_b16_e32 v2, 8, v10
	v_cmp_lt_i16_e32 vcc, s22, v2
	s_mov_b64 s[0:1], 0
	s_and_saveexec_b64 s[12:13], vcc
	s_xor_b64 s[12:13], exec, s[12:13]
	s_cbranch_execnz .LBB243_118
; %bb.93:                               ;   in Loop: Header=BB243_88 Depth=1
	s_or_saveexec_b64 s[12:13], s[12:13]
	v_bfrev_b32_e32 v9, 1
	s_xor_b64 exec, exec, s[12:13]
	s_cbranch_execnz .LBB243_121
.LBB243_94:                             ;   in Loop: Header=BB243_88 Depth=1
	s_or_b64 exec, exec, s[12:13]
	s_and_saveexec_b64 s[12:13], s[0:1]
	s_cbranch_execz .LBB243_96
.LBB243_95:                             ;   in Loop: Header=BB243_88 Depth=1
	v_and_b32_e32 v9, 7, v2
	v_ffbh_u32_e32 v12, v9
	v_min_u32_e32 v16, 32, v12
	v_subrev_u32_e32 v12, 28, v16
	v_and_b32_e32 v14, 0x7f, v2
	v_lshlrev_b64 v[12:13], v12, v[2:3]
	v_bfe_u32 v15, v2, 3, 4
	v_sub_u32_e32 v13, 29, v16
	v_cmp_gt_u32_e32 vcc, 8, v14
	v_lshlrev_b32_e32 v2, 8, v2
	v_and_b32_e32 v12, 7, v12
	v_cndmask_b32_e32 v13, v15, v13, vcc
	v_lshl_add_u32 v13, v13, 10, v24
	v_and_or_b32 v2, v2, s25, v13
	v_cndmask_b32_e32 v9, v9, v12, vcc
	v_lshlrev_b32_e32 v2, 16, v2
	v_lshl_or_b32 v2, v9, 23, v2
	v_cmp_ne_u32_e32 vcc, s22, v14
	s_nop 1
	v_cndmask_b32_e32 v9, v26, v2, vcc
.LBB243_96:                             ;   in Loop: Header=BB243_88 Depth=1
	s_or_b64 exec, exec, s[12:13]
	v_lshrrev_b32_e32 v12, 16, v10
	v_cmp_gt_i16_sdwa s[12:13], v12, s22 src0_sel:BYTE_0 src1_sel:DWORD
	s_mov_b64 s[0:1], 0
	s_and_saveexec_b64 s[14:15], s[12:13]
	s_xor_b64 s[12:13], exec, s[14:15]
	s_cbranch_execnz .LBB243_122
; %bb.97:                               ;   in Loop: Header=BB243_88 Depth=1
	s_or_saveexec_b64 s[12:13], s[12:13]
	v_mov_b32_e32 v13, 0x8000
	s_xor_b64 exec, exec, s[12:13]
	s_cbranch_execnz .LBB243_125
.LBB243_98:                             ;   in Loop: Header=BB243_88 Depth=1
	s_or_b64 exec, exec, s[12:13]
	s_and_saveexec_b64 s[12:13], s[0:1]
	s_cbranch_execz .LBB243_100
.LBB243_99:                             ;   in Loop: Header=BB243_88 Depth=1
	v_and_b32_e32 v2, 7, v12
	v_ffbh_u32_e32 v14, v2
	v_min_u32_e32 v17, 32, v14
	v_and_b32_e32 v13, 0x7f, v12
	v_subrev_u32_e32 v14, 28, v17
	v_lshlrev_b64 v[14:15], v14, v[12:13]
	v_bfe_u32 v16, v12, 3, 4
	v_sub_u32_e32 v15, 29, v17
	v_cmp_gt_u32_e32 vcc, 8, v13
	v_and_b32_e32 v14, 7, v14
	s_nop 0
	v_cndmask_b32_e32 v15, v16, v15, vcc
	v_lshl_add_u32 v15, v15, 10, v24
	v_lshlrev_b32_e32 v16, 8, v12
	v_cndmask_b32_e32 v2, v2, v14, vcc
	v_and_b32_e32 v14, 0xfc00, v15
	v_and_or_b32 v14, v16, s25, v14
	v_lshl_or_b32 v2, v2, 7, v14
	v_cmp_ne_u32_e32 vcc, s22, v13
	s_nop 1
	v_cndmask_b32_e32 v13, v25, v2, vcc
.LBB243_100:                            ;   in Loop: Header=BB243_88 Depth=1
	s_or_b64 exec, exec, s[12:13]
	v_mov_b32_e32 v2, v11
	v_cmp_gt_i16_sdwa s[12:13], v11, s22 src0_sel:BYTE_0 src1_sel:DWORD
	s_mov_b64 s[0:1], 0
	s_and_saveexec_b64 s[14:15], s[12:13]
	s_xor_b64 s[12:13], exec, s[14:15]
	s_cbranch_execnz .LBB243_126
; %bb.101:                              ;   in Loop: Header=BB243_88 Depth=1
	s_or_saveexec_b64 s[12:13], s[12:13]
	v_mov_b32_e32 v14, 0x8000
	s_xor_b64 exec, exec, s[12:13]
	s_cbranch_execnz .LBB243_129
.LBB243_102:                            ;   in Loop: Header=BB243_88 Depth=1
	s_or_b64 exec, exec, s[12:13]
	s_and_saveexec_b64 s[12:13], s[0:1]
	s_cbranch_execz .LBB243_104
.LBB243_103:                            ;   in Loop: Header=BB243_88 Depth=1
	v_and_b32_e32 v16, 7, v11
	v_ffbh_u32_e32 v14, v16
	v_min_u32_e32 v37, 32, v14
	v_subrev_u32_e32 v14, 28, v37
	v_and_b32_e32 v17, 0x7f, v11
	v_lshlrev_b64 v[14:15], v14, v[2:3]
	v_bfe_u32 v36, v11, 3, 4
	v_sub_u32_e32 v15, 29, v37
	v_cmp_gt_u32_e32 vcc, 8, v17
	v_and_b32_e32 v14, 7, v14
	s_nop 0
	v_cndmask_b32_e32 v15, v36, v15, vcc
	v_lshl_add_u32 v15, v15, 10, v24
	v_lshlrev_b32_e32 v36, 8, v11
	v_and_b32_e32 v15, 0xfc00, v15
	v_cndmask_b32_e32 v14, v16, v14, vcc
	v_and_or_b32 v15, v36, s25, v15
	v_lshl_or_b32 v14, v14, 7, v15
	v_cmp_ne_u32_e32 vcc, s22, v17
	s_nop 1
	v_cndmask_b32_e32 v14, v25, v14, vcc
.LBB243_104:                            ;   in Loop: Header=BB243_88 Depth=1
	s_or_b64 exec, exec, s[12:13]
	v_lshrrev_b16_e32 v2, 8, v2
	v_cmp_lt_i16_e32 vcc, s22, v2
	s_mov_b64 s[0:1], 0
	s_and_saveexec_b64 s[12:13], vcc
	s_xor_b64 s[12:13], exec, s[12:13]
	s_cbranch_execnz .LBB243_130
; %bb.105:                              ;   in Loop: Header=BB243_88 Depth=1
	s_or_saveexec_b64 s[12:13], s[12:13]
	v_bfrev_b32_e32 v15, 1
	s_xor_b64 exec, exec, s[12:13]
	s_cbranch_execnz .LBB243_133
.LBB243_106:                            ;   in Loop: Header=BB243_88 Depth=1
	s_or_b64 exec, exec, s[12:13]
	s_and_saveexec_b64 s[12:13], s[0:1]
	s_cbranch_execz .LBB243_108
.LBB243_107:                            ;   in Loop: Header=BB243_88 Depth=1
	v_and_b32_e32 v15, 7, v2
	v_ffbh_u32_e32 v16, v15
	v_min_u32_e32 v38, 32, v16
	v_subrev_u32_e32 v16, 28, v38
	v_and_b32_e32 v36, 0x7f, v2
	v_lshlrev_b64 v[16:17], v16, v[2:3]
	v_bfe_u32 v37, v2, 3, 4
	v_sub_u32_e32 v17, 29, v38
	v_cmp_gt_u32_e32 vcc, 8, v36
	v_lshlrev_b32_e32 v2, 8, v2
	v_and_b32_e32 v16, 7, v16
	v_cndmask_b32_e32 v17, v37, v17, vcc
	v_lshl_add_u32 v17, v17, 10, v24
	v_and_or_b32 v2, v2, s25, v17
	v_cndmask_b32_e32 v15, v15, v16, vcc
	v_lshlrev_b32_e32 v2, 16, v2
	v_lshl_or_b32 v2, v15, 23, v2
	v_cmp_ne_u32_e32 vcc, s22, v36
	s_nop 1
	v_cndmask_b32_e32 v15, v26, v2, vcc
.LBB243_108:                            ;   in Loop: Header=BB243_88 Depth=1
	s_or_b64 exec, exec, s[12:13]
	v_lshrrev_b32_e32 v2, 16, v11
	v_cmp_gt_i16_sdwa s[12:13], v2, s22 src0_sel:BYTE_0 src1_sel:DWORD
	s_mov_b64 s[0:1], 0
	s_and_saveexec_b64 s[14:15], s[12:13]
	s_xor_b64 s[12:13], exec, s[14:15]
	s_cbranch_execnz .LBB243_134
; %bb.109:                              ;   in Loop: Header=BB243_88 Depth=1
	s_or_saveexec_b64 s[12:13], s[12:13]
	v_mov_b32_e32 v16, 0x8000
	s_xor_b64 exec, exec, s[12:13]
	s_cbranch_execnz .LBB243_137
.LBB243_110:                            ;   in Loop: Header=BB243_88 Depth=1
	s_or_b64 exec, exec, s[12:13]
	s_and_saveexec_b64 s[12:13], s[0:1]
	s_cbranch_execz .LBB243_112
.LBB243_111:                            ;   in Loop: Header=BB243_88 Depth=1
	v_and_b32_e32 v36, 7, v2
	v_ffbh_u32_e32 v16, v36
	v_min_u32_e32 v39, 32, v16
	v_subrev_u32_e32 v16, 28, v39
	v_and_b32_e32 v37, 0x7f, v2
	v_lshlrev_b64 v[16:17], v16, v[2:3]
	v_bfe_u32 v38, v2, 3, 4
	v_sub_u32_e32 v17, 29, v39
	v_cmp_gt_u32_e32 vcc, 8, v37
	v_and_b32_e32 v16, 7, v16
	s_nop 0
	v_cndmask_b32_e32 v17, v38, v17, vcc
	v_lshl_add_u32 v17, v17, 10, v24
	v_lshlrev_b32_e32 v38, 8, v2
	v_and_b32_e32 v17, 0xfc00, v17
	v_cndmask_b32_e32 v16, v36, v16, vcc
	v_and_or_b32 v17, v38, s25, v17
	v_lshl_or_b32 v16, v16, 7, v17
	v_cmp_ne_u32_e32 vcc, s22, v37
	s_nop 1
	v_cndmask_b32_e32 v16, v25, v16, vcc
.LBB243_112:                            ;   in Loop: Header=BB243_88 Depth=1
	s_or_b64 exec, exec, s[12:13]
	v_bfe_u32 v17, v10, 24, 3
	v_ffbh_u32_e32 v38, v17
	v_min_u32_e32 v41, 32, v38
	v_lshrrev_b32_e32 v36, 24, v10
	v_bfe_u32 v37, v10, 24, 7
	v_subrev_u32_e32 v38, 28, v41
	v_lshlrev_b64 v[38:39], v38, v[36:37]
	v_bfe_u32 v40, v36, 3, 4
	v_sub_u32_e32 v39, 29, v41
	v_cmp_gt_u32_e32 vcc, 8, v37
	v_and_b32_e32 v38, 7, v38
	v_or_b32_e32 v1, v9, v1
	v_cndmask_b32_e32 v39, v40, v39, vcc
	v_lshl_add_u32 v39, v39, 10, v24
	v_and_or_b32 v12, v12, s25, v39
	v_cndmask_b32_e32 v17, v17, v38, vcc
	v_lshlrev_b32_e32 v12, 16, v12
	v_lshl_or_b32 v12, v17, 23, v12
	v_cmp_ne_u32_e32 vcc, s22, v37
	v_bfe_u32 v38, v11, 24, 3
	v_bfe_u32 v39, v11, 24, 7
	v_cndmask_b32_e32 v12, v26, v12, vcc
	v_cmp_ne_u32_e32 vcc, s23, v36
	v_ffbh_u32_e32 v36, v38
	v_min_u32_e32 v41, 32, v36
	v_cndmask_b32_e32 v12, v27, v12, vcc
	v_cmp_lt_u32_e32 vcc, s7, v10
	v_subrev_u32_e32 v36, 28, v41
	v_cmp_ne_u32_e64 s[0:1], s22, v39
	v_cndmask_b32_e32 v17, 0, v12, vcc
	v_lshrrev_b32_e32 v12, 24, v11
	v_lshlrev_b64 v[36:37], v36, v[12:13]
	v_bfe_u32 v40, v12, 3, 4
	v_sub_u32_e32 v37, 29, v41
	v_cmp_gt_u32_e32 vcc, 8, v39
	v_and_b32_e32 v36, 7, v36
	s_nop 0
	v_cndmask_b32_e32 v37, v40, v37, vcc
	v_lshl_add_u32 v37, v37, 10, v24
	v_and_or_b32 v2, v2, s25, v37
	v_cndmask_b32_e32 v36, v38, v36, vcc
	v_lshlrev_b32_e32 v2, 16, v2
	v_lshl_or_b32 v2, v36, 23, v2
	v_cvt_f32_f16_sdwa v36, v17 dst_sel:DWORD dst_unused:UNUSED_PAD src0_sel:WORD_1
	v_cvt_f32_f16_sdwa v37, v9 dst_sel:DWORD dst_unused:UNUSED_PAD src0_sel:WORD_1
	v_or_b32_e32 v9, v13, v17
	v_cndmask_b32_e64 v2, v26, v2, s[0:1]
	v_cmp_ne_u32_e64 s[0:1], s23, v12
	v_cvt_f32_f16_e32 v12, v9
	v_cvt_f32_f16_e32 v13, v1
	v_cndmask_b32_e64 v2, v27, v2, s[0:1]
	v_cmp_lt_u64_e64 s[0:1], s[6:7], v[10:11]
	s_waitcnt vmcnt(0)
	v_pk_mul_f32 v[10:11], v[8:9], v[36:37] op_sel_hi:[0,1]
	v_cvt_pk_f16_f32 v1, v10, v11
	v_and_b32_e32 v9, 0xffff0000, v1
	v_cndmask_b32_e64 v2, 0, v2, s[0:1]
	v_pk_mul_f32 v[12:13], v[8:9], v[12:13] op_sel_hi:[0,1]
	v_lshlrev_b32_e32 v10, 16, v1
	v_cvt_pk_f16_f32 v1, v12, v13
	v_or_b32_e32 v13, v15, v14
	v_or_b32_e32 v14, v16, v2
	v_cvt_f32_f16_e32 v16, v14
	v_cvt_f32_f16_e32 v17, v13
	v_cvt_f32_f16_sdwa v14, v2 dst_sel:DWORD dst_unused:UNUSED_PAD src0_sel:WORD_1
	v_cvt_f32_f16_sdwa v15, v15 dst_sel:DWORD dst_unused:UNUSED_PAD src0_sel:WORD_1
	v_lshrrev_b32_e32 v11, 16, v1
	v_pk_mul_f32 v[16:17], v[8:9], v[16:17] op_sel_hi:[0,1]
	v_cvt_pk_f16_f32 v16, v16, v17
	v_pk_mul_f32 v[14:15], v[8:9], v[14:15] op_sel_hi:[0,1]
	v_cvt_pk_f16_f32 v8, v14, v15
	v_and_b32_e32 v12, 0xffff, v1
	v_and_b32_e32 v13, 0xffff0000, v8
	v_lshlrev_b32_e32 v8, 16, v8
	v_lshrrev_b32_e32 v15, 16, v16
	v_and_b32_e32 v14, 0xffff, v16
	v_cmp_eq_u32_e32 vcc, s26, v18
	v_or_b32_e32 v1, v9, v11
	v_or_b32_e32 v2, v10, v12
	;; [unrolled: 1-line block ×4, first 2 shown]
	s_and_saveexec_b64 s[0:1], vcc
	s_cbranch_execz .LBB243_87
; %bb.113:                              ;   in Loop: Header=BB243_88 Depth=1
	v_add_u32_e32 v16, 2, v21
	v_cmp_gt_i32_e32 vcc, s27, v21
	v_or_b32_e32 v1, 1, v21
	v_or_b32_e32 v2, 3, v21
	v_cndmask_b32_e32 v11, 0, v11, vcc
	v_cmp_gt_i32_e32 vcc, s17, v16
	s_nop 1
	v_cndmask_b32_e32 v12, 0, v12, vcc
	v_cmp_gt_i32_e32 vcc, s27, v1
	s_nop 1
	v_cndmask_b32_e32 v1, 0, v9, vcc
	v_cmp_gt_i32_e32 vcc, s17, v2
	v_or_b32_e32 v9, 4, v21
	v_or_b32_e32 v1, v1, v11
	v_cndmask_b32_e32 v2, 0, v10, vcc
	v_or_b32_e32 v10, 6, v21
	v_cmp_gt_i32_e32 vcc, s27, v9
	v_or_b32_e32 v11, 5, v21
	v_or_b32_e32 v2, v2, v12
	v_cndmask_b32_e32 v9, 0, v15, vcc
	v_cmp_gt_i32_e32 vcc, s17, v10
	v_or_b32_e32 v12, 7, v21
	s_nop 0
	v_cndmask_b32_e32 v10, 0, v14, vcc
	v_cmp_gt_i32_e32 vcc, s27, v11
	s_nop 1
	v_cndmask_b32_e32 v11, 0, v13, vcc
	v_cmp_gt_i32_e32 vcc, s17, v12
	v_or_b32_e32 v17, v11, v9
	s_nop 0
	v_cndmask_b32_e32 v8, 0, v8, vcc
	v_or_b32_e32 v16, v8, v10
	s_branch .LBB243_87
.LBB243_114:                            ;   in Loop: Header=BB243_88 Depth=1
	v_cmp_eq_u16_sdwa s[30:31], v10, s23 src0_sel:BYTE_0 src1_sel:DWORD
	s_mov_b64 s[0:1], -1
	s_and_saveexec_b64 s[14:15], s[30:31]
; %bb.115:                              ;   in Loop: Header=BB243_88 Depth=1
	s_xor_b64 s[0:1], exec, -1
; %bb.116:                              ;   in Loop: Header=BB243_88 Depth=1
	s_or_b64 exec, exec, s[14:15]
	s_and_b64 s[0:1], s[0:1], exec
	s_or_saveexec_b64 s[12:13], s[12:13]
	v_mov_b32_e32 v1, 0x8000
	s_xor_b64 exec, exec, s[12:13]
	s_cbranch_execz .LBB243_90
.LBB243_117:                            ;   in Loop: Header=BB243_88 Depth=1
	v_cmp_ne_u16_sdwa s[14:15], v10, v3 src0_sel:BYTE_0 src1_sel:DWORD
	s_andn2_b64 s[0:1], s[0:1], exec
	s_and_b64 s[14:15], s[14:15], exec
	v_and_b32_sdwa v1, s24, v10 dst_sel:DWORD dst_unused:UNUSED_PAD src0_sel:DWORD src1_sel:BYTE_0
	s_or_b64 s[0:1], s[0:1], s[14:15]
	s_or_b64 exec, exec, s[12:13]
	s_and_saveexec_b64 s[12:13], s[0:1]
	s_cbranch_execnz .LBB243_91
	s_branch .LBB243_92
.LBB243_118:                            ;   in Loop: Header=BB243_88 Depth=1
	v_cmp_eq_u16_e32 vcc, s23, v2
	s_mov_b64 s[0:1], -1
	s_and_saveexec_b64 s[14:15], vcc
; %bb.119:                              ;   in Loop: Header=BB243_88 Depth=1
	s_xor_b64 s[0:1], exec, -1
; %bb.120:                              ;   in Loop: Header=BB243_88 Depth=1
	s_or_b64 exec, exec, s[14:15]
	s_and_b64 s[0:1], s[0:1], exec
	s_or_saveexec_b64 s[12:13], s[12:13]
	v_bfrev_b32_e32 v9, 1
	s_xor_b64 exec, exec, s[12:13]
	s_cbranch_execz .LBB243_94
.LBB243_121:                            ;   in Loop: Header=BB243_88 Depth=1
	v_cmp_ne_u16_e32 vcc, 0, v2
	s_andn2_b64 s[0:1], s[0:1], exec
	s_and_b64 s[14:15], vcc, exec
	s_or_b64 s[0:1], s[0:1], s[14:15]
	v_mov_b32_e32 v9, v2
	s_or_b64 exec, exec, s[12:13]
	s_and_saveexec_b64 s[12:13], s[0:1]
	s_cbranch_execnz .LBB243_95
	s_branch .LBB243_96
.LBB243_122:                            ;   in Loop: Header=BB243_88 Depth=1
	v_cmp_eq_u16_sdwa s[30:31], v12, s23 src0_sel:BYTE_0 src1_sel:DWORD
	s_mov_b64 s[0:1], -1
	s_and_saveexec_b64 s[14:15], s[30:31]
; %bb.123:                              ;   in Loop: Header=BB243_88 Depth=1
	s_xor_b64 s[0:1], exec, -1
; %bb.124:                              ;   in Loop: Header=BB243_88 Depth=1
	s_or_b64 exec, exec, s[14:15]
	s_and_b64 s[0:1], s[0:1], exec
	s_or_saveexec_b64 s[12:13], s[12:13]
	v_mov_b32_e32 v13, 0x8000
	s_xor_b64 exec, exec, s[12:13]
	s_cbranch_execz .LBB243_98
.LBB243_125:                            ;   in Loop: Header=BB243_88 Depth=1
	v_cmp_ne_u16_sdwa s[14:15], v12, v3 src0_sel:BYTE_0 src1_sel:DWORD
	s_andn2_b64 s[0:1], s[0:1], exec
	s_and_b64 s[14:15], s[14:15], exec
	v_and_b32_sdwa v13, s24, v12 dst_sel:DWORD dst_unused:UNUSED_PAD src0_sel:DWORD src1_sel:BYTE_0
	s_or_b64 s[0:1], s[0:1], s[14:15]
	s_or_b64 exec, exec, s[12:13]
	s_and_saveexec_b64 s[12:13], s[0:1]
	s_cbranch_execnz .LBB243_99
	s_branch .LBB243_100
.LBB243_126:                            ;   in Loop: Header=BB243_88 Depth=1
	v_cmp_eq_u16_sdwa s[30:31], v11, s23 src0_sel:BYTE_0 src1_sel:DWORD
	s_mov_b64 s[0:1], -1
	s_and_saveexec_b64 s[14:15], s[30:31]
; %bb.127:                              ;   in Loop: Header=BB243_88 Depth=1
	s_xor_b64 s[0:1], exec, -1
; %bb.128:                              ;   in Loop: Header=BB243_88 Depth=1
	s_or_b64 exec, exec, s[14:15]
	s_and_b64 s[0:1], s[0:1], exec
	s_or_saveexec_b64 s[12:13], s[12:13]
	v_mov_b32_e32 v14, 0x8000
	s_xor_b64 exec, exec, s[12:13]
	s_cbranch_execz .LBB243_102
.LBB243_129:                            ;   in Loop: Header=BB243_88 Depth=1
	v_cmp_ne_u16_sdwa s[14:15], v11, v3 src0_sel:BYTE_0 src1_sel:DWORD
	s_andn2_b64 s[0:1], s[0:1], exec
	s_and_b64 s[14:15], s[14:15], exec
	v_and_b32_sdwa v14, s24, v11 dst_sel:DWORD dst_unused:UNUSED_PAD src0_sel:DWORD src1_sel:BYTE_0
	s_or_b64 s[0:1], s[0:1], s[14:15]
	s_or_b64 exec, exec, s[12:13]
	s_and_saveexec_b64 s[12:13], s[0:1]
	s_cbranch_execnz .LBB243_103
	s_branch .LBB243_104
.LBB243_130:                            ;   in Loop: Header=BB243_88 Depth=1
	v_cmp_eq_u16_e32 vcc, s23, v2
	s_mov_b64 s[0:1], -1
	s_and_saveexec_b64 s[14:15], vcc
; %bb.131:                              ;   in Loop: Header=BB243_88 Depth=1
	s_xor_b64 s[0:1], exec, -1
; %bb.132:                              ;   in Loop: Header=BB243_88 Depth=1
	s_or_b64 exec, exec, s[14:15]
	s_and_b64 s[0:1], s[0:1], exec
	s_or_saveexec_b64 s[12:13], s[12:13]
	v_bfrev_b32_e32 v15, 1
	s_xor_b64 exec, exec, s[12:13]
	s_cbranch_execz .LBB243_106
.LBB243_133:                            ;   in Loop: Header=BB243_88 Depth=1
	v_cmp_ne_u16_e32 vcc, 0, v2
	s_andn2_b64 s[0:1], s[0:1], exec
	s_and_b64 s[14:15], vcc, exec
	s_or_b64 s[0:1], s[0:1], s[14:15]
	v_mov_b32_e32 v15, v2
	s_or_b64 exec, exec, s[12:13]
	s_and_saveexec_b64 s[12:13], s[0:1]
	s_cbranch_execnz .LBB243_107
	s_branch .LBB243_108
.LBB243_134:                            ;   in Loop: Header=BB243_88 Depth=1
	v_cmp_eq_u16_sdwa s[30:31], v2, s23 src0_sel:BYTE_0 src1_sel:DWORD
	s_mov_b64 s[0:1], -1
	s_and_saveexec_b64 s[14:15], s[30:31]
; %bb.135:                              ;   in Loop: Header=BB243_88 Depth=1
	s_xor_b64 s[0:1], exec, -1
; %bb.136:                              ;   in Loop: Header=BB243_88 Depth=1
	s_or_b64 exec, exec, s[14:15]
	s_and_b64 s[0:1], s[0:1], exec
	s_or_saveexec_b64 s[12:13], s[12:13]
	v_mov_b32_e32 v16, 0x8000
	s_xor_b64 exec, exec, s[12:13]
	s_cbranch_execz .LBB243_110
.LBB243_137:                            ;   in Loop: Header=BB243_88 Depth=1
	v_cmp_ne_u16_sdwa s[14:15], v2, v3 src0_sel:BYTE_0 src1_sel:DWORD
	s_andn2_b64 s[0:1], s[0:1], exec
	s_and_b64 s[14:15], s[14:15], exec
	v_and_b32_sdwa v16, s24, v2 dst_sel:DWORD dst_unused:UNUSED_PAD src0_sel:DWORD src1_sel:BYTE_0
	s_or_b64 s[0:1], s[0:1], s[14:15]
	s_or_b64 exec, exec, s[12:13]
	s_and_saveexec_b64 s[12:13], s[0:1]
	s_cbranch_execnz .LBB243_111
	s_branch .LBB243_112
.LBB243_138:
	s_or_b64 exec, exec, s[8:9]
.LBB243_139:
	s_or_b64 exec, exec, s[2:3]
	ds_bpermute_b32 v1, v20, v23
	v_and_b32_e32 v2, 0x3c1, v0
	v_cmp_eq_u32_e32 vcc, 64, v2
	s_waitcnt lgkmcnt(0)
	s_barrier
	v_add_f32_e32 v1, v23, v1
	s_and_saveexec_b64 s[0:1], vcc
; %bb.140:
	v_mov_b32_e32 v3, 0x50
	v_lshl_add_u32 v3, v19, 1, v3
	ds_write_b32 v3, v1
; %bb.141:
	s_or_b64 exec, exec, s[0:1]
	v_lshrrev_b32_e32 v0, 1, v0
	v_cmp_eq_u32_e32 vcc, 0, v2
	s_waitcnt lgkmcnt(0)
	s_barrier
	s_and_saveexec_b64 s[0:1], vcc
	s_cbranch_execz .LBB243_143
; %bb.142:
	v_mov_b32_e32 v2, 0x50
	v_lshl_add_u32 v2, v0, 2, v2
	ds_read_b32 v2, v2
	s_waitcnt lgkmcnt(0)
	v_add_f32_e32 v1, v1, v2
.LBB243_143:
	s_or_b64 exec, exec, s[0:1]
	s_barrier
	s_and_saveexec_b64 s[0:1], vcc
	s_cbranch_execz .LBB243_145
; %bb.144:
	s_mul_i32 s0, s16, s19
	s_mul_i32 s0, s0, s5
	s_lshl_b32 s0, s0, 5
	s_ashr_i32 s1, s0, 31
	s_lshl_b64 s[0:1], s[0:1], 1
	s_add_u32 s2, s20, s0
	s_mul_i32 s0, s19, s18
	s_addc_u32 s3, s21, s1
	s_ashr_i32 s1, s0, 31
	s_lshl_b64 s[0:1], s[0:1], 1
	s_add_u32 s2, s2, s0
	s_addc_u32 s3, s3, s1
	s_lshl_b32 s0, s4, 5
	s_ashr_i32 s1, s0, 31
	s_lshl_b64 s[0:1], s[0:1], 1
	s_add_u32 s0, s2, s0
	s_addc_u32 s1, s3, s1
	v_lshlrev_b32_e32 v0, 1, v0
	;;#ASMSTART
	v_cvt_f16_f32 v1, v1;

	;;#ASMEND
	global_store_short v0, v1, s[0:1]
.LBB243_145:
	s_endpgm
	.section	.rodata,"a",@progbits
	.p2align	6, 0x0
	.amdhsa_kernel _ZN4vllm25paged_attention_v1_kernelIthLi32ELi16ELi128ELNS_18Fp8KVCacheDataTypeE1ELb0EEEvPT_PKS2_PKT0_S8_ifPKiSA_iPKfiiiSC_SC_iiiii
		.amdhsa_group_segment_fixed_size 80
		.amdhsa_private_segment_fixed_size 0
		.amdhsa_kernarg_size 384
		.amdhsa_user_sgpr_count 2
		.amdhsa_user_sgpr_dispatch_ptr 0
		.amdhsa_user_sgpr_queue_ptr 0
		.amdhsa_user_sgpr_kernarg_segment_ptr 1
		.amdhsa_user_sgpr_dispatch_id 0
		.amdhsa_user_sgpr_kernarg_preload_length 0
		.amdhsa_user_sgpr_kernarg_preload_offset 0
		.amdhsa_user_sgpr_private_segment_size 0
		.amdhsa_uses_dynamic_stack 0
		.amdhsa_enable_private_segment 0
		.amdhsa_system_sgpr_workgroup_id_x 1
		.amdhsa_system_sgpr_workgroup_id_y 1
		.amdhsa_system_sgpr_workgroup_id_z 1
		.amdhsa_system_sgpr_workgroup_info 0
		.amdhsa_system_vgpr_workitem_id 0
		.amdhsa_next_free_vgpr 42
		.amdhsa_next_free_sgpr 45
		.amdhsa_accum_offset 44
		.amdhsa_reserve_vcc 1
		.amdhsa_float_round_mode_32 0
		.amdhsa_float_round_mode_16_64 0
		.amdhsa_float_denorm_mode_32 3
		.amdhsa_float_denorm_mode_16_64 3
		.amdhsa_dx10_clamp 1
		.amdhsa_ieee_mode 1
		.amdhsa_fp16_overflow 0
		.amdhsa_tg_split 0
		.amdhsa_exception_fp_ieee_invalid_op 0
		.amdhsa_exception_fp_denorm_src 0
		.amdhsa_exception_fp_ieee_div_zero 0
		.amdhsa_exception_fp_ieee_overflow 0
		.amdhsa_exception_fp_ieee_underflow 0
		.amdhsa_exception_fp_ieee_inexact 0
		.amdhsa_exception_int_div_zero 0
	.end_amdhsa_kernel
	.section	.text._ZN4vllm25paged_attention_v1_kernelIthLi32ELi16ELi128ELNS_18Fp8KVCacheDataTypeE1ELb0EEEvPT_PKS2_PKT0_S8_ifPKiSA_iPKfiiiSC_SC_iiiii,"axG",@progbits,_ZN4vllm25paged_attention_v1_kernelIthLi32ELi16ELi128ELNS_18Fp8KVCacheDataTypeE1ELb0EEEvPT_PKS2_PKT0_S8_ifPKiSA_iPKfiiiSC_SC_iiiii,comdat
.Lfunc_end243:
	.size	_ZN4vllm25paged_attention_v1_kernelIthLi32ELi16ELi128ELNS_18Fp8KVCacheDataTypeE1ELb0EEEvPT_PKS2_PKT0_S8_ifPKiSA_iPKfiiiSC_SC_iiiii, .Lfunc_end243-_ZN4vllm25paged_attention_v1_kernelIthLi32ELi16ELi128ELNS_18Fp8KVCacheDataTypeE1ELb0EEEvPT_PKS2_PKT0_S8_ifPKiSA_iPKfiiiSC_SC_iiiii
                                        ; -- End function
	.set _ZN4vllm25paged_attention_v1_kernelIthLi32ELi16ELi128ELNS_18Fp8KVCacheDataTypeE1ELb0EEEvPT_PKS2_PKT0_S8_ifPKiSA_iPKfiiiSC_SC_iiiii.num_vgpr, 42
	.set _ZN4vllm25paged_attention_v1_kernelIthLi32ELi16ELi128ELNS_18Fp8KVCacheDataTypeE1ELb0EEEvPT_PKS2_PKT0_S8_ifPKiSA_iPKfiiiSC_SC_iiiii.num_agpr, 0
	.set _ZN4vllm25paged_attention_v1_kernelIthLi32ELi16ELi128ELNS_18Fp8KVCacheDataTypeE1ELb0EEEvPT_PKS2_PKT0_S8_ifPKiSA_iPKfiiiSC_SC_iiiii.numbered_sgpr, 45
	.set _ZN4vllm25paged_attention_v1_kernelIthLi32ELi16ELi128ELNS_18Fp8KVCacheDataTypeE1ELb0EEEvPT_PKS2_PKT0_S8_ifPKiSA_iPKfiiiSC_SC_iiiii.num_named_barrier, 0
	.set _ZN4vllm25paged_attention_v1_kernelIthLi32ELi16ELi128ELNS_18Fp8KVCacheDataTypeE1ELb0EEEvPT_PKS2_PKT0_S8_ifPKiSA_iPKfiiiSC_SC_iiiii.private_seg_size, 0
	.set _ZN4vllm25paged_attention_v1_kernelIthLi32ELi16ELi128ELNS_18Fp8KVCacheDataTypeE1ELb0EEEvPT_PKS2_PKT0_S8_ifPKiSA_iPKfiiiSC_SC_iiiii.uses_vcc, 1
	.set _ZN4vllm25paged_attention_v1_kernelIthLi32ELi16ELi128ELNS_18Fp8KVCacheDataTypeE1ELb0EEEvPT_PKS2_PKT0_S8_ifPKiSA_iPKfiiiSC_SC_iiiii.uses_flat_scratch, 0
	.set _ZN4vllm25paged_attention_v1_kernelIthLi32ELi16ELi128ELNS_18Fp8KVCacheDataTypeE1ELb0EEEvPT_PKS2_PKT0_S8_ifPKiSA_iPKfiiiSC_SC_iiiii.has_dyn_sized_stack, 0
	.set _ZN4vllm25paged_attention_v1_kernelIthLi32ELi16ELi128ELNS_18Fp8KVCacheDataTypeE1ELb0EEEvPT_PKS2_PKT0_S8_ifPKiSA_iPKfiiiSC_SC_iiiii.has_recursion, 0
	.set _ZN4vllm25paged_attention_v1_kernelIthLi32ELi16ELi128ELNS_18Fp8KVCacheDataTypeE1ELb0EEEvPT_PKS2_PKT0_S8_ifPKiSA_iPKfiiiSC_SC_iiiii.has_indirect_call, 0
	.section	.AMDGPU.csdata,"",@progbits
; Kernel info:
; codeLenInByte = 7536
; TotalNumSgprs: 51
; NumVgprs: 42
; NumAgprs: 0
; TotalNumVgprs: 42
; ScratchSize: 0
; MemoryBound: 0
; FloatMode: 240
; IeeeMode: 1
; LDSByteSize: 80 bytes/workgroup (compile time only)
; SGPRBlocks: 6
; VGPRBlocks: 5
; NumSGPRsForWavesPerEU: 51
; NumVGPRsForWavesPerEU: 42
; AccumOffset: 44
; Occupancy: 8
; WaveLimiterHint : 1
; COMPUTE_PGM_RSRC2:SCRATCH_EN: 0
; COMPUTE_PGM_RSRC2:USER_SGPR: 2
; COMPUTE_PGM_RSRC2:TRAP_HANDLER: 0
; COMPUTE_PGM_RSRC2:TGID_X_EN: 1
; COMPUTE_PGM_RSRC2:TGID_Y_EN: 1
; COMPUTE_PGM_RSRC2:TGID_Z_EN: 1
; COMPUTE_PGM_RSRC2:TIDIG_COMP_CNT: 0
; COMPUTE_PGM_RSRC3_GFX90A:ACCUM_OFFSET: 10
; COMPUTE_PGM_RSRC3_GFX90A:TG_SPLIT: 0
	.section	.text._ZN4vllm25paged_attention_v1_kernelIthLi64ELi16ELi128ELNS_18Fp8KVCacheDataTypeE1ELb0EEEvPT_PKS2_PKT0_S8_ifPKiSA_iPKfiiiSC_SC_iiiii,"axG",@progbits,_ZN4vllm25paged_attention_v1_kernelIthLi64ELi16ELi128ELNS_18Fp8KVCacheDataTypeE1ELb0EEEvPT_PKS2_PKT0_S8_ifPKiSA_iPKfiiiSC_SC_iiiii,comdat
	.protected	_ZN4vllm25paged_attention_v1_kernelIthLi64ELi16ELi128ELNS_18Fp8KVCacheDataTypeE1ELb0EEEvPT_PKS2_PKT0_S8_ifPKiSA_iPKfiiiSC_SC_iiiii ; -- Begin function _ZN4vllm25paged_attention_v1_kernelIthLi64ELi16ELi128ELNS_18Fp8KVCacheDataTypeE1ELb0EEEvPT_PKS2_PKT0_S8_ifPKiSA_iPKfiiiSC_SC_iiiii
	.globl	_ZN4vllm25paged_attention_v1_kernelIthLi64ELi16ELi128ELNS_18Fp8KVCacheDataTypeE1ELb0EEEvPT_PKS2_PKT0_S8_ifPKiSA_iPKfiiiSC_SC_iiiii
	.p2align	8
	.type	_ZN4vllm25paged_attention_v1_kernelIthLi64ELi16ELi128ELNS_18Fp8KVCacheDataTypeE1ELb0EEEvPT_PKS2_PKT0_S8_ifPKiSA_iPKfiiiSC_SC_iiiii,@function
_ZN4vllm25paged_attention_v1_kernelIthLi64ELi16ELi128ELNS_18Fp8KVCacheDataTypeE1ELb0EEEvPT_PKS2_PKT0_S8_ifPKiSA_iPKfiiiSC_SC_iiiii: ; @_ZN4vllm25paged_attention_v1_kernelIthLi64ELi16ELi128ELNS_18Fp8KVCacheDataTypeE1ELb0EEEvPT_PKS2_PKT0_S8_ifPKiSA_iPKfiiiSC_SC_iiiii
; %bb.0:
	s_load_dword s5, s[0:1], 0x80
	s_load_dwordx2 s[6:7], s[0:1], 0x30
	s_load_dwordx2 s[28:29], s[0:1], 0x20
	s_mov_b32 s16, s3
	s_ashr_i32 s17, s3, 31
	s_lshl_b64 s[8:9], s[16:17], 2
	s_waitcnt lgkmcnt(0)
	s_add_u32 s6, s6, s8
	s_addc_u32 s7, s7, s9
	s_abs_i32 s3, s28
	v_cvt_f32_u32_e32 v1, s3
	s_sub_i32 s10, 0, s3
	s_abs_i32 s9, s5
	s_xor_b32 s8, s5, s28
	v_rcp_iflag_f32_e32 v1, v1
	s_ashr_i32 s8, s8, 31
	s_mov_b32 s28, 0
	v_mul_f32_e32 v1, 0x4f7ffffe, v1
	v_cvt_u32_f32_e32 v1, v1
	s_nop 0
	v_readfirstlane_b32 s11, v1
	s_mul_i32 s10, s10, s11
	s_mul_hi_u32 s10, s11, s10
	s_add_i32 s11, s11, s10
	s_mul_hi_u32 s10, s9, s11
	s_mul_i32 s11, s10, s3
	s_sub_i32 s9, s9, s11
	s_add_i32 s11, s10, 1
	s_sub_i32 s12, s9, s3
	s_cmp_ge_u32 s9, s3
	s_cselect_b32 s10, s11, s10
	s_cselect_b32 s9, s12, s9
	s_add_i32 s11, s10, 1
	s_cmp_ge_u32 s9, s3
	s_cselect_b32 s3, s11, s10
	s_xor_b32 s3, s3, s8
	s_sub_i32 s18, s3, s8
	s_abs_i32 s10, s18
	v_cvt_f32_u32_e32 v1, s10
	s_load_dwordx2 s[8:9], s[0:1], 0x40
	s_sub_i32 s3, 0, s10
	s_abs_i32 s11, s2
	v_rcp_iflag_f32_e32 v1, v1
	s_nop 0
	v_mul_f32_e32 v1, 0x4f7ffffe, v1
	v_cvt_u32_f32_e32 v1, v1
	s_nop 0
	v_readfirstlane_b32 s12, v1
	s_mul_i32 s3, s3, s12
	s_mul_hi_u32 s3, s12, s3
	s_add_i32 s12, s12, s3
	s_waitcnt lgkmcnt(0)
	s_cmp_eq_u64 s[8:9], 0
	s_mul_hi_u32 s17, s11, s12
	s_cbranch_scc1 .LBB244_2
; %bb.1:
	s_ashr_i32 s3, s2, 31
	s_lshl_b64 s[12:13], s[2:3], 2
	s_add_u32 s8, s8, s12
	s_addc_u32 s9, s9, s13
	s_load_dword s28, s[8:9], 0x0
.LBB244_2:
	s_load_dword s33, s[6:7], 0x0
	s_load_dwordx4 s[12:15], s[0:1], 0x48
	s_ashr_i32 s6, s2, 31
	s_ashr_i32 s7, s18, 31
	v_and_b32_e32 v4, 3, v0
	s_lshl_b32 s18, s2, 6
	v_cmp_gt_u32_e32 vcc, 32, v0
	s_and_saveexec_b64 s[2:3], vcc
	s_cbranch_execz .LBB244_4
; %bb.3:
	s_load_dwordx2 s[8:9], s[0:1], 0x8
	s_waitcnt lgkmcnt(0)
	s_mul_i32 s20, s12, s16
	s_ashr_i32 s21, s20, 31
	s_lshl_b64 s[20:21], s[20:21], 1
	v_lshlrev_b32_e32 v1, 2, v0
	s_add_u32 s12, s8, s20
	s_addc_u32 s15, s9, s21
	s_ashr_i32 s19, s18, 31
	s_lshl_b64 s[8:9], s[18:19], 1
	s_add_u32 s8, s12, s8
	s_addc_u32 s9, s15, s9
	global_load_dword v1, v1, s[8:9]
	v_and_b32_e32 v2, 0x3fc, v0
	v_lshl_add_u32 v2, v4, 5, v2
	s_waitcnt vmcnt(0)
	ds_write_b32 v2, v1
.LBB244_4:
	s_or_b64 exec, exec, s[2:3]
	s_waitcnt lgkmcnt(0)
	s_add_i32 s3, s33, 15
	s_ashr_i32 s8, s3, 31
	s_lshr_b32 s8, s8, 28
	s_add_i32 s3, s3, s8
	s_ashr_i32 s19, s3, 4
	s_xor_b32 s3, s6, s7
	s_mul_i32 s6, s17, s10
	s_sub_i32 s6, s11, s6
	s_add_i32 s7, s17, 1
	s_sub_i32 s8, s6, s10
	s_load_dwordx2 s[22:23], s[0:1], 0x28
	s_load_dword s2, s[0:1], 0x38
	s_cmp_ge_u32 s6, s10
	s_cselect_b32 s7, s7, s17
	s_cselect_b32 s6, s8, s6
	s_add_i32 s8, s7, 1
	s_cmp_ge_u32 s6, s10
	s_cselect_b32 s6, s8, s7
	v_lshrrev_b32_e32 v22, 6, v0
	s_xor_b32 s6, s6, s3
	s_waitcnt lgkmcnt(0)
	s_mul_i32 s24, s2, s16
	s_sub_i32 s12, s6, s3
	s_ashr_i32 s25, s24, 31
	v_cmp_gt_i32_e64 s[6:7], s19, v22
	v_cmp_le_i32_e32 vcc, s19, v22
	v_mbcnt_lo_u32_b32 v9, -1, 0
	s_barrier
                                        ; implicit-def: $vgpr10
                                        ; implicit-def: $vgpr8
                                        ; implicit-def: $vgpr2
	s_and_saveexec_b64 s[2:3], vcc
	s_xor_b64 s[2:3], exec, s[2:3]
; %bb.5:
	v_mbcnt_hi_u32_b32 v10, -1, v9
	v_and_b32_e32 v8, 64, v10
	v_add_u32_e32 v2, 64, v8
                                        ; implicit-def: $vgpr4
                                        ; implicit-def: $vgpr9
; %bb.6:
	s_or_saveexec_b64 s[30:31], s[2:3]
	s_load_dwordx2 s[20:21], s[0:1], 0x0
	s_load_dwordx2 s[26:27], s[0:1], 0x18
	s_load_dword s17, s[0:1], 0x88
	s_load_dwordx4 s[8:11], s[0:1], 0x58
	v_mov_b32_e32 v11, 0xff7fffff
	s_mul_i32 s12, s12, s14
	v_lshrrev_b32_e32 v1, 4, v0
	s_xor_b64 exec, exec, s[30:31]
	s_cbranch_execz .LBB244_108
; %bb.7:
	s_load_dwordx2 s[0:1], s[0:1], 0x10
	s_ashr_i32 s2, s12, 31
	v_bfe_u32 v8, v0, 2, 4
	v_lshlrev_b32_e32 v2, 4, v8
	v_mov_b32_e32 v3, 0
	s_waitcnt lgkmcnt(0)
	s_add_u32 s0, s0, s12
	s_addc_u32 s1, s1, s2
	v_lshl_add_u64 v[6:7], s[0:1], 0, v[2:3]
	v_lshlrev_b32_e32 v2, 1, v4
	v_lshlrev_b32_e32 v12, 5, v4
	v_cmp_eq_u32_e32 vcc, 0, v4
	v_lshl_add_u64 v[4:5], v[6:7], 0, v[2:3]
	s_sub_i32 s41, 1, s33
	v_lshlrev_b32_e32 v2, 2, v8
	s_lshl_b64 s[0:1], s[24:25], 2
	v_lshl_or_b32 v2, v22, 6, v2
	s_add_u32 s0, s22, s0
	v_add_u32_e32 v14, 0x90, v2
	v_and_b32_e32 v2, 60, v1
	s_addc_u32 s1, s23, s1
	s_mov_b32 s40, s13
	v_cmp_neq_f32_e64 s[2:3], s28, 0
	v_lshl_or_b32 v13, v22, 4, v8
	v_lshl_add_u64 v[6:7], s[0:1], 0, v[2:3]
	v_mov_b32_e32 v11, 0xff7fffff
	s_mov_b64 s[14:15], 0
	s_movk_i32 s42, 0x80
	s_movk_i32 s43, 0x7f
	s_mov_b32 s44, 0x8000
	v_mbcnt_hi_u32_b32 v10, -1, v9
	v_mov_b32_e32 v15, 0x2000
	v_mov_b32_e32 v16, v22
	s_branch .LBB244_9
.LBB244_8:                              ;   in Loop: Header=BB244_9 Depth=1
	s_or_b64 exec, exec, s[34:35]
	v_add_u32_e32 v16, 2, v16
	v_cmp_le_i32_e64 s[0:1], s19, v16
	v_add_u32_e32 v13, 32, v13
	v_add_u32_e32 v14, 0x80, v14
	s_or_b64 s[14:15], s[0:1], s[14:15]
	v_lshl_add_u64 v[6:7], v[6:7], 0, 8
	s_andn2_b64 exec, exec, s[14:15]
	s_cbranch_execz .LBB244_107
.LBB244_9:                              ; =>This Inner Loop Header: Depth=1
	global_load_dword v2, v[6:7], off
	s_waitcnt vmcnt(0)
	v_mad_i64_i32 v[8:9], s[0:1], v2, s40, v[4:5]
	global_load_ushort v18, v[8:9], off
	s_waitcnt lgkmcnt(0)
	global_load_dword v17, v3, s[8:9]
	s_waitcnt vmcnt(1)
	v_and_b32_e32 v2, 0xffff, v18
	v_cmp_ne_u16_sdwa s[0:1], v18, v3 src0_sel:BYTE_0 src1_sel:DWORD
	v_mov_b32_e32 v18, 0
	s_and_saveexec_b64 s[34:35], s[0:1]
	s_cbranch_execz .LBB244_15
; %bb.10:                               ;   in Loop: Header=BB244_9 Depth=1
	v_cmp_ne_u16_sdwa s[0:1], v2, s42 src0_sel:BYTE_0 src1_sel:DWORD
	v_mov_b32_e32 v18, 0x8000
	s_and_saveexec_b64 s[36:37], s[0:1]
	s_cbranch_execz .LBB244_14
; %bb.11:                               ;   in Loop: Header=BB244_9 Depth=1
	v_and_b32_e32 v19, 0x7f, v2
	v_cmp_ne_u32_e64 s[0:1], s43, v19
	v_mov_b32_e32 v18, 0x7c01
	s_and_saveexec_b64 s[38:39], s[0:1]
	s_cbranch_execz .LBB244_13
; %bb.12:                               ;   in Loop: Header=BB244_9 Depth=1
	v_and_b32_e32 v18, 7, v2
	v_ffbh_u32_e32 v20, v18
	v_min_u32_e32 v24, 32, v20
	v_subrev_u32_e32 v20, 28, v24
	v_lshlrev_b64 v[20:21], v20, v[2:3]
	v_lshrrev_b32_e32 v23, 3, v19
	v_sub_u32_e32 v21, 29, v24
	v_cmp_gt_u32_e64 s[0:1], 8, v19
	v_and_b32_e32 v20, 7, v20
	s_nop 0
	v_cndmask_b32_e64 v19, v23, v21, s[0:1]
	v_lshl_add_u32 v19, v19, 10, v15
	v_lshlrev_b32_e32 v21, 8, v2
	v_and_b32_e32 v19, 0xfc00, v19
	v_cndmask_b32_e64 v18, v18, v20, s[0:1]
	v_and_or_b32 v19, v21, s44, v19
	v_lshl_or_b32 v18, v18, 7, v19
.LBB244_13:                             ;   in Loop: Header=BB244_9 Depth=1
	s_or_b64 exec, exec, s[38:39]
.LBB244_14:                             ;   in Loop: Header=BB244_9 Depth=1
	s_or_b64 exec, exec, s[36:37]
.LBB244_15:                             ;   in Loop: Header=BB244_9 Depth=1
	s_or_b64 exec, exec, s[34:35]
	v_lshrrev_b16_e32 v2, 8, v2
	v_cmp_ne_u16_e64 s[0:1], 0, v2
	v_mov_b32_e32 v19, 0
	v_mov_b32_e32 v20, 0
	s_and_saveexec_b64 s[34:35], s[0:1]
	s_cbranch_execz .LBB244_21
; %bb.16:                               ;   in Loop: Header=BB244_9 Depth=1
	v_cmp_ne_u16_e64 s[0:1], s42, v2
	v_bfrev_b32_e32 v20, 1
	s_and_saveexec_b64 s[36:37], s[0:1]
	s_cbranch_execz .LBB244_20
; %bb.17:                               ;   in Loop: Header=BB244_9 Depth=1
	v_and_b32_e32 v21, 0x7f, v2
	v_cmp_ne_u32_e64 s[0:1], s43, v21
	v_mov_b32_e32 v20, 0x7c010000
	s_and_saveexec_b64 s[38:39], s[0:1]
	s_cbranch_execz .LBB244_19
; %bb.18:                               ;   in Loop: Header=BB244_9 Depth=1
	v_and_b32_e32 v20, 7, v2
	v_ffbh_u32_e32 v24, v20
	v_min_u32_e32 v26, 32, v24
	v_subrev_u32_e32 v24, 28, v26
	v_lshlrev_b64 v[24:25], v24, v[2:3]
	v_lshrrev_b32_e32 v23, 3, v21
	v_sub_u32_e32 v25, 29, v26
	v_cmp_gt_u32_e64 s[0:1], 8, v21
	v_lshlrev_b32_e32 v2, 8, v2
	s_nop 0
	v_cndmask_b32_e64 v21, v23, v25, s[0:1]
	v_lshl_add_u32 v21, v21, 10, v15
	v_and_b32_e32 v23, 7, v24
	v_and_or_b32 v2, v2, s44, v21
	v_cndmask_b32_e64 v20, v20, v23, s[0:1]
	v_lshlrev_b32_e32 v2, 16, v2
	v_lshl_or_b32 v20, v20, 23, v2
.LBB244_19:                             ;   in Loop: Header=BB244_9 Depth=1
	s_or_b64 exec, exec, s[38:39]
.LBB244_20:                             ;   in Loop: Header=BB244_9 Depth=1
	s_or_b64 exec, exec, s[36:37]
.LBB244_21:                             ;   in Loop: Header=BB244_9 Depth=1
	s_or_b64 exec, exec, s[34:35]
	global_load_ushort v21, v[8:9], off offset:8
	s_waitcnt vmcnt(0)
	v_and_b32_e32 v2, 0xffff, v21
	v_cmp_ne_u16_sdwa s[0:1], v21, v3 src0_sel:BYTE_0 src1_sel:DWORD
	s_and_saveexec_b64 s[34:35], s[0:1]
	s_cbranch_execz .LBB244_27
; %bb.22:                               ;   in Loop: Header=BB244_9 Depth=1
	v_cmp_ne_u16_sdwa s[0:1], v2, s42 src0_sel:BYTE_0 src1_sel:DWORD
	v_mov_b32_e32 v19, 0x8000
	s_and_saveexec_b64 s[36:37], s[0:1]
	s_cbranch_execz .LBB244_26
; %bb.23:                               ;   in Loop: Header=BB244_9 Depth=1
	v_and_b32_e32 v21, 0x7f, v2
	v_cmp_ne_u32_e64 s[0:1], s43, v21
	v_mov_b32_e32 v19, 0x7c01
	s_and_saveexec_b64 s[38:39], s[0:1]
	s_cbranch_execz .LBB244_25
; %bb.24:                               ;   in Loop: Header=BB244_9 Depth=1
	v_and_b32_e32 v19, 7, v2
	v_ffbh_u32_e32 v24, v19
	v_min_u32_e32 v26, 32, v24
	v_subrev_u32_e32 v24, 28, v26
	v_lshlrev_b64 v[24:25], v24, v[2:3]
	v_lshrrev_b32_e32 v23, 3, v21
	v_sub_u32_e32 v25, 29, v26
	v_cmp_gt_u32_e64 s[0:1], 8, v21
	v_and_b32_e32 v24, 7, v24
	s_nop 0
	v_cndmask_b32_e64 v21, v23, v25, s[0:1]
	v_lshl_add_u32 v21, v21, 10, v15
	v_lshlrev_b32_e32 v23, 8, v2
	v_and_b32_e32 v21, 0xfc00, v21
	v_cndmask_b32_e64 v19, v19, v24, s[0:1]
	v_and_or_b32 v21, v23, s44, v21
	v_lshl_or_b32 v19, v19, 7, v21
.LBB244_25:                             ;   in Loop: Header=BB244_9 Depth=1
	s_or_b64 exec, exec, s[38:39]
.LBB244_26:                             ;   in Loop: Header=BB244_9 Depth=1
	s_or_b64 exec, exec, s[36:37]
.LBB244_27:                             ;   in Loop: Header=BB244_9 Depth=1
	s_or_b64 exec, exec, s[34:35]
	v_lshrrev_b16_e32 v2, 8, v2
	v_cmp_ne_u16_e64 s[0:1], 0, v2
	v_mov_b32_e32 v21, 0
	v_mov_b32_e32 v23, 0
	s_and_saveexec_b64 s[34:35], s[0:1]
	s_cbranch_execz .LBB244_33
; %bb.28:                               ;   in Loop: Header=BB244_9 Depth=1
	v_cmp_ne_u16_e64 s[0:1], s42, v2
	v_bfrev_b32_e32 v23, 1
	s_and_saveexec_b64 s[36:37], s[0:1]
	s_cbranch_execz .LBB244_32
; %bb.29:                               ;   in Loop: Header=BB244_9 Depth=1
	v_and_b32_e32 v24, 0x7f, v2
	v_cmp_ne_u32_e64 s[0:1], s43, v24
	v_mov_b32_e32 v23, 0x7c010000
	s_and_saveexec_b64 s[38:39], s[0:1]
	s_cbranch_execz .LBB244_31
; %bb.30:                               ;   in Loop: Header=BB244_9 Depth=1
	v_and_b32_e32 v23, 7, v2
	v_ffbh_u32_e32 v26, v23
	v_min_u32_e32 v28, 32, v26
	v_subrev_u32_e32 v26, 28, v28
	v_lshlrev_b64 v[26:27], v26, v[2:3]
	v_lshrrev_b32_e32 v25, 3, v24
	v_sub_u32_e32 v27, 29, v28
	v_cmp_gt_u32_e64 s[0:1], 8, v24
	v_lshlrev_b32_e32 v2, 8, v2
	s_nop 0
	v_cndmask_b32_e64 v24, v25, v27, s[0:1]
	v_lshl_add_u32 v24, v24, 10, v15
	v_and_b32_e32 v25, 7, v26
	v_and_or_b32 v2, v2, s44, v24
	v_cndmask_b32_e64 v23, v23, v25, s[0:1]
	v_lshlrev_b32_e32 v2, 16, v2
	v_lshl_or_b32 v23, v23, 23, v2
.LBB244_31:                             ;   in Loop: Header=BB244_9 Depth=1
	s_or_b64 exec, exec, s[38:39]
.LBB244_32:                             ;   in Loop: Header=BB244_9 Depth=1
	s_or_b64 exec, exec, s[36:37]
.LBB244_33:                             ;   in Loop: Header=BB244_9 Depth=1
	s_or_b64 exec, exec, s[34:35]
	global_load_ushort v24, v[8:9], off offset:256
	s_waitcnt vmcnt(0)
	v_and_b32_e32 v2, 0xffff, v24
	v_cmp_ne_u16_sdwa s[0:1], v24, v3 src0_sel:BYTE_0 src1_sel:DWORD
	s_and_saveexec_b64 s[34:35], s[0:1]
	s_cbranch_execz .LBB244_39
; %bb.34:                               ;   in Loop: Header=BB244_9 Depth=1
	v_cmp_ne_u16_sdwa s[0:1], v2, s42 src0_sel:BYTE_0 src1_sel:DWORD
	v_mov_b32_e32 v21, 0x8000
	s_and_saveexec_b64 s[36:37], s[0:1]
	s_cbranch_execz .LBB244_38
; %bb.35:                               ;   in Loop: Header=BB244_9 Depth=1
	v_and_b32_e32 v24, 0x7f, v2
	v_cmp_ne_u32_e64 s[0:1], s43, v24
	v_mov_b32_e32 v21, 0x7c01
	s_and_saveexec_b64 s[38:39], s[0:1]
	s_cbranch_execz .LBB244_37
; %bb.36:                               ;   in Loop: Header=BB244_9 Depth=1
	v_and_b32_e32 v21, 7, v2
	v_ffbh_u32_e32 v26, v21
	v_min_u32_e32 v28, 32, v26
	v_subrev_u32_e32 v26, 28, v28
	v_lshlrev_b64 v[26:27], v26, v[2:3]
	v_lshrrev_b32_e32 v25, 3, v24
	v_sub_u32_e32 v27, 29, v28
	v_cmp_gt_u32_e64 s[0:1], 8, v24
	v_and_b32_e32 v26, 7, v26
	s_nop 0
	v_cndmask_b32_e64 v24, v25, v27, s[0:1]
	v_lshl_add_u32 v24, v24, 10, v15
	v_lshlrev_b32_e32 v25, 8, v2
	v_and_b32_e32 v24, 0xfc00, v24
	v_cndmask_b32_e64 v21, v21, v26, s[0:1]
	v_and_or_b32 v24, v25, s44, v24
	v_lshl_or_b32 v21, v21, 7, v24
.LBB244_37:                             ;   in Loop: Header=BB244_9 Depth=1
	s_or_b64 exec, exec, s[38:39]
.LBB244_38:                             ;   in Loop: Header=BB244_9 Depth=1
	s_or_b64 exec, exec, s[36:37]
.LBB244_39:                             ;   in Loop: Header=BB244_9 Depth=1
	s_or_b64 exec, exec, s[34:35]
	v_lshrrev_b16_e32 v2, 8, v2
	v_cmp_ne_u16_e64 s[0:1], 0, v2
	v_mov_b32_e32 v24, 0
	v_mov_b32_e32 v25, 0
	s_and_saveexec_b64 s[34:35], s[0:1]
	s_cbranch_execz .LBB244_45
; %bb.40:                               ;   in Loop: Header=BB244_9 Depth=1
	v_cmp_ne_u16_e64 s[0:1], s42, v2
	v_bfrev_b32_e32 v25, 1
	s_and_saveexec_b64 s[36:37], s[0:1]
	s_cbranch_execz .LBB244_44
; %bb.41:                               ;   in Loop: Header=BB244_9 Depth=1
	v_and_b32_e32 v26, 0x7f, v2
	v_cmp_ne_u32_e64 s[0:1], s43, v26
	v_mov_b32_e32 v25, 0x7c010000
	s_and_saveexec_b64 s[38:39], s[0:1]
	s_cbranch_execz .LBB244_43
; %bb.42:                               ;   in Loop: Header=BB244_9 Depth=1
	v_and_b32_e32 v25, 7, v2
	v_ffbh_u32_e32 v28, v25
	v_min_u32_e32 v30, 32, v28
	v_subrev_u32_e32 v28, 28, v30
	v_lshlrev_b64 v[28:29], v28, v[2:3]
	v_lshrrev_b32_e32 v27, 3, v26
	v_sub_u32_e32 v29, 29, v30
	v_cmp_gt_u32_e64 s[0:1], 8, v26
	v_lshlrev_b32_e32 v2, 8, v2
	s_nop 0
	v_cndmask_b32_e64 v26, v27, v29, s[0:1]
	v_lshl_add_u32 v26, v26, 10, v15
	v_and_b32_e32 v27, 7, v28
	v_and_or_b32 v2, v2, s44, v26
	v_cndmask_b32_e64 v25, v25, v27, s[0:1]
	v_lshlrev_b32_e32 v2, 16, v2
	v_lshl_or_b32 v25, v25, 23, v2
.LBB244_43:                             ;   in Loop: Header=BB244_9 Depth=1
	s_or_b64 exec, exec, s[38:39]
.LBB244_44:                             ;   in Loop: Header=BB244_9 Depth=1
	s_or_b64 exec, exec, s[36:37]
.LBB244_45:                             ;   in Loop: Header=BB244_9 Depth=1
	s_or_b64 exec, exec, s[34:35]
	global_load_ushort v26, v[8:9], off offset:264
	s_waitcnt vmcnt(0)
	v_and_b32_e32 v2, 0xffff, v26
	v_cmp_ne_u16_sdwa s[0:1], v26, v3 src0_sel:BYTE_0 src1_sel:DWORD
	s_and_saveexec_b64 s[34:35], s[0:1]
	s_cbranch_execz .LBB244_51
; %bb.46:                               ;   in Loop: Header=BB244_9 Depth=1
	v_cmp_ne_u16_sdwa s[0:1], v2, s42 src0_sel:BYTE_0 src1_sel:DWORD
	v_mov_b32_e32 v24, 0x8000
	s_and_saveexec_b64 s[36:37], s[0:1]
	s_cbranch_execz .LBB244_50
; %bb.47:                               ;   in Loop: Header=BB244_9 Depth=1
	v_and_b32_e32 v26, 0x7f, v2
	v_cmp_ne_u32_e64 s[0:1], s43, v26
	v_mov_b32_e32 v24, 0x7c01
	s_and_saveexec_b64 s[38:39], s[0:1]
	s_cbranch_execz .LBB244_49
; %bb.48:                               ;   in Loop: Header=BB244_9 Depth=1
	v_and_b32_e32 v24, 7, v2
	v_ffbh_u32_e32 v28, v24
	v_min_u32_e32 v30, 32, v28
	v_subrev_u32_e32 v28, 28, v30
	v_lshlrev_b64 v[28:29], v28, v[2:3]
	v_lshrrev_b32_e32 v27, 3, v26
	v_sub_u32_e32 v29, 29, v30
	v_cmp_gt_u32_e64 s[0:1], 8, v26
	v_and_b32_e32 v28, 7, v28
	s_nop 0
	v_cndmask_b32_e64 v26, v27, v29, s[0:1]
	v_lshl_add_u32 v26, v26, 10, v15
	v_lshlrev_b32_e32 v27, 8, v2
	v_and_b32_e32 v26, 0xfc00, v26
	v_cndmask_b32_e64 v24, v24, v28, s[0:1]
	v_and_or_b32 v26, v27, s44, v26
	v_lshl_or_b32 v24, v24, 7, v26
.LBB244_49:                             ;   in Loop: Header=BB244_9 Depth=1
	s_or_b64 exec, exec, s[38:39]
.LBB244_50:                             ;   in Loop: Header=BB244_9 Depth=1
	s_or_b64 exec, exec, s[36:37]
.LBB244_51:                             ;   in Loop: Header=BB244_9 Depth=1
	s_or_b64 exec, exec, s[34:35]
	v_lshrrev_b16_e32 v2, 8, v2
	v_cmp_ne_u16_e64 s[0:1], 0, v2
	v_mov_b32_e32 v26, 0
	v_mov_b32_e32 v27, 0
	s_and_saveexec_b64 s[34:35], s[0:1]
	s_cbranch_execz .LBB244_57
; %bb.52:                               ;   in Loop: Header=BB244_9 Depth=1
	v_cmp_ne_u16_e64 s[0:1], s42, v2
	v_bfrev_b32_e32 v27, 1
	s_and_saveexec_b64 s[36:37], s[0:1]
	s_cbranch_execz .LBB244_56
; %bb.53:                               ;   in Loop: Header=BB244_9 Depth=1
	v_and_b32_e32 v28, 0x7f, v2
	v_cmp_ne_u32_e64 s[0:1], s43, v28
	v_mov_b32_e32 v27, 0x7c010000
	s_and_saveexec_b64 s[38:39], s[0:1]
	s_cbranch_execz .LBB244_55
; %bb.54:                               ;   in Loop: Header=BB244_9 Depth=1
	v_and_b32_e32 v27, 7, v2
	v_ffbh_u32_e32 v30, v27
	v_min_u32_e32 v32, 32, v30
	v_subrev_u32_e32 v30, 28, v32
	v_lshlrev_b64 v[30:31], v30, v[2:3]
	v_lshrrev_b32_e32 v29, 3, v28
	v_sub_u32_e32 v31, 29, v32
	v_cmp_gt_u32_e64 s[0:1], 8, v28
	v_lshlrev_b32_e32 v2, 8, v2
	s_nop 0
	v_cndmask_b32_e64 v28, v29, v31, s[0:1]
	v_lshl_add_u32 v28, v28, 10, v15
	v_and_b32_e32 v29, 7, v30
	v_and_or_b32 v2, v2, s44, v28
	v_cndmask_b32_e64 v27, v27, v29, s[0:1]
	v_lshlrev_b32_e32 v2, 16, v2
	v_lshl_or_b32 v27, v27, 23, v2
.LBB244_55:                             ;   in Loop: Header=BB244_9 Depth=1
	s_or_b64 exec, exec, s[38:39]
.LBB244_56:                             ;   in Loop: Header=BB244_9 Depth=1
	s_or_b64 exec, exec, s[36:37]
.LBB244_57:                             ;   in Loop: Header=BB244_9 Depth=1
	s_or_b64 exec, exec, s[34:35]
	global_load_ushort v28, v[8:9], off offset:512
	s_waitcnt vmcnt(0)
	v_and_b32_e32 v2, 0xffff, v28
	v_cmp_ne_u16_sdwa s[0:1], v28, v3 src0_sel:BYTE_0 src1_sel:DWORD
	s_and_saveexec_b64 s[34:35], s[0:1]
	s_cbranch_execz .LBB244_63
; %bb.58:                               ;   in Loop: Header=BB244_9 Depth=1
	v_cmp_ne_u16_sdwa s[0:1], v2, s42 src0_sel:BYTE_0 src1_sel:DWORD
	v_mov_b32_e32 v26, 0x8000
	s_and_saveexec_b64 s[36:37], s[0:1]
	s_cbranch_execz .LBB244_62
; %bb.59:                               ;   in Loop: Header=BB244_9 Depth=1
	v_and_b32_e32 v28, 0x7f, v2
	v_cmp_ne_u32_e64 s[0:1], s43, v28
	v_mov_b32_e32 v26, 0x7c01
	s_and_saveexec_b64 s[38:39], s[0:1]
	s_cbranch_execz .LBB244_61
; %bb.60:                               ;   in Loop: Header=BB244_9 Depth=1
	v_and_b32_e32 v26, 7, v2
	v_ffbh_u32_e32 v30, v26
	v_min_u32_e32 v32, 32, v30
	v_subrev_u32_e32 v30, 28, v32
	v_lshlrev_b64 v[30:31], v30, v[2:3]
	v_lshrrev_b32_e32 v29, 3, v28
	v_sub_u32_e32 v31, 29, v32
	v_cmp_gt_u32_e64 s[0:1], 8, v28
	v_and_b32_e32 v30, 7, v30
	s_nop 0
	v_cndmask_b32_e64 v28, v29, v31, s[0:1]
	v_lshl_add_u32 v28, v28, 10, v15
	v_lshlrev_b32_e32 v29, 8, v2
	v_and_b32_e32 v28, 0xfc00, v28
	v_cndmask_b32_e64 v26, v26, v30, s[0:1]
	v_and_or_b32 v28, v29, s44, v28
	v_lshl_or_b32 v26, v26, 7, v28
.LBB244_61:                             ;   in Loop: Header=BB244_9 Depth=1
	s_or_b64 exec, exec, s[38:39]
.LBB244_62:                             ;   in Loop: Header=BB244_9 Depth=1
	s_or_b64 exec, exec, s[36:37]
.LBB244_63:                             ;   in Loop: Header=BB244_9 Depth=1
	s_or_b64 exec, exec, s[34:35]
	v_lshrrev_b16_e32 v2, 8, v2
	v_cmp_ne_u16_e64 s[0:1], 0, v2
	v_mov_b32_e32 v28, 0
	v_mov_b32_e32 v29, 0
	s_and_saveexec_b64 s[34:35], s[0:1]
	s_cbranch_execz .LBB244_69
; %bb.64:                               ;   in Loop: Header=BB244_9 Depth=1
	v_cmp_ne_u16_e64 s[0:1], s42, v2
	v_bfrev_b32_e32 v29, 1
	s_and_saveexec_b64 s[36:37], s[0:1]
	s_cbranch_execz .LBB244_68
; %bb.65:                               ;   in Loop: Header=BB244_9 Depth=1
	v_and_b32_e32 v30, 0x7f, v2
	v_cmp_ne_u32_e64 s[0:1], s43, v30
	v_mov_b32_e32 v29, 0x7c010000
	s_and_saveexec_b64 s[38:39], s[0:1]
	s_cbranch_execz .LBB244_67
; %bb.66:                               ;   in Loop: Header=BB244_9 Depth=1
	v_and_b32_e32 v29, 7, v2
	v_ffbh_u32_e32 v32, v29
	v_min_u32_e32 v34, 32, v32
	v_subrev_u32_e32 v32, 28, v34
	v_lshlrev_b64 v[32:33], v32, v[2:3]
	v_lshrrev_b32_e32 v31, 3, v30
	v_sub_u32_e32 v33, 29, v34
	v_cmp_gt_u32_e64 s[0:1], 8, v30
	v_lshlrev_b32_e32 v2, 8, v2
	s_nop 0
	v_cndmask_b32_e64 v30, v31, v33, s[0:1]
	v_lshl_add_u32 v30, v30, 10, v15
	v_and_b32_e32 v31, 7, v32
	v_and_or_b32 v2, v2, s44, v30
	v_cndmask_b32_e64 v29, v29, v31, s[0:1]
	v_lshlrev_b32_e32 v2, 16, v2
	v_lshl_or_b32 v29, v29, 23, v2
.LBB244_67:                             ;   in Loop: Header=BB244_9 Depth=1
	s_or_b64 exec, exec, s[38:39]
.LBB244_68:                             ;   in Loop: Header=BB244_9 Depth=1
	s_or_b64 exec, exec, s[36:37]
.LBB244_69:                             ;   in Loop: Header=BB244_9 Depth=1
	s_or_b64 exec, exec, s[34:35]
	global_load_ushort v30, v[8:9], off offset:520
	s_waitcnt vmcnt(0)
	v_and_b32_e32 v2, 0xffff, v30
	v_cmp_ne_u16_sdwa s[0:1], v30, v3 src0_sel:BYTE_0 src1_sel:DWORD
	s_and_saveexec_b64 s[34:35], s[0:1]
	s_cbranch_execz .LBB244_75
; %bb.70:                               ;   in Loop: Header=BB244_9 Depth=1
	v_cmp_ne_u16_sdwa s[0:1], v2, s42 src0_sel:BYTE_0 src1_sel:DWORD
	v_mov_b32_e32 v28, 0x8000
	s_and_saveexec_b64 s[36:37], s[0:1]
	s_cbranch_execz .LBB244_74
; %bb.71:                               ;   in Loop: Header=BB244_9 Depth=1
	v_and_b32_e32 v30, 0x7f, v2
	v_cmp_ne_u32_e64 s[0:1], s43, v30
	v_mov_b32_e32 v28, 0x7c01
	s_and_saveexec_b64 s[38:39], s[0:1]
	s_cbranch_execz .LBB244_73
; %bb.72:                               ;   in Loop: Header=BB244_9 Depth=1
	v_and_b32_e32 v28, 7, v2
	v_ffbh_u32_e32 v32, v28
	v_min_u32_e32 v34, 32, v32
	v_subrev_u32_e32 v32, 28, v34
	v_lshlrev_b64 v[32:33], v32, v[2:3]
	v_lshrrev_b32_e32 v31, 3, v30
	v_sub_u32_e32 v33, 29, v34
	v_cmp_gt_u32_e64 s[0:1], 8, v30
	v_and_b32_e32 v32, 7, v32
	s_nop 0
	v_cndmask_b32_e64 v30, v31, v33, s[0:1]
	v_lshl_add_u32 v30, v30, 10, v15
	v_lshlrev_b32_e32 v31, 8, v2
	v_and_b32_e32 v30, 0xfc00, v30
	v_cndmask_b32_e64 v28, v28, v32, s[0:1]
	v_and_or_b32 v30, v31, s44, v30
	v_lshl_or_b32 v28, v28, 7, v30
.LBB244_73:                             ;   in Loop: Header=BB244_9 Depth=1
	s_or_b64 exec, exec, s[38:39]
.LBB244_74:                             ;   in Loop: Header=BB244_9 Depth=1
	s_or_b64 exec, exec, s[36:37]
.LBB244_75:                             ;   in Loop: Header=BB244_9 Depth=1
	s_or_b64 exec, exec, s[34:35]
	v_lshrrev_b16_e32 v2, 8, v2
	v_cmp_ne_u16_e64 s[0:1], 0, v2
	v_mov_b32_e32 v30, 0
	v_mov_b32_e32 v31, 0
	s_and_saveexec_b64 s[34:35], s[0:1]
	s_cbranch_execz .LBB244_81
; %bb.76:                               ;   in Loop: Header=BB244_9 Depth=1
	v_cmp_ne_u16_e64 s[0:1], s42, v2
	v_bfrev_b32_e32 v31, 1
	s_and_saveexec_b64 s[36:37], s[0:1]
	s_cbranch_execz .LBB244_80
; %bb.77:                               ;   in Loop: Header=BB244_9 Depth=1
	v_and_b32_e32 v32, 0x7f, v2
	v_cmp_ne_u32_e64 s[0:1], s43, v32
	v_mov_b32_e32 v31, 0x7c010000
	s_and_saveexec_b64 s[38:39], s[0:1]
	s_cbranch_execz .LBB244_79
; %bb.78:                               ;   in Loop: Header=BB244_9 Depth=1
	v_and_b32_e32 v31, 7, v2
	v_ffbh_u32_e32 v34, v31
	v_min_u32_e32 v36, 32, v34
	v_subrev_u32_e32 v34, 28, v36
	v_lshlrev_b64 v[34:35], v34, v[2:3]
	v_lshrrev_b32_e32 v33, 3, v32
	v_sub_u32_e32 v35, 29, v36
	v_cmp_gt_u32_e64 s[0:1], 8, v32
	v_lshlrev_b32_e32 v2, 8, v2
	s_nop 0
	v_cndmask_b32_e64 v32, v33, v35, s[0:1]
	v_lshl_add_u32 v32, v32, 10, v15
	v_and_b32_e32 v33, 7, v34
	v_and_or_b32 v2, v2, s44, v32
	v_cndmask_b32_e64 v31, v31, v33, s[0:1]
	v_lshlrev_b32_e32 v2, 16, v2
	v_lshl_or_b32 v31, v31, 23, v2
.LBB244_79:                             ;   in Loop: Header=BB244_9 Depth=1
	s_or_b64 exec, exec, s[38:39]
.LBB244_80:                             ;   in Loop: Header=BB244_9 Depth=1
	s_or_b64 exec, exec, s[36:37]
.LBB244_81:                             ;   in Loop: Header=BB244_9 Depth=1
	s_or_b64 exec, exec, s[34:35]
	global_load_ushort v32, v[8:9], off offset:768
	s_waitcnt vmcnt(0)
	v_and_b32_e32 v2, 0xffff, v32
	v_cmp_ne_u16_sdwa s[0:1], v32, v3 src0_sel:BYTE_0 src1_sel:DWORD
	s_and_saveexec_b64 s[34:35], s[0:1]
	s_cbranch_execz .LBB244_87
; %bb.82:                               ;   in Loop: Header=BB244_9 Depth=1
	v_cmp_ne_u16_sdwa s[0:1], v2, s42 src0_sel:BYTE_0 src1_sel:DWORD
	v_mov_b32_e32 v30, 0x8000
	s_and_saveexec_b64 s[36:37], s[0:1]
	s_cbranch_execz .LBB244_86
; %bb.83:                               ;   in Loop: Header=BB244_9 Depth=1
	v_and_b32_e32 v32, 0x7f, v2
	v_cmp_ne_u32_e64 s[0:1], s43, v32
	v_mov_b32_e32 v30, 0x7c01
	s_and_saveexec_b64 s[38:39], s[0:1]
	s_cbranch_execz .LBB244_85
; %bb.84:                               ;   in Loop: Header=BB244_9 Depth=1
	v_and_b32_e32 v30, 7, v2
	v_ffbh_u32_e32 v34, v30
	v_min_u32_e32 v36, 32, v34
	v_subrev_u32_e32 v34, 28, v36
	v_lshlrev_b64 v[34:35], v34, v[2:3]
	v_lshrrev_b32_e32 v33, 3, v32
	v_sub_u32_e32 v35, 29, v36
	v_cmp_gt_u32_e64 s[0:1], 8, v32
	v_and_b32_e32 v34, 7, v34
	s_nop 0
	v_cndmask_b32_e64 v32, v33, v35, s[0:1]
	v_lshl_add_u32 v32, v32, 10, v15
	v_lshlrev_b32_e32 v33, 8, v2
	v_and_b32_e32 v32, 0xfc00, v32
	v_cndmask_b32_e64 v30, v30, v34, s[0:1]
	v_and_or_b32 v32, v33, s44, v32
	v_lshl_or_b32 v30, v30, 7, v32
.LBB244_85:                             ;   in Loop: Header=BB244_9 Depth=1
	s_or_b64 exec, exec, s[38:39]
.LBB244_86:                             ;   in Loop: Header=BB244_9 Depth=1
	s_or_b64 exec, exec, s[36:37]
.LBB244_87:                             ;   in Loop: Header=BB244_9 Depth=1
	s_or_b64 exec, exec, s[34:35]
	v_lshrrev_b16_e32 v2, 8, v2
	v_cmp_ne_u16_e64 s[0:1], 0, v2
	v_mov_b32_e32 v32, 0
	v_mov_b32_e32 v33, 0
	s_and_saveexec_b64 s[34:35], s[0:1]
	s_cbranch_execz .LBB244_93
; %bb.88:                               ;   in Loop: Header=BB244_9 Depth=1
	v_cmp_ne_u16_e64 s[0:1], s42, v2
	v_bfrev_b32_e32 v33, 1
	s_and_saveexec_b64 s[36:37], s[0:1]
	s_cbranch_execz .LBB244_92
; %bb.89:                               ;   in Loop: Header=BB244_9 Depth=1
	v_and_b32_e32 v34, 0x7f, v2
	v_cmp_ne_u32_e64 s[0:1], s43, v34
	v_mov_b32_e32 v33, 0x7c010000
	s_and_saveexec_b64 s[38:39], s[0:1]
	s_cbranch_execz .LBB244_91
; %bb.90:                               ;   in Loop: Header=BB244_9 Depth=1
	v_and_b32_e32 v33, 7, v2
	v_ffbh_u32_e32 v36, v33
	v_min_u32_e32 v38, 32, v36
	v_subrev_u32_e32 v36, 28, v38
	v_lshlrev_b64 v[36:37], v36, v[2:3]
	v_lshrrev_b32_e32 v35, 3, v34
	v_sub_u32_e32 v37, 29, v38
	v_cmp_gt_u32_e64 s[0:1], 8, v34
	v_lshlrev_b32_e32 v2, 8, v2
	s_nop 0
	v_cndmask_b32_e64 v34, v35, v37, s[0:1]
	v_lshl_add_u32 v34, v34, 10, v15
	v_and_b32_e32 v35, 7, v36
	v_and_or_b32 v2, v2, s44, v34
	v_cndmask_b32_e64 v33, v33, v35, s[0:1]
	v_lshlrev_b32_e32 v2, 16, v2
	v_lshl_or_b32 v33, v33, 23, v2
.LBB244_91:                             ;   in Loop: Header=BB244_9 Depth=1
	s_or_b64 exec, exec, s[38:39]
.LBB244_92:                             ;   in Loop: Header=BB244_9 Depth=1
	s_or_b64 exec, exec, s[36:37]
.LBB244_93:                             ;   in Loop: Header=BB244_9 Depth=1
	s_or_b64 exec, exec, s[34:35]
	global_load_ushort v8, v[8:9], off offset:776
	s_waitcnt vmcnt(0)
	v_and_b32_e32 v2, 0xffff, v8
	v_cmp_ne_u16_sdwa s[0:1], v8, v3 src0_sel:BYTE_0 src1_sel:DWORD
	s_and_saveexec_b64 s[34:35], s[0:1]
	s_cbranch_execz .LBB244_99
; %bb.94:                               ;   in Loop: Header=BB244_9 Depth=1
	v_cmp_ne_u16_sdwa s[0:1], v2, s42 src0_sel:BYTE_0 src1_sel:DWORD
	v_mov_b32_e32 v32, 0x8000
	s_and_saveexec_b64 s[36:37], s[0:1]
	s_cbranch_execz .LBB244_98
; %bb.95:                               ;   in Loop: Header=BB244_9 Depth=1
	v_and_b32_e32 v8, 0x7f, v2
	v_cmp_ne_u32_e64 s[0:1], s43, v8
	v_mov_b32_e32 v32, 0x7c01
	s_and_saveexec_b64 s[38:39], s[0:1]
	s_cbranch_execz .LBB244_97
; %bb.96:                               ;   in Loop: Header=BB244_9 Depth=1
	v_and_b32_e32 v9, 7, v2
	v_ffbh_u32_e32 v34, v9
	v_min_u32_e32 v36, 32, v34
	v_subrev_u32_e32 v34, 28, v36
	v_lshlrev_b64 v[34:35], v34, v[2:3]
	v_lshrrev_b32_e32 v32, 3, v8
	v_sub_u32_e32 v35, 29, v36
	v_cmp_gt_u32_e64 s[0:1], 8, v8
	v_and_b32_e32 v34, 7, v34
	s_nop 0
	v_cndmask_b32_e64 v8, v32, v35, s[0:1]
	v_lshl_add_u32 v8, v8, 10, v15
	v_lshlrev_b32_e32 v32, 8, v2
	v_and_b32_e32 v8, 0xfc00, v8
	v_cndmask_b32_e64 v9, v9, v34, s[0:1]
	v_and_or_b32 v8, v32, s44, v8
	v_lshl_or_b32 v32, v9, 7, v8
.LBB244_97:                             ;   in Loop: Header=BB244_9 Depth=1
	s_or_b64 exec, exec, s[38:39]
.LBB244_98:                             ;   in Loop: Header=BB244_9 Depth=1
	s_or_b64 exec, exec, s[36:37]
.LBB244_99:                             ;   in Loop: Header=BB244_9 Depth=1
	s_or_b64 exec, exec, s[34:35]
	v_lshrrev_b16_e32 v2, 8, v2
	v_cmp_ne_u16_e64 s[0:1], 0, v2
	v_mov_b32_e32 v8, 0
	s_and_saveexec_b64 s[34:35], s[0:1]
	s_cbranch_execz .LBB244_105
; %bb.100:                              ;   in Loop: Header=BB244_9 Depth=1
	v_cmp_ne_u16_e64 s[0:1], s42, v2
	v_bfrev_b32_e32 v8, 1
	s_and_saveexec_b64 s[36:37], s[0:1]
	s_cbranch_execz .LBB244_104
; %bb.101:                              ;   in Loop: Header=BB244_9 Depth=1
	v_and_b32_e32 v9, 0x7f, v2
	v_cmp_ne_u32_e64 s[0:1], s43, v9
	v_mov_b32_e32 v8, 0x7c010000
	s_and_saveexec_b64 s[38:39], s[0:1]
	s_cbranch_execz .LBB244_103
; %bb.102:                              ;   in Loop: Header=BB244_9 Depth=1
	v_and_b32_e32 v8, 7, v2
	v_ffbh_u32_e32 v34, v8
	v_min_u32_e32 v37, 32, v34
	v_subrev_u32_e32 v34, 28, v37
	v_lshlrev_b64 v[34:35], v34, v[2:3]
	v_lshrrev_b32_e32 v36, 3, v9
	v_sub_u32_e32 v35, 29, v37
	v_cmp_gt_u32_e64 s[0:1], 8, v9
	v_lshlrev_b32_e32 v2, 8, v2
	v_and_b32_e32 v34, 7, v34
	v_cndmask_b32_e64 v9, v36, v35, s[0:1]
	v_lshl_add_u32 v9, v9, 10, v15
	v_and_or_b32 v2, v2, s44, v9
	v_cndmask_b32_e64 v8, v8, v34, s[0:1]
	v_lshlrev_b32_e32 v2, 16, v2
	v_lshl_or_b32 v8, v8, 23, v2
.LBB244_103:                            ;   in Loop: Header=BB244_9 Depth=1
	s_or_b64 exec, exec, s[38:39]
.LBB244_104:                            ;   in Loop: Header=BB244_9 Depth=1
	s_or_b64 exec, exec, s[36:37]
.LBB244_105:                            ;   in Loop: Header=BB244_9 Depth=1
	s_or_b64 exec, exec, s[34:35]
	v_or_b32_e32 v2, v20, v18
	v_or_b32_e32 v18, v23, v19
	v_fma_mixlo_f16 v18, v17, v18, 0 op_sel_hi:[0,1,0]
	v_and_b32_e32 v34, 0xffff, v18
	v_or_b32_e32 v18, v25, v21
	ds_read_b32 v21, v12
	v_fma_mixlo_f16 v19, v17, v23, 0 op_sel:[0,1,0] op_sel_hi:[0,1,0]
	v_or_b32_e32 v23, v27, v24
	v_fma_mixlo_f16 v2, v17, v2, 0 op_sel_hi:[0,1,0]
	v_fma_mixlo_f16 v9, v17, v20, 0 op_sel:[0,1,0] op_sel_hi:[0,1,0]
	v_fma_mixlo_f16 v23, v17, v23, 0 op_sel_hi:[0,1,0]
	v_and_b32_e32 v38, 0xffff, v23
	s_waitcnt lgkmcnt(0)
	v_lshrrev_b32_e32 v23, 16, v21
	v_and_b32_e32 v21, 0xffff, v21
	v_and_b32_e32 v9, 0xffff, v9
	;; [unrolled: 1-line block ×3, first 2 shown]
	v_fma_mixlo_f16 v20, v17, v25, 0 op_sel:[0,1,0] op_sel_hi:[0,1,0]
	;;#ASMSTART
	v_cvt_f32_f16 v21, v21;
	;;#ASMEND
	;;#ASMSTART
	v_cvt_f32_f16 v23, v23;
	;;#ASMEND
	;; [unrolled: 3-line block ×4, first 2 shown]
	ds_read_b32 v25, v12 offset:4
	v_fma_mixlo_f16 v24, v17, v27, 0 op_sel:[0,1,0] op_sel_hi:[0,1,0]
	v_or_b32_e32 v26, v29, v26
	v_fma_mixlo_f16 v27, v17, v29, 0 op_sel:[0,1,0] op_sel_hi:[0,1,0]
	v_and_b32_e32 v35, 0xffff, v19
	s_waitcnt lgkmcnt(0)
	v_lshrrev_b32_e32 v29, 16, v25
	v_and_b32_e32 v25, 0xffff, v25
	;;#ASMSTART
	v_cvt_f32_f16 v25, v25;
	;;#ASMEND
	;;#ASMSTART
	v_cvt_f32_f16 v29, v29;
	;;#ASMEND
	;; [unrolled: 3-line block ×4, first 2 shown]
	ds_read_b32 v35, v12 offset:8
	v_or_b32_e32 v28, v31, v28
	v_fma_mixlo_f16 v18, v17, v18, 0 op_sel_hi:[0,1,0]
	v_fma_mixlo_f16 v28, v17, v28, 0 op_sel_hi:[0,1,0]
	v_and_b32_e32 v40, 0xffff, v28
	v_or_b32_e32 v28, v33, v30
	s_waitcnt lgkmcnt(0)
	v_lshrrev_b32_e32 v36, 16, v35
	v_and_b32_e32 v30, 0xffff, v35
	v_and_b32_e32 v20, 0xffff, v20
	;; [unrolled: 1-line block ×3, first 2 shown]
	;;#ASMSTART
	v_cvt_f32_f16 v30, v30;
	;;#ASMEND
	;;#ASMSTART
	v_cvt_f32_f16 v35, v36;
	;;#ASMEND
	;; [unrolled: 3-line block ×4, first 2 shown]
	ds_read_b32 v36, v12 offset:12
	v_and_b32_e32 v39, 0xffff, v24
	v_or_b32_e32 v32, v8, v32
	v_fma_mixlo_f16 v26, v17, v26, 0 op_sel_hi:[0,1,0]
	v_fma_mixlo_f16 v31, v17, v31, 0 op_sel:[0,1,0] op_sel_hi:[0,1,0]
	s_waitcnt lgkmcnt(0)
	v_lshrrev_b32_e32 v37, 16, v36
	v_and_b32_e32 v36, 0xffff, v36
	;;#ASMSTART
	v_cvt_f32_f16 v36, v36;
	;;#ASMEND
	;;#ASMSTART
	v_cvt_f32_f16 v37, v37;
	;;#ASMEND
	;; [unrolled: 3-line block ×4, first 2 shown]
	ds_read_b32 v39, v12 offset:16
	v_fma_mixlo_f16 v28, v17, v28, 0 op_sel_hi:[0,1,0]
	v_fma_mixlo_f16 v33, v17, v33, 0 op_sel:[0,1,0] op_sel_hi:[0,1,0]
	v_fma_mixlo_f16 v32, v17, v32, 0 op_sel_hi:[0,1,0]
	v_fma_mixlo_f16 v8, v17, v8, 0 op_sel:[0,1,0] op_sel_hi:[0,1,0]
	v_mul_f32_e32 v17, v25, v19
	v_fmac_f32_e32 v17, v21, v2
	s_waitcnt lgkmcnt(0)
	v_lshrrev_b32_e32 v19, 16, v39
	v_and_b32_e32 v2, 0xffff, v39
	v_and_b32_e32 v25, 0xffff, v27
	;; [unrolled: 1-line block ×3, first 2 shown]
	;;#ASMSTART
	v_cvt_f32_f16 v2, v2;
	;;#ASMEND
	;;#ASMSTART
	v_cvt_f32_f16 v19, v19;
	;;#ASMEND
	;; [unrolled: 3-line block ×4, first 2 shown]
	ds_read_b32 v26, v12 offset:20
	v_mul_f32_e32 v27, v29, v34
	v_fmac_f32_e32 v27, v23, v9
	v_fmac_f32_e32 v17, v30, v18
	v_and_b32_e32 v23, 0xffff, v31
	s_waitcnt lgkmcnt(0)
	v_lshrrev_b32_e32 v18, 16, v26
	v_and_b32_e32 v9, 0xffff, v26
	v_fmac_f32_e32 v27, v35, v20
	;;#ASMSTART
	v_cvt_f32_f16 v9, v9;
	;;#ASMEND
	;;#ASMSTART
	v_cvt_f32_f16 v18, v18;
	;;#ASMEND
	;; [unrolled: 3-line block ×4, first 2 shown]
	ds_read_b32 v26, v12 offset:24
	v_fmac_f32_e32 v17, v36, v24
	v_fmac_f32_e32 v27, v37, v38
	;; [unrolled: 1-line block ×4, first 2 shown]
	s_waitcnt lgkmcnt(0)
	v_lshrrev_b32_e32 v19, 16, v26
	v_and_b32_e32 v2, 0xffff, v26
	v_and_b32_e32 v24, 0xffff, v33
	;; [unrolled: 1-line block ×3, first 2 shown]
	;;#ASMSTART
	v_cvt_f32_f16 v2, v2;
	;;#ASMEND
	;;#ASMSTART
	v_cvt_f32_f16 v19, v19;
	;;#ASMEND
	;; [unrolled: 3-line block ×4, first 2 shown]
	ds_read_b32 v25, v12 offset:28
	v_fmac_f32_e32 v17, v9, v20
	v_fmac_f32_e32 v27, v18, v23
	v_fmac_f32_e32 v17, v2, v21
	v_and_b32_e32 v32, 0xffff, v32
	s_waitcnt lgkmcnt(0)
	v_lshrrev_b32_e32 v9, 16, v25
	v_and_b32_e32 v2, 0xffff, v25
	v_fmac_f32_e32 v27, v19, v24
	;;#ASMSTART
	v_cvt_f32_f16 v2, v2;
	;;#ASMEND
	;;#ASMSTART
	v_cvt_f32_f16 v9, v9;
	;;#ASMEND
	v_and_b32_e32 v18, 0xffff, v8
	;;#ASMSTART
	v_cvt_f32_f16 v8, v32;
	;;#ASMEND
	;;#ASMSTART
	v_cvt_f32_f16 v18, v18;
	;;#ASMEND
	s_nop 0
	v_fmac_f32_e32 v17, v2, v8
	v_fmac_f32_e32 v27, v9, v18
	v_and_b32_e32 v8, 64, v10
	v_add_f32_e32 v9, v17, v27
	v_add_u32_e32 v2, 64, v8
	v_xor_b32_e32 v17, 2, v10
	v_cmp_lt_i32_e64 s[0:1], v17, v2
	s_nop 1
	v_cndmask_b32_e64 v17, v10, v17, s[0:1]
	v_lshlrev_b32_e32 v17, 2, v17
	ds_bpermute_b32 v17, v17, v9
	s_waitcnt lgkmcnt(0)
	v_add_f32_e32 v9, v9, v17
	v_xor_b32_e32 v17, 1, v10
	v_cmp_lt_i32_e64 s[0:1], v17, v2
	s_nop 1
	v_cndmask_b32_e64 v17, v10, v17, s[0:1]
	v_lshlrev_b32_e32 v17, 2, v17
	ds_bpermute_b32 v17, v17, v9
	s_and_saveexec_b64 s[34:35], vcc
	s_cbranch_execz .LBB244_8
; %bb.106:                              ;   in Loop: Header=BB244_9 Depth=1
	v_add_u32_e32 v18, s41, v13
	v_cvt_f32_i32_e32 v18, v18
	s_waitcnt lgkmcnt(0)
	v_add_f32_e32 v9, v9, v17
	v_cmp_gt_i32_e64 s[0:1], s33, v13
	v_max_f32_e32 v17, v11, v11
	v_mul_f32_e32 v18, s28, v18
	v_cndmask_b32_e64 v18, 0, v18, s[2:3]
	v_fmac_f32_e32 v18, s29, v9
	v_cndmask_b32_e64 v9, 0, v18, s[0:1]
	ds_write_b32 v14, v9
	v_max_f32_e32 v9, v17, v18
	v_cndmask_b32_e64 v11, v11, v9, s[0:1]
	s_branch .LBB244_8
.LBB244_107:
	s_or_b64 exec, exec, s[14:15]
.LBB244_108:
	s_or_b64 exec, exec, s[30:31]
	v_xor_b32_e32 v3, 32, v10
	v_cmp_lt_i32_e32 vcc, v3, v2
	v_xor_b32_e32 v6, 16, v10
	v_max_f32_e32 v5, v11, v11
	v_cndmask_b32_e32 v3, v10, v3, vcc
	v_lshlrev_b32_e32 v3, 2, v3
	ds_bpermute_b32 v4, v3, v11
	v_cmp_lt_i32_e32 vcc, v6, v2
	v_xor_b32_e32 v7, 8, v10
	v_xor_b32_e32 v9, 4, v10
	v_and_b32_e32 v23, 63, v0
	s_waitcnt lgkmcnt(0)
	v_max_f32_e32 v4, v4, v4
	v_max_f32_e32 v5, v5, v4
	v_cndmask_b32_e32 v4, v10, v6, vcc
	v_lshlrev_b32_e32 v4, 2, v4
	ds_bpermute_b32 v6, v4, v5
	v_cmp_lt_i32_e32 vcc, v7, v2
	s_waitcnt lgkmcnt(0)
	v_max_f32_e32 v6, v6, v6
	v_max_f32_e32 v5, v5, v6
	v_cndmask_b32_e32 v6, v10, v7, vcc
	v_lshlrev_b32_e32 v7, 2, v6
	ds_bpermute_b32 v6, v7, v5
	v_cmp_lt_i32_e32 vcc, v9, v2
	s_waitcnt lgkmcnt(0)
	v_max_f32_e32 v6, v6, v6
	v_max_f32_e32 v6, v5, v6
	v_cndmask_b32_e32 v5, v10, v9, vcc
	v_lshlrev_b32_e32 v9, 2, v5
	ds_bpermute_b32 v11, v9, v6
	v_cmp_eq_u32_e32 vcc, 0, v23
	v_lshlrev_b32_e32 v5, 2, v22
	s_and_saveexec_b64 s[0:1], vcc
	s_cbranch_execz .LBB244_110
; %bb.109:
	s_waitcnt lgkmcnt(0)
	v_max_f32_e32 v11, v11, v11
	v_max_f32_e32 v6, v6, v6
	;; [unrolled: 1-line block ×3, first 2 shown]
	ds_write_b32 v5, v6 offset:128
.LBB244_110:
	s_or_b64 exec, exec, s[0:1]
	v_cmp_gt_u32_e64 s[0:1], 2, v23
	s_waitcnt lgkmcnt(0)
	v_mov_b32_e32 v11, 0xff7fffff
	v_lshlrev_b32_e32 v6, 2, v23
	s_barrier
	s_and_saveexec_b64 s[2:3], s[0:1]
; %bb.111:
	ds_read_b32 v11, v6 offset:128
; %bb.112:
	s_or_b64 exec, exec, s[2:3]
	v_xor_b32_e32 v12, 1, v10
	v_cmp_lt_i32_e64 s[2:3], v12, v2
	v_lshlrev_b32_e32 v8, 2, v8
	s_nop 0
	v_cndmask_b32_e64 v12, v10, v12, s[2:3]
	v_lshlrev_b32_e32 v24, 2, v12
	s_waitcnt lgkmcnt(0)
	ds_bpermute_b32 v12, v24, v11
	v_max_f32_e32 v11, v11, v11
	s_lshl_b32 s2, s19, 4
	s_min_i32 s30, s2, s33
	v_cmp_gt_i32_e64 s[2:3], s30, v0
	s_waitcnt lgkmcnt(0)
	v_max_f32_e32 v12, v12, v12
	v_max_f32_e32 v11, v11, v12
	ds_bpermute_b32 v11, v8, v11
	v_mov_b32_e32 v8, 0
	s_and_saveexec_b64 s[14:15], s[2:3]
	s_cbranch_execz .LBB244_116
; %bb.113:
	v_mov_b32_e32 v8, 0x90
	v_lshl_add_u32 v12, v0, 2, v8
	v_mov_b32_e32 v8, 0
	s_mov_b64 s[28:29], 0
	v_mov_b32_e32 v13, v0
.LBB244_114:                            ; =>This Inner Loop Header: Depth=1
	ds_read_b32 v14, v12
	v_add_u32_e32 v13, 0x80, v13
	v_cmp_le_i32_e64 s[8:9], s30, v13
	s_or_b64 s[28:29], s[8:9], s[28:29]
	s_waitcnt lgkmcnt(0)
	v_sub_f32_e32 v14, v14, v11
	v_mul_f32_e32 v14, 0x3fb8aa3b, v14
	v_exp_f32_e32 v14, v14
	ds_write_b32 v12, v14
	v_add_f32_e32 v8, v8, v14
	v_add_u32_e32 v12, 0x200, v12
	s_andn2_b64 exec, exec, s[28:29]
	s_cbranch_execnz .LBB244_114
; %bb.115:
	s_or_b64 exec, exec, s[28:29]
.LBB244_116:
	s_or_b64 exec, exec, s[14:15]
	ds_bpermute_b32 v3, v3, v8
	s_waitcnt lgkmcnt(0)
	v_add_f32_e32 v3, v8, v3
	ds_bpermute_b32 v4, v4, v3
	s_waitcnt lgkmcnt(0)
	v_add_f32_e32 v3, v3, v4
	ds_bpermute_b32 v4, v7, v3
	v_xor_b32_e32 v7, 2, v10
	v_cmp_lt_i32_e64 s[8:9], v7, v2
	s_waitcnt lgkmcnt(0)
	v_add_f32_e32 v3, v3, v4
	ds_bpermute_b32 v4, v9, v3
	v_cndmask_b32_e64 v2, v10, v7, s[8:9]
	v_lshlrev_b32_e32 v2, 2, v2
	s_waitcnt lgkmcnt(0)
	v_add_f32_e32 v3, v3, v4
	ds_bpermute_b32 v2, v2, v3
	s_waitcnt lgkmcnt(0)
	v_add_f32_e32 v2, v3, v2
	ds_bpermute_b32 v3, v24, v2
	s_waitcnt lgkmcnt(0)
	v_add_f32_e32 v2, v2, v3
	s_and_saveexec_b64 s[8:9], vcc
; %bb.117:
	ds_write_b32 v5, v2 offset:136
; %bb.118:
	s_or_b64 exec, exec, s[8:9]
	s_waitcnt lgkmcnt(0)
	s_barrier
	s_and_saveexec_b64 s[8:9], s[0:1]
; %bb.119:
	ds_read_b32 v2, v6 offset:136
; %bb.120:
	s_or_b64 exec, exec, s[8:9]
	s_waitcnt lgkmcnt(0)
	ds_bpermute_b32 v3, v24, v2
	v_lshlrev_b32_e32 v4, 2, v10
	s_waitcnt lgkmcnt(0)
	v_add_f32_e32 v2, v2, v3
	v_and_b32_e32 v3, 0xffffff00, v4
	ds_bpermute_b32 v2, v3, v2
	s_and_saveexec_b64 s[0:1], s[2:3]
	s_cbranch_execz .LBB244_133
; %bb.121:
	s_waitcnt lgkmcnt(0)
	v_add_f32_e32 v2, 0x358637bd, v2
	v_div_scale_f32 v3, s[2:3], v2, v2, 1.0
	v_rcp_f32_e32 v4, v3
	v_div_scale_f32 v5, vcc, 1.0, v2, 1.0
	s_movk_i32 s2, 0x7f
	v_fma_f32 v6, -v3, v4, 1.0
	v_fmac_f32_e32 v4, v6, v4
	v_mul_f32_e32 v6, v5, v4
	v_fma_f32 v7, -v3, v6, v5
	v_fmac_f32_e32 v6, v7, v4
	v_fma_f32 v3, -v3, v6, v5
	v_div_fmas_f32 v3, v3, v4, v6
	v_xad_u32 v4, v0, -1, s30
	v_div_fixup_f32 v2, v3, v2, 1.0
	v_cmp_lt_u32_e32 vcc, s2, v4
	s_mov_b64 s[8:9], -1
	v_mov_b32_e32 v3, v0
	s_and_saveexec_b64 s[2:3], vcc
	s_cbranch_execz .LBB244_130
; %bb.122:
	v_lshrrev_b32_e32 v4, 7, v4
	v_add_u32_e32 v6, -1, v4
	v_lshrrev_b32_e32 v5, 1, v6
	v_mov_b32_e32 v3, v2
	v_add_u32_e32 v5, 1, v5
	v_cmp_lt_u32_e32 vcc, 13, v6
	v_mov_b32_e32 v8, 0
	s_and_saveexec_b64 s[8:9], vcc
	s_cbranch_execz .LBB244_126
; %bb.123:
	v_mov_b32_e32 v7, 0x90
	v_and_b32_e32 v6, -8, v5
	v_lshl_add_u32 v7, v0, 2, v7
	s_mov_b32 s28, 0
	s_mov_b64 s[14:15], 0
.LBB244_124:                            ; =>This Inner Loop Header: Depth=1
	ds_read2st64_b32 v[8:9], v7 offset1:2
	ds_read2st64_b32 v[10:11], v7 offset0:4 offset1:6
	ds_read2st64_b32 v[12:13], v7 offset0:8 offset1:10
	;; [unrolled: 1-line block ×3, first 2 shown]
	v_add_u32_e32 v6, -8, v6
	s_waitcnt lgkmcnt(3)
	v_pk_mul_f32 v[8:9], v[2:3], v[8:9]
	s_waitcnt lgkmcnt(2)
	v_pk_mul_f32 v[10:11], v[2:3], v[10:11]
	ds_write2st64_b32 v7, v8, v9 offset1:2
	ds_write2st64_b32 v7, v10, v11 offset0:4 offset1:6
	ds_read2st64_b32 v[10:11], v7 offset0:16 offset1:18
	s_waitcnt lgkmcnt(4)
	v_pk_mul_f32 v[8:9], v[2:3], v[12:13]
	ds_write2st64_b32 v7, v8, v9 offset0:8 offset1:10
	s_waitcnt lgkmcnt(4)
	v_pk_mul_f32 v[8:9], v[2:3], v[14:15]
	ds_write2st64_b32 v7, v8, v9 offset0:12 offset1:14
	ds_read2st64_b32 v[8:9], v7 offset0:20 offset1:22
	s_waitcnt lgkmcnt(3)
	v_pk_mul_f32 v[10:11], v[2:3], v[10:11]
	ds_read2st64_b32 v[12:13], v7 offset0:24 offset1:26
	ds_write2st64_b32 v7, v10, v11 offset0:16 offset1:18
	ds_read2st64_b32 v[10:11], v7 offset0:28 offset1:30
	s_waitcnt lgkmcnt(3)
	v_pk_mul_f32 v[8:9], v[2:3], v[8:9]
	ds_write2st64_b32 v7, v8, v9 offset0:20 offset1:22
	s_waitcnt lgkmcnt(3)
	v_pk_mul_f32 v[8:9], v[2:3], v[12:13]
	ds_write2st64_b32 v7, v8, v9 offset0:24 offset1:26
	s_waitcnt lgkmcnt(2)
	v_pk_mul_f32 v[8:9], v[2:3], v[10:11]
	s_add_i32 s28, s28, 16
	v_cmp_eq_u32_e32 vcc, 0, v6
	ds_write2st64_b32 v7, v8, v9 offset0:28 offset1:30
	v_add_u32_e32 v7, 0x2000, v7
	s_or_b64 s[14:15], vcc, s[14:15]
	v_mov_b32_e32 v8, s28
	s_andn2_b64 exec, exec, s[14:15]
	s_cbranch_execnz .LBB244_124
; %bb.125:
	s_or_b64 exec, exec, s[14:15]
.LBB244_126:
	s_or_b64 exec, exec, s[8:9]
	v_and_b32_e32 v5, 7, v5
	v_cmp_ne_u32_e32 vcc, 0, v5
	s_and_saveexec_b64 s[8:9], vcc
	s_cbranch_execz .LBB244_129
; %bb.127:
	v_lshlrev_b32_e32 v6, 9, v8
	v_lshlrev_b32_e32 v7, 2, v0
	s_movk_i32 s14, 0x90
	v_add3_u32 v6, v6, v7, s14
	s_mov_b64 s[14:15], 0
.LBB244_128:                            ; =>This Inner Loop Header: Depth=1
	ds_read2st64_b32 v[8:9], v6 offset1:2
	v_add_u32_e32 v5, -1, v5
	v_cmp_eq_u32_e32 vcc, 0, v5
	s_or_b64 s[14:15], vcc, s[14:15]
	s_waitcnt lgkmcnt(0)
	v_pk_mul_f32 v[8:9], v[2:3], v[8:9]
	ds_write2st64_b32 v6, v8, v9 offset1:2
	v_add_u32_e32 v6, 0x400, v6
	s_andn2_b64 exec, exec, s[14:15]
	s_cbranch_execnz .LBB244_128
.LBB244_129:
	s_or_b64 exec, exec, s[8:9]
	v_add_u32_e32 v4, 1, v4
	v_and_b32_e32 v5, 0x3fffffe, v4
	v_cmp_ne_u32_e32 vcc, v4, v5
	v_lshl_add_u32 v3, v5, 7, v0
	s_orn2_b64 s[8:9], vcc, exec
.LBB244_130:
	s_or_b64 exec, exec, s[2:3]
	s_and_b64 exec, exec, s[8:9]
	s_cbranch_execz .LBB244_133
; %bb.131:
	v_mov_b32_e32 v4, 0x90
	v_lshl_add_u32 v4, v3, 2, v4
	s_mov_b64 s[2:3], 0
.LBB244_132:                            ; =>This Inner Loop Header: Depth=1
	ds_read_b32 v5, v4
	v_add_u32_e32 v3, 0x80, v3
	v_cmp_le_i32_e32 vcc, s30, v3
	s_or_b64 s[2:3], vcc, s[2:3]
	s_waitcnt lgkmcnt(0)
	v_mul_f32_e32 v5, v2, v5
	ds_write_b32 v4, v5
	v_add_u32_e32 v4, 0x200, v4
	s_andn2_b64 exec, exec, s[2:3]
	s_cbranch_execnz .LBB244_132
.LBB244_133:
	s_or_b64 exec, exec, s[0:1]
	v_mov_b32_e32 v5, 0
	v_and_b32_e32 v25, 1, v0
	v_mov_b32_e32 v4, 0
	s_waitcnt lgkmcnt(0)
	s_barrier
	s_and_saveexec_b64 s[2:3], s[6:7]
	s_cbranch_execz .LBB244_237
; %bb.134:
	s_ashr_i32 s1, s12, 31
	v_lshlrev_b32_e32 v2, 3, v0
	s_add_u32 s0, s26, s12
	v_and_b32_e32 v4, 8, v2
	s_addc_u32 s1, s27, s1
	v_and_b32_e32 v2, 0x1f8, v2
	v_mov_b32_e32 v3, 0
	s_add_i32 s26, s19, -1
	v_lshl_add_u64 v[6:7], s[0:1], 0, v[2:3]
	v_lshlrev_b32_e32 v2, 5, v25
	s_lshl_b64 s[0:1], s[24:25], 2
	v_lshl_or_b32 v2, v22, 6, v2
	s_add_u32 s0, s22, s0
	s_mov_b32 s6, -1
	v_add_u32_e32 v27, 0x90, v2
	v_and_b32_e32 v2, 60, v1
	s_addc_u32 s1, s23, s1
	s_mov_b32 s28, s13
	s_mov_b32 s7, 0xffffff
	;; [unrolled: 1-line block ×3, first 2 shown]
	v_lshl_or_b32 v26, v22, 4, v4
	v_lshl_add_u64 v[8:9], s[0:1], 0, v[2:3]
	s_mov_b64 s[8:9], 0
	s_movk_i32 s24, 0x80
	s_movk_i32 s25, 0x7f
	s_mov_b32 s29, 0x8000
	v_mov_b32_e32 v28, 0x2000
	v_mov_b32_e32 v5, 0
	v_mov_b32_e32 v4, 0
	s_branch .LBB244_136
.LBB244_135:                            ;   in Loop: Header=BB244_136 Depth=1
	s_or_b64 exec, exec, s[0:1]
	v_add_f32_e32 v2, v38, v39
	;;#ASMSTART
	v_pk_mul_f16 v1, v37, v1;

	;;#ASMEND
	v_add_f32_e32 v4, v4, v2
	;;#ASMSTART
	v_pk_mul_f16 v2, v36, v12;

	;;#ASMEND
	;;#ASMSTART
	v_pk_mul_f16 v10, v21, v19;

	;;#ASMEND
	;; [unrolled: 4-line block ×3, first 2 shown]
	v_add_u32_e32 v22, 2, v22
	;;#ASMSTART
	v_pk_add_f16 v1, v1, v2;

	;;#ASMEND
	v_cmp_le_i32_e32 vcc, s19, v22
	;;#ASMSTART
	v_pk_add_f16 v1, v1, v10;

	;;#ASMEND
	v_add_u32_e32 v26, 32, v26
	;;#ASMSTART
	v_pk_add_f16 v1, v1, v11;

	;;#ASMEND
	v_add_u32_e32 v27, 0x80, v27
	v_lshrrev_b32_e32 v2, 16, v1
	v_and_b32_e32 v1, 0xffff, v1
	;;#ASMSTART
	v_cvt_f32_f16 v1, v1;
	;;#ASMEND
	;;#ASMSTART
	v_cvt_f32_f16 v2, v2;
	;;#ASMEND
	s_or_b64 s[8:9], vcc, s[8:9]
	v_add_f32_e32 v1, v1, v2
	v_add_f32_e32 v5, v5, v1
	v_lshl_add_u64 v[8:9], v[8:9], 0, 8
	s_andn2_b64 exec, exec, s[8:9]
	s_cbranch_execz .LBB244_236
.LBB244_136:                            ; =>This Inner Loop Header: Depth=1
	global_load_dword v1, v[8:9], off
	ds_read2_b64 v[10:13], v27 offset1:1
	ds_read2_b64 v[14:17], v27 offset0:2 offset1:3
	s_waitcnt lgkmcnt(1)
	;;#ASMSTART
	v_cvt_f16_f32 v36, v10;

	;;#ASMEND
	;;#ASMSTART
	v_cvt_f16_f32 v37, v11;

	;;#ASMEND
	;; [unrolled: 4-line block ×4, first 2 shown]
	s_waitcnt lgkmcnt(0)
	;;#ASMSTART
	v_cvt_f16_f32 v40, v14;

	;;#ASMEND
	;;#ASMSTART
	v_cvt_f16_f32 v41, v15;

	;;#ASMEND
	;; [unrolled: 4-line block ×4, first 2 shown]
	s_waitcnt vmcnt(0)
	v_mad_i64_i32 v[10:11], s[0:1], v1, s28, v[6:7]
	global_load_dwordx2 v[14:15], v[10:11], off
	global_load_dword v12, v3, s[10:11]
	v_mov_b32_e32 v1, 0
	s_waitcnt vmcnt(1)
	v_cmp_ne_u16_sdwa s[12:13], v14, v3 src0_sel:BYTE_0 src1_sel:DWORD
	s_and_saveexec_b64 s[0:1], s[12:13]
	s_cbranch_execz .LBB244_142
; %bb.137:                              ;   in Loop: Header=BB244_136 Depth=1
	v_cmp_ne_u16_sdwa s[14:15], v14, s24 src0_sel:BYTE_0 src1_sel:DWORD
	v_mov_b32_e32 v1, 0x8000
	s_and_saveexec_b64 s[12:13], s[14:15]
	s_cbranch_execz .LBB244_141
; %bb.138:                              ;   in Loop: Header=BB244_136 Depth=1
	v_and_b32_e32 v2, 0x7f, v14
	v_cmp_ne_u32_e32 vcc, s25, v2
	v_mov_b32_e32 v1, 0x7c01
	s_and_saveexec_b64 s[14:15], vcc
	s_cbranch_execz .LBB244_140
; %bb.139:                              ;   in Loop: Header=BB244_136 Depth=1
	v_and_b32_e32 v1, 7, v14
	v_ffbh_u32_e32 v16, v1
	v_min_u32_e32 v18, 32, v16
	v_subrev_u32_e32 v16, 28, v18
	v_lshlrev_b64 v[16:17], v16, v[14:15]
	v_lshrrev_b32_e32 v13, 3, v2
	v_sub_u32_e32 v17, 29, v18
	v_cmp_gt_u32_e32 vcc, 8, v2
	v_and_b32_e32 v16, 7, v16
	s_nop 0
	v_cndmask_b32_e32 v2, v13, v17, vcc
	v_lshl_add_u32 v2, v2, 10, v28
	v_lshlrev_b32_e32 v13, 8, v14
	v_and_b32_e32 v2, 0xfc00, v2
	v_cndmask_b32_e32 v1, v1, v16, vcc
	v_and_or_b32 v2, v13, s29, v2
	v_lshl_or_b32 v1, v1, 7, v2
.LBB244_140:                            ;   in Loop: Header=BB244_136 Depth=1
	s_or_b64 exec, exec, s[14:15]
.LBB244_141:                            ;   in Loop: Header=BB244_136 Depth=1
	s_or_b64 exec, exec, s[12:13]
.LBB244_142:                            ;   in Loop: Header=BB244_136 Depth=1
	s_or_b64 exec, exec, s[0:1]
	v_lshrrev_b16_e32 v2, 8, v14
	v_cmp_ne_u16_e32 vcc, 0, v2
	v_mov_b32_e32 v13, 0
	v_mov_b32_e32 v16, 0
	s_and_saveexec_b64 s[0:1], vcc
	s_cbranch_execz .LBB244_148
; %bb.143:                              ;   in Loop: Header=BB244_136 Depth=1
	v_cmp_ne_u16_e32 vcc, s24, v2
	v_bfrev_b32_e32 v16, 1
	s_and_saveexec_b64 s[12:13], vcc
	s_cbranch_execz .LBB244_147
; %bb.144:                              ;   in Loop: Header=BB244_136 Depth=1
	v_and_b32_e32 v17, 0x7f, v2
	v_cmp_ne_u32_e32 vcc, s25, v17
	v_mov_b32_e32 v16, 0x7c010000
	s_and_saveexec_b64 s[14:15], vcc
	s_cbranch_execz .LBB244_146
; %bb.145:                              ;   in Loop: Header=BB244_136 Depth=1
	v_and_b32_e32 v16, 7, v2
	v_ffbh_u32_e32 v18, v16
	v_min_u32_e32 v21, 32, v18
	v_subrev_u32_e32 v18, 28, v21
	v_lshlrev_b64 v[18:19], v18, v[2:3]
	v_lshrrev_b32_e32 v20, 3, v17
	v_sub_u32_e32 v19, 29, v21
	v_cmp_gt_u32_e32 vcc, 8, v17
	v_lshlrev_b32_e32 v2, 8, v2
	v_and_b32_e32 v18, 7, v18
	v_cndmask_b32_e32 v17, v20, v19, vcc
	v_lshl_add_u32 v17, v17, 10, v28
	v_and_or_b32 v2, v2, s29, v17
	v_cndmask_b32_e32 v16, v16, v18, vcc
	v_lshlrev_b32_e32 v2, 16, v2
	v_lshl_or_b32 v16, v16, 23, v2
.LBB244_146:                            ;   in Loop: Header=BB244_136 Depth=1
	s_or_b64 exec, exec, s[14:15]
.LBB244_147:                            ;   in Loop: Header=BB244_136 Depth=1
	s_or_b64 exec, exec, s[12:13]
.LBB244_148:                            ;   in Loop: Header=BB244_136 Depth=1
	s_or_b64 exec, exec, s[0:1]
	v_lshrrev_b32_e32 v2, 16, v14
	v_cmp_ne_u16_sdwa s[12:13], v2, v3 src0_sel:BYTE_0 src1_sel:DWORD
	s_and_saveexec_b64 s[0:1], s[12:13]
	s_cbranch_execz .LBB244_154
; %bb.149:                              ;   in Loop: Header=BB244_136 Depth=1
	v_cmp_ne_u16_sdwa s[14:15], v2, s24 src0_sel:BYTE_0 src1_sel:DWORD
	v_mov_b32_e32 v13, 0x8000
	s_and_saveexec_b64 s[12:13], s[14:15]
	s_cbranch_execz .LBB244_153
; %bb.150:                              ;   in Loop: Header=BB244_136 Depth=1
	v_bfe_u32 v17, v14, 16, 7
	v_cmp_ne_u32_e32 vcc, s25, v17
	v_mov_b32_e32 v13, 0x7c01
	s_and_saveexec_b64 s[14:15], vcc
	s_cbranch_execz .LBB244_152
; %bb.151:                              ;   in Loop: Header=BB244_136 Depth=1
	v_and_b32_e32 v13, 7, v2
	v_ffbh_u32_e32 v18, v13
	v_min_u32_e32 v21, 32, v18
	v_subrev_u32_e32 v18, 28, v21
	v_lshlrev_b64 v[18:19], v18, v[2:3]
	v_lshrrev_b32_e32 v20, 3, v17
	v_sub_u32_e32 v19, 29, v21
	v_cmp_gt_u32_e32 vcc, 8, v17
	v_lshlrev_b32_e32 v2, 8, v2
	v_and_b32_e32 v18, 7, v18
	v_cndmask_b32_e32 v17, v20, v19, vcc
	v_lshl_add_u32 v17, v17, 10, v28
	v_and_b32_e32 v17, 0xfc00, v17
	v_cndmask_b32_e32 v13, v13, v18, vcc
	v_and_or_b32 v2, v2, s29, v17
	v_lshl_or_b32 v13, v13, 7, v2
.LBB244_152:                            ;   in Loop: Header=BB244_136 Depth=1
	s_or_b64 exec, exec, s[14:15]
.LBB244_153:                            ;   in Loop: Header=BB244_136 Depth=1
	s_or_b64 exec, exec, s[12:13]
.LBB244_154:                            ;   in Loop: Header=BB244_136 Depth=1
	s_or_b64 exec, exec, s[0:1]
	v_cmp_lt_u32_e32 vcc, s7, v14
	v_mov_b32_e32 v17, 0
	v_mov_b32_e32 v18, 0
	s_and_saveexec_b64 s[0:1], vcc
	s_cbranch_execz .LBB244_160
; %bb.155:                              ;   in Loop: Header=BB244_136 Depth=1
	v_lshrrev_b32_e32 v2, 24, v14
	v_cmp_ne_u32_e32 vcc, s24, v2
	v_bfrev_b32_e32 v18, 1
	s_and_saveexec_b64 s[12:13], vcc
	s_cbranch_execz .LBB244_159
; %bb.156:                              ;   in Loop: Header=BB244_136 Depth=1
	v_and_b32_e32 v19, 0x7f, v2
	v_cmp_ne_u32_e32 vcc, s25, v19
	v_mov_b32_e32 v18, 0x7c010000
	s_and_saveexec_b64 s[14:15], vcc
	s_cbranch_execz .LBB244_158
; %bb.157:                              ;   in Loop: Header=BB244_136 Depth=1
	v_and_b32_e32 v18, 7, v2
	v_ffbh_u32_e32 v20, v18
	v_min_u32_e32 v30, 32, v20
	v_subrev_u32_e32 v20, 28, v30
	v_lshlrev_b64 v[20:21], v20, v[2:3]
	v_lshrrev_b32_e32 v29, 3, v19
	v_sub_u32_e32 v21, 29, v30
	v_cmp_gt_u32_e32 vcc, 8, v19
	v_lshlrev_b32_e32 v2, 8, v2
	v_and_b32_e32 v20, 7, v20
	v_cndmask_b32_e32 v19, v29, v21, vcc
	v_lshl_add_u32 v19, v19, 10, v28
	v_and_or_b32 v2, v2, s29, v19
	v_cndmask_b32_e32 v18, v18, v20, vcc
	v_lshlrev_b32_e32 v2, 16, v2
	v_lshl_or_b32 v18, v18, 23, v2
.LBB244_158:                            ;   in Loop: Header=BB244_136 Depth=1
	s_or_b64 exec, exec, s[14:15]
.LBB244_159:                            ;   in Loop: Header=BB244_136 Depth=1
	s_or_b64 exec, exec, s[12:13]
.LBB244_160:                            ;   in Loop: Header=BB244_136 Depth=1
	s_or_b64 exec, exec, s[0:1]
	v_mov_b32_e32 v2, v15
	v_cmp_ne_u16_sdwa s[12:13], v15, v3 src0_sel:BYTE_0 src1_sel:DWORD
	s_and_saveexec_b64 s[0:1], s[12:13]
	s_cbranch_execz .LBB244_166
; %bb.161:                              ;   in Loop: Header=BB244_136 Depth=1
	v_cmp_ne_u16_sdwa s[14:15], v15, s24 src0_sel:BYTE_0 src1_sel:DWORD
	v_mov_b32_e32 v17, 0x8000
	s_and_saveexec_b64 s[12:13], s[14:15]
	s_cbranch_execz .LBB244_165
; %bb.162:                              ;   in Loop: Header=BB244_136 Depth=1
	v_and_b32_e32 v19, 0x7f, v15
	v_cmp_ne_u32_e32 vcc, s25, v19
	v_mov_b32_e32 v17, 0x7c01
	s_and_saveexec_b64 s[14:15], vcc
	s_cbranch_execz .LBB244_164
; %bb.163:                              ;   in Loop: Header=BB244_136 Depth=1
	v_and_b32_e32 v17, 7, v15
	v_ffbh_u32_e32 v20, v17
	v_min_u32_e32 v30, 32, v20
	v_subrev_u32_e32 v20, 28, v30
	v_lshlrev_b64 v[20:21], v20, v[2:3]
	v_lshrrev_b32_e32 v29, 3, v19
	v_sub_u32_e32 v21, 29, v30
	v_cmp_gt_u32_e32 vcc, 8, v19
	v_and_b32_e32 v20, 7, v20
	s_nop 0
	v_cndmask_b32_e32 v19, v29, v21, vcc
	v_lshl_add_u32 v19, v19, 10, v28
	v_lshlrev_b32_e32 v21, 8, v15
	v_and_b32_e32 v19, 0xfc00, v19
	v_cndmask_b32_e32 v17, v17, v20, vcc
	v_and_or_b32 v19, v21, s29, v19
	v_lshl_or_b32 v17, v17, 7, v19
.LBB244_164:                            ;   in Loop: Header=BB244_136 Depth=1
	s_or_b64 exec, exec, s[14:15]
.LBB244_165:                            ;   in Loop: Header=BB244_136 Depth=1
	s_or_b64 exec, exec, s[12:13]
.LBB244_166:                            ;   in Loop: Header=BB244_136 Depth=1
	s_or_b64 exec, exec, s[0:1]
	v_lshrrev_b16_e32 v2, 8, v2
	v_cmp_ne_u16_e32 vcc, 0, v2
	v_mov_b32_e32 v20, 0
	v_mov_b32_e32 v19, 0
	s_and_saveexec_b64 s[0:1], vcc
	s_cbranch_execz .LBB244_172
; %bb.167:                              ;   in Loop: Header=BB244_136 Depth=1
	v_cmp_ne_u16_e32 vcc, s24, v2
	v_bfrev_b32_e32 v19, 1
	s_and_saveexec_b64 s[12:13], vcc
	s_cbranch_execz .LBB244_171
; %bb.168:                              ;   in Loop: Header=BB244_136 Depth=1
	v_and_b32_e32 v21, 0x7f, v2
	v_cmp_ne_u32_e32 vcc, s25, v21
	v_mov_b32_e32 v19, 0x7c010000
	s_and_saveexec_b64 s[14:15], vcc
	s_cbranch_execz .LBB244_170
; %bb.169:                              ;   in Loop: Header=BB244_136 Depth=1
	v_and_b32_e32 v19, 7, v2
	v_ffbh_u32_e32 v30, v19
	v_min_u32_e32 v32, 32, v30
	v_subrev_u32_e32 v30, 28, v32
	v_lshlrev_b64 v[30:31], v30, v[2:3]
	v_lshrrev_b32_e32 v29, 3, v21
	v_sub_u32_e32 v31, 29, v32
	v_cmp_gt_u32_e32 vcc, 8, v21
	v_lshlrev_b32_e32 v2, 8, v2
	s_nop 0
	v_cndmask_b32_e32 v21, v29, v31, vcc
	v_lshl_add_u32 v21, v21, 10, v28
	v_and_b32_e32 v29, 7, v30
	v_and_or_b32 v2, v2, s29, v21
	v_cndmask_b32_e32 v19, v19, v29, vcc
	v_lshlrev_b32_e32 v2, 16, v2
	v_lshl_or_b32 v19, v19, 23, v2
.LBB244_170:                            ;   in Loop: Header=BB244_136 Depth=1
	s_or_b64 exec, exec, s[14:15]
.LBB244_171:                            ;   in Loop: Header=BB244_136 Depth=1
	s_or_b64 exec, exec, s[12:13]
.LBB244_172:                            ;   in Loop: Header=BB244_136 Depth=1
	s_or_b64 exec, exec, s[0:1]
	v_lshrrev_b32_e32 v2, 16, v15
	v_cmp_ne_u16_sdwa s[12:13], v2, v3 src0_sel:BYTE_0 src1_sel:DWORD
	s_and_saveexec_b64 s[0:1], s[12:13]
	s_cbranch_execz .LBB244_178
; %bb.173:                              ;   in Loop: Header=BB244_136 Depth=1
	v_cmp_ne_u16_sdwa s[14:15], v2, s24 src0_sel:BYTE_0 src1_sel:DWORD
	v_mov_b32_e32 v20, 0x8000
	s_and_saveexec_b64 s[12:13], s[14:15]
	s_cbranch_execz .LBB244_177
; %bb.174:                              ;   in Loop: Header=BB244_136 Depth=1
	v_bfe_u32 v21, v15, 16, 7
	v_cmp_ne_u32_e32 vcc, s25, v21
	v_mov_b32_e32 v20, 0x7c01
	s_and_saveexec_b64 s[14:15], vcc
	s_cbranch_execz .LBB244_176
; %bb.175:                              ;   in Loop: Header=BB244_136 Depth=1
	v_and_b32_e32 v20, 7, v2
	v_ffbh_u32_e32 v30, v20
	v_min_u32_e32 v32, 32, v30
	v_subrev_u32_e32 v30, 28, v32
	v_lshlrev_b64 v[30:31], v30, v[2:3]
	v_lshrrev_b32_e32 v29, 3, v21
	v_sub_u32_e32 v31, 29, v32
	v_cmp_gt_u32_e32 vcc, 8, v21
	v_lshlrev_b32_e32 v2, 8, v2
	s_nop 0
	v_cndmask_b32_e32 v21, v29, v31, vcc
	v_lshl_add_u32 v21, v21, 10, v28
	v_and_b32_e32 v29, 7, v30
	v_and_b32_e32 v21, 0xfc00, v21
	v_cndmask_b32_e32 v20, v20, v29, vcc
	v_and_or_b32 v2, v2, s29, v21
	v_lshl_or_b32 v20, v20, 7, v2
.LBB244_176:                            ;   in Loop: Header=BB244_136 Depth=1
	s_or_b64 exec, exec, s[14:15]
.LBB244_177:                            ;   in Loop: Header=BB244_136 Depth=1
	s_or_b64 exec, exec, s[12:13]
.LBB244_178:                            ;   in Loop: Header=BB244_136 Depth=1
	s_or_b64 exec, exec, s[0:1]
	v_cmp_lt_u64_e32 vcc, s[6:7], v[14:15]
	v_mov_b32_e32 v21, 0
	s_and_saveexec_b64 s[0:1], vcc
	s_cbranch_execz .LBB244_184
; %bb.179:                              ;   in Loop: Header=BB244_136 Depth=1
	v_lshrrev_b32_e32 v2, 24, v15
	v_cmp_ne_u32_e32 vcc, s24, v2
	v_bfrev_b32_e32 v21, 1
	s_and_saveexec_b64 s[12:13], vcc
	s_cbranch_execz .LBB244_183
; %bb.180:                              ;   in Loop: Header=BB244_136 Depth=1
	v_and_b32_e32 v14, 0x7f, v2
	v_cmp_ne_u32_e32 vcc, s25, v14
	v_mov_b32_e32 v21, 0x7c010000
	s_and_saveexec_b64 s[14:15], vcc
	s_cbranch_execz .LBB244_182
; %bb.181:                              ;   in Loop: Header=BB244_136 Depth=1
	v_and_b32_e32 v15, 7, v2
	v_ffbh_u32_e32 v29, v15
	v_min_u32_e32 v29, 32, v29
	v_lshrrev_b32_e32 v21, 3, v14
	v_subrev_u32_e32 v30, 28, v29
	v_sub_u32_e32 v29, 29, v29
	v_cmp_gt_u32_e32 vcc, 8, v14
	v_lshlrev_b64 v[30:31], v30, v[2:3]
	v_lshlrev_b32_e32 v2, 8, v2
	v_cndmask_b32_e32 v14, v21, v29, vcc
	v_lshl_add_u32 v14, v14, 10, v28
	v_and_b32_e32 v21, 7, v30
	v_and_or_b32 v2, v2, s29, v14
	v_cndmask_b32_e32 v15, v15, v21, vcc
	v_lshlrev_b32_e32 v2, 16, v2
	v_lshl_or_b32 v21, v15, 23, v2
.LBB244_182:                            ;   in Loop: Header=BB244_136 Depth=1
	s_or_b64 exec, exec, s[14:15]
.LBB244_183:                            ;   in Loop: Header=BB244_136 Depth=1
	s_or_b64 exec, exec, s[12:13]
.LBB244_184:                            ;   in Loop: Header=BB244_136 Depth=1
	s_or_b64 exec, exec, s[0:1]
	v_cvt_f32_f16_sdwa v15, v16 dst_sel:DWORD dst_unused:UNUSED_PAD src0_sel:WORD_1
	v_cvt_f32_f16_sdwa v14, v18 dst_sel:DWORD dst_unused:UNUSED_PAD src0_sel:WORD_1
	v_or_b32_e32 v1, v16, v1
	v_or_b32_e32 v2, v18, v13
	v_cvt_f32_f16_e32 v30, v2
	v_cvt_f32_f16_e32 v31, v1
	s_waitcnt vmcnt(0)
	v_pk_mul_f32 v[14:15], v[12:13], v[14:15] op_sel_hi:[0,1]
	v_cvt_pk_f16_f32 v1, v14, v15
	v_and_b32_e32 v13, 0xffff0000, v1
	v_pk_mul_f32 v[30:31], v[12:13], v[30:31] op_sel_hi:[0,1]
	v_or_b32_e32 v2, v19, v17
	v_or_b32_e32 v17, v21, v20
	v_lshlrev_b32_e32 v14, 16, v1
	v_cvt_pk_f16_f32 v1, v30, v31
	v_cvt_f32_f16_e32 v30, v17
	v_cvt_f32_f16_e32 v31, v2
	v_cvt_f32_f16_sdwa v19, v19 dst_sel:DWORD dst_unused:UNUSED_PAD src0_sel:WORD_1
	v_cvt_f32_f16_sdwa v18, v21 dst_sel:DWORD dst_unused:UNUSED_PAD src0_sel:WORD_1
	v_lshrrev_b32_e32 v15, 16, v1
	v_pk_mul_f32 v[20:21], v[12:13], v[30:31] op_sel_hi:[0,1]
	v_cvt_pk_f16_f32 v20, v20, v21
	v_pk_mul_f32 v[18:19], v[12:13], v[18:19] op_sel_hi:[0,1]
	v_cvt_pk_f16_f32 v12, v18, v19
	v_and_b32_e32 v16, 0xffff, v1
	v_and_b32_e32 v17, 0xffff0000, v12
	v_lshlrev_b32_e32 v12, 16, v12
	v_lshrrev_b32_e32 v21, 16, v20
	v_and_b32_e32 v20, 0xffff, v20
	v_cmp_eq_u32_e32 vcc, s26, v22
	v_or_b32_e32 v1, v13, v15
	v_or_b32_e32 v2, v14, v16
	;; [unrolled: 1-line block ×4, first 2 shown]
	v_add_u32_e32 v35, 2, v26
	v_or_b32_e32 v34, 1, v26
	v_or_b32_e32 v33, 3, v26
	;; [unrolled: 1-line block ×6, first 2 shown]
	s_and_saveexec_b64 s[12:13], vcc
	s_cbranch_execz .LBB244_186
; %bb.185:                              ;   in Loop: Header=BB244_136 Depth=1
	v_cmp_gt_i32_e64 s[0:1], s27, v26
	s_nop 1
	v_cndmask_b32_e64 v1, 0, v15, s[0:1]
	v_cmp_gt_i32_e64 s[0:1], s33, v35
	s_nop 1
	v_cndmask_b32_e64 v2, 0, v16, s[0:1]
	;; [unrolled: 3-line block ×3, first 2 shown]
	v_cmp_gt_i32_e64 s[0:1], s33, v33
	v_or_b32_e32 v1, v13, v1
	s_nop 0
	v_cndmask_b32_e64 v14, 0, v14, s[0:1]
	v_cmp_gt_i32_e64 s[0:1], s27, v32
	v_or_b32_e32 v2, v14, v2
	s_nop 0
	v_cndmask_b32_e64 v13, 0, v21, s[0:1]
	v_cmp_gt_i32_e64 s[0:1], s33, v31
	s_nop 1
	v_cndmask_b32_e64 v14, 0, v20, s[0:1]
	v_cmp_gt_i32_e64 s[0:1], s27, v30
	;; [unrolled: 3-line block ×3, first 2 shown]
	v_or_b32_e32 v19, v15, v13
	s_nop 0
	v_cndmask_b32_e64 v12, 0, v12, s[0:1]
	v_or_b32_e32 v18, v12, v14
.LBB244_186:                            ;   in Loop: Header=BB244_136 Depth=1
	s_or_b64 exec, exec, s[12:13]
	v_and_b32_e32 v12, 0xffff, v36
	v_lshl_or_b32 v37, v37, 16, v12
	v_and_b32_e32 v12, 0xffff, v38
	v_lshl_or_b32 v36, v39, 16, v12
	;; [unrolled: 2-line block ×3, first 2 shown]
	v_and_b32_e32 v12, 0xffff, v42
	;;#ASMSTART
	v_pk_mul_f16 v1, v37, v1;

	;;#ASMEND
	v_lshl_or_b32 v20, v43, 16, v12
	;;#ASMSTART
	v_pk_mul_f16 v2, v36, v2;

	;;#ASMEND
	;;#ASMSTART
	v_pk_mul_f16 v12, v21, v19;

	;;#ASMEND
	;;#ASMSTART
	v_pk_mul_f16 v13, v20, v18;

	;;#ASMEND
	s_nop 0
	;;#ASMSTART
	v_pk_add_f16 v1, v1, v2;

	;;#ASMEND
	s_nop 0
	;;#ASMSTART
	v_pk_add_f16 v1, v1, v12;

	;;#ASMEND
	;; [unrolled: 5-line block ×3, first 2 shown]
	s_nop 0
	v_lshrrev_b32_e32 v2, 16, v1
	v_and_b32_e32 v1, 0xffff, v1
	;;#ASMSTART
	v_cvt_f32_f16 v38, v1;
	;;#ASMEND
	;;#ASMSTART
	v_cvt_f32_f16 v39, v2;
	;;#ASMEND
	global_load_dwordx2 v[12:13], v[10:11], off offset:512
	v_mov_b32_e32 v1, 0
	global_load_dword v10, v1, s[10:11]
	v_mov_b32_e32 v11, 0
	s_waitcnt vmcnt(1)
	v_cmp_ne_u16_sdwa s[0:1], v12, v3 src0_sel:BYTE_0 src1_sel:DWORD
	s_and_saveexec_b64 s[12:13], s[0:1]
	s_cbranch_execz .LBB244_192
; %bb.187:                              ;   in Loop: Header=BB244_136 Depth=1
	v_cmp_ne_u16_sdwa s[0:1], v12, s24 src0_sel:BYTE_0 src1_sel:DWORD
	v_mov_b32_e32 v11, 0x8000
	s_and_saveexec_b64 s[14:15], s[0:1]
	s_cbranch_execz .LBB244_191
; %bb.188:                              ;   in Loop: Header=BB244_136 Depth=1
	v_and_b32_e32 v2, 0x7f, v12
	v_cmp_ne_u32_e64 s[0:1], s25, v2
	v_mov_b32_e32 v11, 0x7c01
	s_and_saveexec_b64 s[22:23], s[0:1]
	s_cbranch_execz .LBB244_190
; %bb.189:                              ;   in Loop: Header=BB244_136 Depth=1
	v_and_b32_e32 v11, 7, v12
	v_ffbh_u32_e32 v14, v11
	v_min_u32_e32 v17, 32, v14
	v_subrev_u32_e32 v14, 28, v17
	v_lshlrev_b64 v[14:15], v14, v[12:13]
	v_lshrrev_b32_e32 v16, 3, v2
	v_sub_u32_e32 v15, 29, v17
	v_cmp_gt_u32_e64 s[0:1], 8, v2
	v_and_b32_e32 v14, 7, v14
	s_nop 0
	v_cndmask_b32_e64 v2, v16, v15, s[0:1]
	v_lshl_add_u32 v2, v2, 10, v28
	v_lshlrev_b32_e32 v15, 8, v12
	v_and_b32_e32 v2, 0xfc00, v2
	v_cndmask_b32_e64 v11, v11, v14, s[0:1]
	v_and_or_b32 v2, v15, s29, v2
	v_lshl_or_b32 v11, v11, 7, v2
.LBB244_190:                            ;   in Loop: Header=BB244_136 Depth=1
	s_or_b64 exec, exec, s[22:23]
.LBB244_191:                            ;   in Loop: Header=BB244_136 Depth=1
	s_or_b64 exec, exec, s[14:15]
.LBB244_192:                            ;   in Loop: Header=BB244_136 Depth=1
	s_or_b64 exec, exec, s[12:13]
	v_lshrrev_b16_e32 v2, 8, v12
	v_cmp_ne_u16_e64 s[0:1], 0, v2
	s_and_saveexec_b64 s[12:13], s[0:1]
	s_cbranch_execz .LBB244_198
; %bb.193:                              ;   in Loop: Header=BB244_136 Depth=1
	v_cmp_ne_u16_e64 s[0:1], s24, v2
	v_bfrev_b32_e32 v1, 1
	s_and_saveexec_b64 s[14:15], s[0:1]
	s_cbranch_execz .LBB244_197
; %bb.194:                              ;   in Loop: Header=BB244_136 Depth=1
	v_and_b32_e32 v14, 0x7f, v2
	v_cmp_ne_u32_e64 s[0:1], s25, v14
	v_mov_b32_e32 v1, 0x7c010000
	s_and_saveexec_b64 s[22:23], s[0:1]
	s_cbranch_execz .LBB244_196
; %bb.195:                              ;   in Loop: Header=BB244_136 Depth=1
	v_and_b32_e32 v1, 7, v2
	v_ffbh_u32_e32 v16, v1
	v_min_u32_e32 v18, 32, v16
	v_subrev_u32_e32 v16, 28, v18
	v_lshlrev_b64 v[16:17], v16, v[2:3]
	v_lshrrev_b32_e32 v15, 3, v14
	v_sub_u32_e32 v17, 29, v18
	v_cmp_gt_u32_e64 s[0:1], 8, v14
	v_lshlrev_b32_e32 v2, 8, v2
	s_nop 0
	v_cndmask_b32_e64 v14, v15, v17, s[0:1]
	v_lshl_add_u32 v14, v14, 10, v28
	v_and_b32_e32 v15, 7, v16
	v_and_or_b32 v2, v2, s29, v14
	v_cndmask_b32_e64 v1, v1, v15, s[0:1]
	v_lshlrev_b32_e32 v2, 16, v2
	v_lshl_or_b32 v1, v1, 23, v2
.LBB244_196:                            ;   in Loop: Header=BB244_136 Depth=1
	s_or_b64 exec, exec, s[22:23]
.LBB244_197:                            ;   in Loop: Header=BB244_136 Depth=1
	s_or_b64 exec, exec, s[14:15]
.LBB244_198:                            ;   in Loop: Header=BB244_136 Depth=1
	s_or_b64 exec, exec, s[12:13]
	v_lshrrev_b32_e32 v2, 16, v12
	v_cmp_ne_u16_sdwa s[0:1], v2, v3 src0_sel:BYTE_0 src1_sel:DWORD
	v_mov_b32_e32 v15, 0
	v_mov_b32_e32 v14, 0
	s_and_saveexec_b64 s[12:13], s[0:1]
	s_cbranch_execz .LBB244_204
; %bb.199:                              ;   in Loop: Header=BB244_136 Depth=1
	v_cmp_ne_u16_sdwa s[0:1], v2, s24 src0_sel:BYTE_0 src1_sel:DWORD
	v_mov_b32_e32 v14, 0x8000
	s_and_saveexec_b64 s[14:15], s[0:1]
	s_cbranch_execz .LBB244_203
; %bb.200:                              ;   in Loop: Header=BB244_136 Depth=1
	v_bfe_u32 v16, v12, 16, 7
	v_cmp_ne_u32_e64 s[0:1], s25, v16
	v_mov_b32_e32 v14, 0x7c01
	s_and_saveexec_b64 s[22:23], s[0:1]
	s_cbranch_execz .LBB244_202
; %bb.201:                              ;   in Loop: Header=BB244_136 Depth=1
	v_and_b32_e32 v14, 7, v2
	v_ffbh_u32_e32 v18, v14
	v_min_u32_e32 v40, 32, v18
	v_subrev_u32_e32 v18, 28, v40
	v_lshlrev_b64 v[18:19], v18, v[2:3]
	v_lshrrev_b32_e32 v17, 3, v16
	v_sub_u32_e32 v19, 29, v40
	v_cmp_gt_u32_e64 s[0:1], 8, v16
	v_lshlrev_b32_e32 v2, 8, v2
	s_nop 0
	v_cndmask_b32_e64 v16, v17, v19, s[0:1]
	v_lshl_add_u32 v16, v16, 10, v28
	v_and_b32_e32 v17, 7, v18
	v_and_b32_e32 v16, 0xfc00, v16
	v_cndmask_b32_e64 v14, v14, v17, s[0:1]
	v_and_or_b32 v2, v2, s29, v16
	v_lshl_or_b32 v14, v14, 7, v2
.LBB244_202:                            ;   in Loop: Header=BB244_136 Depth=1
	s_or_b64 exec, exec, s[22:23]
.LBB244_203:                            ;   in Loop: Header=BB244_136 Depth=1
	s_or_b64 exec, exec, s[14:15]
.LBB244_204:                            ;   in Loop: Header=BB244_136 Depth=1
	s_or_b64 exec, exec, s[12:13]
	v_cmp_lt_u32_e64 s[0:1], s7, v12
	s_and_saveexec_b64 s[12:13], s[0:1]
	s_cbranch_execz .LBB244_210
; %bb.205:                              ;   in Loop: Header=BB244_136 Depth=1
	v_lshrrev_b32_e32 v2, 24, v12
	v_cmp_ne_u32_e64 s[0:1], s24, v2
	v_bfrev_b32_e32 v15, 1
	s_and_saveexec_b64 s[14:15], s[0:1]
	s_cbranch_execz .LBB244_209
; %bb.206:                              ;   in Loop: Header=BB244_136 Depth=1
	v_and_b32_e32 v16, 0x7f, v2
	v_cmp_ne_u32_e64 s[0:1], s25, v16
	v_mov_b32_e32 v15, 0x7c010000
	s_and_saveexec_b64 s[22:23], s[0:1]
	s_cbranch_execz .LBB244_208
; %bb.207:                              ;   in Loop: Header=BB244_136 Depth=1
	v_and_b32_e32 v15, 7, v2
	v_ffbh_u32_e32 v18, v15
	v_min_u32_e32 v40, 32, v18
	v_subrev_u32_e32 v18, 28, v40
	v_lshlrev_b64 v[18:19], v18, v[2:3]
	v_lshrrev_b32_e32 v17, 3, v16
	v_sub_u32_e32 v19, 29, v40
	v_cmp_gt_u32_e64 s[0:1], 8, v16
	v_lshlrev_b32_e32 v2, 8, v2
	s_nop 0
	v_cndmask_b32_e64 v16, v17, v19, s[0:1]
	v_lshl_add_u32 v16, v16, 10, v28
	v_and_b32_e32 v17, 7, v18
	v_and_or_b32 v2, v2, s29, v16
	v_cndmask_b32_e64 v15, v15, v17, s[0:1]
	v_lshlrev_b32_e32 v2, 16, v2
	v_lshl_or_b32 v15, v15, 23, v2
.LBB244_208:                            ;   in Loop: Header=BB244_136 Depth=1
	s_or_b64 exec, exec, s[22:23]
.LBB244_209:                            ;   in Loop: Header=BB244_136 Depth=1
	s_or_b64 exec, exec, s[14:15]
.LBB244_210:                            ;   in Loop: Header=BB244_136 Depth=1
	s_or_b64 exec, exec, s[12:13]
	v_mov_b32_e32 v2, v13
	v_cmp_ne_u16_sdwa s[0:1], v13, v3 src0_sel:BYTE_0 src1_sel:DWORD
	v_mov_b32_e32 v16, 0
	v_mov_b32_e32 v17, 0
	s_and_saveexec_b64 s[12:13], s[0:1]
	s_cbranch_execz .LBB244_216
; %bb.211:                              ;   in Loop: Header=BB244_136 Depth=1
	v_cmp_ne_u16_sdwa s[0:1], v13, s24 src0_sel:BYTE_0 src1_sel:DWORD
	v_mov_b32_e32 v17, 0x8000
	s_and_saveexec_b64 s[14:15], s[0:1]
	s_cbranch_execz .LBB244_215
; %bb.212:                              ;   in Loop: Header=BB244_136 Depth=1
	v_and_b32_e32 v18, 0x7f, v13
	v_cmp_ne_u32_e64 s[0:1], s25, v18
	v_mov_b32_e32 v17, 0x7c01
	s_and_saveexec_b64 s[22:23], s[0:1]
	s_cbranch_execz .LBB244_214
; %bb.213:                              ;   in Loop: Header=BB244_136 Depth=1
	v_and_b32_e32 v17, 7, v13
	v_ffbh_u32_e32 v40, v17
	v_min_u32_e32 v42, 32, v40
	v_subrev_u32_e32 v40, 28, v42
	v_lshlrev_b64 v[40:41], v40, v[2:3]
	v_lshrrev_b32_e32 v19, 3, v18
	v_sub_u32_e32 v41, 29, v42
	v_cmp_gt_u32_e64 s[0:1], 8, v18
	v_and_b32_e32 v40, 7, v40
	s_nop 0
	v_cndmask_b32_e64 v18, v19, v41, s[0:1]
	v_lshl_add_u32 v18, v18, 10, v28
	v_lshlrev_b32_e32 v19, 8, v13
	v_and_b32_e32 v18, 0xfc00, v18
	v_cndmask_b32_e64 v17, v17, v40, s[0:1]
	v_and_or_b32 v18, v19, s29, v18
	v_lshl_or_b32 v17, v17, 7, v18
.LBB244_214:                            ;   in Loop: Header=BB244_136 Depth=1
	s_or_b64 exec, exec, s[22:23]
.LBB244_215:                            ;   in Loop: Header=BB244_136 Depth=1
	s_or_b64 exec, exec, s[14:15]
.LBB244_216:                            ;   in Loop: Header=BB244_136 Depth=1
	s_or_b64 exec, exec, s[12:13]
	v_lshrrev_b16_e32 v2, 8, v2
	v_cmp_ne_u16_e64 s[0:1], 0, v2
	v_mov_b32_e32 v18, 0
	s_and_saveexec_b64 s[12:13], s[0:1]
	s_cbranch_execz .LBB244_222
; %bb.217:                              ;   in Loop: Header=BB244_136 Depth=1
	v_cmp_ne_u16_e64 s[0:1], s24, v2
	v_bfrev_b32_e32 v18, 1
	s_and_saveexec_b64 s[14:15], s[0:1]
	s_cbranch_execz .LBB244_221
; %bb.218:                              ;   in Loop: Header=BB244_136 Depth=1
	v_and_b32_e32 v19, 0x7f, v2
	v_cmp_ne_u32_e64 s[0:1], s25, v19
	v_mov_b32_e32 v18, 0x7c010000
	s_and_saveexec_b64 s[22:23], s[0:1]
	s_cbranch_execz .LBB244_220
; %bb.219:                              ;   in Loop: Header=BB244_136 Depth=1
	v_and_b32_e32 v18, 7, v2
	v_ffbh_u32_e32 v40, v18
	v_min_u32_e32 v43, 32, v40
	v_subrev_u32_e32 v40, 28, v43
	v_lshlrev_b64 v[40:41], v40, v[2:3]
	v_lshrrev_b32_e32 v42, 3, v19
	v_sub_u32_e32 v41, 29, v43
	v_cmp_gt_u32_e64 s[0:1], 8, v19
	v_lshlrev_b32_e32 v2, 8, v2
	v_and_b32_e32 v40, 7, v40
	v_cndmask_b32_e64 v19, v42, v41, s[0:1]
	v_lshl_add_u32 v19, v19, 10, v28
	v_and_or_b32 v2, v2, s29, v19
	v_cndmask_b32_e64 v18, v18, v40, s[0:1]
	v_lshlrev_b32_e32 v2, 16, v2
	v_lshl_or_b32 v18, v18, 23, v2
.LBB244_220:                            ;   in Loop: Header=BB244_136 Depth=1
	s_or_b64 exec, exec, s[22:23]
.LBB244_221:                            ;   in Loop: Header=BB244_136 Depth=1
	s_or_b64 exec, exec, s[14:15]
.LBB244_222:                            ;   in Loop: Header=BB244_136 Depth=1
	s_or_b64 exec, exec, s[12:13]
	v_lshrrev_b32_e32 v2, 16, v13
	v_cmp_ne_u16_sdwa s[0:1], v2, v3 src0_sel:BYTE_0 src1_sel:DWORD
	s_and_saveexec_b64 s[12:13], s[0:1]
	s_cbranch_execz .LBB244_228
; %bb.223:                              ;   in Loop: Header=BB244_136 Depth=1
	v_cmp_ne_u16_sdwa s[0:1], v2, s24 src0_sel:BYTE_0 src1_sel:DWORD
	v_mov_b32_e32 v16, 0x8000
	s_and_saveexec_b64 s[14:15], s[0:1]
	s_cbranch_execz .LBB244_227
; %bb.224:                              ;   in Loop: Header=BB244_136 Depth=1
	v_bfe_u32 v19, v13, 16, 7
	v_cmp_ne_u32_e64 s[0:1], s25, v19
	v_mov_b32_e32 v16, 0x7c01
	s_and_saveexec_b64 s[22:23], s[0:1]
	s_cbranch_execz .LBB244_226
; %bb.225:                              ;   in Loop: Header=BB244_136 Depth=1
	v_and_b32_e32 v16, 7, v2
	v_ffbh_u32_e32 v40, v16
	v_min_u32_e32 v43, 32, v40
	v_subrev_u32_e32 v40, 28, v43
	v_lshlrev_b64 v[40:41], v40, v[2:3]
	v_lshrrev_b32_e32 v42, 3, v19
	v_sub_u32_e32 v41, 29, v43
	v_cmp_gt_u32_e64 s[0:1], 8, v19
	v_lshlrev_b32_e32 v2, 8, v2
	v_and_b32_e32 v40, 7, v40
	v_cndmask_b32_e64 v19, v42, v41, s[0:1]
	v_lshl_add_u32 v19, v19, 10, v28
	v_and_b32_e32 v19, 0xfc00, v19
	v_cndmask_b32_e64 v16, v16, v40, s[0:1]
	v_and_or_b32 v2, v2, s29, v19
	v_lshl_or_b32 v16, v16, 7, v2
.LBB244_226:                            ;   in Loop: Header=BB244_136 Depth=1
	s_or_b64 exec, exec, s[22:23]
.LBB244_227:                            ;   in Loop: Header=BB244_136 Depth=1
	s_or_b64 exec, exec, s[14:15]
.LBB244_228:                            ;   in Loop: Header=BB244_136 Depth=1
	s_or_b64 exec, exec, s[12:13]
	v_cmp_lt_u64_e64 s[0:1], s[6:7], v[12:13]
	v_mov_b32_e32 v12, 0
	s_and_saveexec_b64 s[12:13], s[0:1]
	s_cbranch_execz .LBB244_234
; %bb.229:                              ;   in Loop: Header=BB244_136 Depth=1
	v_lshrrev_b32_e32 v2, 24, v13
	v_cmp_ne_u32_e64 s[0:1], s24, v2
	v_bfrev_b32_e32 v12, 1
	s_and_saveexec_b64 s[14:15], s[0:1]
	s_cbranch_execz .LBB244_233
; %bb.230:                              ;   in Loop: Header=BB244_136 Depth=1
	v_and_b32_e32 v13, 0x7f, v2
	v_cmp_ne_u32_e64 s[0:1], s25, v13
	v_mov_b32_e32 v12, 0x7c010000
	s_and_saveexec_b64 s[22:23], s[0:1]
	s_cbranch_execz .LBB244_232
; %bb.231:                              ;   in Loop: Header=BB244_136 Depth=1
	v_and_b32_e32 v12, 7, v2
	v_ffbh_u32_e32 v40, v12
	v_min_u32_e32 v42, 32, v40
	v_subrev_u32_e32 v40, 28, v42
	v_lshlrev_b64 v[40:41], v40, v[2:3]
	v_lshrrev_b32_e32 v19, 3, v13
	v_sub_u32_e32 v41, 29, v42
	v_cmp_gt_u32_e64 s[0:1], 8, v13
	v_lshlrev_b32_e32 v2, 8, v2
	s_nop 0
	v_cndmask_b32_e64 v13, v19, v41, s[0:1]
	v_lshl_add_u32 v13, v13, 10, v28
	v_and_b32_e32 v19, 7, v40
	v_and_or_b32 v2, v2, s29, v13
	v_cndmask_b32_e64 v12, v12, v19, s[0:1]
	v_lshlrev_b32_e32 v2, 16, v2
	v_lshl_or_b32 v12, v12, 23, v2
.LBB244_232:                            ;   in Loop: Header=BB244_136 Depth=1
	s_or_b64 exec, exec, s[22:23]
.LBB244_233:                            ;   in Loop: Header=BB244_136 Depth=1
	s_or_b64 exec, exec, s[14:15]
.LBB244_234:                            ;   in Loop: Header=BB244_136 Depth=1
	s_or_b64 exec, exec, s[12:13]
	v_cvt_f32_f16_sdwa v41, v1 dst_sel:DWORD dst_unused:UNUSED_PAD src0_sel:WORD_1
	v_cvt_f32_f16_sdwa v40, v15 dst_sel:DWORD dst_unused:UNUSED_PAD src0_sel:WORD_1
	v_or_b32_e32 v1, v1, v11
	v_or_b32_e32 v2, v15, v14
	v_or_b32_e32 v16, v12, v16
	s_waitcnt vmcnt(0)
	v_pk_mul_f32 v[14:15], v[10:11], v[40:41] op_sel_hi:[0,1]
	v_cvt_f32_f16_e32 v40, v2
	v_cvt_f32_f16_e32 v41, v1
	v_cvt_pk_f16_f32 v1, v14, v15
	v_and_b32_e32 v11, 0xffff0000, v1
	v_lshlrev_b32_e32 v2, 16, v1
	v_pk_mul_f32 v[14:15], v[10:11], v[40:41] op_sel_hi:[0,1]
	v_cvt_pk_f16_f32 v1, v14, v15
	v_or_b32_e32 v15, v18, v17
	v_cvt_f32_f16_e32 v16, v16
	v_cvt_f32_f16_e32 v17, v15
	v_cvt_f32_f16_sdwa v19, v18 dst_sel:DWORD dst_unused:UNUSED_PAD src0_sel:WORD_1
	v_cvt_f32_f16_sdwa v18, v12 dst_sel:DWORD dst_unused:UNUSED_PAD src0_sel:WORD_1
	v_lshrrev_b32_e32 v13, 16, v1
	v_pk_mul_f32 v[16:17], v[10:11], v[16:17] op_sel_hi:[0,1]
	v_cvt_pk_f16_f32 v40, v16, v17
	v_pk_mul_f32 v[16:17], v[10:11], v[18:19] op_sel_hi:[0,1]
	v_cvt_pk_f16_f32 v10, v16, v17
	v_and_b32_e32 v14, 0xffff, v1
	v_and_b32_e32 v15, 0xffff0000, v10
	v_lshlrev_b32_e32 v10, 16, v10
	v_lshrrev_b32_e32 v17, 16, v40
	v_and_b32_e32 v16, 0xffff, v40
	v_or_b32_e32 v1, v11, v13
	v_or_b32_e32 v12, v2, v14
	;; [unrolled: 1-line block ×4, first 2 shown]
	s_and_saveexec_b64 s[0:1], vcc
	s_cbranch_execz .LBB244_135
; %bb.235:                              ;   in Loop: Header=BB244_136 Depth=1
	v_cmp_gt_i32_e32 vcc, s27, v26
	s_nop 1
	v_cndmask_b32_e32 v1, 0, v13, vcc
	v_cmp_gt_i32_e32 vcc, s33, v35
	s_nop 1
	v_cndmask_b32_e32 v12, 0, v14, vcc
	;; [unrolled: 3-line block ×3, first 2 shown]
	v_cmp_gt_i32_e32 vcc, s33, v33
	v_or_b32_e32 v1, v11, v1
	s_nop 0
	v_cndmask_b32_e32 v2, 0, v2, vcc
	v_cmp_gt_i32_e32 vcc, s27, v32
	v_or_b32_e32 v12, v2, v12
	s_nop 0
	v_cndmask_b32_e32 v2, 0, v17, vcc
	v_cmp_gt_i32_e32 vcc, s33, v31
	s_nop 1
	v_cndmask_b32_e32 v11, 0, v16, vcc
	v_cmp_gt_i32_e32 vcc, s27, v30
	;; [unrolled: 3-line block ×3, first 2 shown]
	v_or_b32_e32 v19, v13, v2
	s_nop 0
	v_cndmask_b32_e32 v10, 0, v10, vcc
	v_or_b32_e32 v18, v10, v11
	s_branch .LBB244_135
.LBB244_236:
	s_or_b64 exec, exec, s[8:9]
.LBB244_237:
	s_or_b64 exec, exec, s[2:3]
	ds_bpermute_b32 v2, v24, v4
	ds_bpermute_b32 v3, v24, v5
	v_and_b32_e32 v1, 0x3c1, v0
	v_cmp_eq_u32_e32 vcc, 64, v1
	s_waitcnt lgkmcnt(0)
	s_barrier
	v_pk_add_f32 v[2:3], v[4:5], v[2:3]
	s_and_saveexec_b64 s[0:1], vcc
; %bb.238:
	v_mov_b32_e32 v4, 0x90
	v_lshl_add_u32 v4, v23, 1, v4
	ds_write2_b32 v4, v2, v3 offset1:32
; %bb.239:
	s_or_b64 exec, exec, s[0:1]
	v_cmp_gt_u32_e32 vcc, 64, v0
	v_lshrrev_b32_e32 v0, 1, v0
	s_waitcnt lgkmcnt(0)
	s_barrier
	s_and_saveexec_b64 s[0:1], vcc
	s_cbranch_execz .LBB244_245
; %bb.240:
	v_mov_b32_e32 v4, 0x90
	v_cmp_eq_u32_e32 vcc, 0, v25
	v_lshl_add_u32 v4, v0, 2, v4
	s_and_saveexec_b64 s[2:3], vcc
	s_cbranch_execz .LBB244_242
; %bb.241:
	ds_read_b32 v5, v4
	s_waitcnt lgkmcnt(0)
	v_add_f32_e32 v2, v2, v5
.LBB244_242:
	s_or_b64 exec, exec, s[2:3]
	s_and_saveexec_b64 s[2:3], vcc
	s_cbranch_execz .LBB244_244
; %bb.243:
	ds_read_b32 v4, v4 offset:128
	s_waitcnt lgkmcnt(0)
	v_add_f32_e32 v3, v3, v4
.LBB244_244:
	s_or_b64 exec, exec, s[2:3]
.LBB244_245:
	s_or_b64 exec, exec, s[0:1]
	v_cmp_eq_u32_e32 vcc, 0, v1
	s_barrier
	s_and_saveexec_b64 s[0:1], vcc
	s_cbranch_execz .LBB244_247
; %bb.246:
	s_mul_i32 s0, s16, s17
	s_mul_i32 s0, s0, s5
	s_lshl_b32 s0, s0, 6
	s_ashr_i32 s1, s0, 31
	s_lshl_b64 s[0:1], s[0:1], 1
	s_add_u32 s2, s20, s0
	s_mul_i32 s0, s17, s18
	s_addc_u32 s3, s21, s1
	s_ashr_i32 s1, s0, 31
	s_lshl_b64 s[0:1], s[0:1], 1
	s_add_u32 s2, s2, s0
	s_addc_u32 s3, s3, s1
	s_lshl_b32 s0, s4, 6
	s_ashr_i32 s1, s0, 31
	s_lshl_b64 s[0:1], s[0:1], 1
	s_add_u32 s0, s2, s0
	s_addc_u32 s1, s3, s1
	v_lshlrev_b32_e32 v0, 1, v0
	;;#ASMSTART
	v_cvt_f16_f32 v1, v2;

	;;#ASMEND
	global_store_short v0, v1, s[0:1]
	;;#ASMSTART
	v_cvt_f16_f32 v1, v3;

	;;#ASMEND
	global_store_short v0, v1, s[0:1] offset:64
.LBB244_247:
	s_endpgm
	.section	.rodata,"a",@progbits
	.p2align	6, 0x0
	.amdhsa_kernel _ZN4vllm25paged_attention_v1_kernelIthLi64ELi16ELi128ELNS_18Fp8KVCacheDataTypeE1ELb0EEEvPT_PKS2_PKT0_S8_ifPKiSA_iPKfiiiSC_SC_iiiii
		.amdhsa_group_segment_fixed_size 144
		.amdhsa_private_segment_fixed_size 0
		.amdhsa_kernarg_size 384
		.amdhsa_user_sgpr_count 2
		.amdhsa_user_sgpr_dispatch_ptr 0
		.amdhsa_user_sgpr_queue_ptr 0
		.amdhsa_user_sgpr_kernarg_segment_ptr 1
		.amdhsa_user_sgpr_dispatch_id 0
		.amdhsa_user_sgpr_kernarg_preload_length 0
		.amdhsa_user_sgpr_kernarg_preload_offset 0
		.amdhsa_user_sgpr_private_segment_size 0
		.amdhsa_uses_dynamic_stack 0
		.amdhsa_enable_private_segment 0
		.amdhsa_system_sgpr_workgroup_id_x 1
		.amdhsa_system_sgpr_workgroup_id_y 1
		.amdhsa_system_sgpr_workgroup_id_z 1
		.amdhsa_system_sgpr_workgroup_info 0
		.amdhsa_system_vgpr_workitem_id 0
		.amdhsa_next_free_vgpr 44
		.amdhsa_next_free_sgpr 45
		.amdhsa_accum_offset 44
		.amdhsa_reserve_vcc 1
		.amdhsa_float_round_mode_32 0
		.amdhsa_float_round_mode_16_64 0
		.amdhsa_float_denorm_mode_32 3
		.amdhsa_float_denorm_mode_16_64 3
		.amdhsa_dx10_clamp 1
		.amdhsa_ieee_mode 1
		.amdhsa_fp16_overflow 0
		.amdhsa_tg_split 0
		.amdhsa_exception_fp_ieee_invalid_op 0
		.amdhsa_exception_fp_denorm_src 0
		.amdhsa_exception_fp_ieee_div_zero 0
		.amdhsa_exception_fp_ieee_overflow 0
		.amdhsa_exception_fp_ieee_underflow 0
		.amdhsa_exception_fp_ieee_inexact 0
		.amdhsa_exception_int_div_zero 0
	.end_amdhsa_kernel
	.section	.text._ZN4vllm25paged_attention_v1_kernelIthLi64ELi16ELi128ELNS_18Fp8KVCacheDataTypeE1ELb0EEEvPT_PKS2_PKT0_S8_ifPKiSA_iPKfiiiSC_SC_iiiii,"axG",@progbits,_ZN4vllm25paged_attention_v1_kernelIthLi64ELi16ELi128ELNS_18Fp8KVCacheDataTypeE1ELb0EEEvPT_PKS2_PKT0_S8_ifPKiSA_iPKfiiiSC_SC_iiiii,comdat
.Lfunc_end244:
	.size	_ZN4vllm25paged_attention_v1_kernelIthLi64ELi16ELi128ELNS_18Fp8KVCacheDataTypeE1ELb0EEEvPT_PKS2_PKT0_S8_ifPKiSA_iPKfiiiSC_SC_iiiii, .Lfunc_end244-_ZN4vllm25paged_attention_v1_kernelIthLi64ELi16ELi128ELNS_18Fp8KVCacheDataTypeE1ELb0EEEvPT_PKS2_PKT0_S8_ifPKiSA_iPKfiiiSC_SC_iiiii
                                        ; -- End function
	.set _ZN4vllm25paged_attention_v1_kernelIthLi64ELi16ELi128ELNS_18Fp8KVCacheDataTypeE1ELb0EEEvPT_PKS2_PKT0_S8_ifPKiSA_iPKfiiiSC_SC_iiiii.num_vgpr, 44
	.set _ZN4vllm25paged_attention_v1_kernelIthLi64ELi16ELi128ELNS_18Fp8KVCacheDataTypeE1ELb0EEEvPT_PKS2_PKT0_S8_ifPKiSA_iPKfiiiSC_SC_iiiii.num_agpr, 0
	.set _ZN4vllm25paged_attention_v1_kernelIthLi64ELi16ELi128ELNS_18Fp8KVCacheDataTypeE1ELb0EEEvPT_PKS2_PKT0_S8_ifPKiSA_iPKfiiiSC_SC_iiiii.numbered_sgpr, 45
	.set _ZN4vllm25paged_attention_v1_kernelIthLi64ELi16ELi128ELNS_18Fp8KVCacheDataTypeE1ELb0EEEvPT_PKS2_PKT0_S8_ifPKiSA_iPKfiiiSC_SC_iiiii.num_named_barrier, 0
	.set _ZN4vllm25paged_attention_v1_kernelIthLi64ELi16ELi128ELNS_18Fp8KVCacheDataTypeE1ELb0EEEvPT_PKS2_PKT0_S8_ifPKiSA_iPKfiiiSC_SC_iiiii.private_seg_size, 0
	.set _ZN4vllm25paged_attention_v1_kernelIthLi64ELi16ELi128ELNS_18Fp8KVCacheDataTypeE1ELb0EEEvPT_PKS2_PKT0_S8_ifPKiSA_iPKfiiiSC_SC_iiiii.uses_vcc, 1
	.set _ZN4vllm25paged_attention_v1_kernelIthLi64ELi16ELi128ELNS_18Fp8KVCacheDataTypeE1ELb0EEEvPT_PKS2_PKT0_S8_ifPKiSA_iPKfiiiSC_SC_iiiii.uses_flat_scratch, 0
	.set _ZN4vllm25paged_attention_v1_kernelIthLi64ELi16ELi128ELNS_18Fp8KVCacheDataTypeE1ELb0EEEvPT_PKS2_PKT0_S8_ifPKiSA_iPKfiiiSC_SC_iiiii.has_dyn_sized_stack, 0
	.set _ZN4vllm25paged_attention_v1_kernelIthLi64ELi16ELi128ELNS_18Fp8KVCacheDataTypeE1ELb0EEEvPT_PKS2_PKT0_S8_ifPKiSA_iPKfiiiSC_SC_iiiii.has_recursion, 0
	.set _ZN4vllm25paged_attention_v1_kernelIthLi64ELi16ELi128ELNS_18Fp8KVCacheDataTypeE1ELb0EEEvPT_PKS2_PKT0_S8_ifPKiSA_iPKfiiiSC_SC_iiiii.has_indirect_call, 0
	.section	.AMDGPU.csdata,"",@progbits
; Kernel info:
; codeLenInByte = 11304
; TotalNumSgprs: 51
; NumVgprs: 44
; NumAgprs: 0
; TotalNumVgprs: 44
; ScratchSize: 0
; MemoryBound: 0
; FloatMode: 240
; IeeeMode: 1
; LDSByteSize: 144 bytes/workgroup (compile time only)
; SGPRBlocks: 6
; VGPRBlocks: 5
; NumSGPRsForWavesPerEU: 51
; NumVGPRsForWavesPerEU: 44
; AccumOffset: 44
; Occupancy: 8
; WaveLimiterHint : 1
; COMPUTE_PGM_RSRC2:SCRATCH_EN: 0
; COMPUTE_PGM_RSRC2:USER_SGPR: 2
; COMPUTE_PGM_RSRC2:TRAP_HANDLER: 0
; COMPUTE_PGM_RSRC2:TGID_X_EN: 1
; COMPUTE_PGM_RSRC2:TGID_Y_EN: 1
; COMPUTE_PGM_RSRC2:TGID_Z_EN: 1
; COMPUTE_PGM_RSRC2:TIDIG_COMP_CNT: 0
; COMPUTE_PGM_RSRC3_GFX90A:ACCUM_OFFSET: 10
; COMPUTE_PGM_RSRC3_GFX90A:TG_SPLIT: 0
	.section	.text._ZN4vllm25paged_attention_v1_kernelIthLi80ELi16ELi128ELNS_18Fp8KVCacheDataTypeE1ELb0EEEvPT_PKS2_PKT0_S8_ifPKiSA_iPKfiiiSC_SC_iiiii,"axG",@progbits,_ZN4vllm25paged_attention_v1_kernelIthLi80ELi16ELi128ELNS_18Fp8KVCacheDataTypeE1ELb0EEEvPT_PKS2_PKT0_S8_ifPKiSA_iPKfiiiSC_SC_iiiii,comdat
	.protected	_ZN4vllm25paged_attention_v1_kernelIthLi80ELi16ELi128ELNS_18Fp8KVCacheDataTypeE1ELb0EEEvPT_PKS2_PKT0_S8_ifPKiSA_iPKfiiiSC_SC_iiiii ; -- Begin function _ZN4vllm25paged_attention_v1_kernelIthLi80ELi16ELi128ELNS_18Fp8KVCacheDataTypeE1ELb0EEEvPT_PKS2_PKT0_S8_ifPKiSA_iPKfiiiSC_SC_iiiii
	.globl	_ZN4vllm25paged_attention_v1_kernelIthLi80ELi16ELi128ELNS_18Fp8KVCacheDataTypeE1ELb0EEEvPT_PKS2_PKT0_S8_ifPKiSA_iPKfiiiSC_SC_iiiii
	.p2align	8
	.type	_ZN4vllm25paged_attention_v1_kernelIthLi80ELi16ELi128ELNS_18Fp8KVCacheDataTypeE1ELb0EEEvPT_PKS2_PKT0_S8_ifPKiSA_iPKfiiiSC_SC_iiiii,@function
_ZN4vllm25paged_attention_v1_kernelIthLi80ELi16ELi128ELNS_18Fp8KVCacheDataTypeE1ELb0EEEvPT_PKS2_PKT0_S8_ifPKiSA_iPKfiiiSC_SC_iiiii: ; @_ZN4vllm25paged_attention_v1_kernelIthLi80ELi16ELi128ELNS_18Fp8KVCacheDataTypeE1ELb0EEEvPT_PKS2_PKT0_S8_ifPKiSA_iPKfiiiSC_SC_iiiii
; %bb.0:
	s_load_dword s5, s[0:1], 0x80
	s_load_dwordx2 s[6:7], s[0:1], 0x30
	s_load_dwordx2 s[28:29], s[0:1], 0x20
	s_mov_b32 s16, s3
	s_ashr_i32 s17, s3, 31
	s_lshl_b64 s[8:9], s[16:17], 2
	s_waitcnt lgkmcnt(0)
	s_add_u32 s6, s6, s8
	s_addc_u32 s7, s7, s9
	s_abs_i32 s3, s28
	v_cvt_f32_u32_e32 v1, s3
	s_sub_i32 s10, 0, s3
	s_abs_i32 s9, s5
	s_xor_b32 s8, s5, s28
	v_rcp_iflag_f32_e32 v1, v1
	s_ashr_i32 s8, s8, 31
	s_mov_b32 s28, 0
	v_mul_f32_e32 v1, 0x4f7ffffe, v1
	v_cvt_u32_f32_e32 v1, v1
	s_nop 0
	v_readfirstlane_b32 s11, v1
	s_mul_i32 s10, s10, s11
	s_mul_hi_u32 s10, s11, s10
	s_add_i32 s11, s11, s10
	s_mul_hi_u32 s10, s9, s11
	s_mul_i32 s11, s10, s3
	s_sub_i32 s9, s9, s11
	s_add_i32 s11, s10, 1
	s_sub_i32 s12, s9, s3
	s_cmp_ge_u32 s9, s3
	s_cselect_b32 s10, s11, s10
	s_cselect_b32 s9, s12, s9
	s_add_i32 s11, s10, 1
	s_cmp_ge_u32 s9, s3
	s_cselect_b32 s3, s11, s10
	s_xor_b32 s3, s3, s8
	s_sub_i32 s18, s3, s8
	s_abs_i32 s10, s18
	v_cvt_f32_u32_e32 v1, s10
	s_load_dwordx2 s[8:9], s[0:1], 0x40
	s_sub_i32 s3, 0, s10
	s_abs_i32 s11, s2
	v_rcp_iflag_f32_e32 v1, v1
	s_nop 0
	v_mul_f32_e32 v1, 0x4f7ffffe, v1
	v_cvt_u32_f32_e32 v1, v1
	s_nop 0
	v_readfirstlane_b32 s12, v1
	s_mul_i32 s3, s3, s12
	s_mul_hi_u32 s3, s12, s3
	s_add_i32 s12, s12, s3
	s_waitcnt lgkmcnt(0)
	s_cmp_eq_u64 s[8:9], 0
	s_mul_hi_u32 s17, s11, s12
	s_cbranch_scc1 .LBB245_2
; %bb.1:
	s_ashr_i32 s3, s2, 31
	s_lshl_b64 s[12:13], s[2:3], 2
	s_add_u32 s8, s8, s12
	s_addc_u32 s9, s9, s13
	s_load_dword s28, s[8:9], 0x0
.LBB245_2:
	s_load_dword s33, s[6:7], 0x0
	s_load_dwordx4 s[12:15], s[0:1], 0x48
	s_ashr_i32 s6, s2, 31
	s_ashr_i32 s7, s18, 31
	v_and_b32_e32 v4, 3, v0
	s_mul_i32 s18, s2, 0x50
	v_cmp_gt_u32_e32 vcc, 40, v0
	s_and_saveexec_b64 s[2:3], vcc
	s_cbranch_execz .LBB245_4
; %bb.3:
	s_load_dwordx2 s[8:9], s[0:1], 0x8
	s_waitcnt lgkmcnt(0)
	s_mul_i32 s20, s12, s16
	s_ashr_i32 s21, s20, 31
	s_lshl_b64 s[20:21], s[20:21], 1
	v_lshlrev_b32_e32 v1, 2, v0
	s_add_u32 s12, s8, s20
	s_addc_u32 s15, s9, s21
	s_ashr_i32 s19, s18, 31
	s_lshl_b64 s[8:9], s[18:19], 1
	s_add_u32 s8, s12, s8
	s_addc_u32 s9, s15, s9
	global_load_dword v1, v1, s[8:9]
	v_and_b32_e32 v2, 0x3fc, v0
	v_mad_u32_u24 v2, v4, 40, v2
	s_waitcnt vmcnt(0)
	ds_write_b32 v2, v1
.LBB245_4:
	s_or_b64 exec, exec, s[2:3]
	s_waitcnt lgkmcnt(0)
	s_add_i32 s3, s33, 15
	s_ashr_i32 s8, s3, 31
	s_lshr_b32 s8, s8, 28
	s_add_i32 s3, s3, s8
	s_ashr_i32 s19, s3, 4
	s_xor_b32 s3, s6, s7
	s_mul_i32 s6, s17, s10
	s_sub_i32 s6, s11, s6
	s_add_i32 s7, s17, 1
	s_sub_i32 s8, s6, s10
	s_load_dwordx2 s[22:23], s[0:1], 0x28
	s_load_dword s2, s[0:1], 0x38
	s_cmp_ge_u32 s6, s10
	s_cselect_b32 s7, s7, s17
	s_cselect_b32 s6, s8, s6
	s_add_i32 s8, s7, 1
	s_cmp_ge_u32 s6, s10
	s_cselect_b32 s6, s8, s7
	v_lshrrev_b32_e32 v28, 6, v0
	s_xor_b32 s6, s6, s3
	s_waitcnt lgkmcnt(0)
	s_mul_i32 s24, s2, s16
	s_sub_i32 s12, s6, s3
	s_ashr_i32 s25, s24, 31
	v_cmp_le_i32_e64 s[6:7], s19, v28
	v_mbcnt_lo_u32_b32 v9, -1, 0
	s_barrier
                                        ; implicit-def: $vgpr10
                                        ; implicit-def: $vgpr8
                                        ; implicit-def: $vgpr2
	s_and_saveexec_b64 s[2:3], s[6:7]
	s_xor_b64 s[2:3], exec, s[2:3]
; %bb.5:
	v_mbcnt_hi_u32_b32 v10, -1, v9
	v_and_b32_e32 v8, 64, v10
	v_add_u32_e32 v2, 64, v8
                                        ; implicit-def: $vgpr4
                                        ; implicit-def: $vgpr9
; %bb.6:
	s_or_saveexec_b64 s[30:31], s[2:3]
	s_load_dwordx2 s[20:21], s[0:1], 0x0
	s_load_dwordx2 s[26:27], s[0:1], 0x18
	s_load_dword s17, s[0:1], 0x88
	s_load_dwordx4 s[8:11], s[0:1], 0x58
	v_mov_b32_e32 v11, 0xff7fffff
	s_mul_i32 s12, s12, s14
	v_lshrrev_b32_e32 v1, 4, v0
	s_xor_b64 exec, exec, s[30:31]
	s_cbranch_execz .LBB245_132
; %bb.7:
	s_load_dwordx2 s[0:1], s[0:1], 0x10
	s_ashr_i32 s2, s12, 31
	v_bfe_u32 v8, v0, 2, 4
	v_lshlrev_b32_e32 v2, 4, v8
	v_mov_b32_e32 v3, 0
	s_waitcnt lgkmcnt(0)
	s_add_u32 s0, s0, s12
	s_addc_u32 s1, s1, s2
	v_lshl_add_u64 v[6:7], s[0:1], 0, v[2:3]
	v_lshlrev_b32_e32 v2, 1, v4
	v_mul_u32_u24_e32 v12, 40, v4
	v_cmp_eq_u32_e32 vcc, 0, v4
	v_lshl_add_u64 v[4:5], v[6:7], 0, v[2:3]
	s_sub_i32 s41, 1, s33
	v_lshlrev_b32_e32 v2, 2, v8
	s_lshl_b64 s[0:1], s[24:25], 2
	v_lshl_or_b32 v2, v28, 6, v2
	s_add_u32 s0, s22, s0
	v_add_u32_e32 v14, 0xb0, v2
	v_and_b32_e32 v2, 60, v1
	s_addc_u32 s1, s23, s1
	s_mov_b32 s40, s13
	v_cmp_neq_f32_e64 s[2:3], s28, 0
	v_lshl_or_b32 v13, v28, 4, v8
	v_lshl_add_u64 v[6:7], s[0:1], 0, v[2:3]
	v_mov_b32_e32 v11, 0xff7fffff
	s_mov_b64 s[14:15], 0
	s_movk_i32 s42, 0x80
	s_movk_i32 s43, 0x7f
	s_mov_b32 s44, 0x8000
	v_mbcnt_hi_u32_b32 v10, -1, v9
	v_mov_b32_e32 v15, 0x2000
	v_mov_b32_e32 v16, v28
	s_branch .LBB245_9
.LBB245_8:                              ;   in Loop: Header=BB245_9 Depth=1
	s_or_b64 exec, exec, s[34:35]
	v_add_u32_e32 v16, 2, v16
	v_cmp_le_i32_e64 s[0:1], s19, v16
	v_add_u32_e32 v13, 32, v13
	v_add_u32_e32 v14, 0x80, v14
	s_or_b64 s[14:15], s[0:1], s[14:15]
	v_lshl_add_u64 v[6:7], v[6:7], 0, 8
	s_andn2_b64 exec, exec, s[14:15]
	s_cbranch_execz .LBB245_131
.LBB245_9:                              ; =>This Inner Loop Header: Depth=1
	global_load_dword v2, v[6:7], off
	s_waitcnt vmcnt(0)
	v_mad_i64_i32 v[8:9], s[0:1], v2, s40, v[4:5]
	global_load_ushort v18, v[8:9], off
	s_waitcnt lgkmcnt(0)
	global_load_dword v17, v3, s[8:9]
	s_waitcnt vmcnt(1)
	v_and_b32_e32 v2, 0xffff, v18
	v_cmp_ne_u16_sdwa s[0:1], v18, v3 src0_sel:BYTE_0 src1_sel:DWORD
	v_mov_b32_e32 v18, 0
	s_and_saveexec_b64 s[34:35], s[0:1]
	s_cbranch_execz .LBB245_15
; %bb.10:                               ;   in Loop: Header=BB245_9 Depth=1
	v_cmp_ne_u16_sdwa s[0:1], v2, s42 src0_sel:BYTE_0 src1_sel:DWORD
	v_mov_b32_e32 v18, 0x8000
	s_and_saveexec_b64 s[36:37], s[0:1]
	s_cbranch_execz .LBB245_14
; %bb.11:                               ;   in Loop: Header=BB245_9 Depth=1
	v_and_b32_e32 v19, 0x7f, v2
	v_cmp_ne_u32_e64 s[0:1], s43, v19
	v_mov_b32_e32 v18, 0x7c01
	s_and_saveexec_b64 s[38:39], s[0:1]
	s_cbranch_execz .LBB245_13
; %bb.12:                               ;   in Loop: Header=BB245_9 Depth=1
	v_and_b32_e32 v18, 7, v2
	v_ffbh_u32_e32 v20, v18
	v_min_u32_e32 v23, 32, v20
	v_subrev_u32_e32 v20, 28, v23
	v_lshlrev_b64 v[20:21], v20, v[2:3]
	v_lshrrev_b32_e32 v22, 3, v19
	v_sub_u32_e32 v21, 29, v23
	v_cmp_gt_u32_e64 s[0:1], 8, v19
	v_and_b32_e32 v20, 7, v20
	s_nop 0
	v_cndmask_b32_e64 v19, v22, v21, s[0:1]
	v_lshl_add_u32 v19, v19, 10, v15
	v_lshlrev_b32_e32 v21, 8, v2
	v_and_b32_e32 v19, 0xfc00, v19
	v_cndmask_b32_e64 v18, v18, v20, s[0:1]
	v_and_or_b32 v19, v21, s44, v19
	v_lshl_or_b32 v18, v18, 7, v19
.LBB245_13:                             ;   in Loop: Header=BB245_9 Depth=1
	s_or_b64 exec, exec, s[38:39]
.LBB245_14:                             ;   in Loop: Header=BB245_9 Depth=1
	s_or_b64 exec, exec, s[36:37]
.LBB245_15:                             ;   in Loop: Header=BB245_9 Depth=1
	s_or_b64 exec, exec, s[34:35]
	v_lshrrev_b16_e32 v2, 8, v2
	v_cmp_ne_u16_e64 s[0:1], 0, v2
	v_mov_b32_e32 v19, 0
	v_mov_b32_e32 v20, 0
	s_and_saveexec_b64 s[34:35], s[0:1]
	s_cbranch_execz .LBB245_21
; %bb.16:                               ;   in Loop: Header=BB245_9 Depth=1
	v_cmp_ne_u16_e64 s[0:1], s42, v2
	v_bfrev_b32_e32 v20, 1
	s_and_saveexec_b64 s[36:37], s[0:1]
	s_cbranch_execz .LBB245_20
; %bb.17:                               ;   in Loop: Header=BB245_9 Depth=1
	v_and_b32_e32 v21, 0x7f, v2
	v_cmp_ne_u32_e64 s[0:1], s43, v21
	v_mov_b32_e32 v20, 0x7c010000
	s_and_saveexec_b64 s[38:39], s[0:1]
	s_cbranch_execz .LBB245_19
; %bb.18:                               ;   in Loop: Header=BB245_9 Depth=1
	v_and_b32_e32 v20, 7, v2
	v_ffbh_u32_e32 v22, v20
	v_min_u32_e32 v25, 32, v22
	v_subrev_u32_e32 v22, 28, v25
	v_lshlrev_b64 v[22:23], v22, v[2:3]
	v_lshrrev_b32_e32 v24, 3, v21
	v_sub_u32_e32 v23, 29, v25
	v_cmp_gt_u32_e64 s[0:1], 8, v21
	v_lshlrev_b32_e32 v2, 8, v2
	v_and_b32_e32 v22, 7, v22
	v_cndmask_b32_e64 v21, v24, v23, s[0:1]
	v_lshl_add_u32 v21, v21, 10, v15
	v_and_or_b32 v2, v2, s44, v21
	v_cndmask_b32_e64 v20, v20, v22, s[0:1]
	v_lshlrev_b32_e32 v2, 16, v2
	v_lshl_or_b32 v20, v20, 23, v2
.LBB245_19:                             ;   in Loop: Header=BB245_9 Depth=1
	s_or_b64 exec, exec, s[38:39]
.LBB245_20:                             ;   in Loop: Header=BB245_9 Depth=1
	s_or_b64 exec, exec, s[36:37]
.LBB245_21:                             ;   in Loop: Header=BB245_9 Depth=1
	s_or_b64 exec, exec, s[34:35]
	global_load_ushort v21, v[8:9], off offset:8
	s_waitcnt vmcnt(0)
	v_and_b32_e32 v2, 0xffff, v21
	v_cmp_ne_u16_sdwa s[0:1], v21, v3 src0_sel:BYTE_0 src1_sel:DWORD
	s_and_saveexec_b64 s[34:35], s[0:1]
	s_cbranch_execz .LBB245_27
; %bb.22:                               ;   in Loop: Header=BB245_9 Depth=1
	v_cmp_ne_u16_sdwa s[0:1], v2, s42 src0_sel:BYTE_0 src1_sel:DWORD
	v_mov_b32_e32 v19, 0x8000
	s_and_saveexec_b64 s[36:37], s[0:1]
	s_cbranch_execz .LBB245_26
; %bb.23:                               ;   in Loop: Header=BB245_9 Depth=1
	v_and_b32_e32 v21, 0x7f, v2
	v_cmp_ne_u32_e64 s[0:1], s43, v21
	v_mov_b32_e32 v19, 0x7c01
	s_and_saveexec_b64 s[38:39], s[0:1]
	s_cbranch_execz .LBB245_25
; %bb.24:                               ;   in Loop: Header=BB245_9 Depth=1
	v_and_b32_e32 v19, 7, v2
	v_ffbh_u32_e32 v22, v19
	v_min_u32_e32 v25, 32, v22
	v_subrev_u32_e32 v22, 28, v25
	v_lshlrev_b64 v[22:23], v22, v[2:3]
	v_lshrrev_b32_e32 v24, 3, v21
	v_sub_u32_e32 v23, 29, v25
	v_cmp_gt_u32_e64 s[0:1], 8, v21
	v_and_b32_e32 v22, 7, v22
	s_nop 0
	v_cndmask_b32_e64 v21, v24, v23, s[0:1]
	v_lshl_add_u32 v21, v21, 10, v15
	v_lshlrev_b32_e32 v23, 8, v2
	v_and_b32_e32 v21, 0xfc00, v21
	v_cndmask_b32_e64 v19, v19, v22, s[0:1]
	v_and_or_b32 v21, v23, s44, v21
	v_lshl_or_b32 v19, v19, 7, v21
.LBB245_25:                             ;   in Loop: Header=BB245_9 Depth=1
	s_or_b64 exec, exec, s[38:39]
.LBB245_26:                             ;   in Loop: Header=BB245_9 Depth=1
	s_or_b64 exec, exec, s[36:37]
.LBB245_27:                             ;   in Loop: Header=BB245_9 Depth=1
	s_or_b64 exec, exec, s[34:35]
	v_lshrrev_b16_e32 v2, 8, v2
	v_cmp_ne_u16_e64 s[0:1], 0, v2
	v_mov_b32_e32 v21, 0
	v_mov_b32_e32 v22, 0
	s_and_saveexec_b64 s[34:35], s[0:1]
	s_cbranch_execz .LBB245_33
; %bb.28:                               ;   in Loop: Header=BB245_9 Depth=1
	v_cmp_ne_u16_e64 s[0:1], s42, v2
	v_bfrev_b32_e32 v22, 1
	s_and_saveexec_b64 s[36:37], s[0:1]
	s_cbranch_execz .LBB245_32
; %bb.29:                               ;   in Loop: Header=BB245_9 Depth=1
	v_and_b32_e32 v23, 0x7f, v2
	v_cmp_ne_u32_e64 s[0:1], s43, v23
	v_mov_b32_e32 v22, 0x7c010000
	s_and_saveexec_b64 s[38:39], s[0:1]
	s_cbranch_execz .LBB245_31
; %bb.30:                               ;   in Loop: Header=BB245_9 Depth=1
	v_and_b32_e32 v22, 7, v2
	v_ffbh_u32_e32 v24, v22
	v_min_u32_e32 v27, 32, v24
	v_subrev_u32_e32 v24, 28, v27
	v_lshlrev_b64 v[24:25], v24, v[2:3]
	v_lshrrev_b32_e32 v26, 3, v23
	v_sub_u32_e32 v25, 29, v27
	v_cmp_gt_u32_e64 s[0:1], 8, v23
	v_lshlrev_b32_e32 v2, 8, v2
	v_and_b32_e32 v24, 7, v24
	v_cndmask_b32_e64 v23, v26, v25, s[0:1]
	v_lshl_add_u32 v23, v23, 10, v15
	v_and_or_b32 v2, v2, s44, v23
	v_cndmask_b32_e64 v22, v22, v24, s[0:1]
	v_lshlrev_b32_e32 v2, 16, v2
	v_lshl_or_b32 v22, v22, 23, v2
.LBB245_31:                             ;   in Loop: Header=BB245_9 Depth=1
	s_or_b64 exec, exec, s[38:39]
.LBB245_32:                             ;   in Loop: Header=BB245_9 Depth=1
	s_or_b64 exec, exec, s[36:37]
.LBB245_33:                             ;   in Loop: Header=BB245_9 Depth=1
	s_or_b64 exec, exec, s[34:35]
	global_load_ushort v23, v[8:9], off offset:256
	s_waitcnt vmcnt(0)
	v_and_b32_e32 v2, 0xffff, v23
	v_cmp_ne_u16_sdwa s[0:1], v23, v3 src0_sel:BYTE_0 src1_sel:DWORD
	s_and_saveexec_b64 s[34:35], s[0:1]
	s_cbranch_execz .LBB245_39
; %bb.34:                               ;   in Loop: Header=BB245_9 Depth=1
	v_cmp_ne_u16_sdwa s[0:1], v2, s42 src0_sel:BYTE_0 src1_sel:DWORD
	v_mov_b32_e32 v21, 0x8000
	s_and_saveexec_b64 s[36:37], s[0:1]
	s_cbranch_execz .LBB245_38
; %bb.35:                               ;   in Loop: Header=BB245_9 Depth=1
	v_and_b32_e32 v23, 0x7f, v2
	v_cmp_ne_u32_e64 s[0:1], s43, v23
	v_mov_b32_e32 v21, 0x7c01
	s_and_saveexec_b64 s[38:39], s[0:1]
	s_cbranch_execz .LBB245_37
; %bb.36:                               ;   in Loop: Header=BB245_9 Depth=1
	v_and_b32_e32 v21, 7, v2
	v_ffbh_u32_e32 v24, v21
	v_min_u32_e32 v27, 32, v24
	v_subrev_u32_e32 v24, 28, v27
	v_lshlrev_b64 v[24:25], v24, v[2:3]
	v_lshrrev_b32_e32 v26, 3, v23
	v_sub_u32_e32 v25, 29, v27
	v_cmp_gt_u32_e64 s[0:1], 8, v23
	v_and_b32_e32 v24, 7, v24
	s_nop 0
	v_cndmask_b32_e64 v23, v26, v25, s[0:1]
	v_lshl_add_u32 v23, v23, 10, v15
	v_lshlrev_b32_e32 v25, 8, v2
	v_and_b32_e32 v23, 0xfc00, v23
	v_cndmask_b32_e64 v21, v21, v24, s[0:1]
	v_and_or_b32 v23, v25, s44, v23
	v_lshl_or_b32 v21, v21, 7, v23
.LBB245_37:                             ;   in Loop: Header=BB245_9 Depth=1
	s_or_b64 exec, exec, s[38:39]
.LBB245_38:                             ;   in Loop: Header=BB245_9 Depth=1
	s_or_b64 exec, exec, s[36:37]
.LBB245_39:                             ;   in Loop: Header=BB245_9 Depth=1
	s_or_b64 exec, exec, s[34:35]
	v_lshrrev_b16_e32 v2, 8, v2
	v_cmp_ne_u16_e64 s[0:1], 0, v2
	v_mov_b32_e32 v23, 0
	v_mov_b32_e32 v24, 0
	s_and_saveexec_b64 s[34:35], s[0:1]
	s_cbranch_execz .LBB245_45
; %bb.40:                               ;   in Loop: Header=BB245_9 Depth=1
	v_cmp_ne_u16_e64 s[0:1], s42, v2
	v_bfrev_b32_e32 v24, 1
	s_and_saveexec_b64 s[36:37], s[0:1]
	s_cbranch_execz .LBB245_44
; %bb.41:                               ;   in Loop: Header=BB245_9 Depth=1
	v_and_b32_e32 v25, 0x7f, v2
	v_cmp_ne_u32_e64 s[0:1], s43, v25
	v_mov_b32_e32 v24, 0x7c010000
	s_and_saveexec_b64 s[38:39], s[0:1]
	s_cbranch_execz .LBB245_43
; %bb.42:                               ;   in Loop: Header=BB245_9 Depth=1
	v_and_b32_e32 v24, 7, v2
	v_ffbh_u32_e32 v26, v24
	v_min_u32_e32 v30, 32, v26
	v_subrev_u32_e32 v26, 28, v30
	v_lshlrev_b64 v[26:27], v26, v[2:3]
	v_lshrrev_b32_e32 v29, 3, v25
	v_sub_u32_e32 v27, 29, v30
	v_cmp_gt_u32_e64 s[0:1], 8, v25
	v_lshlrev_b32_e32 v2, 8, v2
	v_and_b32_e32 v26, 7, v26
	v_cndmask_b32_e64 v25, v29, v27, s[0:1]
	v_lshl_add_u32 v25, v25, 10, v15
	v_and_or_b32 v2, v2, s44, v25
	v_cndmask_b32_e64 v24, v24, v26, s[0:1]
	v_lshlrev_b32_e32 v2, 16, v2
	v_lshl_or_b32 v24, v24, 23, v2
.LBB245_43:                             ;   in Loop: Header=BB245_9 Depth=1
	s_or_b64 exec, exec, s[38:39]
.LBB245_44:                             ;   in Loop: Header=BB245_9 Depth=1
	s_or_b64 exec, exec, s[36:37]
.LBB245_45:                             ;   in Loop: Header=BB245_9 Depth=1
	s_or_b64 exec, exec, s[34:35]
	global_load_ushort v25, v[8:9], off offset:264
	s_waitcnt vmcnt(0)
	v_and_b32_e32 v2, 0xffff, v25
	v_cmp_ne_u16_sdwa s[0:1], v25, v3 src0_sel:BYTE_0 src1_sel:DWORD
	s_and_saveexec_b64 s[34:35], s[0:1]
	s_cbranch_execz .LBB245_51
; %bb.46:                               ;   in Loop: Header=BB245_9 Depth=1
	v_cmp_ne_u16_sdwa s[0:1], v2, s42 src0_sel:BYTE_0 src1_sel:DWORD
	v_mov_b32_e32 v23, 0x8000
	s_and_saveexec_b64 s[36:37], s[0:1]
	s_cbranch_execz .LBB245_50
; %bb.47:                               ;   in Loop: Header=BB245_9 Depth=1
	v_and_b32_e32 v25, 0x7f, v2
	v_cmp_ne_u32_e64 s[0:1], s43, v25
	v_mov_b32_e32 v23, 0x7c01
	s_and_saveexec_b64 s[38:39], s[0:1]
	s_cbranch_execz .LBB245_49
; %bb.48:                               ;   in Loop: Header=BB245_9 Depth=1
	v_and_b32_e32 v23, 7, v2
	v_ffbh_u32_e32 v26, v23
	v_min_u32_e32 v30, 32, v26
	v_subrev_u32_e32 v26, 28, v30
	v_lshlrev_b64 v[26:27], v26, v[2:3]
	v_lshrrev_b32_e32 v29, 3, v25
	v_sub_u32_e32 v27, 29, v30
	v_cmp_gt_u32_e64 s[0:1], 8, v25
	v_and_b32_e32 v26, 7, v26
	s_nop 0
	v_cndmask_b32_e64 v25, v29, v27, s[0:1]
	v_lshl_add_u32 v25, v25, 10, v15
	v_lshlrev_b32_e32 v27, 8, v2
	v_and_b32_e32 v25, 0xfc00, v25
	v_cndmask_b32_e64 v23, v23, v26, s[0:1]
	v_and_or_b32 v25, v27, s44, v25
	v_lshl_or_b32 v23, v23, 7, v25
.LBB245_49:                             ;   in Loop: Header=BB245_9 Depth=1
	s_or_b64 exec, exec, s[38:39]
.LBB245_50:                             ;   in Loop: Header=BB245_9 Depth=1
	s_or_b64 exec, exec, s[36:37]
.LBB245_51:                             ;   in Loop: Header=BB245_9 Depth=1
	s_or_b64 exec, exec, s[34:35]
	v_lshrrev_b16_e32 v2, 8, v2
	v_cmp_ne_u16_e64 s[0:1], 0, v2
	v_mov_b32_e32 v25, 0
	v_mov_b32_e32 v26, 0
	s_and_saveexec_b64 s[34:35], s[0:1]
	s_cbranch_execz .LBB245_57
; %bb.52:                               ;   in Loop: Header=BB245_9 Depth=1
	v_cmp_ne_u16_e64 s[0:1], s42, v2
	v_bfrev_b32_e32 v26, 1
	s_and_saveexec_b64 s[36:37], s[0:1]
	s_cbranch_execz .LBB245_56
; %bb.53:                               ;   in Loop: Header=BB245_9 Depth=1
	v_and_b32_e32 v27, 0x7f, v2
	v_cmp_ne_u32_e64 s[0:1], s43, v27
	v_mov_b32_e32 v26, 0x7c010000
	s_and_saveexec_b64 s[38:39], s[0:1]
	s_cbranch_execz .LBB245_55
; %bb.54:                               ;   in Loop: Header=BB245_9 Depth=1
	v_and_b32_e32 v26, 7, v2
	v_ffbh_u32_e32 v30, v26
	v_min_u32_e32 v32, 32, v30
	v_subrev_u32_e32 v30, 28, v32
	v_lshlrev_b64 v[30:31], v30, v[2:3]
	v_lshrrev_b32_e32 v29, 3, v27
	v_sub_u32_e32 v31, 29, v32
	v_cmp_gt_u32_e64 s[0:1], 8, v27
	v_lshlrev_b32_e32 v2, 8, v2
	s_nop 0
	v_cndmask_b32_e64 v27, v29, v31, s[0:1]
	v_lshl_add_u32 v27, v27, 10, v15
	v_and_b32_e32 v29, 7, v30
	v_and_or_b32 v2, v2, s44, v27
	v_cndmask_b32_e64 v26, v26, v29, s[0:1]
	v_lshlrev_b32_e32 v2, 16, v2
	v_lshl_or_b32 v26, v26, 23, v2
.LBB245_55:                             ;   in Loop: Header=BB245_9 Depth=1
	s_or_b64 exec, exec, s[38:39]
.LBB245_56:                             ;   in Loop: Header=BB245_9 Depth=1
	s_or_b64 exec, exec, s[36:37]
.LBB245_57:                             ;   in Loop: Header=BB245_9 Depth=1
	s_or_b64 exec, exec, s[34:35]
	global_load_ushort v27, v[8:9], off offset:512
	s_waitcnt vmcnt(0)
	v_and_b32_e32 v2, 0xffff, v27
	v_cmp_ne_u16_sdwa s[0:1], v27, v3 src0_sel:BYTE_0 src1_sel:DWORD
	s_and_saveexec_b64 s[34:35], s[0:1]
	s_cbranch_execz .LBB245_63
; %bb.58:                               ;   in Loop: Header=BB245_9 Depth=1
	v_cmp_ne_u16_sdwa s[0:1], v2, s42 src0_sel:BYTE_0 src1_sel:DWORD
	v_mov_b32_e32 v25, 0x8000
	s_and_saveexec_b64 s[36:37], s[0:1]
	s_cbranch_execz .LBB245_62
; %bb.59:                               ;   in Loop: Header=BB245_9 Depth=1
	v_and_b32_e32 v27, 0x7f, v2
	v_cmp_ne_u32_e64 s[0:1], s43, v27
	v_mov_b32_e32 v25, 0x7c01
	s_and_saveexec_b64 s[38:39], s[0:1]
	s_cbranch_execz .LBB245_61
; %bb.60:                               ;   in Loop: Header=BB245_9 Depth=1
	v_and_b32_e32 v25, 7, v2
	v_ffbh_u32_e32 v30, v25
	v_min_u32_e32 v32, 32, v30
	v_subrev_u32_e32 v30, 28, v32
	v_lshlrev_b64 v[30:31], v30, v[2:3]
	v_lshrrev_b32_e32 v29, 3, v27
	v_sub_u32_e32 v31, 29, v32
	v_cmp_gt_u32_e64 s[0:1], 8, v27
	v_and_b32_e32 v30, 7, v30
	s_nop 0
	v_cndmask_b32_e64 v27, v29, v31, s[0:1]
	v_lshl_add_u32 v27, v27, 10, v15
	v_lshlrev_b32_e32 v29, 8, v2
	v_and_b32_e32 v27, 0xfc00, v27
	v_cndmask_b32_e64 v25, v25, v30, s[0:1]
	v_and_or_b32 v27, v29, s44, v27
	v_lshl_or_b32 v25, v25, 7, v27
.LBB245_61:                             ;   in Loop: Header=BB245_9 Depth=1
	s_or_b64 exec, exec, s[38:39]
.LBB245_62:                             ;   in Loop: Header=BB245_9 Depth=1
	s_or_b64 exec, exec, s[36:37]
.LBB245_63:                             ;   in Loop: Header=BB245_9 Depth=1
	s_or_b64 exec, exec, s[34:35]
	v_lshrrev_b16_e32 v2, 8, v2
	v_cmp_ne_u16_e64 s[0:1], 0, v2
	v_mov_b32_e32 v29, 0
	v_mov_b32_e32 v27, 0
	s_and_saveexec_b64 s[34:35], s[0:1]
	s_cbranch_execz .LBB245_69
; %bb.64:                               ;   in Loop: Header=BB245_9 Depth=1
	v_cmp_ne_u16_e64 s[0:1], s42, v2
	v_bfrev_b32_e32 v27, 1
	s_and_saveexec_b64 s[36:37], s[0:1]
	s_cbranch_execz .LBB245_68
; %bb.65:                               ;   in Loop: Header=BB245_9 Depth=1
	v_and_b32_e32 v30, 0x7f, v2
	v_cmp_ne_u32_e64 s[0:1], s43, v30
	v_mov_b32_e32 v27, 0x7c010000
	s_and_saveexec_b64 s[38:39], s[0:1]
	s_cbranch_execz .LBB245_67
; %bb.66:                               ;   in Loop: Header=BB245_9 Depth=1
	v_and_b32_e32 v27, 7, v2
	v_ffbh_u32_e32 v32, v27
	v_min_u32_e32 v34, 32, v32
	v_subrev_u32_e32 v32, 28, v34
	v_lshlrev_b64 v[32:33], v32, v[2:3]
	v_lshrrev_b32_e32 v31, 3, v30
	v_sub_u32_e32 v33, 29, v34
	v_cmp_gt_u32_e64 s[0:1], 8, v30
	v_lshlrev_b32_e32 v2, 8, v2
	s_nop 0
	v_cndmask_b32_e64 v30, v31, v33, s[0:1]
	v_lshl_add_u32 v30, v30, 10, v15
	v_and_b32_e32 v31, 7, v32
	v_and_or_b32 v2, v2, s44, v30
	v_cndmask_b32_e64 v27, v27, v31, s[0:1]
	v_lshlrev_b32_e32 v2, 16, v2
	v_lshl_or_b32 v27, v27, 23, v2
.LBB245_67:                             ;   in Loop: Header=BB245_9 Depth=1
	s_or_b64 exec, exec, s[38:39]
.LBB245_68:                             ;   in Loop: Header=BB245_9 Depth=1
	s_or_b64 exec, exec, s[36:37]
.LBB245_69:                             ;   in Loop: Header=BB245_9 Depth=1
	s_or_b64 exec, exec, s[34:35]
	global_load_ushort v30, v[8:9], off offset:520
	s_waitcnt vmcnt(0)
	v_and_b32_e32 v2, 0xffff, v30
	v_cmp_ne_u16_sdwa s[0:1], v30, v3 src0_sel:BYTE_0 src1_sel:DWORD
	s_and_saveexec_b64 s[34:35], s[0:1]
	s_cbranch_execz .LBB245_75
; %bb.70:                               ;   in Loop: Header=BB245_9 Depth=1
	v_cmp_ne_u16_sdwa s[0:1], v2, s42 src0_sel:BYTE_0 src1_sel:DWORD
	v_mov_b32_e32 v29, 0x8000
	s_and_saveexec_b64 s[36:37], s[0:1]
	s_cbranch_execz .LBB245_74
; %bb.71:                               ;   in Loop: Header=BB245_9 Depth=1
	v_and_b32_e32 v30, 0x7f, v2
	v_cmp_ne_u32_e64 s[0:1], s43, v30
	v_mov_b32_e32 v29, 0x7c01
	s_and_saveexec_b64 s[38:39], s[0:1]
	s_cbranch_execz .LBB245_73
; %bb.72:                               ;   in Loop: Header=BB245_9 Depth=1
	v_and_b32_e32 v29, 7, v2
	v_ffbh_u32_e32 v32, v29
	v_min_u32_e32 v34, 32, v32
	v_subrev_u32_e32 v32, 28, v34
	v_lshlrev_b64 v[32:33], v32, v[2:3]
	v_lshrrev_b32_e32 v31, 3, v30
	v_sub_u32_e32 v33, 29, v34
	v_cmp_gt_u32_e64 s[0:1], 8, v30
	v_and_b32_e32 v32, 7, v32
	s_nop 0
	v_cndmask_b32_e64 v30, v31, v33, s[0:1]
	v_lshl_add_u32 v30, v30, 10, v15
	v_lshlrev_b32_e32 v31, 8, v2
	v_and_b32_e32 v30, 0xfc00, v30
	v_cndmask_b32_e64 v29, v29, v32, s[0:1]
	v_and_or_b32 v30, v31, s44, v30
	v_lshl_or_b32 v29, v29, 7, v30
.LBB245_73:                             ;   in Loop: Header=BB245_9 Depth=1
	s_or_b64 exec, exec, s[38:39]
.LBB245_74:                             ;   in Loop: Header=BB245_9 Depth=1
	s_or_b64 exec, exec, s[36:37]
.LBB245_75:                             ;   in Loop: Header=BB245_9 Depth=1
	s_or_b64 exec, exec, s[34:35]
	v_lshrrev_b16_e32 v2, 8, v2
	v_cmp_ne_u16_e64 s[0:1], 0, v2
	v_mov_b32_e32 v31, 0
	v_mov_b32_e32 v30, 0
	s_and_saveexec_b64 s[34:35], s[0:1]
	s_cbranch_execz .LBB245_81
; %bb.76:                               ;   in Loop: Header=BB245_9 Depth=1
	v_cmp_ne_u16_e64 s[0:1], s42, v2
	v_bfrev_b32_e32 v30, 1
	s_and_saveexec_b64 s[36:37], s[0:1]
	s_cbranch_execz .LBB245_80
; %bb.77:                               ;   in Loop: Header=BB245_9 Depth=1
	v_and_b32_e32 v32, 0x7f, v2
	v_cmp_ne_u32_e64 s[0:1], s43, v32
	v_mov_b32_e32 v30, 0x7c010000
	s_and_saveexec_b64 s[38:39], s[0:1]
	s_cbranch_execz .LBB245_79
; %bb.78:                               ;   in Loop: Header=BB245_9 Depth=1
	v_and_b32_e32 v30, 7, v2
	v_ffbh_u32_e32 v34, v30
	v_min_u32_e32 v36, 32, v34
	v_subrev_u32_e32 v34, 28, v36
	v_lshlrev_b64 v[34:35], v34, v[2:3]
	v_lshrrev_b32_e32 v33, 3, v32
	v_sub_u32_e32 v35, 29, v36
	v_cmp_gt_u32_e64 s[0:1], 8, v32
	v_lshlrev_b32_e32 v2, 8, v2
	s_nop 0
	v_cndmask_b32_e64 v32, v33, v35, s[0:1]
	v_lshl_add_u32 v32, v32, 10, v15
	v_and_b32_e32 v33, 7, v34
	v_and_or_b32 v2, v2, s44, v32
	v_cndmask_b32_e64 v30, v30, v33, s[0:1]
	v_lshlrev_b32_e32 v2, 16, v2
	v_lshl_or_b32 v30, v30, 23, v2
.LBB245_79:                             ;   in Loop: Header=BB245_9 Depth=1
	s_or_b64 exec, exec, s[38:39]
.LBB245_80:                             ;   in Loop: Header=BB245_9 Depth=1
	s_or_b64 exec, exec, s[36:37]
.LBB245_81:                             ;   in Loop: Header=BB245_9 Depth=1
	s_or_b64 exec, exec, s[34:35]
	global_load_ushort v32, v[8:9], off offset:768
	s_waitcnt vmcnt(0)
	v_and_b32_e32 v2, 0xffff, v32
	v_cmp_ne_u16_sdwa s[0:1], v32, v3 src0_sel:BYTE_0 src1_sel:DWORD
	s_and_saveexec_b64 s[34:35], s[0:1]
	s_cbranch_execz .LBB245_87
; %bb.82:                               ;   in Loop: Header=BB245_9 Depth=1
	v_cmp_ne_u16_sdwa s[0:1], v2, s42 src0_sel:BYTE_0 src1_sel:DWORD
	v_mov_b32_e32 v31, 0x8000
	s_and_saveexec_b64 s[36:37], s[0:1]
	s_cbranch_execz .LBB245_86
; %bb.83:                               ;   in Loop: Header=BB245_9 Depth=1
	v_and_b32_e32 v32, 0x7f, v2
	v_cmp_ne_u32_e64 s[0:1], s43, v32
	v_mov_b32_e32 v31, 0x7c01
	s_and_saveexec_b64 s[38:39], s[0:1]
	s_cbranch_execz .LBB245_85
; %bb.84:                               ;   in Loop: Header=BB245_9 Depth=1
	v_and_b32_e32 v31, 7, v2
	v_ffbh_u32_e32 v34, v31
	v_min_u32_e32 v36, 32, v34
	v_subrev_u32_e32 v34, 28, v36
	v_lshlrev_b64 v[34:35], v34, v[2:3]
	v_lshrrev_b32_e32 v33, 3, v32
	v_sub_u32_e32 v35, 29, v36
	v_cmp_gt_u32_e64 s[0:1], 8, v32
	v_and_b32_e32 v34, 7, v34
	s_nop 0
	v_cndmask_b32_e64 v32, v33, v35, s[0:1]
	v_lshl_add_u32 v32, v32, 10, v15
	v_lshlrev_b32_e32 v33, 8, v2
	v_and_b32_e32 v32, 0xfc00, v32
	v_cndmask_b32_e64 v31, v31, v34, s[0:1]
	v_and_or_b32 v32, v33, s44, v32
	v_lshl_or_b32 v31, v31, 7, v32
.LBB245_85:                             ;   in Loop: Header=BB245_9 Depth=1
	s_or_b64 exec, exec, s[38:39]
.LBB245_86:                             ;   in Loop: Header=BB245_9 Depth=1
	s_or_b64 exec, exec, s[36:37]
.LBB245_87:                             ;   in Loop: Header=BB245_9 Depth=1
	s_or_b64 exec, exec, s[34:35]
	v_lshrrev_b16_e32 v2, 8, v2
	v_cmp_ne_u16_e64 s[0:1], 0, v2
	v_mov_b32_e32 v33, 0
	v_mov_b32_e32 v32, 0
	s_and_saveexec_b64 s[34:35], s[0:1]
	s_cbranch_execz .LBB245_93
; %bb.88:                               ;   in Loop: Header=BB245_9 Depth=1
	v_cmp_ne_u16_e64 s[0:1], s42, v2
	v_bfrev_b32_e32 v32, 1
	s_and_saveexec_b64 s[36:37], s[0:1]
	s_cbranch_execz .LBB245_92
; %bb.89:                               ;   in Loop: Header=BB245_9 Depth=1
	v_and_b32_e32 v34, 0x7f, v2
	v_cmp_ne_u32_e64 s[0:1], s43, v34
	v_mov_b32_e32 v32, 0x7c010000
	s_and_saveexec_b64 s[38:39], s[0:1]
	s_cbranch_execz .LBB245_91
; %bb.90:                               ;   in Loop: Header=BB245_9 Depth=1
	v_and_b32_e32 v32, 7, v2
	v_ffbh_u32_e32 v36, v32
	v_min_u32_e32 v38, 32, v36
	v_subrev_u32_e32 v36, 28, v38
	v_lshlrev_b64 v[36:37], v36, v[2:3]
	v_lshrrev_b32_e32 v35, 3, v34
	v_sub_u32_e32 v37, 29, v38
	v_cmp_gt_u32_e64 s[0:1], 8, v34
	v_lshlrev_b32_e32 v2, 8, v2
	s_nop 0
	v_cndmask_b32_e64 v34, v35, v37, s[0:1]
	v_lshl_add_u32 v34, v34, 10, v15
	v_and_b32_e32 v35, 7, v36
	v_and_or_b32 v2, v2, s44, v34
	v_cndmask_b32_e64 v32, v32, v35, s[0:1]
	v_lshlrev_b32_e32 v2, 16, v2
	v_lshl_or_b32 v32, v32, 23, v2
.LBB245_91:                             ;   in Loop: Header=BB245_9 Depth=1
	s_or_b64 exec, exec, s[38:39]
.LBB245_92:                             ;   in Loop: Header=BB245_9 Depth=1
	s_or_b64 exec, exec, s[36:37]
.LBB245_93:                             ;   in Loop: Header=BB245_9 Depth=1
	s_or_b64 exec, exec, s[34:35]
	global_load_ushort v34, v[8:9], off offset:776
	s_waitcnt vmcnt(0)
	v_and_b32_e32 v2, 0xffff, v34
	v_cmp_ne_u16_sdwa s[0:1], v34, v3 src0_sel:BYTE_0 src1_sel:DWORD
	s_and_saveexec_b64 s[34:35], s[0:1]
	s_cbranch_execz .LBB245_99
; %bb.94:                               ;   in Loop: Header=BB245_9 Depth=1
	v_cmp_ne_u16_sdwa s[0:1], v2, s42 src0_sel:BYTE_0 src1_sel:DWORD
	v_mov_b32_e32 v33, 0x8000
	s_and_saveexec_b64 s[36:37], s[0:1]
	s_cbranch_execz .LBB245_98
; %bb.95:                               ;   in Loop: Header=BB245_9 Depth=1
	v_and_b32_e32 v34, 0x7f, v2
	v_cmp_ne_u32_e64 s[0:1], s43, v34
	v_mov_b32_e32 v33, 0x7c01
	s_and_saveexec_b64 s[38:39], s[0:1]
	s_cbranch_execz .LBB245_97
; %bb.96:                               ;   in Loop: Header=BB245_9 Depth=1
	v_and_b32_e32 v33, 7, v2
	v_ffbh_u32_e32 v36, v33
	v_min_u32_e32 v38, 32, v36
	v_subrev_u32_e32 v36, 28, v38
	v_lshlrev_b64 v[36:37], v36, v[2:3]
	v_lshrrev_b32_e32 v35, 3, v34
	v_sub_u32_e32 v37, 29, v38
	v_cmp_gt_u32_e64 s[0:1], 8, v34
	v_and_b32_e32 v36, 7, v36
	s_nop 0
	v_cndmask_b32_e64 v34, v35, v37, s[0:1]
	v_lshl_add_u32 v34, v34, 10, v15
	v_lshlrev_b32_e32 v35, 8, v2
	v_and_b32_e32 v34, 0xfc00, v34
	v_cndmask_b32_e64 v33, v33, v36, s[0:1]
	v_and_or_b32 v34, v35, s44, v34
	v_lshl_or_b32 v33, v33, 7, v34
.LBB245_97:                             ;   in Loop: Header=BB245_9 Depth=1
	s_or_b64 exec, exec, s[38:39]
.LBB245_98:                             ;   in Loop: Header=BB245_9 Depth=1
	s_or_b64 exec, exec, s[36:37]
.LBB245_99:                             ;   in Loop: Header=BB245_9 Depth=1
	s_or_b64 exec, exec, s[34:35]
	v_lshrrev_b16_e32 v2, 8, v2
	v_cmp_ne_u16_e64 s[0:1], 0, v2
	v_mov_b32_e32 v35, 0
	v_mov_b32_e32 v34, 0
	s_and_saveexec_b64 s[34:35], s[0:1]
	s_cbranch_execz .LBB245_105
; %bb.100:                              ;   in Loop: Header=BB245_9 Depth=1
	v_cmp_ne_u16_e64 s[0:1], s42, v2
	v_bfrev_b32_e32 v34, 1
	s_and_saveexec_b64 s[36:37], s[0:1]
	s_cbranch_execz .LBB245_104
; %bb.101:                              ;   in Loop: Header=BB245_9 Depth=1
	v_and_b32_e32 v36, 0x7f, v2
	v_cmp_ne_u32_e64 s[0:1], s43, v36
	v_mov_b32_e32 v34, 0x7c010000
	s_and_saveexec_b64 s[38:39], s[0:1]
	s_cbranch_execz .LBB245_103
; %bb.102:                              ;   in Loop: Header=BB245_9 Depth=1
	v_and_b32_e32 v34, 7, v2
	v_ffbh_u32_e32 v38, v34
	v_min_u32_e32 v40, 32, v38
	v_subrev_u32_e32 v38, 28, v40
	v_lshlrev_b64 v[38:39], v38, v[2:3]
	v_lshrrev_b32_e32 v37, 3, v36
	v_sub_u32_e32 v39, 29, v40
	v_cmp_gt_u32_e64 s[0:1], 8, v36
	v_lshlrev_b32_e32 v2, 8, v2
	s_nop 0
	v_cndmask_b32_e64 v36, v37, v39, s[0:1]
	v_lshl_add_u32 v36, v36, 10, v15
	v_and_b32_e32 v37, 7, v38
	v_and_or_b32 v2, v2, s44, v36
	v_cndmask_b32_e64 v34, v34, v37, s[0:1]
	v_lshlrev_b32_e32 v2, 16, v2
	v_lshl_or_b32 v34, v34, 23, v2
.LBB245_103:                            ;   in Loop: Header=BB245_9 Depth=1
	s_or_b64 exec, exec, s[38:39]
.LBB245_104:                            ;   in Loop: Header=BB245_9 Depth=1
	s_or_b64 exec, exec, s[36:37]
.LBB245_105:                            ;   in Loop: Header=BB245_9 Depth=1
	s_or_b64 exec, exec, s[34:35]
	global_load_ushort v36, v[8:9], off offset:1024
	s_waitcnt vmcnt(0)
	v_and_b32_e32 v2, 0xffff, v36
	v_cmp_ne_u16_sdwa s[0:1], v36, v3 src0_sel:BYTE_0 src1_sel:DWORD
	s_and_saveexec_b64 s[34:35], s[0:1]
	s_cbranch_execz .LBB245_111
; %bb.106:                              ;   in Loop: Header=BB245_9 Depth=1
	v_cmp_ne_u16_sdwa s[0:1], v2, s42 src0_sel:BYTE_0 src1_sel:DWORD
	v_mov_b32_e32 v35, 0x8000
	s_and_saveexec_b64 s[36:37], s[0:1]
	s_cbranch_execz .LBB245_110
; %bb.107:                              ;   in Loop: Header=BB245_9 Depth=1
	v_and_b32_e32 v36, 0x7f, v2
	v_cmp_ne_u32_e64 s[0:1], s43, v36
	v_mov_b32_e32 v35, 0x7c01
	s_and_saveexec_b64 s[38:39], s[0:1]
	s_cbranch_execz .LBB245_109
; %bb.108:                              ;   in Loop: Header=BB245_9 Depth=1
	v_and_b32_e32 v35, 7, v2
	v_ffbh_u32_e32 v38, v35
	v_min_u32_e32 v40, 32, v38
	v_subrev_u32_e32 v38, 28, v40
	v_lshlrev_b64 v[38:39], v38, v[2:3]
	v_lshrrev_b32_e32 v37, 3, v36
	v_sub_u32_e32 v39, 29, v40
	v_cmp_gt_u32_e64 s[0:1], 8, v36
	v_and_b32_e32 v38, 7, v38
	s_nop 0
	v_cndmask_b32_e64 v36, v37, v39, s[0:1]
	v_lshl_add_u32 v36, v36, 10, v15
	v_lshlrev_b32_e32 v37, 8, v2
	v_and_b32_e32 v36, 0xfc00, v36
	v_cndmask_b32_e64 v35, v35, v38, s[0:1]
	v_and_or_b32 v36, v37, s44, v36
	v_lshl_or_b32 v35, v35, 7, v36
.LBB245_109:                            ;   in Loop: Header=BB245_9 Depth=1
	s_or_b64 exec, exec, s[38:39]
.LBB245_110:                            ;   in Loop: Header=BB245_9 Depth=1
	s_or_b64 exec, exec, s[36:37]
.LBB245_111:                            ;   in Loop: Header=BB245_9 Depth=1
	s_or_b64 exec, exec, s[34:35]
	v_lshrrev_b16_e32 v2, 8, v2
	v_cmp_ne_u16_e64 s[0:1], 0, v2
	v_mov_b32_e32 v36, 0
	v_mov_b32_e32 v37, 0
	s_and_saveexec_b64 s[34:35], s[0:1]
	s_cbranch_execz .LBB245_117
; %bb.112:                              ;   in Loop: Header=BB245_9 Depth=1
	v_cmp_ne_u16_e64 s[0:1], s42, v2
	v_bfrev_b32_e32 v37, 1
	s_and_saveexec_b64 s[36:37], s[0:1]
	s_cbranch_execz .LBB245_116
; %bb.113:                              ;   in Loop: Header=BB245_9 Depth=1
	v_and_b32_e32 v38, 0x7f, v2
	v_cmp_ne_u32_e64 s[0:1], s43, v38
	v_mov_b32_e32 v37, 0x7c010000
	s_and_saveexec_b64 s[38:39], s[0:1]
	s_cbranch_execz .LBB245_115
; %bb.114:                              ;   in Loop: Header=BB245_9 Depth=1
	v_and_b32_e32 v37, 7, v2
	v_ffbh_u32_e32 v40, v37
	v_min_u32_e32 v42, 32, v40
	v_subrev_u32_e32 v40, 28, v42
	v_lshlrev_b64 v[40:41], v40, v[2:3]
	v_lshrrev_b32_e32 v39, 3, v38
	v_sub_u32_e32 v41, 29, v42
	v_cmp_gt_u32_e64 s[0:1], 8, v38
	v_lshlrev_b32_e32 v2, 8, v2
	s_nop 0
	v_cndmask_b32_e64 v38, v39, v41, s[0:1]
	v_lshl_add_u32 v38, v38, 10, v15
	v_and_b32_e32 v39, 7, v40
	v_and_or_b32 v2, v2, s44, v38
	v_cndmask_b32_e64 v37, v37, v39, s[0:1]
	v_lshlrev_b32_e32 v2, 16, v2
	v_lshl_or_b32 v37, v37, 23, v2
.LBB245_115:                            ;   in Loop: Header=BB245_9 Depth=1
	s_or_b64 exec, exec, s[38:39]
.LBB245_116:                            ;   in Loop: Header=BB245_9 Depth=1
	s_or_b64 exec, exec, s[36:37]
.LBB245_117:                            ;   in Loop: Header=BB245_9 Depth=1
	s_or_b64 exec, exec, s[34:35]
	global_load_ushort v8, v[8:9], off offset:1032
	s_waitcnt vmcnt(0)
	v_and_b32_e32 v2, 0xffff, v8
	v_cmp_ne_u16_sdwa s[0:1], v8, v3 src0_sel:BYTE_0 src1_sel:DWORD
	s_and_saveexec_b64 s[34:35], s[0:1]
	s_cbranch_execz .LBB245_123
; %bb.118:                              ;   in Loop: Header=BB245_9 Depth=1
	v_cmp_ne_u16_sdwa s[0:1], v2, s42 src0_sel:BYTE_0 src1_sel:DWORD
	v_mov_b32_e32 v36, 0x8000
	s_and_saveexec_b64 s[36:37], s[0:1]
	s_cbranch_execz .LBB245_122
; %bb.119:                              ;   in Loop: Header=BB245_9 Depth=1
	v_and_b32_e32 v8, 0x7f, v2
	v_cmp_ne_u32_e64 s[0:1], s43, v8
	v_mov_b32_e32 v36, 0x7c01
	s_and_saveexec_b64 s[38:39], s[0:1]
	s_cbranch_execz .LBB245_121
; %bb.120:                              ;   in Loop: Header=BB245_9 Depth=1
	v_and_b32_e32 v9, 7, v2
	v_ffbh_u32_e32 v38, v9
	v_min_u32_e32 v40, 32, v38
	v_subrev_u32_e32 v38, 28, v40
	v_lshlrev_b64 v[38:39], v38, v[2:3]
	v_lshrrev_b32_e32 v36, 3, v8
	v_sub_u32_e32 v39, 29, v40
	v_cmp_gt_u32_e64 s[0:1], 8, v8
	v_and_b32_e32 v38, 7, v38
	s_nop 0
	v_cndmask_b32_e64 v8, v36, v39, s[0:1]
	v_lshl_add_u32 v8, v8, 10, v15
	v_lshlrev_b32_e32 v36, 8, v2
	v_and_b32_e32 v8, 0xfc00, v8
	v_cndmask_b32_e64 v9, v9, v38, s[0:1]
	v_and_or_b32 v8, v36, s44, v8
	v_lshl_or_b32 v36, v9, 7, v8
.LBB245_121:                            ;   in Loop: Header=BB245_9 Depth=1
	s_or_b64 exec, exec, s[38:39]
.LBB245_122:                            ;   in Loop: Header=BB245_9 Depth=1
	s_or_b64 exec, exec, s[36:37]
.LBB245_123:                            ;   in Loop: Header=BB245_9 Depth=1
	s_or_b64 exec, exec, s[34:35]
	v_lshrrev_b16_e32 v2, 8, v2
	v_cmp_ne_u16_e64 s[0:1], 0, v2
	v_mov_b32_e32 v8, 0
	s_and_saveexec_b64 s[34:35], s[0:1]
	s_cbranch_execz .LBB245_129
; %bb.124:                              ;   in Loop: Header=BB245_9 Depth=1
	v_cmp_ne_u16_e64 s[0:1], s42, v2
	v_bfrev_b32_e32 v8, 1
	s_and_saveexec_b64 s[36:37], s[0:1]
	s_cbranch_execz .LBB245_128
; %bb.125:                              ;   in Loop: Header=BB245_9 Depth=1
	v_and_b32_e32 v9, 0x7f, v2
	v_cmp_ne_u32_e64 s[0:1], s43, v9
	v_mov_b32_e32 v8, 0x7c010000
	s_and_saveexec_b64 s[38:39], s[0:1]
	s_cbranch_execz .LBB245_127
; %bb.126:                              ;   in Loop: Header=BB245_9 Depth=1
	v_and_b32_e32 v8, 7, v2
	v_ffbh_u32_e32 v38, v8
	v_min_u32_e32 v41, 32, v38
	v_subrev_u32_e32 v38, 28, v41
	v_lshlrev_b64 v[38:39], v38, v[2:3]
	v_lshrrev_b32_e32 v40, 3, v9
	v_sub_u32_e32 v39, 29, v41
	v_cmp_gt_u32_e64 s[0:1], 8, v9
	v_lshlrev_b32_e32 v2, 8, v2
	v_and_b32_e32 v38, 7, v38
	v_cndmask_b32_e64 v9, v40, v39, s[0:1]
	v_lshl_add_u32 v9, v9, 10, v15
	v_and_or_b32 v2, v2, s44, v9
	v_cndmask_b32_e64 v8, v8, v38, s[0:1]
	v_lshlrev_b32_e32 v2, 16, v2
	v_lshl_or_b32 v8, v8, 23, v2
.LBB245_127:                            ;   in Loop: Header=BB245_9 Depth=1
	s_or_b64 exec, exec, s[38:39]
.LBB245_128:                            ;   in Loop: Header=BB245_9 Depth=1
	s_or_b64 exec, exec, s[36:37]
.LBB245_129:                            ;   in Loop: Header=BB245_9 Depth=1
	s_or_b64 exec, exec, s[34:35]
	v_or_b32_e32 v2, v37, v35
	ds_read_b32 v35, v12
	v_or_b32_e32 v18, v20, v18
	v_fma_mixlo_f16 v18, v17, v18, 0 op_sel_hi:[0,1,0]
	v_fma_mixlo_f16 v20, v17, v20, 0 op_sel:[0,1,0] op_sel_hi:[0,1,0]
	v_fma_mixlo_f16 v9, v17, v37, 0 op_sel:[0,1,0] op_sel_hi:[0,1,0]
	s_waitcnt lgkmcnt(0)
	v_lshrrev_b32_e32 v37, 16, v35
	v_and_b32_e32 v35, 0xffff, v35
	v_and_b32_e32 v18, 0xffff, v18
	;; [unrolled: 1-line block ×3, first 2 shown]
	;;#ASMSTART
	v_cvt_f32_f16 v35, v35;
	;;#ASMEND
	;;#ASMSTART
	v_cvt_f32_f16 v37, v37;
	;;#ASMEND
	;;#ASMSTART
	v_cvt_f32_f16 v18, v18;
	;;#ASMEND
	;;#ASMSTART
	v_cvt_f32_f16 v20, v20;
	;;#ASMEND
	ds_read_b32 v38, v12 offset:4
	v_or_b32_e32 v19, v22, v19
	v_fma_mixlo_f16 v19, v17, v19, 0 op_sel_hi:[0,1,0]
	v_fma_mixlo_f16 v22, v17, v22, 0 op_sel:[0,1,0] op_sel_hi:[0,1,0]
	v_and_b32_e32 v19, 0xffff, v19
	s_waitcnt lgkmcnt(0)
	v_lshrrev_b32_e32 v39, 16, v38
	v_and_b32_e32 v38, 0xffff, v38
	v_and_b32_e32 v22, 0xffff, v22
	;;#ASMSTART
	v_cvt_f32_f16 v38, v38;
	;;#ASMEND
	;;#ASMSTART
	v_cvt_f32_f16 v39, v39;
	;;#ASMEND
	;;#ASMSTART
	v_cvt_f32_f16 v19, v19;
	;;#ASMEND
	;;#ASMSTART
	v_cvt_f32_f16 v22, v22;
	;;#ASMEND
	ds_read_b32 v40, v12 offset:8
	v_or_b32_e32 v21, v24, v21
	v_fma_mixlo_f16 v21, v17, v21, 0 op_sel_hi:[0,1,0]
	v_fma_mixlo_f16 v24, v17, v24, 0 op_sel:[0,1,0] op_sel_hi:[0,1,0]
	v_and_b32_e32 v21, 0xffff, v21
	s_waitcnt lgkmcnt(0)
	v_lshrrev_b32_e32 v41, 16, v40
	v_and_b32_e32 v40, 0xffff, v40
	v_and_b32_e32 v24, 0xffff, v24
	;; [unrolled: 21-line block ×4, first 2 shown]
	;;#ASMSTART
	v_cvt_f32_f16 v44, v44;
	;;#ASMEND
	;;#ASMSTART
	v_cvt_f32_f16 v45, v45;
	;;#ASMEND
	;;#ASMSTART
	v_cvt_f32_f16 v25, v25;
	;;#ASMEND
	;;#ASMSTART
	v_cvt_f32_f16 v27, v27;
	;;#ASMEND
	ds_read_b32 v46, v12 offset:20
	v_or_b32_e32 v33, v34, v33
	v_or_b32_e32 v31, v32, v31
	;; [unrolled: 1-line block ×4, first 2 shown]
	v_fma_mixlo_f16 v2, v17, v2, 0 op_sel_hi:[0,1,0]
	v_fma_mixlo_f16 v33, v17, v33, 0 op_sel_hi:[0,1,0]
	v_fma_mixlo_f16 v34, v17, v34, 0 op_sel:[0,1,0] op_sel_hi:[0,1,0]
	v_fma_mixlo_f16 v31, v17, v31, 0 op_sel_hi:[0,1,0]
	v_fma_mixlo_f16 v32, v17, v32, 0 op_sel:[0,1,0] op_sel_hi:[0,1,0]
	;; [unrolled: 2-line block ×4, first 2 shown]
	v_mul_f32_e32 v17, v38, v19
	v_fmac_f32_e32 v17, v35, v18
	s_waitcnt lgkmcnt(0)
	v_lshrrev_b32_e32 v19, 16, v46
	v_and_b32_e32 v18, 0xffff, v46
	v_and_b32_e32 v29, 0xffff, v29
	;; [unrolled: 1-line block ×3, first 2 shown]
	;;#ASMSTART
	v_cvt_f32_f16 v18, v18;
	;;#ASMEND
	;;#ASMSTART
	v_cvt_f32_f16 v19, v19;
	;;#ASMEND
	;; [unrolled: 3-line block ×4, first 2 shown]
	ds_read_b32 v35, v12 offset:24
	v_mul_f32_e32 v22, v39, v22
	v_fmac_f32_e32 v22, v37, v20
	v_fmac_f32_e32 v17, v40, v21
	;; [unrolled: 1-line block ×3, first 2 shown]
	s_waitcnt lgkmcnt(0)
	v_lshrrev_b32_e32 v21, 16, v35
	v_and_b32_e32 v20, 0xffff, v35
	v_and_b32_e32 v24, 0xffff, v31
	;; [unrolled: 1-line block ×3, first 2 shown]
	;;#ASMSTART
	v_cvt_f32_f16 v20, v20;
	;;#ASMEND
	;;#ASMSTART
	v_cvt_f32_f16 v21, v21;
	;;#ASMEND
	;; [unrolled: 3-line block ×4, first 2 shown]
	ds_read_b32 v32, v12 offset:28
	v_fmac_f32_e32 v17, v42, v23
	v_fmac_f32_e32 v22, v43, v26
	;; [unrolled: 1-line block ×4, first 2 shown]
	s_waitcnt lgkmcnt(0)
	v_lshrrev_b32_e32 v25, 16, v32
	v_and_b32_e32 v23, 0xffff, v32
	v_and_b32_e32 v26, 0xffff, v33
	;; [unrolled: 1-line block ×3, first 2 shown]
	;;#ASMSTART
	v_cvt_f32_f16 v23, v23;
	;;#ASMEND
	;;#ASMSTART
	v_cvt_f32_f16 v25, v25;
	;;#ASMEND
	;; [unrolled: 3-line block ×4, first 2 shown]
	ds_read_b32 v32, v12 offset:32
	v_fmac_f32_e32 v17, v18, v29
	v_fmac_f32_e32 v22, v19, v30
	v_and_b32_e32 v2, 0xffff, v2
	v_and_b32_e32 v9, 0xffff, v9
	s_waitcnt lgkmcnt(0)
	v_lshrrev_b32_e32 v19, 16, v32
	v_and_b32_e32 v18, 0xffff, v32
	v_fmac_f32_e32 v17, v20, v24
	;;#ASMSTART
	v_cvt_f32_f16 v18, v18;
	;;#ASMEND
	;;#ASMSTART
	v_cvt_f32_f16 v19, v19;
	;;#ASMEND
	;;#ASMSTART
	v_cvt_f32_f16 v2, v2;
	;;#ASMEND
	;;#ASMSTART
	v_cvt_f32_f16 v9, v9;
	;;#ASMEND
	ds_read_b32 v20, v12 offset:36
	v_fmac_f32_e32 v22, v21, v31
	v_fmac_f32_e32 v17, v23, v26
	v_fmac_f32_e32 v22, v25, v27
	v_fmac_f32_e32 v17, v18, v2
	v_fmac_f32_e32 v22, v19, v9
	s_waitcnt lgkmcnt(0)
	v_lshrrev_b32_e32 v9, 16, v20
	v_and_b32_e32 v2, 0xffff, v20
	v_and_b32_e32 v18, 0xffff, v36
	;; [unrolled: 1-line block ×3, first 2 shown]
	;;#ASMSTART
	v_cvt_f32_f16 v2, v2;
	;;#ASMEND
	;;#ASMSTART
	v_cvt_f32_f16 v9, v9;
	;;#ASMEND
	;; [unrolled: 3-line block ×4, first 2 shown]
	s_nop 0
	v_fmac_f32_e32 v17, v2, v18
	v_fmac_f32_e32 v22, v9, v8
	v_and_b32_e32 v8, 64, v10
	v_add_f32_e32 v9, v17, v22
	v_add_u32_e32 v2, 64, v8
	v_xor_b32_e32 v17, 2, v10
	v_cmp_lt_i32_e64 s[0:1], v17, v2
	s_nop 1
	v_cndmask_b32_e64 v17, v10, v17, s[0:1]
	v_lshlrev_b32_e32 v17, 2, v17
	ds_bpermute_b32 v17, v17, v9
	s_waitcnt lgkmcnt(0)
	v_add_f32_e32 v9, v9, v17
	v_xor_b32_e32 v17, 1, v10
	v_cmp_lt_i32_e64 s[0:1], v17, v2
	s_nop 1
	v_cndmask_b32_e64 v17, v10, v17, s[0:1]
	v_lshlrev_b32_e32 v17, 2, v17
	ds_bpermute_b32 v17, v17, v9
	s_and_saveexec_b64 s[34:35], vcc
	s_cbranch_execz .LBB245_8
; %bb.130:                              ;   in Loop: Header=BB245_9 Depth=1
	v_add_u32_e32 v18, s41, v13
	v_cvt_f32_i32_e32 v18, v18
	s_waitcnt lgkmcnt(0)
	v_add_f32_e32 v9, v9, v17
	v_cmp_gt_i32_e64 s[0:1], s33, v13
	v_max_f32_e32 v17, v11, v11
	v_mul_f32_e32 v18, s28, v18
	v_cndmask_b32_e64 v18, 0, v18, s[2:3]
	v_fmac_f32_e32 v18, s29, v9
	v_cndmask_b32_e64 v9, 0, v18, s[0:1]
	ds_write_b32 v14, v9
	v_max_f32_e32 v9, v17, v18
	v_cndmask_b32_e64 v11, v11, v9, s[0:1]
	s_branch .LBB245_8
.LBB245_131:
	s_or_b64 exec, exec, s[14:15]
.LBB245_132:
	s_or_b64 exec, exec, s[30:31]
	v_xor_b32_e32 v3, 32, v10
	v_cmp_lt_i32_e32 vcc, v3, v2
	v_xor_b32_e32 v6, 16, v10
	v_max_f32_e32 v5, v11, v11
	v_cndmask_b32_e32 v3, v10, v3, vcc
	v_lshlrev_b32_e32 v3, 2, v3
	ds_bpermute_b32 v4, v3, v11
	v_cmp_lt_i32_e32 vcc, v6, v2
	v_xor_b32_e32 v7, 8, v10
	v_xor_b32_e32 v11, 4, v10
	s_waitcnt lgkmcnt(0)
	v_max_f32_e32 v4, v4, v4
	v_max_f32_e32 v4, v5, v4
	v_cndmask_b32_e32 v5, v10, v6, vcc
	v_lshlrev_b32_e32 v5, 2, v5
	ds_bpermute_b32 v6, v5, v4
	v_cmp_lt_i32_e32 vcc, v7, v2
	s_waitcnt lgkmcnt(0)
	v_max_f32_e32 v6, v6, v6
	v_max_f32_e32 v4, v4, v6
	v_cndmask_b32_e32 v6, v10, v7, vcc
	v_lshlrev_b32_e32 v9, 2, v6
	ds_bpermute_b32 v6, v9, v4
	v_cmp_lt_i32_e32 vcc, v11, v2
	s_waitcnt lgkmcnt(0)
	v_max_f32_e32 v6, v6, v6
	v_max_f32_e32 v7, v4, v6
	v_cndmask_b32_e32 v4, v10, v11, vcc
	v_lshlrev_b32_e32 v11, 2, v4
	ds_bpermute_b32 v12, v11, v7
	v_and_b32_e32 v4, 63, v0
	v_cmp_eq_u32_e32 vcc, 0, v4
	v_lshlrev_b32_e32 v6, 2, v28
	s_and_saveexec_b64 s[0:1], vcc
	s_cbranch_execz .LBB245_134
; %bb.133:
	s_waitcnt lgkmcnt(0)
	v_max_f32_e32 v12, v12, v12
	v_max_f32_e32 v7, v7, v7
	;; [unrolled: 1-line block ×3, first 2 shown]
	ds_write_b32 v6, v7 offset:160
.LBB245_134:
	s_or_b64 exec, exec, s[0:1]
	v_cmp_gt_u32_e64 s[0:1], 2, v4
	s_waitcnt lgkmcnt(0)
	v_mov_b32_e32 v12, 0xff7fffff
	v_lshlrev_b32_e32 v7, 2, v4
	s_barrier
	s_and_saveexec_b64 s[2:3], s[0:1]
; %bb.135:
	ds_read_b32 v12, v7 offset:160
; %bb.136:
	s_or_b64 exec, exec, s[2:3]
	v_xor_b32_e32 v13, 1, v10
	v_cmp_lt_i32_e64 s[2:3], v13, v2
	v_lshlrev_b32_e32 v8, 2, v8
	s_nop 0
	v_cndmask_b32_e64 v13, v10, v13, s[2:3]
	v_lshlrev_b32_e32 v29, 2, v13
	s_waitcnt lgkmcnt(0)
	ds_bpermute_b32 v13, v29, v12
	v_max_f32_e32 v12, v12, v12
	s_lshl_b32 s2, s19, 4
	s_min_i32 s30, s2, s33
	v_cmp_gt_i32_e64 s[2:3], s30, v0
	s_waitcnt lgkmcnt(0)
	v_max_f32_e32 v13, v13, v13
	v_max_f32_e32 v12, v12, v13
	ds_bpermute_b32 v12, v8, v12
	v_mov_b32_e32 v8, 0
	s_and_saveexec_b64 s[14:15], s[2:3]
	s_cbranch_execz .LBB245_140
; %bb.137:
	v_mov_b32_e32 v8, 0xb0
	v_lshl_add_u32 v13, v0, 2, v8
	v_mov_b32_e32 v8, 0
	s_mov_b64 s[28:29], 0
	v_mov_b32_e32 v14, v0
.LBB245_138:                            ; =>This Inner Loop Header: Depth=1
	ds_read_b32 v15, v13
	v_add_u32_e32 v14, 0x80, v14
	v_cmp_le_i32_e64 s[8:9], s30, v14
	s_or_b64 s[28:29], s[8:9], s[28:29]
	s_waitcnt lgkmcnt(0)
	v_sub_f32_e32 v15, v15, v12
	v_mul_f32_e32 v15, 0x3fb8aa3b, v15
	v_exp_f32_e32 v15, v15
	ds_write_b32 v13, v15
	v_add_f32_e32 v8, v8, v15
	v_add_u32_e32 v13, 0x200, v13
	s_andn2_b64 exec, exec, s[28:29]
	s_cbranch_execnz .LBB245_138
; %bb.139:
	s_or_b64 exec, exec, s[28:29]
.LBB245_140:
	s_or_b64 exec, exec, s[14:15]
	ds_bpermute_b32 v3, v3, v8
	s_waitcnt lgkmcnt(0)
	v_add_f32_e32 v3, v8, v3
	ds_bpermute_b32 v5, v5, v3
	v_xor_b32_e32 v8, 2, v10
	v_cmp_lt_i32_e64 s[8:9], v8, v2
	s_waitcnt lgkmcnt(0)
	v_add_f32_e32 v3, v3, v5
	ds_bpermute_b32 v5, v9, v3
	v_cndmask_b32_e64 v2, v10, v8, s[8:9]
	v_lshlrev_b32_e32 v2, 2, v2
	s_waitcnt lgkmcnt(0)
	v_add_f32_e32 v3, v3, v5
	ds_bpermute_b32 v5, v11, v3
	s_waitcnt lgkmcnt(0)
	v_add_f32_e32 v3, v3, v5
	ds_bpermute_b32 v2, v2, v3
	s_waitcnt lgkmcnt(0)
	v_add_f32_e32 v2, v3, v2
	ds_bpermute_b32 v3, v29, v2
	s_waitcnt lgkmcnt(0)
	v_add_f32_e32 v2, v2, v3
	s_and_saveexec_b64 s[8:9], vcc
; %bb.141:
	ds_write_b32 v6, v2 offset:168
; %bb.142:
	s_or_b64 exec, exec, s[8:9]
	s_waitcnt lgkmcnt(0)
	s_barrier
	s_and_saveexec_b64 s[8:9], s[0:1]
; %bb.143:
	ds_read_b32 v2, v7 offset:168
; %bb.144:
	s_or_b64 exec, exec, s[8:9]
	s_waitcnt lgkmcnt(0)
	ds_bpermute_b32 v3, v29, v2
	v_lshlrev_b32_e32 v5, 2, v10
	s_waitcnt lgkmcnt(0)
	v_add_f32_e32 v2, v2, v3
	v_and_b32_e32 v3, 0xffffff00, v5
	ds_bpermute_b32 v2, v3, v2
	s_and_saveexec_b64 s[0:1], s[2:3]
	s_cbranch_execz .LBB245_157
; %bb.145:
	s_waitcnt lgkmcnt(0)
	v_add_f32_e32 v2, 0x358637bd, v2
	v_div_scale_f32 v3, s[2:3], v2, v2, 1.0
	v_rcp_f32_e32 v5, v3
	v_div_scale_f32 v6, vcc, 1.0, v2, 1.0
	s_movk_i32 s2, 0x7f
	v_fma_f32 v7, -v3, v5, 1.0
	v_fmac_f32_e32 v5, v7, v5
	v_mul_f32_e32 v7, v6, v5
	v_fma_f32 v8, -v3, v7, v6
	v_fmac_f32_e32 v7, v8, v5
	v_fma_f32 v3, -v3, v7, v6
	v_div_fmas_f32 v3, v3, v5, v7
	v_xad_u32 v5, v0, -1, s30
	v_div_fixup_f32 v2, v3, v2, 1.0
	v_cmp_lt_u32_e32 vcc, s2, v5
	s_mov_b64 s[8:9], -1
	v_mov_b32_e32 v3, v0
	s_and_saveexec_b64 s[2:3], vcc
	s_cbranch_execz .LBB245_154
; %bb.146:
	v_lshrrev_b32_e32 v5, 7, v5
	v_add_u32_e32 v7, -1, v5
	v_lshrrev_b32_e32 v6, 1, v7
	v_mov_b32_e32 v3, v2
	v_add_u32_e32 v6, 1, v6
	v_cmp_lt_u32_e32 vcc, 13, v7
	v_mov_b32_e32 v9, 0
	s_and_saveexec_b64 s[8:9], vcc
	s_cbranch_execz .LBB245_150
; %bb.147:
	v_mov_b32_e32 v8, 0xb0
	v_and_b32_e32 v7, -8, v6
	v_lshl_add_u32 v8, v0, 2, v8
	s_mov_b32 s28, 0
	s_mov_b64 s[14:15], 0
.LBB245_148:                            ; =>This Inner Loop Header: Depth=1
	ds_read2st64_b32 v[10:11], v8 offset1:2
	ds_read2st64_b32 v[12:13], v8 offset0:4 offset1:6
	ds_read2st64_b32 v[14:15], v8 offset0:8 offset1:10
	;; [unrolled: 1-line block ×3, first 2 shown]
	v_add_u32_e32 v7, -8, v7
	s_waitcnt lgkmcnt(3)
	v_pk_mul_f32 v[10:11], v[2:3], v[10:11]
	s_waitcnt lgkmcnt(2)
	v_pk_mul_f32 v[12:13], v[2:3], v[12:13]
	ds_write2st64_b32 v8, v10, v11 offset1:2
	ds_write2st64_b32 v8, v12, v13 offset0:4 offset1:6
	ds_read2st64_b32 v[12:13], v8 offset0:16 offset1:18
	s_waitcnt lgkmcnt(4)
	v_pk_mul_f32 v[10:11], v[2:3], v[14:15]
	ds_write2st64_b32 v8, v10, v11 offset0:8 offset1:10
	s_waitcnt lgkmcnt(4)
	v_pk_mul_f32 v[10:11], v[2:3], v[16:17]
	ds_write2st64_b32 v8, v10, v11 offset0:12 offset1:14
	ds_read2st64_b32 v[10:11], v8 offset0:20 offset1:22
	s_waitcnt lgkmcnt(3)
	v_pk_mul_f32 v[12:13], v[2:3], v[12:13]
	ds_read2st64_b32 v[14:15], v8 offset0:24 offset1:26
	ds_write2st64_b32 v8, v12, v13 offset0:16 offset1:18
	ds_read2st64_b32 v[12:13], v8 offset0:28 offset1:30
	s_waitcnt lgkmcnt(3)
	v_pk_mul_f32 v[10:11], v[2:3], v[10:11]
	ds_write2st64_b32 v8, v10, v11 offset0:20 offset1:22
	s_waitcnt lgkmcnt(3)
	v_pk_mul_f32 v[10:11], v[2:3], v[14:15]
	ds_write2st64_b32 v8, v10, v11 offset0:24 offset1:26
	s_waitcnt lgkmcnt(2)
	v_pk_mul_f32 v[10:11], v[2:3], v[12:13]
	s_add_i32 s28, s28, 16
	v_cmp_eq_u32_e32 vcc, 0, v7
	ds_write2st64_b32 v8, v10, v11 offset0:28 offset1:30
	v_add_u32_e32 v8, 0x2000, v8
	s_or_b64 s[14:15], vcc, s[14:15]
	v_mov_b32_e32 v9, s28
	s_andn2_b64 exec, exec, s[14:15]
	s_cbranch_execnz .LBB245_148
; %bb.149:
	s_or_b64 exec, exec, s[14:15]
.LBB245_150:
	s_or_b64 exec, exec, s[8:9]
	v_and_b32_e32 v6, 7, v6
	v_cmp_ne_u32_e32 vcc, 0, v6
	s_and_saveexec_b64 s[8:9], vcc
	s_cbranch_execz .LBB245_153
; %bb.151:
	v_lshlrev_b32_e32 v7, 9, v9
	v_lshlrev_b32_e32 v8, 2, v0
	s_movk_i32 s14, 0xb0
	v_add3_u32 v7, v7, v8, s14
	s_mov_b64 s[14:15], 0
.LBB245_152:                            ; =>This Inner Loop Header: Depth=1
	ds_read2st64_b32 v[8:9], v7 offset1:2
	v_add_u32_e32 v6, -1, v6
	v_cmp_eq_u32_e32 vcc, 0, v6
	s_or_b64 s[14:15], vcc, s[14:15]
	s_waitcnt lgkmcnt(0)
	v_pk_mul_f32 v[8:9], v[2:3], v[8:9]
	ds_write2st64_b32 v7, v8, v9 offset1:2
	v_add_u32_e32 v7, 0x400, v7
	s_andn2_b64 exec, exec, s[14:15]
	s_cbranch_execnz .LBB245_152
.LBB245_153:
	s_or_b64 exec, exec, s[8:9]
	v_add_u32_e32 v5, 1, v5
	v_and_b32_e32 v6, 0x3fffffe, v5
	v_cmp_ne_u32_e32 vcc, v5, v6
	v_lshl_add_u32 v3, v6, 7, v0
	s_orn2_b64 s[8:9], vcc, exec
.LBB245_154:
	s_or_b64 exec, exec, s[2:3]
	s_and_b64 exec, exec, s[8:9]
	s_cbranch_execz .LBB245_157
; %bb.155:
	v_mov_b32_e32 v5, 0xb0
	v_lshl_add_u32 v5, v3, 2, v5
	s_mov_b64 s[2:3], 0
.LBB245_156:                            ; =>This Inner Loop Header: Depth=1
	ds_read_b32 v6, v5
	v_add_u32_e32 v3, 0x80, v3
	v_cmp_le_i32_e32 vcc, s30, v3
	s_or_b64 s[2:3], vcc, s[2:3]
	s_waitcnt lgkmcnt(0)
	v_mul_f32_e32 v6, v2, v6
	ds_write_b32 v5, v6
	v_add_u32_e32 v5, 0x200, v5
	s_andn2_b64 exec, exec, s[2:3]
	s_cbranch_execnz .LBB245_156
.LBB245_157:
	s_or_b64 exec, exec, s[0:1]
	v_lshrrev_b32_e32 v30, 1, v4
	s_waitcnt lgkmcnt(0)
	s_barrier
	s_and_saveexec_b64 s[0:1], s[6:7]
	s_xor_b64 s[0:1], exec, s[0:1]
; %bb.158:
	v_lshrrev_b32_e32 v30, 1, v4
                                        ; implicit-def: $vgpr28
                                        ; implicit-def: $vgpr1
; %bb.159:
	s_or_saveexec_b64 s[6:7], s[0:1]
	v_mov_b32_e32 v7, 0
	v_and_b32_e32 v31, 1, v0
	v_mov_b32_e32 v6, 0
	v_mov_b32_e32 v32, 0
	s_xor_b64 exec, exec, s[6:7]
	s_cbranch_execz .LBB245_315
; %bb.160:
	v_lshlrev_b32_e32 v2, 3, v0
	s_ashr_i32 s1, s12, 31
	v_and_b32_e32 v4, 8, v2
	s_add_u32 s0, s26, s12
	v_or_b32_e32 v6, 64, v30
	s_movk_i32 s2, 0x50
	s_addc_u32 s1, s27, s1
	s_add_i32 s29, s19, -1
	v_lshl_or_b32 v2, v30, 4, v4
	v_cmp_gt_u32_e32 vcc, s2, v6
	v_lshl_or_b32 v8, v6, 4, v4
	v_lshl_or_b32 v33, v28, 4, v4
	v_lshlrev_b32_e32 v4, 5, v31
	s_lshl_b64 s[2:3], s[24:25], 2
	v_lshl_or_b32 v4, v28, 6, v4
	s_add_u32 s2, s22, s2
	s_mov_b32 s8, -1
	v_mov_b32_e32 v5, 0
	v_add_u32_e32 v34, 0xb0, v4
	v_and_b32_e32 v4, 60, v1
	s_addc_u32 s3, s23, s3
	s_mov_b32 s28, s13
	s_mov_b32 s9, 0xffffff
	v_mov_b32_e32 v3, v5
	v_mov_b32_e32 v9, v5
	s_mov_b32 s30, s33
	v_lshl_add_u64 v[10:11], s[2:3], 0, v[4:5]
	s_mov_b64 s[12:13], 0
	v_mov_b64_e32 v[12:13], s[0:1]
	s_movk_i32 s31, 0x80
	s_movk_i32 s34, 0x7f
	s_mov_b32 s35, 0x8000
	v_mov_b32_e32 v35, 0x2000
	v_mov_b32_e32 v32, 0
	;; [unrolled: 1-line block ×4, first 2 shown]
	s_branch .LBB245_163
.LBB245_161:                            ;   in Loop: Header=BB245_163 Depth=1
	s_or_b64 exec, exec, s[2:3]
	;;#ASMSTART
	v_pk_mul_f16 v1, v39, v1;

	;;#ASMEND
	;;#ASMSTART
	v_pk_mul_f16 v4, v38, v16;

	;;#ASMEND
	;; [unrolled: 4-line block ×4, first 2 shown]
	s_nop 0
	;;#ASMSTART
	v_pk_add_f16 v1, v1, v4;

	;;#ASMEND
	s_nop 0
	;;#ASMSTART
	v_pk_add_f16 v1, v1, v14;

	;;#ASMEND
	;; [unrolled: 5-line block ×3, first 2 shown]
	s_nop 0
	v_lshrrev_b32_e32 v4, 16, v1
	v_and_b32_e32 v1, 0xffff, v1
	;;#ASMSTART
	v_cvt_f32_f16 v1, v1;
	;;#ASMEND
	;;#ASMSTART
	v_cvt_f32_f16 v4, v4;
	;;#ASMEND
	s_nop 0
	v_add_f32_e32 v1, v1, v4
	v_add_f32_e32 v32, v32, v1
.LBB245_162:                            ;   in Loop: Header=BB245_163 Depth=1
	s_or_b64 exec, exec, s[14:15]
	v_add_f32_e32 v1, v24, v25
	v_add_u32_e32 v28, 2, v28
	v_add_f32_e32 v7, v7, v1
	v_add_f32_e32 v1, v26, v27
	v_cmp_le_i32_e64 s[0:1], s19, v28
	v_add_f32_e32 v6, v6, v1
	v_add_u32_e32 v33, 32, v33
	v_add_u32_e32 v34, 0x80, v34
	s_or_b64 s[12:13], s[0:1], s[12:13]
	v_lshl_add_u64 v[10:11], v[10:11], 0, 8
	s_andn2_b64 exec, exec, s[12:13]
	s_cbranch_execz .LBB245_314
.LBB245_163:                            ; =>This Inner Loop Header: Depth=1
	global_load_dword v1, v[10:11], off
	ds_read2_b64 v[14:17], v34 offset1:1
	ds_read2_b64 v[18:21], v34 offset0:2 offset1:3
	s_waitcnt lgkmcnt(1)
	;;#ASMSTART
	v_cvt_f16_f32 v36, v14;

	;;#ASMEND
	;;#ASMSTART
	v_cvt_f16_f32 v37, v15;

	;;#ASMEND
	;; [unrolled: 4-line block ×4, first 2 shown]
	s_waitcnt lgkmcnt(0)
	;;#ASMSTART
	v_cvt_f16_f32 v41, v18;

	;;#ASMEND
	;;#ASMSTART
	v_cvt_f16_f32 v42, v19;

	;;#ASMEND
	;; [unrolled: 4-line block ×4, first 2 shown]
	s_waitcnt vmcnt(0)
	v_mad_i64_i32 v[14:15], s[0:1], v1, s28, v[12:13]
	v_lshl_add_u64 v[16:17], v[14:15], 0, v[2:3]
	global_load_dwordx2 v[20:21], v[16:17], off
	global_load_dword v18, v5, s[10:11]
	v_mov_b32_e32 v1, 0
	s_waitcnt vmcnt(1)
	v_cmp_ne_u16_sdwa s[0:1], v20, v5 src0_sel:BYTE_0 src1_sel:DWORD
	s_and_saveexec_b64 s[2:3], s[0:1]
	s_cbranch_execz .LBB245_169
; %bb.164:                              ;   in Loop: Header=BB245_163 Depth=1
	v_cmp_ne_u16_sdwa s[0:1], v20, s31 src0_sel:BYTE_0 src1_sel:DWORD
	v_mov_b32_e32 v1, 0x8000
	s_and_saveexec_b64 s[14:15], s[0:1]
	s_cbranch_execz .LBB245_168
; %bb.165:                              ;   in Loop: Header=BB245_163 Depth=1
	v_and_b32_e32 v4, 0x7f, v20
	v_cmp_ne_u32_e64 s[0:1], s34, v4
	v_mov_b32_e32 v1, 0x7c01
	s_and_saveexec_b64 s[22:23], s[0:1]
	s_cbranch_execz .LBB245_167
; %bb.166:                              ;   in Loop: Header=BB245_163 Depth=1
	v_and_b32_e32 v1, 7, v20
	v_ffbh_u32_e32 v22, v1
	v_min_u32_e32 v24, 32, v22
	v_subrev_u32_e32 v22, 28, v24
	v_lshlrev_b64 v[22:23], v22, v[20:21]
	v_lshrrev_b32_e32 v19, 3, v4
	v_sub_u32_e32 v23, 29, v24
	v_cmp_gt_u32_e64 s[0:1], 8, v4
	v_and_b32_e32 v22, 7, v22
	s_nop 0
	v_cndmask_b32_e64 v4, v19, v23, s[0:1]
	v_lshl_add_u32 v4, v4, 10, v35
	v_lshlrev_b32_e32 v19, 8, v20
	v_and_b32_e32 v4, 0xfc00, v4
	v_cndmask_b32_e64 v1, v1, v22, s[0:1]
	v_and_or_b32 v4, v19, s35, v4
	v_lshl_or_b32 v1, v1, 7, v4
.LBB245_167:                            ;   in Loop: Header=BB245_163 Depth=1
	s_or_b64 exec, exec, s[22:23]
.LBB245_168:                            ;   in Loop: Header=BB245_163 Depth=1
	s_or_b64 exec, exec, s[14:15]
.LBB245_169:                            ;   in Loop: Header=BB245_163 Depth=1
	s_or_b64 exec, exec, s[2:3]
	v_lshrrev_b16_e32 v4, 8, v20
	v_cmp_ne_u16_e64 s[0:1], 0, v4
	v_mov_b32_e32 v19, 0
	v_mov_b32_e32 v22, 0
	s_and_saveexec_b64 s[2:3], s[0:1]
	s_cbranch_execz .LBB245_175
; %bb.170:                              ;   in Loop: Header=BB245_163 Depth=1
	v_cmp_ne_u16_e64 s[0:1], s31, v4
	v_bfrev_b32_e32 v22, 1
	s_and_saveexec_b64 s[14:15], s[0:1]
	s_cbranch_execz .LBB245_174
; %bb.171:                              ;   in Loop: Header=BB245_163 Depth=1
	v_and_b32_e32 v23, 0x7f, v4
	v_cmp_ne_u32_e64 s[0:1], s34, v23
	v_mov_b32_e32 v22, 0x7c010000
	s_and_saveexec_b64 s[22:23], s[0:1]
	s_cbranch_execz .LBB245_173
; %bb.172:                              ;   in Loop: Header=BB245_163 Depth=1
	v_and_b32_e32 v22, 7, v4
	v_ffbh_u32_e32 v24, v22
	v_min_u32_e32 v27, 32, v24
	v_subrev_u32_e32 v24, 28, v27
	v_lshlrev_b64 v[24:25], v24, v[4:5]
	v_lshrrev_b32_e32 v26, 3, v23
	v_sub_u32_e32 v25, 29, v27
	v_cmp_gt_u32_e64 s[0:1], 8, v23
	v_lshlrev_b32_e32 v4, 8, v4
	v_and_b32_e32 v24, 7, v24
	v_cndmask_b32_e64 v23, v26, v25, s[0:1]
	v_lshl_add_u32 v23, v23, 10, v35
	v_and_or_b32 v4, v4, s35, v23
	v_cndmask_b32_e64 v22, v22, v24, s[0:1]
	v_lshlrev_b32_e32 v4, 16, v4
	v_lshl_or_b32 v22, v22, 23, v4
.LBB245_173:                            ;   in Loop: Header=BB245_163 Depth=1
	s_or_b64 exec, exec, s[22:23]
.LBB245_174:                            ;   in Loop: Header=BB245_163 Depth=1
	s_or_b64 exec, exec, s[14:15]
.LBB245_175:                            ;   in Loop: Header=BB245_163 Depth=1
	s_or_b64 exec, exec, s[2:3]
	v_lshrrev_b32_e32 v4, 16, v20
	v_cmp_ne_u16_sdwa s[0:1], v4, v5 src0_sel:BYTE_0 src1_sel:DWORD
	s_and_saveexec_b64 s[2:3], s[0:1]
	s_cbranch_execz .LBB245_181
; %bb.176:                              ;   in Loop: Header=BB245_163 Depth=1
	v_cmp_ne_u16_sdwa s[0:1], v4, s31 src0_sel:BYTE_0 src1_sel:DWORD
	v_mov_b32_e32 v19, 0x8000
	s_and_saveexec_b64 s[14:15], s[0:1]
	s_cbranch_execz .LBB245_180
; %bb.177:                              ;   in Loop: Header=BB245_163 Depth=1
	v_bfe_u32 v23, v20, 16, 7
	v_cmp_ne_u32_e64 s[0:1], s34, v23
	v_mov_b32_e32 v19, 0x7c01
	s_and_saveexec_b64 s[22:23], s[0:1]
	s_cbranch_execz .LBB245_179
; %bb.178:                              ;   in Loop: Header=BB245_163 Depth=1
	v_and_b32_e32 v19, 7, v4
	v_ffbh_u32_e32 v24, v19
	v_min_u32_e32 v27, 32, v24
	v_subrev_u32_e32 v24, 28, v27
	v_lshlrev_b64 v[24:25], v24, v[4:5]
	v_lshrrev_b32_e32 v26, 3, v23
	v_sub_u32_e32 v25, 29, v27
	v_cmp_gt_u32_e64 s[0:1], 8, v23
	v_lshlrev_b32_e32 v4, 8, v4
	v_and_b32_e32 v24, 7, v24
	v_cndmask_b32_e64 v23, v26, v25, s[0:1]
	v_lshl_add_u32 v23, v23, 10, v35
	v_and_b32_e32 v23, 0xfc00, v23
	v_cndmask_b32_e64 v19, v19, v24, s[0:1]
	v_and_or_b32 v4, v4, s35, v23
	v_lshl_or_b32 v19, v19, 7, v4
.LBB245_179:                            ;   in Loop: Header=BB245_163 Depth=1
	s_or_b64 exec, exec, s[22:23]
.LBB245_180:                            ;   in Loop: Header=BB245_163 Depth=1
	s_or_b64 exec, exec, s[14:15]
.LBB245_181:                            ;   in Loop: Header=BB245_163 Depth=1
	s_or_b64 exec, exec, s[2:3]
	v_cmp_lt_u32_e64 s[0:1], s9, v20
	v_mov_b32_e32 v23, 0
	v_mov_b32_e32 v24, 0
	s_and_saveexec_b64 s[2:3], s[0:1]
	s_cbranch_execz .LBB245_187
; %bb.182:                              ;   in Loop: Header=BB245_163 Depth=1
	v_lshrrev_b32_e32 v4, 24, v20
	v_cmp_ne_u32_e64 s[0:1], s31, v4
	v_bfrev_b32_e32 v24, 1
	s_and_saveexec_b64 s[14:15], s[0:1]
	s_cbranch_execz .LBB245_186
; %bb.183:                              ;   in Loop: Header=BB245_163 Depth=1
	v_and_b32_e32 v25, 0x7f, v4
	v_cmp_ne_u32_e64 s[0:1], s34, v25
	v_mov_b32_e32 v24, 0x7c010000
	s_and_saveexec_b64 s[22:23], s[0:1]
	s_cbranch_execz .LBB245_185
; %bb.184:                              ;   in Loop: Header=BB245_163 Depth=1
	v_and_b32_e32 v24, 7, v4
	v_ffbh_u32_e32 v26, v24
	v_min_u32_e32 v45, 32, v26
	v_subrev_u32_e32 v26, 28, v45
	v_lshlrev_b64 v[26:27], v26, v[4:5]
	v_lshrrev_b32_e32 v39, 3, v25
	v_sub_u32_e32 v27, 29, v45
	v_cmp_gt_u32_e64 s[0:1], 8, v25
	v_lshlrev_b32_e32 v4, 8, v4
	v_and_b32_e32 v26, 7, v26
	v_cndmask_b32_e64 v25, v39, v27, s[0:1]
	v_lshl_add_u32 v25, v25, 10, v35
	v_and_or_b32 v4, v4, s35, v25
	v_cndmask_b32_e64 v24, v24, v26, s[0:1]
	v_lshlrev_b32_e32 v4, 16, v4
	v_lshl_or_b32 v24, v24, 23, v4
.LBB245_185:                            ;   in Loop: Header=BB245_163 Depth=1
	s_or_b64 exec, exec, s[22:23]
.LBB245_186:                            ;   in Loop: Header=BB245_163 Depth=1
	s_or_b64 exec, exec, s[14:15]
.LBB245_187:                            ;   in Loop: Header=BB245_163 Depth=1
	s_or_b64 exec, exec, s[2:3]
	v_mov_b32_e32 v4, v21
	v_cmp_ne_u16_sdwa s[0:1], v21, v5 src0_sel:BYTE_0 src1_sel:DWORD
	s_and_saveexec_b64 s[2:3], s[0:1]
	s_cbranch_execz .LBB245_193
; %bb.188:                              ;   in Loop: Header=BB245_163 Depth=1
	v_cmp_ne_u16_sdwa s[0:1], v21, s31 src0_sel:BYTE_0 src1_sel:DWORD
	v_mov_b32_e32 v23, 0x8000
	s_and_saveexec_b64 s[14:15], s[0:1]
	s_cbranch_execz .LBB245_192
; %bb.189:                              ;   in Loop: Header=BB245_163 Depth=1
	v_and_b32_e32 v25, 0x7f, v21
	v_cmp_ne_u32_e64 s[0:1], s34, v25
	v_mov_b32_e32 v23, 0x7c01
	s_and_saveexec_b64 s[22:23], s[0:1]
	s_cbranch_execz .LBB245_191
; %bb.190:                              ;   in Loop: Header=BB245_163 Depth=1
	v_and_b32_e32 v23, 7, v21
	v_ffbh_u32_e32 v26, v23
	v_min_u32_e32 v45, 32, v26
	v_subrev_u32_e32 v26, 28, v45
	v_lshlrev_b64 v[26:27], v26, v[4:5]
	v_lshrrev_b32_e32 v39, 3, v25
	v_sub_u32_e32 v27, 29, v45
	v_cmp_gt_u32_e64 s[0:1], 8, v25
	v_and_b32_e32 v26, 7, v26
	s_nop 0
	v_cndmask_b32_e64 v25, v39, v27, s[0:1]
	v_lshl_add_u32 v25, v25, 10, v35
	v_lshlrev_b32_e32 v27, 8, v21
	v_and_b32_e32 v25, 0xfc00, v25
	v_cndmask_b32_e64 v23, v23, v26, s[0:1]
	v_and_or_b32 v25, v27, s35, v25
	v_lshl_or_b32 v23, v23, 7, v25
.LBB245_191:                            ;   in Loop: Header=BB245_163 Depth=1
	s_or_b64 exec, exec, s[22:23]
.LBB245_192:                            ;   in Loop: Header=BB245_163 Depth=1
	s_or_b64 exec, exec, s[14:15]
.LBB245_193:                            ;   in Loop: Header=BB245_163 Depth=1
	s_or_b64 exec, exec, s[2:3]
	v_lshrrev_b16_e32 v4, 8, v4
	v_cmp_ne_u16_e64 s[0:1], 0, v4
	v_mov_b32_e32 v26, 0
	v_mov_b32_e32 v25, 0
	s_and_saveexec_b64 s[2:3], s[0:1]
	s_cbranch_execz .LBB245_199
; %bb.194:                              ;   in Loop: Header=BB245_163 Depth=1
	v_cmp_ne_u16_e64 s[0:1], s31, v4
	v_bfrev_b32_e32 v25, 1
	s_and_saveexec_b64 s[14:15], s[0:1]
	s_cbranch_execz .LBB245_198
; %bb.195:                              ;   in Loop: Header=BB245_163 Depth=1
	v_and_b32_e32 v27, 0x7f, v4
	v_cmp_ne_u32_e64 s[0:1], s34, v27
	v_mov_b32_e32 v25, 0x7c010000
	s_and_saveexec_b64 s[22:23], s[0:1]
	s_cbranch_execz .LBB245_197
; %bb.196:                              ;   in Loop: Header=BB245_163 Depth=1
	v_and_b32_e32 v25, 7, v4
	v_ffbh_u32_e32 v45, v25
	v_min_u32_e32 v45, 32, v45
	v_lshrrev_b32_e32 v39, 3, v27
	v_subrev_u32_e32 v46, 28, v45
	v_sub_u32_e32 v45, 29, v45
	v_cmp_gt_u32_e64 s[0:1], 8, v27
	v_lshlrev_b64 v[46:47], v46, v[4:5]
	v_lshlrev_b32_e32 v4, 8, v4
	v_cndmask_b32_e64 v27, v39, v45, s[0:1]
	v_lshl_add_u32 v27, v27, 10, v35
	v_and_b32_e32 v39, 7, v46
	v_and_or_b32 v4, v4, s35, v27
	v_cndmask_b32_e64 v25, v25, v39, s[0:1]
	v_lshlrev_b32_e32 v4, 16, v4
	v_lshl_or_b32 v25, v25, 23, v4
.LBB245_197:                            ;   in Loop: Header=BB245_163 Depth=1
	s_or_b64 exec, exec, s[22:23]
.LBB245_198:                            ;   in Loop: Header=BB245_163 Depth=1
	s_or_b64 exec, exec, s[14:15]
.LBB245_199:                            ;   in Loop: Header=BB245_163 Depth=1
	s_or_b64 exec, exec, s[2:3]
	v_lshrrev_b32_e32 v4, 16, v21
	v_cmp_ne_u16_sdwa s[0:1], v4, v5 src0_sel:BYTE_0 src1_sel:DWORD
	s_and_saveexec_b64 s[2:3], s[0:1]
	s_cbranch_execz .LBB245_205
; %bb.200:                              ;   in Loop: Header=BB245_163 Depth=1
	v_cmp_ne_u16_sdwa s[0:1], v4, s31 src0_sel:BYTE_0 src1_sel:DWORD
	v_mov_b32_e32 v26, 0x8000
	s_and_saveexec_b64 s[14:15], s[0:1]
	s_cbranch_execz .LBB245_204
; %bb.201:                              ;   in Loop: Header=BB245_163 Depth=1
	v_bfe_u32 v27, v21, 16, 7
	v_cmp_ne_u32_e64 s[0:1], s34, v27
	v_mov_b32_e32 v26, 0x7c01
	s_and_saveexec_b64 s[22:23], s[0:1]
	s_cbranch_execz .LBB245_203
; %bb.202:                              ;   in Loop: Header=BB245_163 Depth=1
	v_and_b32_e32 v26, 7, v4
	v_ffbh_u32_e32 v45, v26
	v_min_u32_e32 v45, 32, v45
	v_lshrrev_b32_e32 v39, 3, v27
	v_subrev_u32_e32 v46, 28, v45
	v_sub_u32_e32 v45, 29, v45
	v_cmp_gt_u32_e64 s[0:1], 8, v27
	v_lshlrev_b64 v[46:47], v46, v[4:5]
	v_lshlrev_b32_e32 v4, 8, v4
	v_cndmask_b32_e64 v27, v39, v45, s[0:1]
	v_lshl_add_u32 v27, v27, 10, v35
	v_and_b32_e32 v39, 7, v46
	v_and_b32_e32 v27, 0xfc00, v27
	v_cndmask_b32_e64 v26, v26, v39, s[0:1]
	v_and_or_b32 v4, v4, s35, v27
	v_lshl_or_b32 v26, v26, 7, v4
.LBB245_203:                            ;   in Loop: Header=BB245_163 Depth=1
	s_or_b64 exec, exec, s[22:23]
.LBB245_204:                            ;   in Loop: Header=BB245_163 Depth=1
	s_or_b64 exec, exec, s[14:15]
.LBB245_205:                            ;   in Loop: Header=BB245_163 Depth=1
	s_or_b64 exec, exec, s[2:3]
	v_cmp_lt_u64_e64 s[0:1], s[8:9], v[20:21]
	v_mov_b32_e32 v27, 0
	s_and_saveexec_b64 s[2:3], s[0:1]
	s_cbranch_execz .LBB245_211
; %bb.206:                              ;   in Loop: Header=BB245_163 Depth=1
	v_lshrrev_b32_e32 v4, 24, v21
	v_cmp_ne_u32_e64 s[0:1], s31, v4
	v_bfrev_b32_e32 v27, 1
	s_and_saveexec_b64 s[14:15], s[0:1]
	s_cbranch_execz .LBB245_210
; %bb.207:                              ;   in Loop: Header=BB245_163 Depth=1
	v_and_b32_e32 v20, 0x7f, v4
	v_cmp_ne_u32_e64 s[0:1], s34, v20
	v_mov_b32_e32 v27, 0x7c010000
	s_and_saveexec_b64 s[22:23], s[0:1]
	s_cbranch_execz .LBB245_209
; %bb.208:                              ;   in Loop: Header=BB245_163 Depth=1
	v_and_b32_e32 v21, 7, v4
	v_ffbh_u32_e32 v39, v21
	v_min_u32_e32 v39, 32, v39
	v_lshrrev_b32_e32 v27, 3, v20
	v_subrev_u32_e32 v45, 28, v39
	v_sub_u32_e32 v39, 29, v39
	v_cmp_gt_u32_e64 s[0:1], 8, v20
	v_lshlrev_b64 v[46:47], v45, v[4:5]
	v_lshlrev_b32_e32 v4, 8, v4
	v_cndmask_b32_e64 v20, v27, v39, s[0:1]
	v_lshl_add_u32 v20, v20, 10, v35
	v_and_b32_e32 v27, 7, v46
	v_and_or_b32 v4, v4, s35, v20
	v_cndmask_b32_e64 v21, v21, v27, s[0:1]
	v_lshlrev_b32_e32 v4, 16, v4
	v_lshl_or_b32 v27, v21, 23, v4
.LBB245_209:                            ;   in Loop: Header=BB245_163 Depth=1
	s_or_b64 exec, exec, s[22:23]
.LBB245_210:                            ;   in Loop: Header=BB245_163 Depth=1
	s_or_b64 exec, exec, s[14:15]
.LBB245_211:                            ;   in Loop: Header=BB245_163 Depth=1
	s_or_b64 exec, exec, s[2:3]
	v_cvt_f32_f16_sdwa v21, v22 dst_sel:DWORD dst_unused:UNUSED_PAD src0_sel:WORD_1
	v_cvt_f32_f16_sdwa v20, v24 dst_sel:DWORD dst_unused:UNUSED_PAD src0_sel:WORD_1
	v_or_b32_e32 v1, v22, v1
	v_or_b32_e32 v4, v24, v19
	v_cvt_f32_f16_e32 v46, v4
	v_cvt_f32_f16_e32 v47, v1
	s_waitcnt vmcnt(0)
	v_pk_mul_f32 v[20:21], v[18:19], v[20:21] op_sel_hi:[0,1]
	v_cvt_pk_f16_f32 v1, v20, v21
	v_and_b32_e32 v19, 0xffff0000, v1
	v_pk_mul_f32 v[46:47], v[18:19], v[46:47] op_sel_hi:[0,1]
	v_or_b32_e32 v4, v25, v23
	v_or_b32_e32 v23, v27, v26
	v_lshlrev_b32_e32 v20, 16, v1
	v_cvt_pk_f16_f32 v1, v46, v47
	v_cvt_f32_f16_e32 v46, v23
	v_cvt_f32_f16_e32 v47, v4
	v_cvt_f32_f16_sdwa v25, v25 dst_sel:DWORD dst_unused:UNUSED_PAD src0_sel:WORD_1
	v_cvt_f32_f16_sdwa v24, v27 dst_sel:DWORD dst_unused:UNUSED_PAD src0_sel:WORD_1
	v_lshrrev_b32_e32 v21, 16, v1
	v_pk_mul_f32 v[26:27], v[18:19], v[46:47] op_sel_hi:[0,1]
	v_cvt_pk_f16_f32 v26, v26, v27
	v_pk_mul_f32 v[24:25], v[18:19], v[24:25] op_sel_hi:[0,1]
	v_cvt_pk_f16_f32 v18, v24, v25
	v_and_b32_e32 v22, 0xffff, v1
	v_and_b32_e32 v23, 0xffff0000, v18
	v_lshlrev_b32_e32 v18, 16, v18
	v_lshrrev_b32_e32 v25, 16, v26
	v_and_b32_e32 v24, 0xffff, v26
	v_cmp_eq_u32_e64 s[0:1], s29, v28
	v_or_b32_e32 v1, v19, v21
	v_or_b32_e32 v4, v20, v22
	v_or_b32_e32 v27, v23, v25
	v_or_b32_e32 v26, v18, v24
	s_and_saveexec_b64 s[14:15], s[0:1]
	s_cbranch_execz .LBB245_213
; %bb.212:                              ;   in Loop: Header=BB245_163 Depth=1
	v_add_u32_e32 v26, 2, v33
	v_cmp_gt_i32_e64 s[2:3], s30, v33
	v_or_b32_e32 v1, 1, v33
	v_or_b32_e32 v4, 3, v33
	v_cndmask_b32_e64 v21, 0, v21, s[2:3]
	v_cmp_gt_i32_e64 s[2:3], s33, v26
	s_nop 1
	v_cndmask_b32_e64 v22, 0, v22, s[2:3]
	v_cmp_gt_i32_e64 s[2:3], s30, v1
	s_nop 1
	v_cndmask_b32_e64 v1, 0, v19, s[2:3]
	v_cmp_gt_i32_e64 s[2:3], s33, v4
	v_or_b32_e32 v19, 4, v33
	v_or_b32_e32 v1, v1, v21
	v_cndmask_b32_e64 v4, 0, v20, s[2:3]
	v_or_b32_e32 v20, 6, v33
	v_cmp_gt_i32_e64 s[2:3], s30, v19
	v_or_b32_e32 v21, 5, v33
	v_or_b32_e32 v4, v4, v22
	v_cndmask_b32_e64 v19, 0, v25, s[2:3]
	v_cmp_gt_i32_e64 s[2:3], s33, v20
	v_or_b32_e32 v22, 7, v33
	s_nop 0
	v_cndmask_b32_e64 v20, 0, v24, s[2:3]
	v_cmp_gt_i32_e64 s[2:3], s30, v21
	s_nop 1
	v_cndmask_b32_e64 v21, 0, v23, s[2:3]
	v_cmp_gt_i32_e64 s[2:3], s33, v22
	v_or_b32_e32 v27, v21, v19
	s_nop 0
	v_cndmask_b32_e64 v18, 0, v18, s[2:3]
	v_or_b32_e32 v26, v18, v20
.LBB245_213:                            ;   in Loop: Header=BB245_163 Depth=1
	s_or_b64 exec, exec, s[14:15]
	v_and_b32_e32 v18, 0xffff, v36
	v_lshl_or_b32 v39, v37, 16, v18
	v_and_b32_e32 v18, 0xffff, v38
	v_lshl_or_b32 v38, v40, 16, v18
	;; [unrolled: 2-line block ×3, first 2 shown]
	v_and_b32_e32 v18, 0xffff, v43
	;;#ASMSTART
	v_pk_mul_f16 v1, v39, v1;

	;;#ASMEND
	v_lshl_or_b32 v36, v44, 16, v18
	;;#ASMSTART
	v_pk_mul_f16 v4, v38, v4;

	;;#ASMEND
	;;#ASMSTART
	v_pk_mul_f16 v18, v37, v27;

	;;#ASMEND
	;; [unrolled: 4-line block ×3, first 2 shown]
	s_nop 0
	;;#ASMSTART
	v_pk_add_f16 v1, v1, v4;

	;;#ASMEND
	s_nop 0
	;;#ASMSTART
	v_pk_add_f16 v1, v1, v18;

	;;#ASMEND
	;; [unrolled: 5-line block ×3, first 2 shown]
	s_nop 0
	v_lshrrev_b32_e32 v4, 16, v1
	v_and_b32_e32 v1, 0xffff, v1
	;;#ASMSTART
	v_cvt_f32_f16 v26, v1;
	;;#ASMEND
	;;#ASMSTART
	v_cvt_f32_f16 v27, v4;
	;;#ASMEND
	global_load_dwordx2 v[18:19], v[16:17], off offset:512
	v_mov_b32_e32 v1, 0
	global_load_dword v16, v1, s[10:11]
	v_mov_b32_e32 v17, 0
	s_waitcnt vmcnt(1)
	v_cmp_ne_u16_sdwa s[2:3], v18, v5 src0_sel:BYTE_0 src1_sel:DWORD
	s_and_saveexec_b64 s[14:15], s[2:3]
	s_cbranch_execz .LBB245_219
; %bb.214:                              ;   in Loop: Header=BB245_163 Depth=1
	v_cmp_ne_u16_sdwa s[2:3], v18, s31 src0_sel:BYTE_0 src1_sel:DWORD
	v_mov_b32_e32 v17, 0x8000
	s_and_saveexec_b64 s[22:23], s[2:3]
	s_cbranch_execz .LBB245_218
; %bb.215:                              ;   in Loop: Header=BB245_163 Depth=1
	v_and_b32_e32 v4, 0x7f, v18
	v_cmp_ne_u32_e64 s[2:3], s34, v4
	v_mov_b32_e32 v17, 0x7c01
	s_and_saveexec_b64 s[24:25], s[2:3]
	s_cbranch_execz .LBB245_217
; %bb.216:                              ;   in Loop: Header=BB245_163 Depth=1
	v_and_b32_e32 v17, 7, v18
	v_ffbh_u32_e32 v20, v17
	v_min_u32_e32 v23, 32, v20
	v_subrev_u32_e32 v20, 28, v23
	v_lshlrev_b64 v[20:21], v20, v[18:19]
	v_lshrrev_b32_e32 v22, 3, v4
	v_sub_u32_e32 v21, 29, v23
	v_cmp_gt_u32_e64 s[2:3], 8, v4
	v_and_b32_e32 v20, 7, v20
	s_nop 0
	v_cndmask_b32_e64 v4, v22, v21, s[2:3]
	v_lshl_add_u32 v4, v4, 10, v35
	v_lshlrev_b32_e32 v21, 8, v18
	v_and_b32_e32 v4, 0xfc00, v4
	v_cndmask_b32_e64 v17, v17, v20, s[2:3]
	v_and_or_b32 v4, v21, s35, v4
	v_lshl_or_b32 v17, v17, 7, v4
.LBB245_217:                            ;   in Loop: Header=BB245_163 Depth=1
	s_or_b64 exec, exec, s[24:25]
.LBB245_218:                            ;   in Loop: Header=BB245_163 Depth=1
	s_or_b64 exec, exec, s[22:23]
.LBB245_219:                            ;   in Loop: Header=BB245_163 Depth=1
	s_or_b64 exec, exec, s[14:15]
	v_lshrrev_b16_e32 v4, 8, v18
	v_cmp_ne_u16_e64 s[2:3], 0, v4
	s_and_saveexec_b64 s[14:15], s[2:3]
	s_cbranch_execz .LBB245_225
; %bb.220:                              ;   in Loop: Header=BB245_163 Depth=1
	v_cmp_ne_u16_e64 s[2:3], s31, v4
	v_bfrev_b32_e32 v1, 1
	s_and_saveexec_b64 s[22:23], s[2:3]
	s_cbranch_execz .LBB245_224
; %bb.221:                              ;   in Loop: Header=BB245_163 Depth=1
	v_and_b32_e32 v20, 0x7f, v4
	v_cmp_ne_u32_e64 s[2:3], s34, v20
	v_mov_b32_e32 v1, 0x7c010000
	s_and_saveexec_b64 s[24:25], s[2:3]
	s_cbranch_execz .LBB245_223
; %bb.222:                              ;   in Loop: Header=BB245_163 Depth=1
	v_and_b32_e32 v1, 7, v4
	v_ffbh_u32_e32 v22, v1
	v_min_u32_e32 v24, 32, v22
	v_subrev_u32_e32 v22, 28, v24
	v_lshlrev_b64 v[22:23], v22, v[4:5]
	v_lshrrev_b32_e32 v21, 3, v20
	v_sub_u32_e32 v23, 29, v24
	v_cmp_gt_u32_e64 s[2:3], 8, v20
	v_lshlrev_b32_e32 v4, 8, v4
	s_nop 0
	v_cndmask_b32_e64 v20, v21, v23, s[2:3]
	v_lshl_add_u32 v20, v20, 10, v35
	v_and_b32_e32 v21, 7, v22
	v_and_or_b32 v4, v4, s35, v20
	v_cndmask_b32_e64 v1, v1, v21, s[2:3]
	v_lshlrev_b32_e32 v4, 16, v4
	v_lshl_or_b32 v1, v1, 23, v4
.LBB245_223:                            ;   in Loop: Header=BB245_163 Depth=1
	s_or_b64 exec, exec, s[24:25]
.LBB245_224:                            ;   in Loop: Header=BB245_163 Depth=1
	s_or_b64 exec, exec, s[22:23]
.LBB245_225:                            ;   in Loop: Header=BB245_163 Depth=1
	s_or_b64 exec, exec, s[14:15]
	v_lshrrev_b32_e32 v4, 16, v18
	v_cmp_ne_u16_sdwa s[2:3], v4, v5 src0_sel:BYTE_0 src1_sel:DWORD
	v_mov_b32_e32 v21, 0
	v_mov_b32_e32 v20, 0
	s_and_saveexec_b64 s[14:15], s[2:3]
	s_cbranch_execz .LBB245_231
; %bb.226:                              ;   in Loop: Header=BB245_163 Depth=1
	v_cmp_ne_u16_sdwa s[2:3], v4, s31 src0_sel:BYTE_0 src1_sel:DWORD
	v_mov_b32_e32 v20, 0x8000
	s_and_saveexec_b64 s[22:23], s[2:3]
	s_cbranch_execz .LBB245_230
; %bb.227:                              ;   in Loop: Header=BB245_163 Depth=1
	v_bfe_u32 v22, v18, 16, 7
	v_cmp_ne_u32_e64 s[2:3], s34, v22
	v_mov_b32_e32 v20, 0x7c01
	s_and_saveexec_b64 s[24:25], s[2:3]
	s_cbranch_execz .LBB245_229
; %bb.228:                              ;   in Loop: Header=BB245_163 Depth=1
	v_and_b32_e32 v20, 7, v4
	v_ffbh_u32_e32 v24, v20
	v_min_u32_e32 v40, 32, v24
	v_subrev_u32_e32 v24, 28, v40
	v_lshlrev_b64 v[24:25], v24, v[4:5]
	v_lshrrev_b32_e32 v23, 3, v22
	v_sub_u32_e32 v25, 29, v40
	v_cmp_gt_u32_e64 s[2:3], 8, v22
	v_lshlrev_b32_e32 v4, 8, v4
	s_nop 0
	v_cndmask_b32_e64 v22, v23, v25, s[2:3]
	v_lshl_add_u32 v22, v22, 10, v35
	v_and_b32_e32 v23, 7, v24
	v_and_b32_e32 v22, 0xfc00, v22
	v_cndmask_b32_e64 v20, v20, v23, s[2:3]
	v_and_or_b32 v4, v4, s35, v22
	v_lshl_or_b32 v20, v20, 7, v4
.LBB245_229:                            ;   in Loop: Header=BB245_163 Depth=1
	s_or_b64 exec, exec, s[24:25]
.LBB245_230:                            ;   in Loop: Header=BB245_163 Depth=1
	s_or_b64 exec, exec, s[22:23]
.LBB245_231:                            ;   in Loop: Header=BB245_163 Depth=1
	s_or_b64 exec, exec, s[14:15]
	v_cmp_lt_u32_e64 s[2:3], s9, v18
	s_and_saveexec_b64 s[14:15], s[2:3]
	s_cbranch_execz .LBB245_237
; %bb.232:                              ;   in Loop: Header=BB245_163 Depth=1
	v_lshrrev_b32_e32 v4, 24, v18
	v_cmp_ne_u32_e64 s[2:3], s31, v4
	v_bfrev_b32_e32 v21, 1
	s_and_saveexec_b64 s[22:23], s[2:3]
	s_cbranch_execz .LBB245_236
; %bb.233:                              ;   in Loop: Header=BB245_163 Depth=1
	v_and_b32_e32 v22, 0x7f, v4
	v_cmp_ne_u32_e64 s[2:3], s34, v22
	v_mov_b32_e32 v21, 0x7c010000
	s_and_saveexec_b64 s[24:25], s[2:3]
	s_cbranch_execz .LBB245_235
; %bb.234:                              ;   in Loop: Header=BB245_163 Depth=1
	v_and_b32_e32 v21, 7, v4
	v_ffbh_u32_e32 v24, v21
	v_min_u32_e32 v40, 32, v24
	v_subrev_u32_e32 v24, 28, v40
	v_lshlrev_b64 v[24:25], v24, v[4:5]
	v_lshrrev_b32_e32 v23, 3, v22
	v_sub_u32_e32 v25, 29, v40
	v_cmp_gt_u32_e64 s[2:3], 8, v22
	v_lshlrev_b32_e32 v4, 8, v4
	s_nop 0
	v_cndmask_b32_e64 v22, v23, v25, s[2:3]
	v_lshl_add_u32 v22, v22, 10, v35
	v_and_b32_e32 v23, 7, v24
	v_and_or_b32 v4, v4, s35, v22
	v_cndmask_b32_e64 v21, v21, v23, s[2:3]
	v_lshlrev_b32_e32 v4, 16, v4
	v_lshl_or_b32 v21, v21, 23, v4
.LBB245_235:                            ;   in Loop: Header=BB245_163 Depth=1
	s_or_b64 exec, exec, s[24:25]
.LBB245_236:                            ;   in Loop: Header=BB245_163 Depth=1
	s_or_b64 exec, exec, s[22:23]
.LBB245_237:                            ;   in Loop: Header=BB245_163 Depth=1
	s_or_b64 exec, exec, s[14:15]
	v_mov_b32_e32 v4, v19
	v_cmp_ne_u16_sdwa s[2:3], v19, v5 src0_sel:BYTE_0 src1_sel:DWORD
	v_mov_b32_e32 v22, 0
	v_mov_b32_e32 v23, 0
	s_and_saveexec_b64 s[14:15], s[2:3]
	s_cbranch_execz .LBB245_243
; %bb.238:                              ;   in Loop: Header=BB245_163 Depth=1
	v_cmp_ne_u16_sdwa s[2:3], v19, s31 src0_sel:BYTE_0 src1_sel:DWORD
	v_mov_b32_e32 v23, 0x8000
	s_and_saveexec_b64 s[22:23], s[2:3]
	s_cbranch_execz .LBB245_242
; %bb.239:                              ;   in Loop: Header=BB245_163 Depth=1
	v_and_b32_e32 v24, 0x7f, v19
	v_cmp_ne_u32_e64 s[2:3], s34, v24
	v_mov_b32_e32 v23, 0x7c01
	s_and_saveexec_b64 s[24:25], s[2:3]
	s_cbranch_execz .LBB245_241
; %bb.240:                              ;   in Loop: Header=BB245_163 Depth=1
	v_and_b32_e32 v23, 7, v19
	v_ffbh_u32_e32 v40, v23
	v_min_u32_e32 v42, 32, v40
	v_subrev_u32_e32 v40, 28, v42
	v_lshlrev_b64 v[40:41], v40, v[4:5]
	v_lshrrev_b32_e32 v25, 3, v24
	v_sub_u32_e32 v41, 29, v42
	v_cmp_gt_u32_e64 s[2:3], 8, v24
	v_and_b32_e32 v40, 7, v40
	s_nop 0
	v_cndmask_b32_e64 v24, v25, v41, s[2:3]
	v_lshl_add_u32 v24, v24, 10, v35
	v_lshlrev_b32_e32 v25, 8, v19
	v_and_b32_e32 v24, 0xfc00, v24
	v_cndmask_b32_e64 v23, v23, v40, s[2:3]
	v_and_or_b32 v24, v25, s35, v24
	v_lshl_or_b32 v23, v23, 7, v24
.LBB245_241:                            ;   in Loop: Header=BB245_163 Depth=1
	s_or_b64 exec, exec, s[24:25]
.LBB245_242:                            ;   in Loop: Header=BB245_163 Depth=1
	s_or_b64 exec, exec, s[22:23]
.LBB245_243:                            ;   in Loop: Header=BB245_163 Depth=1
	s_or_b64 exec, exec, s[14:15]
	v_lshrrev_b16_e32 v4, 8, v4
	v_cmp_ne_u16_e64 s[2:3], 0, v4
	v_mov_b32_e32 v24, 0
	s_and_saveexec_b64 s[14:15], s[2:3]
	s_cbranch_execz .LBB245_249
; %bb.244:                              ;   in Loop: Header=BB245_163 Depth=1
	v_cmp_ne_u16_e64 s[2:3], s31, v4
	v_bfrev_b32_e32 v24, 1
	s_and_saveexec_b64 s[22:23], s[2:3]
	s_cbranch_execz .LBB245_248
; %bb.245:                              ;   in Loop: Header=BB245_163 Depth=1
	v_and_b32_e32 v25, 0x7f, v4
	v_cmp_ne_u32_e64 s[2:3], s34, v25
	v_mov_b32_e32 v24, 0x7c010000
	s_and_saveexec_b64 s[24:25], s[2:3]
	s_cbranch_execz .LBB245_247
; %bb.246:                              ;   in Loop: Header=BB245_163 Depth=1
	v_and_b32_e32 v24, 7, v4
	v_ffbh_u32_e32 v40, v24
	v_min_u32_e32 v43, 32, v40
	v_subrev_u32_e32 v40, 28, v43
	v_lshlrev_b64 v[40:41], v40, v[4:5]
	v_lshrrev_b32_e32 v42, 3, v25
	v_sub_u32_e32 v41, 29, v43
	v_cmp_gt_u32_e64 s[2:3], 8, v25
	v_lshlrev_b32_e32 v4, 8, v4
	v_and_b32_e32 v40, 7, v40
	v_cndmask_b32_e64 v25, v42, v41, s[2:3]
	v_lshl_add_u32 v25, v25, 10, v35
	v_and_or_b32 v4, v4, s35, v25
	v_cndmask_b32_e64 v24, v24, v40, s[2:3]
	v_lshlrev_b32_e32 v4, 16, v4
	v_lshl_or_b32 v24, v24, 23, v4
.LBB245_247:                            ;   in Loop: Header=BB245_163 Depth=1
	s_or_b64 exec, exec, s[24:25]
.LBB245_248:                            ;   in Loop: Header=BB245_163 Depth=1
	s_or_b64 exec, exec, s[22:23]
.LBB245_249:                            ;   in Loop: Header=BB245_163 Depth=1
	s_or_b64 exec, exec, s[14:15]
	v_lshrrev_b32_e32 v4, 16, v19
	v_cmp_ne_u16_sdwa s[2:3], v4, v5 src0_sel:BYTE_0 src1_sel:DWORD
	s_and_saveexec_b64 s[14:15], s[2:3]
	s_cbranch_execz .LBB245_255
; %bb.250:                              ;   in Loop: Header=BB245_163 Depth=1
	v_cmp_ne_u16_sdwa s[2:3], v4, s31 src0_sel:BYTE_0 src1_sel:DWORD
	v_mov_b32_e32 v22, 0x8000
	s_and_saveexec_b64 s[22:23], s[2:3]
	s_cbranch_execz .LBB245_254
; %bb.251:                              ;   in Loop: Header=BB245_163 Depth=1
	v_bfe_u32 v25, v19, 16, 7
	v_cmp_ne_u32_e64 s[2:3], s34, v25
	v_mov_b32_e32 v22, 0x7c01
	s_and_saveexec_b64 s[24:25], s[2:3]
	s_cbranch_execz .LBB245_253
; %bb.252:                              ;   in Loop: Header=BB245_163 Depth=1
	v_and_b32_e32 v22, 7, v4
	v_ffbh_u32_e32 v40, v22
	v_min_u32_e32 v43, 32, v40
	v_subrev_u32_e32 v40, 28, v43
	v_lshlrev_b64 v[40:41], v40, v[4:5]
	v_lshrrev_b32_e32 v42, 3, v25
	v_sub_u32_e32 v41, 29, v43
	v_cmp_gt_u32_e64 s[2:3], 8, v25
	v_lshlrev_b32_e32 v4, 8, v4
	v_and_b32_e32 v40, 7, v40
	v_cndmask_b32_e64 v25, v42, v41, s[2:3]
	v_lshl_add_u32 v25, v25, 10, v35
	v_and_b32_e32 v25, 0xfc00, v25
	v_cndmask_b32_e64 v22, v22, v40, s[2:3]
	v_and_or_b32 v4, v4, s35, v25
	v_lshl_or_b32 v22, v22, 7, v4
.LBB245_253:                            ;   in Loop: Header=BB245_163 Depth=1
	s_or_b64 exec, exec, s[24:25]
.LBB245_254:                            ;   in Loop: Header=BB245_163 Depth=1
	s_or_b64 exec, exec, s[22:23]
.LBB245_255:                            ;   in Loop: Header=BB245_163 Depth=1
	s_or_b64 exec, exec, s[14:15]
	v_cmp_lt_u64_e64 s[2:3], s[8:9], v[18:19]
	v_mov_b32_e32 v18, 0
	s_and_saveexec_b64 s[14:15], s[2:3]
	s_cbranch_execz .LBB245_261
; %bb.256:                              ;   in Loop: Header=BB245_163 Depth=1
	v_lshrrev_b32_e32 v4, 24, v19
	v_cmp_ne_u32_e64 s[2:3], s31, v4
	v_bfrev_b32_e32 v18, 1
	s_and_saveexec_b64 s[22:23], s[2:3]
	s_cbranch_execz .LBB245_260
; %bb.257:                              ;   in Loop: Header=BB245_163 Depth=1
	v_and_b32_e32 v19, 0x7f, v4
	v_cmp_ne_u32_e64 s[2:3], s34, v19
	v_mov_b32_e32 v18, 0x7c010000
	s_and_saveexec_b64 s[24:25], s[2:3]
	s_cbranch_execz .LBB245_259
; %bb.258:                              ;   in Loop: Header=BB245_163 Depth=1
	v_and_b32_e32 v18, 7, v4
	v_ffbh_u32_e32 v40, v18
	v_min_u32_e32 v42, 32, v40
	v_subrev_u32_e32 v40, 28, v42
	v_lshlrev_b64 v[40:41], v40, v[4:5]
	v_lshrrev_b32_e32 v25, 3, v19
	v_sub_u32_e32 v41, 29, v42
	v_cmp_gt_u32_e64 s[2:3], 8, v19
	v_lshlrev_b32_e32 v4, 8, v4
	s_nop 0
	v_cndmask_b32_e64 v19, v25, v41, s[2:3]
	v_lshl_add_u32 v19, v19, 10, v35
	v_and_b32_e32 v25, 7, v40
	v_and_or_b32 v4, v4, s35, v19
	v_cndmask_b32_e64 v18, v18, v25, s[2:3]
	v_lshlrev_b32_e32 v4, 16, v4
	v_lshl_or_b32 v18, v18, 23, v4
.LBB245_259:                            ;   in Loop: Header=BB245_163 Depth=1
	s_or_b64 exec, exec, s[24:25]
.LBB245_260:                            ;   in Loop: Header=BB245_163 Depth=1
	s_or_b64 exec, exec, s[22:23]
.LBB245_261:                            ;   in Loop: Header=BB245_163 Depth=1
	s_or_b64 exec, exec, s[14:15]
	v_cvt_f32_f16_sdwa v41, v1 dst_sel:DWORD dst_unused:UNUSED_PAD src0_sel:WORD_1
	v_cvt_f32_f16_sdwa v40, v21 dst_sel:DWORD dst_unused:UNUSED_PAD src0_sel:WORD_1
	v_or_b32_e32 v1, v1, v17
	v_or_b32_e32 v4, v21, v20
	;; [unrolled: 1-line block ×3, first 2 shown]
	s_waitcnt vmcnt(0)
	v_pk_mul_f32 v[20:21], v[16:17], v[40:41] op_sel_hi:[0,1]
	v_cvt_f32_f16_e32 v40, v4
	v_cvt_f32_f16_e32 v41, v1
	v_cvt_pk_f16_f32 v1, v20, v21
	v_and_b32_e32 v17, 0xffff0000, v1
	v_lshlrev_b32_e32 v4, 16, v1
	v_pk_mul_f32 v[20:21], v[16:17], v[40:41] op_sel_hi:[0,1]
	v_cvt_pk_f16_f32 v1, v20, v21
	v_or_b32_e32 v21, v24, v23
	v_cvt_f32_f16_e32 v22, v22
	v_cvt_f32_f16_e32 v23, v21
	v_cvt_f32_f16_sdwa v25, v24 dst_sel:DWORD dst_unused:UNUSED_PAD src0_sel:WORD_1
	v_cvt_f32_f16_sdwa v24, v18 dst_sel:DWORD dst_unused:UNUSED_PAD src0_sel:WORD_1
	v_lshrrev_b32_e32 v19, 16, v1
	v_pk_mul_f32 v[22:23], v[16:17], v[22:23] op_sel_hi:[0,1]
	v_cvt_pk_f16_f32 v40, v22, v23
	v_pk_mul_f32 v[22:23], v[16:17], v[24:25] op_sel_hi:[0,1]
	v_cvt_pk_f16_f32 v16, v22, v23
	v_and_b32_e32 v20, 0xffff, v1
	v_and_b32_e32 v21, 0xffff0000, v16
	v_lshlrev_b32_e32 v16, 16, v16
	v_lshrrev_b32_e32 v23, 16, v40
	v_and_b32_e32 v22, 0xffff, v40
	v_or_b32_e32 v1, v17, v19
	v_or_b32_e32 v18, v4, v20
	v_or_b32_e32 v25, v21, v23
	v_or_b32_e32 v24, v16, v22
	s_and_saveexec_b64 s[14:15], s[0:1]
	s_cbranch_execz .LBB245_263
; %bb.262:                              ;   in Loop: Header=BB245_163 Depth=1
	v_add_u32_e32 v24, 2, v33
	v_cmp_gt_i32_e64 s[2:3], s30, v33
	v_or_b32_e32 v1, 1, v33
	v_or_b32_e32 v18, 3, v33
	v_cndmask_b32_e64 v19, 0, v19, s[2:3]
	v_cmp_gt_i32_e64 s[2:3], s33, v24
	s_nop 1
	v_cndmask_b32_e64 v20, 0, v20, s[2:3]
	v_cmp_gt_i32_e64 s[2:3], s30, v1
	s_nop 1
	v_cndmask_b32_e64 v1, 0, v17, s[2:3]
	v_cmp_gt_i32_e64 s[2:3], s33, v18
	v_or_b32_e32 v17, 6, v33
	v_or_b32_e32 v1, v1, v19
	v_cndmask_b32_e64 v4, 0, v4, s[2:3]
	v_or_b32_e32 v18, v4, v20
	v_or_b32_e32 v4, 4, v33
	v_cmp_gt_i32_e64 s[2:3], s30, v4
	v_or_b32_e32 v19, 5, v33
	v_or_b32_e32 v20, 7, v33
	v_cndmask_b32_e64 v4, 0, v23, s[2:3]
	v_cmp_gt_i32_e64 s[2:3], s33, v17
	s_nop 1
	v_cndmask_b32_e64 v17, 0, v22, s[2:3]
	v_cmp_gt_i32_e64 s[2:3], s30, v19
	s_nop 1
	v_cndmask_b32_e64 v19, 0, v21, s[2:3]
	v_cmp_gt_i32_e64 s[2:3], s33, v20
	v_or_b32_e32 v25, v19, v4
	s_nop 0
	v_cndmask_b32_e64 v16, 0, v16, s[2:3]
	v_or_b32_e32 v24, v16, v17
.LBB245_263:                            ;   in Loop: Header=BB245_163 Depth=1
	s_or_b64 exec, exec, s[14:15]
	;;#ASMSTART
	v_pk_mul_f16 v1, v39, v1;

	;;#ASMEND
	;;#ASMSTART
	v_pk_mul_f16 v4, v38, v18;

	;;#ASMEND
	;; [unrolled: 4-line block ×4, first 2 shown]
	s_nop 0
	;;#ASMSTART
	v_pk_add_f16 v1, v1, v4;

	;;#ASMEND
	s_nop 0
	;;#ASMSTART
	v_pk_add_f16 v1, v1, v16;

	;;#ASMEND
	;; [unrolled: 5-line block ×3, first 2 shown]
	s_nop 0
	v_lshrrev_b32_e32 v4, 16, v1
	v_and_b32_e32 v1, 0xffff, v1
	;;#ASMSTART
	v_cvt_f32_f16 v24, v1;
	;;#ASMEND
	;;#ASMSTART
	v_cvt_f32_f16 v25, v4;
	;;#ASMEND
	s_and_saveexec_b64 s[14:15], vcc
	s_cbranch_execz .LBB245_162
; %bb.264:                              ;   in Loop: Header=BB245_163 Depth=1
	v_lshl_add_u64 v[14:15], v[14:15], 0, v[8:9]
	global_load_dwordx2 v[16:17], v[14:15], off
	v_mov_b32_e32 v1, 0
	global_load_dword v14, v1, s[10:11]
	v_mov_b32_e32 v15, 0
	s_waitcnt vmcnt(1)
	v_cmp_ne_u16_sdwa s[2:3], v16, v5 src0_sel:BYTE_0 src1_sel:DWORD
	s_and_saveexec_b64 s[22:23], s[2:3]
	s_cbranch_execz .LBB245_270
; %bb.265:                              ;   in Loop: Header=BB245_163 Depth=1
	v_cmp_ne_u16_sdwa s[2:3], v16, s31 src0_sel:BYTE_0 src1_sel:DWORD
	v_mov_b32_e32 v15, 0x8000
	s_and_saveexec_b64 s[24:25], s[2:3]
	s_cbranch_execz .LBB245_269
; %bb.266:                              ;   in Loop: Header=BB245_163 Depth=1
	v_and_b32_e32 v4, 0x7f, v16
	v_cmp_ne_u32_e64 s[2:3], s34, v4
	v_mov_b32_e32 v15, 0x7c01
	s_and_saveexec_b64 s[26:27], s[2:3]
	s_cbranch_execz .LBB245_268
; %bb.267:                              ;   in Loop: Header=BB245_163 Depth=1
	v_and_b32_e32 v15, 7, v16
	v_ffbh_u32_e32 v18, v15
	v_min_u32_e32 v21, 32, v18
	v_subrev_u32_e32 v18, 28, v21
	v_lshlrev_b64 v[18:19], v18, v[16:17]
	v_lshrrev_b32_e32 v20, 3, v4
	v_sub_u32_e32 v19, 29, v21
	v_cmp_gt_u32_e64 s[2:3], 8, v4
	v_and_b32_e32 v18, 7, v18
	s_nop 0
	v_cndmask_b32_e64 v4, v20, v19, s[2:3]
	v_lshl_add_u32 v4, v4, 10, v35
	v_lshlrev_b32_e32 v19, 8, v16
	v_and_b32_e32 v4, 0xfc00, v4
	v_cndmask_b32_e64 v15, v15, v18, s[2:3]
	v_and_or_b32 v4, v19, s35, v4
	v_lshl_or_b32 v15, v15, 7, v4
.LBB245_268:                            ;   in Loop: Header=BB245_163 Depth=1
	s_or_b64 exec, exec, s[26:27]
.LBB245_269:                            ;   in Loop: Header=BB245_163 Depth=1
	s_or_b64 exec, exec, s[24:25]
.LBB245_270:                            ;   in Loop: Header=BB245_163 Depth=1
	s_or_b64 exec, exec, s[22:23]
	v_lshrrev_b16_e32 v4, 8, v16
	v_cmp_ne_u16_e64 s[2:3], 0, v4
	s_and_saveexec_b64 s[22:23], s[2:3]
	s_cbranch_execz .LBB245_276
; %bb.271:                              ;   in Loop: Header=BB245_163 Depth=1
	v_cmp_ne_u16_e64 s[2:3], s31, v4
	v_bfrev_b32_e32 v1, 1
	s_and_saveexec_b64 s[24:25], s[2:3]
	s_cbranch_execz .LBB245_275
; %bb.272:                              ;   in Loop: Header=BB245_163 Depth=1
	v_and_b32_e32 v18, 0x7f, v4
	v_cmp_ne_u32_e64 s[2:3], s34, v18
	v_mov_b32_e32 v1, 0x7c010000
	s_and_saveexec_b64 s[26:27], s[2:3]
	s_cbranch_execz .LBB245_274
; %bb.273:                              ;   in Loop: Header=BB245_163 Depth=1
	v_and_b32_e32 v1, 7, v4
	v_ffbh_u32_e32 v20, v1
	v_min_u32_e32 v22, 32, v20
	v_subrev_u32_e32 v20, 28, v22
	v_lshlrev_b64 v[20:21], v20, v[4:5]
	v_lshrrev_b32_e32 v19, 3, v18
	v_sub_u32_e32 v21, 29, v22
	v_cmp_gt_u32_e64 s[2:3], 8, v18
	v_lshlrev_b32_e32 v4, 8, v4
	s_nop 0
	v_cndmask_b32_e64 v18, v19, v21, s[2:3]
	v_lshl_add_u32 v18, v18, 10, v35
	v_and_b32_e32 v19, 7, v20
	v_and_or_b32 v4, v4, s35, v18
	v_cndmask_b32_e64 v1, v1, v19, s[2:3]
	v_lshlrev_b32_e32 v4, 16, v4
	v_lshl_or_b32 v1, v1, 23, v4
.LBB245_274:                            ;   in Loop: Header=BB245_163 Depth=1
	s_or_b64 exec, exec, s[26:27]
.LBB245_275:                            ;   in Loop: Header=BB245_163 Depth=1
	s_or_b64 exec, exec, s[24:25]
.LBB245_276:                            ;   in Loop: Header=BB245_163 Depth=1
	s_or_b64 exec, exec, s[22:23]
	v_lshrrev_b32_e32 v4, 16, v16
	v_cmp_ne_u16_sdwa s[2:3], v4, v5 src0_sel:BYTE_0 src1_sel:DWORD
	v_mov_b32_e32 v19, 0
	v_mov_b32_e32 v18, 0
	s_and_saveexec_b64 s[22:23], s[2:3]
	s_cbranch_execz .LBB245_282
; %bb.277:                              ;   in Loop: Header=BB245_163 Depth=1
	v_cmp_ne_u16_sdwa s[2:3], v4, s31 src0_sel:BYTE_0 src1_sel:DWORD
	v_mov_b32_e32 v18, 0x8000
	s_and_saveexec_b64 s[24:25], s[2:3]
	s_cbranch_execz .LBB245_281
; %bb.278:                              ;   in Loop: Header=BB245_163 Depth=1
	v_bfe_u32 v20, v16, 16, 7
	v_cmp_ne_u32_e64 s[2:3], s34, v20
	v_mov_b32_e32 v18, 0x7c01
	s_and_saveexec_b64 s[26:27], s[2:3]
	s_cbranch_execz .LBB245_280
; %bb.279:                              ;   in Loop: Header=BB245_163 Depth=1
	v_and_b32_e32 v18, 7, v4
	v_ffbh_u32_e32 v22, v18
	v_min_u32_e32 v40, 32, v22
	v_subrev_u32_e32 v22, 28, v40
	v_lshlrev_b64 v[22:23], v22, v[4:5]
	v_lshrrev_b32_e32 v21, 3, v20
	v_sub_u32_e32 v23, 29, v40
	v_cmp_gt_u32_e64 s[2:3], 8, v20
	v_lshlrev_b32_e32 v4, 8, v4
	s_nop 0
	v_cndmask_b32_e64 v20, v21, v23, s[2:3]
	v_lshl_add_u32 v20, v20, 10, v35
	v_and_b32_e32 v21, 7, v22
	v_and_b32_e32 v20, 0xfc00, v20
	v_cndmask_b32_e64 v18, v18, v21, s[2:3]
	v_and_or_b32 v4, v4, s35, v20
	v_lshl_or_b32 v18, v18, 7, v4
.LBB245_280:                            ;   in Loop: Header=BB245_163 Depth=1
	s_or_b64 exec, exec, s[26:27]
.LBB245_281:                            ;   in Loop: Header=BB245_163 Depth=1
	s_or_b64 exec, exec, s[24:25]
.LBB245_282:                            ;   in Loop: Header=BB245_163 Depth=1
	s_or_b64 exec, exec, s[22:23]
	v_cmp_lt_u32_e64 s[2:3], s9, v16
	s_and_saveexec_b64 s[22:23], s[2:3]
	s_cbranch_execz .LBB245_288
; %bb.283:                              ;   in Loop: Header=BB245_163 Depth=1
	v_lshrrev_b32_e32 v4, 24, v16
	v_cmp_ne_u32_e64 s[2:3], s31, v4
	v_bfrev_b32_e32 v19, 1
	s_and_saveexec_b64 s[24:25], s[2:3]
	s_cbranch_execz .LBB245_287
; %bb.284:                              ;   in Loop: Header=BB245_163 Depth=1
	v_and_b32_e32 v20, 0x7f, v4
	v_cmp_ne_u32_e64 s[2:3], s34, v20
	v_mov_b32_e32 v19, 0x7c010000
	s_and_saveexec_b64 s[26:27], s[2:3]
	s_cbranch_execz .LBB245_286
; %bb.285:                              ;   in Loop: Header=BB245_163 Depth=1
	v_and_b32_e32 v19, 7, v4
	v_ffbh_u32_e32 v22, v19
	v_min_u32_e32 v40, 32, v22
	v_subrev_u32_e32 v22, 28, v40
	v_lshlrev_b64 v[22:23], v22, v[4:5]
	v_lshrrev_b32_e32 v21, 3, v20
	v_sub_u32_e32 v23, 29, v40
	v_cmp_gt_u32_e64 s[2:3], 8, v20
	v_lshlrev_b32_e32 v4, 8, v4
	s_nop 0
	v_cndmask_b32_e64 v20, v21, v23, s[2:3]
	v_lshl_add_u32 v20, v20, 10, v35
	v_and_b32_e32 v21, 7, v22
	v_and_or_b32 v4, v4, s35, v20
	v_cndmask_b32_e64 v19, v19, v21, s[2:3]
	v_lshlrev_b32_e32 v4, 16, v4
	v_lshl_or_b32 v19, v19, 23, v4
.LBB245_286:                            ;   in Loop: Header=BB245_163 Depth=1
	s_or_b64 exec, exec, s[26:27]
.LBB245_287:                            ;   in Loop: Header=BB245_163 Depth=1
	s_or_b64 exec, exec, s[24:25]
.LBB245_288:                            ;   in Loop: Header=BB245_163 Depth=1
	s_or_b64 exec, exec, s[22:23]
	v_mov_b32_e32 v4, v17
	v_cmp_ne_u16_sdwa s[2:3], v17, v5 src0_sel:BYTE_0 src1_sel:DWORD
	v_mov_b32_e32 v20, 0
	v_mov_b32_e32 v21, 0
	s_and_saveexec_b64 s[22:23], s[2:3]
	s_cbranch_execz .LBB245_294
; %bb.289:                              ;   in Loop: Header=BB245_163 Depth=1
	v_cmp_ne_u16_sdwa s[2:3], v17, s31 src0_sel:BYTE_0 src1_sel:DWORD
	v_mov_b32_e32 v21, 0x8000
	s_and_saveexec_b64 s[24:25], s[2:3]
	s_cbranch_execz .LBB245_293
; %bb.290:                              ;   in Loop: Header=BB245_163 Depth=1
	v_and_b32_e32 v22, 0x7f, v17
	v_cmp_ne_u32_e64 s[2:3], s34, v22
	v_mov_b32_e32 v21, 0x7c01
	s_and_saveexec_b64 s[26:27], s[2:3]
	s_cbranch_execz .LBB245_292
; %bb.291:                              ;   in Loop: Header=BB245_163 Depth=1
	v_and_b32_e32 v21, 7, v17
	v_ffbh_u32_e32 v40, v21
	v_min_u32_e32 v42, 32, v40
	v_subrev_u32_e32 v40, 28, v42
	v_lshlrev_b64 v[40:41], v40, v[4:5]
	v_lshrrev_b32_e32 v23, 3, v22
	v_sub_u32_e32 v41, 29, v42
	v_cmp_gt_u32_e64 s[2:3], 8, v22
	v_and_b32_e32 v40, 7, v40
	s_nop 0
	v_cndmask_b32_e64 v22, v23, v41, s[2:3]
	v_lshl_add_u32 v22, v22, 10, v35
	v_lshlrev_b32_e32 v23, 8, v17
	v_and_b32_e32 v22, 0xfc00, v22
	v_cndmask_b32_e64 v21, v21, v40, s[2:3]
	v_and_or_b32 v22, v23, s35, v22
	v_lshl_or_b32 v21, v21, 7, v22
.LBB245_292:                            ;   in Loop: Header=BB245_163 Depth=1
	s_or_b64 exec, exec, s[26:27]
.LBB245_293:                            ;   in Loop: Header=BB245_163 Depth=1
	s_or_b64 exec, exec, s[24:25]
.LBB245_294:                            ;   in Loop: Header=BB245_163 Depth=1
	s_or_b64 exec, exec, s[22:23]
	v_lshrrev_b16_e32 v4, 8, v4
	v_cmp_ne_u16_e64 s[2:3], 0, v4
	v_mov_b32_e32 v22, 0
	s_and_saveexec_b64 s[22:23], s[2:3]
	s_cbranch_execz .LBB245_300
; %bb.295:                              ;   in Loop: Header=BB245_163 Depth=1
	v_cmp_ne_u16_e64 s[2:3], s31, v4
	v_bfrev_b32_e32 v22, 1
	s_and_saveexec_b64 s[24:25], s[2:3]
	s_cbranch_execz .LBB245_299
; %bb.296:                              ;   in Loop: Header=BB245_163 Depth=1
	v_and_b32_e32 v23, 0x7f, v4
	v_cmp_ne_u32_e64 s[2:3], s34, v23
	v_mov_b32_e32 v22, 0x7c010000
	s_and_saveexec_b64 s[26:27], s[2:3]
	s_cbranch_execz .LBB245_298
; %bb.297:                              ;   in Loop: Header=BB245_163 Depth=1
	v_and_b32_e32 v22, 7, v4
	v_ffbh_u32_e32 v40, v22
	v_min_u32_e32 v43, 32, v40
	v_subrev_u32_e32 v40, 28, v43
	v_lshlrev_b64 v[40:41], v40, v[4:5]
	v_lshrrev_b32_e32 v42, 3, v23
	v_sub_u32_e32 v41, 29, v43
	v_cmp_gt_u32_e64 s[2:3], 8, v23
	v_lshlrev_b32_e32 v4, 8, v4
	v_and_b32_e32 v40, 7, v40
	v_cndmask_b32_e64 v23, v42, v41, s[2:3]
	v_lshl_add_u32 v23, v23, 10, v35
	v_and_or_b32 v4, v4, s35, v23
	v_cndmask_b32_e64 v22, v22, v40, s[2:3]
	v_lshlrev_b32_e32 v4, 16, v4
	v_lshl_or_b32 v22, v22, 23, v4
.LBB245_298:                            ;   in Loop: Header=BB245_163 Depth=1
	s_or_b64 exec, exec, s[26:27]
.LBB245_299:                            ;   in Loop: Header=BB245_163 Depth=1
	s_or_b64 exec, exec, s[24:25]
.LBB245_300:                            ;   in Loop: Header=BB245_163 Depth=1
	s_or_b64 exec, exec, s[22:23]
	v_lshrrev_b32_e32 v4, 16, v17
	v_cmp_ne_u16_sdwa s[2:3], v4, v5 src0_sel:BYTE_0 src1_sel:DWORD
	s_and_saveexec_b64 s[22:23], s[2:3]
	s_cbranch_execz .LBB245_306
; %bb.301:                              ;   in Loop: Header=BB245_163 Depth=1
	v_cmp_ne_u16_sdwa s[2:3], v4, s31 src0_sel:BYTE_0 src1_sel:DWORD
	v_mov_b32_e32 v20, 0x8000
	s_and_saveexec_b64 s[24:25], s[2:3]
	s_cbranch_execz .LBB245_305
; %bb.302:                              ;   in Loop: Header=BB245_163 Depth=1
	v_bfe_u32 v23, v17, 16, 7
	v_cmp_ne_u32_e64 s[2:3], s34, v23
	v_mov_b32_e32 v20, 0x7c01
	s_and_saveexec_b64 s[26:27], s[2:3]
	s_cbranch_execz .LBB245_304
; %bb.303:                              ;   in Loop: Header=BB245_163 Depth=1
	v_and_b32_e32 v20, 7, v4
	v_ffbh_u32_e32 v40, v20
	v_min_u32_e32 v43, 32, v40
	v_subrev_u32_e32 v40, 28, v43
	v_lshlrev_b64 v[40:41], v40, v[4:5]
	v_lshrrev_b32_e32 v42, 3, v23
	v_sub_u32_e32 v41, 29, v43
	v_cmp_gt_u32_e64 s[2:3], 8, v23
	v_lshlrev_b32_e32 v4, 8, v4
	v_and_b32_e32 v40, 7, v40
	v_cndmask_b32_e64 v23, v42, v41, s[2:3]
	v_lshl_add_u32 v23, v23, 10, v35
	v_and_b32_e32 v23, 0xfc00, v23
	v_cndmask_b32_e64 v20, v20, v40, s[2:3]
	v_and_or_b32 v4, v4, s35, v23
	v_lshl_or_b32 v20, v20, 7, v4
.LBB245_304:                            ;   in Loop: Header=BB245_163 Depth=1
	s_or_b64 exec, exec, s[26:27]
.LBB245_305:                            ;   in Loop: Header=BB245_163 Depth=1
	s_or_b64 exec, exec, s[24:25]
.LBB245_306:                            ;   in Loop: Header=BB245_163 Depth=1
	s_or_b64 exec, exec, s[22:23]
	v_cmp_lt_u64_e64 s[2:3], s[8:9], v[16:17]
	v_mov_b32_e32 v16, 0
	s_and_saveexec_b64 s[22:23], s[2:3]
	s_cbranch_execz .LBB245_312
; %bb.307:                              ;   in Loop: Header=BB245_163 Depth=1
	v_lshrrev_b32_e32 v4, 24, v17
	v_cmp_ne_u32_e64 s[2:3], s31, v4
	v_bfrev_b32_e32 v16, 1
	s_and_saveexec_b64 s[24:25], s[2:3]
	s_cbranch_execz .LBB245_311
; %bb.308:                              ;   in Loop: Header=BB245_163 Depth=1
	v_and_b32_e32 v17, 0x7f, v4
	v_cmp_ne_u32_e64 s[2:3], s34, v17
	v_mov_b32_e32 v16, 0x7c010000
	s_and_saveexec_b64 s[26:27], s[2:3]
	s_cbranch_execz .LBB245_310
; %bb.309:                              ;   in Loop: Header=BB245_163 Depth=1
	v_and_b32_e32 v16, 7, v4
	v_ffbh_u32_e32 v40, v16
	v_min_u32_e32 v42, 32, v40
	v_subrev_u32_e32 v40, 28, v42
	v_lshlrev_b64 v[40:41], v40, v[4:5]
	v_lshrrev_b32_e32 v23, 3, v17
	v_sub_u32_e32 v41, 29, v42
	v_cmp_gt_u32_e64 s[2:3], 8, v17
	v_lshlrev_b32_e32 v4, 8, v4
	s_nop 0
	v_cndmask_b32_e64 v17, v23, v41, s[2:3]
	v_lshl_add_u32 v17, v17, 10, v35
	v_and_b32_e32 v23, 7, v40
	v_and_or_b32 v4, v4, s35, v17
	v_cndmask_b32_e64 v16, v16, v23, s[2:3]
	v_lshlrev_b32_e32 v4, 16, v4
	v_lshl_or_b32 v16, v16, 23, v4
.LBB245_310:                            ;   in Loop: Header=BB245_163 Depth=1
	s_or_b64 exec, exec, s[26:27]
.LBB245_311:                            ;   in Loop: Header=BB245_163 Depth=1
	s_or_b64 exec, exec, s[24:25]
.LBB245_312:                            ;   in Loop: Header=BB245_163 Depth=1
	s_or_b64 exec, exec, s[22:23]
	v_cvt_f32_f16_sdwa v41, v1 dst_sel:DWORD dst_unused:UNUSED_PAD src0_sel:WORD_1
	v_cvt_f32_f16_sdwa v40, v19 dst_sel:DWORD dst_unused:UNUSED_PAD src0_sel:WORD_1
	v_or_b32_e32 v1, v1, v15
	v_or_b32_e32 v4, v19, v18
	;; [unrolled: 1-line block ×3, first 2 shown]
	s_waitcnt vmcnt(0)
	v_pk_mul_f32 v[18:19], v[14:15], v[40:41] op_sel_hi:[0,1]
	v_cvt_f32_f16_e32 v40, v4
	v_cvt_f32_f16_e32 v41, v1
	v_cvt_pk_f16_f32 v1, v18, v19
	v_and_b32_e32 v15, 0xffff0000, v1
	v_lshlrev_b32_e32 v4, 16, v1
	v_pk_mul_f32 v[18:19], v[14:15], v[40:41] op_sel_hi:[0,1]
	v_cvt_pk_f16_f32 v1, v18, v19
	v_or_b32_e32 v19, v22, v21
	v_cvt_f32_f16_e32 v20, v20
	v_cvt_f32_f16_e32 v21, v19
	v_cvt_f32_f16_sdwa v23, v22 dst_sel:DWORD dst_unused:UNUSED_PAD src0_sel:WORD_1
	v_cvt_f32_f16_sdwa v22, v16 dst_sel:DWORD dst_unused:UNUSED_PAD src0_sel:WORD_1
	v_lshrrev_b32_e32 v17, 16, v1
	v_pk_mul_f32 v[20:21], v[14:15], v[20:21] op_sel_hi:[0,1]
	v_cvt_pk_f16_f32 v40, v20, v21
	v_pk_mul_f32 v[20:21], v[14:15], v[22:23] op_sel_hi:[0,1]
	v_cvt_pk_f16_f32 v14, v20, v21
	v_and_b32_e32 v18, 0xffff, v1
	v_and_b32_e32 v19, 0xffff0000, v14
	v_lshlrev_b32_e32 v14, 16, v14
	v_lshrrev_b32_e32 v21, 16, v40
	v_and_b32_e32 v20, 0xffff, v40
	v_or_b32_e32 v1, v15, v17
	v_or_b32_e32 v16, v4, v18
	;; [unrolled: 1-line block ×4, first 2 shown]
	s_and_saveexec_b64 s[2:3], s[0:1]
	s_cbranch_execz .LBB245_161
; %bb.313:                              ;   in Loop: Header=BB245_163 Depth=1
	v_add_u32_e32 v22, 2, v33
	v_cmp_gt_i32_e64 s[0:1], s30, v33
	v_or_b32_e32 v1, 1, v33
	v_or_b32_e32 v16, 3, v33
	v_cndmask_b32_e64 v17, 0, v17, s[0:1]
	v_cmp_gt_i32_e64 s[0:1], s33, v22
	s_nop 1
	v_cndmask_b32_e64 v18, 0, v18, s[0:1]
	v_cmp_gt_i32_e64 s[0:1], s30, v1
	s_nop 1
	v_cndmask_b32_e64 v1, 0, v15, s[0:1]
	v_cmp_gt_i32_e64 s[0:1], s33, v16
	v_or_b32_e32 v15, 6, v33
	v_or_b32_e32 v1, v1, v17
	v_cndmask_b32_e64 v4, 0, v4, s[0:1]
	v_or_b32_e32 v16, v4, v18
	v_or_b32_e32 v4, 4, v33
	v_cmp_gt_i32_e64 s[0:1], s30, v4
	v_or_b32_e32 v17, 5, v33
	v_or_b32_e32 v18, 7, v33
	v_cndmask_b32_e64 v4, 0, v21, s[0:1]
	v_cmp_gt_i32_e64 s[0:1], s33, v15
	s_nop 1
	v_cndmask_b32_e64 v15, 0, v20, s[0:1]
	v_cmp_gt_i32_e64 s[0:1], s30, v17
	s_nop 1
	v_cndmask_b32_e64 v17, 0, v19, s[0:1]
	v_cmp_gt_i32_e64 s[0:1], s33, v18
	v_or_b32_e32 v23, v17, v4
	s_nop 0
	v_cndmask_b32_e64 v14, 0, v14, s[0:1]
	v_or_b32_e32 v22, v14, v15
	s_branch .LBB245_161
.LBB245_314:
	s_or_b64 exec, exec, s[12:13]
.LBB245_315:
	s_or_b64 exec, exec, s[6:7]
	ds_bpermute_b32 v2, v29, v6
	ds_bpermute_b32 v3, v29, v7
	;; [unrolled: 1-line block ×3, first 2 shown]
	v_and_b32_e32 v4, 0x3c0, v0
	v_cmp_eq_u32_e64 s[0:1], 64, v4
	v_cmp_eq_u32_e32 vcc, 0, v31
	s_waitcnt lgkmcnt(1)
	v_pk_add_f32 v[2:3], v[6:7], v[2:3]
	s_waitcnt lgkmcnt(0)
	v_add_f32_e32 v1, v32, v1
	s_barrier
	s_and_saveexec_b64 s[2:3], s[0:1]
	s_cbranch_execz .LBB245_320
; %bb.316:
	s_and_saveexec_b64 s[0:1], vcc
; %bb.317:
	v_mov_b32_e32 v4, 0xb0
	v_lshl_add_u32 v4, v30, 2, v4
	ds_write2_b32 v4, v2, v3 offset1:32
; %bb.318:
	s_or_b64 exec, exec, s[0:1]
	v_or_b32_e32 v4, 64, v30
	s_movk_i32 s0, 0x50
	v_cmp_gt_u32_e64 s[0:1], s0, v4
	s_and_b64 s[0:1], vcc, s[0:1]
	s_and_b64 exec, exec, s[0:1]
; %bb.319:
	v_mov_b32_e32 v4, 0xb0
	v_lshl_add_u32 v4, v30, 2, v4
	ds_write_b32 v4, v1 offset:256
.LBB245_320:
	s_or_b64 exec, exec, s[2:3]
	v_cmp_gt_u32_e64 s[0:1], 64, v0
	v_lshrrev_b32_e32 v0, 1, v0
	s_waitcnt lgkmcnt(0)
	s_barrier
	s_and_saveexec_b64 s[6:7], s[0:1]
	s_cbranch_execz .LBB245_328
; %bb.321:
	s_and_saveexec_b64 s[2:3], vcc
	s_cbranch_execz .LBB245_323
; %bb.322:
	v_mov_b32_e32 v4, 0xb0
	v_lshl_add_u32 v4, v0, 2, v4
	ds_read_b32 v4, v4
	s_waitcnt lgkmcnt(0)
	v_add_f32_e32 v2, v2, v4
.LBB245_323:
	s_or_b64 exec, exec, s[2:3]
	v_or_b32_e32 v4, 32, v0
	s_movk_i32 s8, 0x50
	v_cmp_gt_u32_e64 s[2:3], s8, v4
	s_and_b64 s[10:11], vcc, s[2:3]
	s_and_saveexec_b64 s[2:3], s[10:11]
	s_cbranch_execz .LBB245_325
; %bb.324:
	v_mov_b32_e32 v4, 0xb0
	v_lshl_add_u32 v4, v0, 2, v4
	ds_read_b32 v4, v4 offset:128
	s_waitcnt lgkmcnt(0)
	v_add_f32_e32 v3, v3, v4
.LBB245_325:
	s_or_b64 exec, exec, s[2:3]
	v_or_b32_e32 v4, 64, v0
	v_cmp_gt_u32_e64 s[2:3], s8, v4
	s_and_b64 s[8:9], vcc, s[2:3]
	s_and_saveexec_b64 s[2:3], s[8:9]
	s_cbranch_execz .LBB245_327
; %bb.326:
	v_mov_b32_e32 v4, 0xb0
	v_lshl_add_u32 v4, v0, 2, v4
	ds_read_b32 v4, v4 offset:256
	s_waitcnt lgkmcnt(0)
	v_add_f32_e32 v1, v1, v4
.LBB245_327:
	s_or_b64 exec, exec, s[2:3]
.LBB245_328:
	s_or_b64 exec, exec, s[6:7]
	s_barrier
	s_and_saveexec_b64 s[2:3], s[0:1]
	s_cbranch_execz .LBB245_335
; %bb.329:
	s_mul_i32 s0, s16, s17
	s_mul_i32 s0, s0, s5
	s_mulk_i32 s0, 0x50
	s_ashr_i32 s1, s0, 31
	s_lshl_b64 s[0:1], s[0:1], 1
	s_add_u32 s2, s20, s0
	s_mul_i32 s0, s17, s18
	s_addc_u32 s3, s21, s1
	s_ashr_i32 s1, s0, 31
	s_lshl_b64 s[0:1], s[0:1], 1
	s_add_u32 s2, s2, s0
	s_mul_i32 s0, s4, 0x50
	s_addc_u32 s3, s3, s1
	s_ashr_i32 s1, s0, 31
	s_lshl_b64 s[0:1], s[0:1], 1
	s_add_u32 s2, s2, s0
	s_movk_i32 s5, 0x50
	s_addc_u32 s3, s3, s1
	v_lshlrev_b32_e32 v4, 1, v0
	s_and_saveexec_b64 s[0:1], vcc
	s_cbranch_execz .LBB245_331
; %bb.330:
	;;#ASMSTART
	v_cvt_f16_f32 v2, v2;

	;;#ASMEND
	global_store_short v4, v2, s[2:3]
.LBB245_331:
	s_or_b64 exec, exec, s[0:1]
	v_or_b32_e32 v2, 32, v0
	v_cmp_gt_u32_e64 s[0:1], s5, v2
	s_and_b64 s[4:5], vcc, s[0:1]
	s_and_saveexec_b64 s[0:1], s[4:5]
	s_cbranch_execz .LBB245_333
; %bb.332:
	;;#ASMSTART
	v_cvt_f16_f32 v2, v3;

	;;#ASMEND
	global_store_short v4, v2, s[2:3] offset:64
.LBB245_333:
	s_or_b64 exec, exec, s[0:1]
	v_or_b32_e32 v0, 64, v0
	s_movk_i32 s0, 0x50
	v_cmp_gt_u32_e64 s[0:1], s0, v0
	s_and_b64 s[0:1], vcc, s[0:1]
	s_and_b64 exec, exec, s[0:1]
	s_cbranch_execz .LBB245_335
; %bb.334:
	;;#ASMSTART
	v_cvt_f16_f32 v0, v1;

	;;#ASMEND
	global_store_short v4, v0, s[2:3] offset:128
.LBB245_335:
	s_endpgm
	.section	.rodata,"a",@progbits
	.p2align	6, 0x0
	.amdhsa_kernel _ZN4vllm25paged_attention_v1_kernelIthLi80ELi16ELi128ELNS_18Fp8KVCacheDataTypeE1ELb0EEEvPT_PKS2_PKT0_S8_ifPKiSA_iPKfiiiSC_SC_iiiii
		.amdhsa_group_segment_fixed_size 176
		.amdhsa_private_segment_fixed_size 0
		.amdhsa_kernarg_size 384
		.amdhsa_user_sgpr_count 2
		.amdhsa_user_sgpr_dispatch_ptr 0
		.amdhsa_user_sgpr_queue_ptr 0
		.amdhsa_user_sgpr_kernarg_segment_ptr 1
		.amdhsa_user_sgpr_dispatch_id 0
		.amdhsa_user_sgpr_kernarg_preload_length 0
		.amdhsa_user_sgpr_kernarg_preload_offset 0
		.amdhsa_user_sgpr_private_segment_size 0
		.amdhsa_uses_dynamic_stack 0
		.amdhsa_enable_private_segment 0
		.amdhsa_system_sgpr_workgroup_id_x 1
		.amdhsa_system_sgpr_workgroup_id_y 1
		.amdhsa_system_sgpr_workgroup_id_z 1
		.amdhsa_system_sgpr_workgroup_info 0
		.amdhsa_system_vgpr_workitem_id 0
		.amdhsa_next_free_vgpr 48
		.amdhsa_next_free_sgpr 45
		.amdhsa_accum_offset 48
		.amdhsa_reserve_vcc 1
		.amdhsa_float_round_mode_32 0
		.amdhsa_float_round_mode_16_64 0
		.amdhsa_float_denorm_mode_32 3
		.amdhsa_float_denorm_mode_16_64 3
		.amdhsa_dx10_clamp 1
		.amdhsa_ieee_mode 1
		.amdhsa_fp16_overflow 0
		.amdhsa_tg_split 0
		.amdhsa_exception_fp_ieee_invalid_op 0
		.amdhsa_exception_fp_denorm_src 0
		.amdhsa_exception_fp_ieee_div_zero 0
		.amdhsa_exception_fp_ieee_overflow 0
		.amdhsa_exception_fp_ieee_underflow 0
		.amdhsa_exception_fp_ieee_inexact 0
		.amdhsa_exception_int_div_zero 0
	.end_amdhsa_kernel
	.section	.text._ZN4vllm25paged_attention_v1_kernelIthLi80ELi16ELi128ELNS_18Fp8KVCacheDataTypeE1ELb0EEEvPT_PKS2_PKT0_S8_ifPKiSA_iPKfiiiSC_SC_iiiii,"axG",@progbits,_ZN4vllm25paged_attention_v1_kernelIthLi80ELi16ELi128ELNS_18Fp8KVCacheDataTypeE1ELb0EEEvPT_PKS2_PKT0_S8_ifPKiSA_iPKfiiiSC_SC_iiiii,comdat
.Lfunc_end245:
	.size	_ZN4vllm25paged_attention_v1_kernelIthLi80ELi16ELi128ELNS_18Fp8KVCacheDataTypeE1ELb0EEEvPT_PKS2_PKT0_S8_ifPKiSA_iPKfiiiSC_SC_iiiii, .Lfunc_end245-_ZN4vllm25paged_attention_v1_kernelIthLi80ELi16ELi128ELNS_18Fp8KVCacheDataTypeE1ELb0EEEvPT_PKS2_PKT0_S8_ifPKiSA_iPKfiiiSC_SC_iiiii
                                        ; -- End function
	.set _ZN4vllm25paged_attention_v1_kernelIthLi80ELi16ELi128ELNS_18Fp8KVCacheDataTypeE1ELb0EEEvPT_PKS2_PKT0_S8_ifPKiSA_iPKfiiiSC_SC_iiiii.num_vgpr, 48
	.set _ZN4vllm25paged_attention_v1_kernelIthLi80ELi16ELi128ELNS_18Fp8KVCacheDataTypeE1ELb0EEEvPT_PKS2_PKT0_S8_ifPKiSA_iPKfiiiSC_SC_iiiii.num_agpr, 0
	.set _ZN4vllm25paged_attention_v1_kernelIthLi80ELi16ELi128ELNS_18Fp8KVCacheDataTypeE1ELb0EEEvPT_PKS2_PKT0_S8_ifPKiSA_iPKfiiiSC_SC_iiiii.numbered_sgpr, 45
	.set _ZN4vllm25paged_attention_v1_kernelIthLi80ELi16ELi128ELNS_18Fp8KVCacheDataTypeE1ELb0EEEvPT_PKS2_PKT0_S8_ifPKiSA_iPKfiiiSC_SC_iiiii.num_named_barrier, 0
	.set _ZN4vllm25paged_attention_v1_kernelIthLi80ELi16ELi128ELNS_18Fp8KVCacheDataTypeE1ELb0EEEvPT_PKS2_PKT0_S8_ifPKiSA_iPKfiiiSC_SC_iiiii.private_seg_size, 0
	.set _ZN4vllm25paged_attention_v1_kernelIthLi80ELi16ELi128ELNS_18Fp8KVCacheDataTypeE1ELb0EEEvPT_PKS2_PKT0_S8_ifPKiSA_iPKfiiiSC_SC_iiiii.uses_vcc, 1
	.set _ZN4vllm25paged_attention_v1_kernelIthLi80ELi16ELi128ELNS_18Fp8KVCacheDataTypeE1ELb0EEEvPT_PKS2_PKT0_S8_ifPKiSA_iPKfiiiSC_SC_iiiii.uses_flat_scratch, 0
	.set _ZN4vllm25paged_attention_v1_kernelIthLi80ELi16ELi128ELNS_18Fp8KVCacheDataTypeE1ELb0EEEvPT_PKS2_PKT0_S8_ifPKiSA_iPKfiiiSC_SC_iiiii.has_dyn_sized_stack, 0
	.set _ZN4vllm25paged_attention_v1_kernelIthLi80ELi16ELi128ELNS_18Fp8KVCacheDataTypeE1ELb0EEEvPT_PKS2_PKT0_S8_ifPKiSA_iPKfiiiSC_SC_iiiii.has_recursion, 0
	.set _ZN4vllm25paged_attention_v1_kernelIthLi80ELi16ELi128ELNS_18Fp8KVCacheDataTypeE1ELb0EEEvPT_PKS2_PKT0_S8_ifPKiSA_iPKfiiiSC_SC_iiiii.has_indirect_call, 0
	.section	.AMDGPU.csdata,"",@progbits
; Kernel info:
; codeLenInByte = 15036
; TotalNumSgprs: 51
; NumVgprs: 48
; NumAgprs: 0
; TotalNumVgprs: 48
; ScratchSize: 0
; MemoryBound: 0
; FloatMode: 240
; IeeeMode: 1
; LDSByteSize: 176 bytes/workgroup (compile time only)
; SGPRBlocks: 6
; VGPRBlocks: 5
; NumSGPRsForWavesPerEU: 51
; NumVGPRsForWavesPerEU: 48
; AccumOffset: 48
; Occupancy: 8
; WaveLimiterHint : 1
; COMPUTE_PGM_RSRC2:SCRATCH_EN: 0
; COMPUTE_PGM_RSRC2:USER_SGPR: 2
; COMPUTE_PGM_RSRC2:TRAP_HANDLER: 0
; COMPUTE_PGM_RSRC2:TGID_X_EN: 1
; COMPUTE_PGM_RSRC2:TGID_Y_EN: 1
; COMPUTE_PGM_RSRC2:TGID_Z_EN: 1
; COMPUTE_PGM_RSRC2:TIDIG_COMP_CNT: 0
; COMPUTE_PGM_RSRC3_GFX90A:ACCUM_OFFSET: 11
; COMPUTE_PGM_RSRC3_GFX90A:TG_SPLIT: 0
	.section	.text._ZN4vllm25paged_attention_v1_kernelIthLi96ELi16ELi128ELNS_18Fp8KVCacheDataTypeE1ELb0EEEvPT_PKS2_PKT0_S8_ifPKiSA_iPKfiiiSC_SC_iiiii,"axG",@progbits,_ZN4vllm25paged_attention_v1_kernelIthLi96ELi16ELi128ELNS_18Fp8KVCacheDataTypeE1ELb0EEEvPT_PKS2_PKT0_S8_ifPKiSA_iPKfiiiSC_SC_iiiii,comdat
	.protected	_ZN4vllm25paged_attention_v1_kernelIthLi96ELi16ELi128ELNS_18Fp8KVCacheDataTypeE1ELb0EEEvPT_PKS2_PKT0_S8_ifPKiSA_iPKfiiiSC_SC_iiiii ; -- Begin function _ZN4vllm25paged_attention_v1_kernelIthLi96ELi16ELi128ELNS_18Fp8KVCacheDataTypeE1ELb0EEEvPT_PKS2_PKT0_S8_ifPKiSA_iPKfiiiSC_SC_iiiii
	.globl	_ZN4vllm25paged_attention_v1_kernelIthLi96ELi16ELi128ELNS_18Fp8KVCacheDataTypeE1ELb0EEEvPT_PKS2_PKT0_S8_ifPKiSA_iPKfiiiSC_SC_iiiii
	.p2align	8
	.type	_ZN4vllm25paged_attention_v1_kernelIthLi96ELi16ELi128ELNS_18Fp8KVCacheDataTypeE1ELb0EEEvPT_PKS2_PKT0_S8_ifPKiSA_iPKfiiiSC_SC_iiiii,@function
_ZN4vllm25paged_attention_v1_kernelIthLi96ELi16ELi128ELNS_18Fp8KVCacheDataTypeE1ELb0EEEvPT_PKS2_PKT0_S8_ifPKiSA_iPKfiiiSC_SC_iiiii: ; @_ZN4vllm25paged_attention_v1_kernelIthLi96ELi16ELi128ELNS_18Fp8KVCacheDataTypeE1ELb0EEEvPT_PKS2_PKT0_S8_ifPKiSA_iPKfiiiSC_SC_iiiii
; %bb.0:
	s_load_dword s5, s[0:1], 0x80
	s_load_dwordx2 s[6:7], s[0:1], 0x30
	s_load_dwordx2 s[28:29], s[0:1], 0x20
	s_mov_b32 s16, s3
	s_ashr_i32 s17, s3, 31
	s_lshl_b64 s[8:9], s[16:17], 2
	s_waitcnt lgkmcnt(0)
	s_add_u32 s6, s6, s8
	s_addc_u32 s7, s7, s9
	s_abs_i32 s3, s28
	v_cvt_f32_u32_e32 v1, s3
	s_sub_i32 s10, 0, s3
	s_abs_i32 s9, s5
	s_xor_b32 s8, s5, s28
	v_rcp_iflag_f32_e32 v1, v1
	s_ashr_i32 s8, s8, 31
	s_mov_b32 s28, 0
	v_mul_f32_e32 v1, 0x4f7ffffe, v1
	v_cvt_u32_f32_e32 v1, v1
	s_nop 0
	v_readfirstlane_b32 s11, v1
	s_mul_i32 s10, s10, s11
	s_mul_hi_u32 s10, s11, s10
	s_add_i32 s11, s11, s10
	s_mul_hi_u32 s10, s9, s11
	s_mul_i32 s11, s10, s3
	s_sub_i32 s9, s9, s11
	s_add_i32 s11, s10, 1
	s_sub_i32 s12, s9, s3
	s_cmp_ge_u32 s9, s3
	s_cselect_b32 s10, s11, s10
	s_cselect_b32 s9, s12, s9
	s_add_i32 s11, s10, 1
	s_cmp_ge_u32 s9, s3
	s_cselect_b32 s3, s11, s10
	s_xor_b32 s3, s3, s8
	s_sub_i32 s18, s3, s8
	s_abs_i32 s10, s18
	v_cvt_f32_u32_e32 v1, s10
	s_load_dwordx2 s[8:9], s[0:1], 0x40
	s_sub_i32 s3, 0, s10
	s_abs_i32 s11, s2
	v_rcp_iflag_f32_e32 v1, v1
	s_nop 0
	v_mul_f32_e32 v1, 0x4f7ffffe, v1
	v_cvt_u32_f32_e32 v1, v1
	s_nop 0
	v_readfirstlane_b32 s12, v1
	s_mul_i32 s3, s3, s12
	s_mul_hi_u32 s3, s12, s3
	s_add_i32 s12, s12, s3
	s_waitcnt lgkmcnt(0)
	s_cmp_eq_u64 s[8:9], 0
	s_mul_hi_u32 s17, s11, s12
	s_cbranch_scc1 .LBB246_2
; %bb.1:
	s_ashr_i32 s3, s2, 31
	s_lshl_b64 s[12:13], s[2:3], 2
	s_add_u32 s8, s8, s12
	s_addc_u32 s9, s9, s13
	s_load_dword s28, s[8:9], 0x0
.LBB246_2:
	s_load_dword s33, s[6:7], 0x0
	s_load_dwordx4 s[12:15], s[0:1], 0x48
	s_ashr_i32 s6, s2, 31
	s_ashr_i32 s7, s18, 31
	v_and_b32_e32 v4, 3, v0
	s_mul_i32 s18, s2, 0x60
	v_cmp_gt_u32_e32 vcc, 48, v0
	s_and_saveexec_b64 s[2:3], vcc
	s_cbranch_execz .LBB246_4
; %bb.3:
	s_load_dwordx2 s[8:9], s[0:1], 0x8
	s_waitcnt lgkmcnt(0)
	s_mul_i32 s20, s12, s16
	s_ashr_i32 s21, s20, 31
	s_lshl_b64 s[20:21], s[20:21], 1
	v_lshlrev_b32_e32 v1, 2, v0
	s_add_u32 s12, s8, s20
	s_addc_u32 s15, s9, s21
	s_ashr_i32 s19, s18, 31
	s_lshl_b64 s[8:9], s[18:19], 1
	s_add_u32 s8, s12, s8
	s_addc_u32 s9, s15, s9
	global_load_dword v1, v1, s[8:9]
	v_and_b32_e32 v2, 0x3fc, v0
	v_mad_u32_u24 v2, v4, 48, v2
	s_waitcnt vmcnt(0)
	ds_write_b32 v2, v1
.LBB246_4:
	s_or_b64 exec, exec, s[2:3]
	s_waitcnt lgkmcnt(0)
	s_add_i32 s3, s33, 15
	s_ashr_i32 s8, s3, 31
	s_lshr_b32 s8, s8, 28
	s_add_i32 s3, s3, s8
	s_ashr_i32 s19, s3, 4
	s_xor_b32 s3, s6, s7
	s_mul_i32 s6, s17, s10
	s_sub_i32 s6, s11, s6
	s_add_i32 s7, s17, 1
	s_sub_i32 s8, s6, s10
	s_load_dwordx2 s[22:23], s[0:1], 0x28
	s_load_dword s2, s[0:1], 0x38
	s_cmp_ge_u32 s6, s10
	s_cselect_b32 s7, s7, s17
	s_cselect_b32 s6, s8, s6
	s_add_i32 s8, s7, 1
	s_cmp_ge_u32 s6, s10
	s_cselect_b32 s6, s8, s7
	v_lshrrev_b32_e32 v22, 6, v0
	s_xor_b32 s6, s6, s3
	s_waitcnt lgkmcnt(0)
	s_mul_i32 s24, s2, s16
	s_sub_i32 s12, s6, s3
	s_ashr_i32 s25, s24, 31
	v_cmp_gt_i32_e64 s[6:7], s19, v22
	v_cmp_le_i32_e32 vcc, s19, v22
	v_mbcnt_lo_u32_b32 v9, -1, 0
	s_barrier
                                        ; implicit-def: $vgpr10
                                        ; implicit-def: $vgpr8
                                        ; implicit-def: $vgpr2
	s_and_saveexec_b64 s[2:3], vcc
	s_xor_b64 s[2:3], exec, s[2:3]
; %bb.5:
	v_mbcnt_hi_u32_b32 v10, -1, v9
	v_and_b32_e32 v8, 64, v10
	v_add_u32_e32 v2, 64, v8
                                        ; implicit-def: $vgpr4
                                        ; implicit-def: $vgpr9
; %bb.6:
	s_or_saveexec_b64 s[30:31], s[2:3]
	s_load_dwordx2 s[20:21], s[0:1], 0x0
	s_load_dwordx2 s[26:27], s[0:1], 0x18
	s_load_dword s17, s[0:1], 0x88
	s_load_dwordx4 s[8:11], s[0:1], 0x58
	v_mov_b32_e32 v11, 0xff7fffff
	s_mul_i32 s12, s12, s14
	v_lshrrev_b32_e32 v1, 4, v0
	s_xor_b64 exec, exec, s[30:31]
	s_cbranch_execz .LBB246_156
; %bb.7:
	s_load_dwordx2 s[0:1], s[0:1], 0x10
	s_ashr_i32 s2, s12, 31
	v_bfe_u32 v8, v0, 2, 4
	v_lshlrev_b32_e32 v2, 4, v8
	v_mov_b32_e32 v3, 0
	s_waitcnt lgkmcnt(0)
	s_add_u32 s0, s0, s12
	s_addc_u32 s1, s1, s2
	v_lshl_add_u64 v[6:7], s[0:1], 0, v[2:3]
	v_lshlrev_b32_e32 v2, 1, v4
	v_mul_u32_u24_e32 v12, 48, v4
	v_cmp_eq_u32_e32 vcc, 0, v4
	v_lshl_add_u64 v[4:5], v[6:7], 0, v[2:3]
	s_sub_i32 s41, 1, s33
	v_lshlrev_b32_e32 v2, 2, v8
	s_lshl_b64 s[0:1], s[24:25], 2
	v_lshl_or_b32 v2, v22, 6, v2
	s_add_u32 s0, s22, s0
	v_add_u32_e32 v14, 0xd0, v2
	v_and_b32_e32 v2, 60, v1
	s_addc_u32 s1, s23, s1
	s_mov_b32 s40, s13
	v_cmp_neq_f32_e64 s[2:3], s28, 0
	v_lshl_or_b32 v13, v22, 4, v8
	v_lshl_add_u64 v[6:7], s[0:1], 0, v[2:3]
	v_mov_b32_e32 v11, 0xff7fffff
	s_mov_b64 s[14:15], 0
	s_movk_i32 s42, 0x80
	s_movk_i32 s43, 0x7f
	s_mov_b32 s44, 0x8000
	v_mbcnt_hi_u32_b32 v10, -1, v9
	v_mov_b32_e32 v15, 0x2000
	v_mov_b32_e32 v16, v22
	s_branch .LBB246_9
.LBB246_8:                              ;   in Loop: Header=BB246_9 Depth=1
	s_or_b64 exec, exec, s[34:35]
	v_add_u32_e32 v16, 2, v16
	v_cmp_le_i32_e64 s[0:1], s19, v16
	v_add_u32_e32 v13, 32, v13
	v_add_u32_e32 v14, 0x80, v14
	s_or_b64 s[14:15], s[0:1], s[14:15]
	v_lshl_add_u64 v[6:7], v[6:7], 0, 8
	s_andn2_b64 exec, exec, s[14:15]
	s_cbranch_execz .LBB246_155
.LBB246_9:                              ; =>This Inner Loop Header: Depth=1
	global_load_dword v2, v[6:7], off
	s_waitcnt vmcnt(0)
	v_mad_i64_i32 v[8:9], s[0:1], v2, s40, v[4:5]
	global_load_ushort v18, v[8:9], off
	s_waitcnt lgkmcnt(0)
	global_load_dword v17, v3, s[8:9]
	s_waitcnt vmcnt(1)
	v_and_b32_e32 v2, 0xffff, v18
	v_cmp_ne_u16_sdwa s[0:1], v18, v3 src0_sel:BYTE_0 src1_sel:DWORD
	v_mov_b32_e32 v18, 0
	s_and_saveexec_b64 s[34:35], s[0:1]
	s_cbranch_execz .LBB246_15
; %bb.10:                               ;   in Loop: Header=BB246_9 Depth=1
	v_cmp_ne_u16_sdwa s[0:1], v2, s42 src0_sel:BYTE_0 src1_sel:DWORD
	v_mov_b32_e32 v18, 0x8000
	s_and_saveexec_b64 s[36:37], s[0:1]
	s_cbranch_execz .LBB246_14
; %bb.11:                               ;   in Loop: Header=BB246_9 Depth=1
	v_and_b32_e32 v19, 0x7f, v2
	v_cmp_ne_u32_e64 s[0:1], s43, v19
	v_mov_b32_e32 v18, 0x7c01
	s_and_saveexec_b64 s[38:39], s[0:1]
	s_cbranch_execz .LBB246_13
; %bb.12:                               ;   in Loop: Header=BB246_9 Depth=1
	v_and_b32_e32 v18, 7, v2
	v_ffbh_u32_e32 v20, v18
	v_min_u32_e32 v24, 32, v20
	v_subrev_u32_e32 v20, 28, v24
	v_lshlrev_b64 v[20:21], v20, v[2:3]
	v_lshrrev_b32_e32 v23, 3, v19
	v_sub_u32_e32 v21, 29, v24
	v_cmp_gt_u32_e64 s[0:1], 8, v19
	v_and_b32_e32 v20, 7, v20
	s_nop 0
	v_cndmask_b32_e64 v19, v23, v21, s[0:1]
	v_lshl_add_u32 v19, v19, 10, v15
	v_lshlrev_b32_e32 v21, 8, v2
	v_and_b32_e32 v19, 0xfc00, v19
	v_cndmask_b32_e64 v18, v18, v20, s[0:1]
	v_and_or_b32 v19, v21, s44, v19
	v_lshl_or_b32 v18, v18, 7, v19
.LBB246_13:                             ;   in Loop: Header=BB246_9 Depth=1
	s_or_b64 exec, exec, s[38:39]
.LBB246_14:                             ;   in Loop: Header=BB246_9 Depth=1
	s_or_b64 exec, exec, s[36:37]
.LBB246_15:                             ;   in Loop: Header=BB246_9 Depth=1
	s_or_b64 exec, exec, s[34:35]
	v_lshrrev_b16_e32 v2, 8, v2
	v_cmp_ne_u16_e64 s[0:1], 0, v2
	v_mov_b32_e32 v19, 0
	v_mov_b32_e32 v20, 0
	s_and_saveexec_b64 s[34:35], s[0:1]
	s_cbranch_execz .LBB246_21
; %bb.16:                               ;   in Loop: Header=BB246_9 Depth=1
	v_cmp_ne_u16_e64 s[0:1], s42, v2
	v_bfrev_b32_e32 v20, 1
	s_and_saveexec_b64 s[36:37], s[0:1]
	s_cbranch_execz .LBB246_20
; %bb.17:                               ;   in Loop: Header=BB246_9 Depth=1
	v_and_b32_e32 v21, 0x7f, v2
	v_cmp_ne_u32_e64 s[0:1], s43, v21
	v_mov_b32_e32 v20, 0x7c010000
	s_and_saveexec_b64 s[38:39], s[0:1]
	s_cbranch_execz .LBB246_19
; %bb.18:                               ;   in Loop: Header=BB246_9 Depth=1
	v_and_b32_e32 v20, 7, v2
	v_ffbh_u32_e32 v24, v20
	v_min_u32_e32 v26, 32, v24
	v_subrev_u32_e32 v24, 28, v26
	v_lshlrev_b64 v[24:25], v24, v[2:3]
	v_lshrrev_b32_e32 v23, 3, v21
	v_sub_u32_e32 v25, 29, v26
	v_cmp_gt_u32_e64 s[0:1], 8, v21
	v_lshlrev_b32_e32 v2, 8, v2
	s_nop 0
	v_cndmask_b32_e64 v21, v23, v25, s[0:1]
	v_lshl_add_u32 v21, v21, 10, v15
	v_and_b32_e32 v23, 7, v24
	v_and_or_b32 v2, v2, s44, v21
	v_cndmask_b32_e64 v20, v20, v23, s[0:1]
	v_lshlrev_b32_e32 v2, 16, v2
	v_lshl_or_b32 v20, v20, 23, v2
.LBB246_19:                             ;   in Loop: Header=BB246_9 Depth=1
	s_or_b64 exec, exec, s[38:39]
.LBB246_20:                             ;   in Loop: Header=BB246_9 Depth=1
	s_or_b64 exec, exec, s[36:37]
.LBB246_21:                             ;   in Loop: Header=BB246_9 Depth=1
	s_or_b64 exec, exec, s[34:35]
	global_load_ushort v21, v[8:9], off offset:8
	s_waitcnt vmcnt(0)
	v_and_b32_e32 v2, 0xffff, v21
	v_cmp_ne_u16_sdwa s[0:1], v21, v3 src0_sel:BYTE_0 src1_sel:DWORD
	s_and_saveexec_b64 s[34:35], s[0:1]
	s_cbranch_execz .LBB246_27
; %bb.22:                               ;   in Loop: Header=BB246_9 Depth=1
	v_cmp_ne_u16_sdwa s[0:1], v2, s42 src0_sel:BYTE_0 src1_sel:DWORD
	v_mov_b32_e32 v19, 0x8000
	s_and_saveexec_b64 s[36:37], s[0:1]
	s_cbranch_execz .LBB246_26
; %bb.23:                               ;   in Loop: Header=BB246_9 Depth=1
	v_and_b32_e32 v21, 0x7f, v2
	v_cmp_ne_u32_e64 s[0:1], s43, v21
	v_mov_b32_e32 v19, 0x7c01
	s_and_saveexec_b64 s[38:39], s[0:1]
	s_cbranch_execz .LBB246_25
; %bb.24:                               ;   in Loop: Header=BB246_9 Depth=1
	v_and_b32_e32 v19, 7, v2
	v_ffbh_u32_e32 v24, v19
	v_min_u32_e32 v26, 32, v24
	v_subrev_u32_e32 v24, 28, v26
	v_lshlrev_b64 v[24:25], v24, v[2:3]
	v_lshrrev_b32_e32 v23, 3, v21
	v_sub_u32_e32 v25, 29, v26
	v_cmp_gt_u32_e64 s[0:1], 8, v21
	v_and_b32_e32 v24, 7, v24
	s_nop 0
	v_cndmask_b32_e64 v21, v23, v25, s[0:1]
	v_lshl_add_u32 v21, v21, 10, v15
	v_lshlrev_b32_e32 v23, 8, v2
	v_and_b32_e32 v21, 0xfc00, v21
	v_cndmask_b32_e64 v19, v19, v24, s[0:1]
	v_and_or_b32 v21, v23, s44, v21
	v_lshl_or_b32 v19, v19, 7, v21
.LBB246_25:                             ;   in Loop: Header=BB246_9 Depth=1
	s_or_b64 exec, exec, s[38:39]
.LBB246_26:                             ;   in Loop: Header=BB246_9 Depth=1
	s_or_b64 exec, exec, s[36:37]
.LBB246_27:                             ;   in Loop: Header=BB246_9 Depth=1
	s_or_b64 exec, exec, s[34:35]
	v_lshrrev_b16_e32 v2, 8, v2
	v_cmp_ne_u16_e64 s[0:1], 0, v2
	v_mov_b32_e32 v21, 0
	v_mov_b32_e32 v23, 0
	s_and_saveexec_b64 s[34:35], s[0:1]
	s_cbranch_execz .LBB246_33
; %bb.28:                               ;   in Loop: Header=BB246_9 Depth=1
	v_cmp_ne_u16_e64 s[0:1], s42, v2
	v_bfrev_b32_e32 v23, 1
	s_and_saveexec_b64 s[36:37], s[0:1]
	s_cbranch_execz .LBB246_32
; %bb.29:                               ;   in Loop: Header=BB246_9 Depth=1
	v_and_b32_e32 v24, 0x7f, v2
	v_cmp_ne_u32_e64 s[0:1], s43, v24
	v_mov_b32_e32 v23, 0x7c010000
	s_and_saveexec_b64 s[38:39], s[0:1]
	s_cbranch_execz .LBB246_31
; %bb.30:                               ;   in Loop: Header=BB246_9 Depth=1
	v_and_b32_e32 v23, 7, v2
	v_ffbh_u32_e32 v26, v23
	v_min_u32_e32 v28, 32, v26
	v_subrev_u32_e32 v26, 28, v28
	v_lshlrev_b64 v[26:27], v26, v[2:3]
	v_lshrrev_b32_e32 v25, 3, v24
	v_sub_u32_e32 v27, 29, v28
	v_cmp_gt_u32_e64 s[0:1], 8, v24
	v_lshlrev_b32_e32 v2, 8, v2
	s_nop 0
	v_cndmask_b32_e64 v24, v25, v27, s[0:1]
	v_lshl_add_u32 v24, v24, 10, v15
	v_and_b32_e32 v25, 7, v26
	v_and_or_b32 v2, v2, s44, v24
	v_cndmask_b32_e64 v23, v23, v25, s[0:1]
	v_lshlrev_b32_e32 v2, 16, v2
	v_lshl_or_b32 v23, v23, 23, v2
.LBB246_31:                             ;   in Loop: Header=BB246_9 Depth=1
	s_or_b64 exec, exec, s[38:39]
.LBB246_32:                             ;   in Loop: Header=BB246_9 Depth=1
	s_or_b64 exec, exec, s[36:37]
.LBB246_33:                             ;   in Loop: Header=BB246_9 Depth=1
	s_or_b64 exec, exec, s[34:35]
	global_load_ushort v24, v[8:9], off offset:256
	s_waitcnt vmcnt(0)
	v_and_b32_e32 v2, 0xffff, v24
	v_cmp_ne_u16_sdwa s[0:1], v24, v3 src0_sel:BYTE_0 src1_sel:DWORD
	s_and_saveexec_b64 s[34:35], s[0:1]
	s_cbranch_execz .LBB246_39
; %bb.34:                               ;   in Loop: Header=BB246_9 Depth=1
	v_cmp_ne_u16_sdwa s[0:1], v2, s42 src0_sel:BYTE_0 src1_sel:DWORD
	v_mov_b32_e32 v21, 0x8000
	s_and_saveexec_b64 s[36:37], s[0:1]
	s_cbranch_execz .LBB246_38
; %bb.35:                               ;   in Loop: Header=BB246_9 Depth=1
	v_and_b32_e32 v24, 0x7f, v2
	v_cmp_ne_u32_e64 s[0:1], s43, v24
	v_mov_b32_e32 v21, 0x7c01
	s_and_saveexec_b64 s[38:39], s[0:1]
	s_cbranch_execz .LBB246_37
; %bb.36:                               ;   in Loop: Header=BB246_9 Depth=1
	v_and_b32_e32 v21, 7, v2
	v_ffbh_u32_e32 v26, v21
	v_min_u32_e32 v28, 32, v26
	v_subrev_u32_e32 v26, 28, v28
	v_lshlrev_b64 v[26:27], v26, v[2:3]
	v_lshrrev_b32_e32 v25, 3, v24
	v_sub_u32_e32 v27, 29, v28
	v_cmp_gt_u32_e64 s[0:1], 8, v24
	v_and_b32_e32 v26, 7, v26
	s_nop 0
	v_cndmask_b32_e64 v24, v25, v27, s[0:1]
	v_lshl_add_u32 v24, v24, 10, v15
	v_lshlrev_b32_e32 v25, 8, v2
	v_and_b32_e32 v24, 0xfc00, v24
	v_cndmask_b32_e64 v21, v21, v26, s[0:1]
	v_and_or_b32 v24, v25, s44, v24
	v_lshl_or_b32 v21, v21, 7, v24
.LBB246_37:                             ;   in Loop: Header=BB246_9 Depth=1
	s_or_b64 exec, exec, s[38:39]
.LBB246_38:                             ;   in Loop: Header=BB246_9 Depth=1
	s_or_b64 exec, exec, s[36:37]
.LBB246_39:                             ;   in Loop: Header=BB246_9 Depth=1
	s_or_b64 exec, exec, s[34:35]
	v_lshrrev_b16_e32 v2, 8, v2
	v_cmp_ne_u16_e64 s[0:1], 0, v2
	v_mov_b32_e32 v24, 0
	v_mov_b32_e32 v25, 0
	s_and_saveexec_b64 s[34:35], s[0:1]
	s_cbranch_execz .LBB246_45
; %bb.40:                               ;   in Loop: Header=BB246_9 Depth=1
	v_cmp_ne_u16_e64 s[0:1], s42, v2
	v_bfrev_b32_e32 v25, 1
	s_and_saveexec_b64 s[36:37], s[0:1]
	s_cbranch_execz .LBB246_44
; %bb.41:                               ;   in Loop: Header=BB246_9 Depth=1
	v_and_b32_e32 v26, 0x7f, v2
	v_cmp_ne_u32_e64 s[0:1], s43, v26
	v_mov_b32_e32 v25, 0x7c010000
	s_and_saveexec_b64 s[38:39], s[0:1]
	s_cbranch_execz .LBB246_43
; %bb.42:                               ;   in Loop: Header=BB246_9 Depth=1
	v_and_b32_e32 v25, 7, v2
	v_ffbh_u32_e32 v28, v25
	v_min_u32_e32 v30, 32, v28
	v_subrev_u32_e32 v28, 28, v30
	v_lshlrev_b64 v[28:29], v28, v[2:3]
	v_lshrrev_b32_e32 v27, 3, v26
	v_sub_u32_e32 v29, 29, v30
	v_cmp_gt_u32_e64 s[0:1], 8, v26
	v_lshlrev_b32_e32 v2, 8, v2
	s_nop 0
	v_cndmask_b32_e64 v26, v27, v29, s[0:1]
	v_lshl_add_u32 v26, v26, 10, v15
	v_and_b32_e32 v27, 7, v28
	v_and_or_b32 v2, v2, s44, v26
	v_cndmask_b32_e64 v25, v25, v27, s[0:1]
	v_lshlrev_b32_e32 v2, 16, v2
	v_lshl_or_b32 v25, v25, 23, v2
.LBB246_43:                             ;   in Loop: Header=BB246_9 Depth=1
	s_or_b64 exec, exec, s[38:39]
.LBB246_44:                             ;   in Loop: Header=BB246_9 Depth=1
	s_or_b64 exec, exec, s[36:37]
.LBB246_45:                             ;   in Loop: Header=BB246_9 Depth=1
	s_or_b64 exec, exec, s[34:35]
	global_load_ushort v26, v[8:9], off offset:264
	s_waitcnt vmcnt(0)
	v_and_b32_e32 v2, 0xffff, v26
	v_cmp_ne_u16_sdwa s[0:1], v26, v3 src0_sel:BYTE_0 src1_sel:DWORD
	s_and_saveexec_b64 s[34:35], s[0:1]
	s_cbranch_execz .LBB246_51
; %bb.46:                               ;   in Loop: Header=BB246_9 Depth=1
	v_cmp_ne_u16_sdwa s[0:1], v2, s42 src0_sel:BYTE_0 src1_sel:DWORD
	v_mov_b32_e32 v24, 0x8000
	s_and_saveexec_b64 s[36:37], s[0:1]
	s_cbranch_execz .LBB246_50
; %bb.47:                               ;   in Loop: Header=BB246_9 Depth=1
	v_and_b32_e32 v26, 0x7f, v2
	v_cmp_ne_u32_e64 s[0:1], s43, v26
	v_mov_b32_e32 v24, 0x7c01
	s_and_saveexec_b64 s[38:39], s[0:1]
	s_cbranch_execz .LBB246_49
; %bb.48:                               ;   in Loop: Header=BB246_9 Depth=1
	v_and_b32_e32 v24, 7, v2
	v_ffbh_u32_e32 v28, v24
	v_min_u32_e32 v30, 32, v28
	v_subrev_u32_e32 v28, 28, v30
	v_lshlrev_b64 v[28:29], v28, v[2:3]
	v_lshrrev_b32_e32 v27, 3, v26
	v_sub_u32_e32 v29, 29, v30
	v_cmp_gt_u32_e64 s[0:1], 8, v26
	v_and_b32_e32 v28, 7, v28
	s_nop 0
	v_cndmask_b32_e64 v26, v27, v29, s[0:1]
	v_lshl_add_u32 v26, v26, 10, v15
	v_lshlrev_b32_e32 v27, 8, v2
	v_and_b32_e32 v26, 0xfc00, v26
	v_cndmask_b32_e64 v24, v24, v28, s[0:1]
	v_and_or_b32 v26, v27, s44, v26
	v_lshl_or_b32 v24, v24, 7, v26
.LBB246_49:                             ;   in Loop: Header=BB246_9 Depth=1
	s_or_b64 exec, exec, s[38:39]
.LBB246_50:                             ;   in Loop: Header=BB246_9 Depth=1
	s_or_b64 exec, exec, s[36:37]
.LBB246_51:                             ;   in Loop: Header=BB246_9 Depth=1
	s_or_b64 exec, exec, s[34:35]
	v_lshrrev_b16_e32 v2, 8, v2
	v_cmp_ne_u16_e64 s[0:1], 0, v2
	v_mov_b32_e32 v26, 0
	v_mov_b32_e32 v27, 0
	s_and_saveexec_b64 s[34:35], s[0:1]
	s_cbranch_execz .LBB246_57
; %bb.52:                               ;   in Loop: Header=BB246_9 Depth=1
	v_cmp_ne_u16_e64 s[0:1], s42, v2
	v_bfrev_b32_e32 v27, 1
	s_and_saveexec_b64 s[36:37], s[0:1]
	s_cbranch_execz .LBB246_56
; %bb.53:                               ;   in Loop: Header=BB246_9 Depth=1
	v_and_b32_e32 v28, 0x7f, v2
	v_cmp_ne_u32_e64 s[0:1], s43, v28
	v_mov_b32_e32 v27, 0x7c010000
	s_and_saveexec_b64 s[38:39], s[0:1]
	s_cbranch_execz .LBB246_55
; %bb.54:                               ;   in Loop: Header=BB246_9 Depth=1
	v_and_b32_e32 v27, 7, v2
	v_ffbh_u32_e32 v30, v27
	v_min_u32_e32 v32, 32, v30
	v_subrev_u32_e32 v30, 28, v32
	v_lshlrev_b64 v[30:31], v30, v[2:3]
	v_lshrrev_b32_e32 v29, 3, v28
	v_sub_u32_e32 v31, 29, v32
	v_cmp_gt_u32_e64 s[0:1], 8, v28
	v_lshlrev_b32_e32 v2, 8, v2
	s_nop 0
	v_cndmask_b32_e64 v28, v29, v31, s[0:1]
	v_lshl_add_u32 v28, v28, 10, v15
	v_and_b32_e32 v29, 7, v30
	v_and_or_b32 v2, v2, s44, v28
	v_cndmask_b32_e64 v27, v27, v29, s[0:1]
	v_lshlrev_b32_e32 v2, 16, v2
	v_lshl_or_b32 v27, v27, 23, v2
.LBB246_55:                             ;   in Loop: Header=BB246_9 Depth=1
	s_or_b64 exec, exec, s[38:39]
.LBB246_56:                             ;   in Loop: Header=BB246_9 Depth=1
	s_or_b64 exec, exec, s[36:37]
.LBB246_57:                             ;   in Loop: Header=BB246_9 Depth=1
	s_or_b64 exec, exec, s[34:35]
	global_load_ushort v28, v[8:9], off offset:512
	s_waitcnt vmcnt(0)
	v_and_b32_e32 v2, 0xffff, v28
	v_cmp_ne_u16_sdwa s[0:1], v28, v3 src0_sel:BYTE_0 src1_sel:DWORD
	s_and_saveexec_b64 s[34:35], s[0:1]
	s_cbranch_execz .LBB246_63
; %bb.58:                               ;   in Loop: Header=BB246_9 Depth=1
	v_cmp_ne_u16_sdwa s[0:1], v2, s42 src0_sel:BYTE_0 src1_sel:DWORD
	v_mov_b32_e32 v26, 0x8000
	s_and_saveexec_b64 s[36:37], s[0:1]
	s_cbranch_execz .LBB246_62
; %bb.59:                               ;   in Loop: Header=BB246_9 Depth=1
	v_and_b32_e32 v28, 0x7f, v2
	v_cmp_ne_u32_e64 s[0:1], s43, v28
	v_mov_b32_e32 v26, 0x7c01
	s_and_saveexec_b64 s[38:39], s[0:1]
	s_cbranch_execz .LBB246_61
; %bb.60:                               ;   in Loop: Header=BB246_9 Depth=1
	v_and_b32_e32 v26, 7, v2
	v_ffbh_u32_e32 v30, v26
	v_min_u32_e32 v32, 32, v30
	v_subrev_u32_e32 v30, 28, v32
	v_lshlrev_b64 v[30:31], v30, v[2:3]
	v_lshrrev_b32_e32 v29, 3, v28
	v_sub_u32_e32 v31, 29, v32
	v_cmp_gt_u32_e64 s[0:1], 8, v28
	v_and_b32_e32 v30, 7, v30
	s_nop 0
	v_cndmask_b32_e64 v28, v29, v31, s[0:1]
	v_lshl_add_u32 v28, v28, 10, v15
	v_lshlrev_b32_e32 v29, 8, v2
	v_and_b32_e32 v28, 0xfc00, v28
	v_cndmask_b32_e64 v26, v26, v30, s[0:1]
	v_and_or_b32 v28, v29, s44, v28
	v_lshl_or_b32 v26, v26, 7, v28
.LBB246_61:                             ;   in Loop: Header=BB246_9 Depth=1
	s_or_b64 exec, exec, s[38:39]
.LBB246_62:                             ;   in Loop: Header=BB246_9 Depth=1
	s_or_b64 exec, exec, s[36:37]
.LBB246_63:                             ;   in Loop: Header=BB246_9 Depth=1
	s_or_b64 exec, exec, s[34:35]
	v_lshrrev_b16_e32 v2, 8, v2
	v_cmp_ne_u16_e64 s[0:1], 0, v2
	v_mov_b32_e32 v28, 0
	v_mov_b32_e32 v29, 0
	s_and_saveexec_b64 s[34:35], s[0:1]
	s_cbranch_execz .LBB246_69
; %bb.64:                               ;   in Loop: Header=BB246_9 Depth=1
	v_cmp_ne_u16_e64 s[0:1], s42, v2
	v_bfrev_b32_e32 v29, 1
	s_and_saveexec_b64 s[36:37], s[0:1]
	s_cbranch_execz .LBB246_68
; %bb.65:                               ;   in Loop: Header=BB246_9 Depth=1
	v_and_b32_e32 v30, 0x7f, v2
	v_cmp_ne_u32_e64 s[0:1], s43, v30
	v_mov_b32_e32 v29, 0x7c010000
	s_and_saveexec_b64 s[38:39], s[0:1]
	s_cbranch_execz .LBB246_67
; %bb.66:                               ;   in Loop: Header=BB246_9 Depth=1
	v_and_b32_e32 v29, 7, v2
	v_ffbh_u32_e32 v32, v29
	v_min_u32_e32 v34, 32, v32
	v_subrev_u32_e32 v32, 28, v34
	v_lshlrev_b64 v[32:33], v32, v[2:3]
	v_lshrrev_b32_e32 v31, 3, v30
	v_sub_u32_e32 v33, 29, v34
	v_cmp_gt_u32_e64 s[0:1], 8, v30
	v_lshlrev_b32_e32 v2, 8, v2
	s_nop 0
	v_cndmask_b32_e64 v30, v31, v33, s[0:1]
	v_lshl_add_u32 v30, v30, 10, v15
	v_and_b32_e32 v31, 7, v32
	v_and_or_b32 v2, v2, s44, v30
	v_cndmask_b32_e64 v29, v29, v31, s[0:1]
	v_lshlrev_b32_e32 v2, 16, v2
	v_lshl_or_b32 v29, v29, 23, v2
.LBB246_67:                             ;   in Loop: Header=BB246_9 Depth=1
	s_or_b64 exec, exec, s[38:39]
.LBB246_68:                             ;   in Loop: Header=BB246_9 Depth=1
	s_or_b64 exec, exec, s[36:37]
.LBB246_69:                             ;   in Loop: Header=BB246_9 Depth=1
	s_or_b64 exec, exec, s[34:35]
	global_load_ushort v30, v[8:9], off offset:520
	s_waitcnt vmcnt(0)
	v_and_b32_e32 v2, 0xffff, v30
	v_cmp_ne_u16_sdwa s[0:1], v30, v3 src0_sel:BYTE_0 src1_sel:DWORD
	s_and_saveexec_b64 s[34:35], s[0:1]
	s_cbranch_execz .LBB246_75
; %bb.70:                               ;   in Loop: Header=BB246_9 Depth=1
	v_cmp_ne_u16_sdwa s[0:1], v2, s42 src0_sel:BYTE_0 src1_sel:DWORD
	v_mov_b32_e32 v28, 0x8000
	s_and_saveexec_b64 s[36:37], s[0:1]
	s_cbranch_execz .LBB246_74
; %bb.71:                               ;   in Loop: Header=BB246_9 Depth=1
	v_and_b32_e32 v30, 0x7f, v2
	v_cmp_ne_u32_e64 s[0:1], s43, v30
	v_mov_b32_e32 v28, 0x7c01
	s_and_saveexec_b64 s[38:39], s[0:1]
	s_cbranch_execz .LBB246_73
; %bb.72:                               ;   in Loop: Header=BB246_9 Depth=1
	v_and_b32_e32 v28, 7, v2
	v_ffbh_u32_e32 v32, v28
	v_min_u32_e32 v34, 32, v32
	v_subrev_u32_e32 v32, 28, v34
	v_lshlrev_b64 v[32:33], v32, v[2:3]
	v_lshrrev_b32_e32 v31, 3, v30
	v_sub_u32_e32 v33, 29, v34
	v_cmp_gt_u32_e64 s[0:1], 8, v30
	v_and_b32_e32 v32, 7, v32
	s_nop 0
	v_cndmask_b32_e64 v30, v31, v33, s[0:1]
	v_lshl_add_u32 v30, v30, 10, v15
	v_lshlrev_b32_e32 v31, 8, v2
	v_and_b32_e32 v30, 0xfc00, v30
	v_cndmask_b32_e64 v28, v28, v32, s[0:1]
	v_and_or_b32 v30, v31, s44, v30
	v_lshl_or_b32 v28, v28, 7, v30
.LBB246_73:                             ;   in Loop: Header=BB246_9 Depth=1
	s_or_b64 exec, exec, s[38:39]
.LBB246_74:                             ;   in Loop: Header=BB246_9 Depth=1
	s_or_b64 exec, exec, s[36:37]
.LBB246_75:                             ;   in Loop: Header=BB246_9 Depth=1
	s_or_b64 exec, exec, s[34:35]
	v_lshrrev_b16_e32 v2, 8, v2
	v_cmp_ne_u16_e64 s[0:1], 0, v2
	v_mov_b32_e32 v31, 0
	v_mov_b32_e32 v30, 0
	s_and_saveexec_b64 s[34:35], s[0:1]
	s_cbranch_execz .LBB246_81
; %bb.76:                               ;   in Loop: Header=BB246_9 Depth=1
	v_cmp_ne_u16_e64 s[0:1], s42, v2
	v_bfrev_b32_e32 v30, 1
	s_and_saveexec_b64 s[36:37], s[0:1]
	s_cbranch_execz .LBB246_80
; %bb.77:                               ;   in Loop: Header=BB246_9 Depth=1
	v_and_b32_e32 v32, 0x7f, v2
	v_cmp_ne_u32_e64 s[0:1], s43, v32
	v_mov_b32_e32 v30, 0x7c010000
	s_and_saveexec_b64 s[38:39], s[0:1]
	s_cbranch_execz .LBB246_79
; %bb.78:                               ;   in Loop: Header=BB246_9 Depth=1
	v_and_b32_e32 v30, 7, v2
	v_ffbh_u32_e32 v34, v30
	v_min_u32_e32 v36, 32, v34
	v_subrev_u32_e32 v34, 28, v36
	v_lshlrev_b64 v[34:35], v34, v[2:3]
	v_lshrrev_b32_e32 v33, 3, v32
	v_sub_u32_e32 v35, 29, v36
	v_cmp_gt_u32_e64 s[0:1], 8, v32
	v_lshlrev_b32_e32 v2, 8, v2
	s_nop 0
	v_cndmask_b32_e64 v32, v33, v35, s[0:1]
	v_lshl_add_u32 v32, v32, 10, v15
	v_and_b32_e32 v33, 7, v34
	v_and_or_b32 v2, v2, s44, v32
	v_cndmask_b32_e64 v30, v30, v33, s[0:1]
	v_lshlrev_b32_e32 v2, 16, v2
	v_lshl_or_b32 v30, v30, 23, v2
.LBB246_79:                             ;   in Loop: Header=BB246_9 Depth=1
	s_or_b64 exec, exec, s[38:39]
.LBB246_80:                             ;   in Loop: Header=BB246_9 Depth=1
	s_or_b64 exec, exec, s[36:37]
.LBB246_81:                             ;   in Loop: Header=BB246_9 Depth=1
	s_or_b64 exec, exec, s[34:35]
	global_load_ushort v32, v[8:9], off offset:768
	s_waitcnt vmcnt(0)
	v_and_b32_e32 v2, 0xffff, v32
	v_cmp_ne_u16_sdwa s[0:1], v32, v3 src0_sel:BYTE_0 src1_sel:DWORD
	s_and_saveexec_b64 s[34:35], s[0:1]
	s_cbranch_execz .LBB246_87
; %bb.82:                               ;   in Loop: Header=BB246_9 Depth=1
	v_cmp_ne_u16_sdwa s[0:1], v2, s42 src0_sel:BYTE_0 src1_sel:DWORD
	v_mov_b32_e32 v31, 0x8000
	s_and_saveexec_b64 s[36:37], s[0:1]
	s_cbranch_execz .LBB246_86
; %bb.83:                               ;   in Loop: Header=BB246_9 Depth=1
	v_and_b32_e32 v32, 0x7f, v2
	v_cmp_ne_u32_e64 s[0:1], s43, v32
	v_mov_b32_e32 v31, 0x7c01
	s_and_saveexec_b64 s[38:39], s[0:1]
	s_cbranch_execz .LBB246_85
; %bb.84:                               ;   in Loop: Header=BB246_9 Depth=1
	v_and_b32_e32 v31, 7, v2
	v_ffbh_u32_e32 v34, v31
	v_min_u32_e32 v36, 32, v34
	v_subrev_u32_e32 v34, 28, v36
	v_lshlrev_b64 v[34:35], v34, v[2:3]
	v_lshrrev_b32_e32 v33, 3, v32
	v_sub_u32_e32 v35, 29, v36
	v_cmp_gt_u32_e64 s[0:1], 8, v32
	v_and_b32_e32 v34, 7, v34
	s_nop 0
	v_cndmask_b32_e64 v32, v33, v35, s[0:1]
	v_lshl_add_u32 v32, v32, 10, v15
	v_lshlrev_b32_e32 v33, 8, v2
	v_and_b32_e32 v32, 0xfc00, v32
	v_cndmask_b32_e64 v31, v31, v34, s[0:1]
	v_and_or_b32 v32, v33, s44, v32
	v_lshl_or_b32 v31, v31, 7, v32
.LBB246_85:                             ;   in Loop: Header=BB246_9 Depth=1
	s_or_b64 exec, exec, s[38:39]
.LBB246_86:                             ;   in Loop: Header=BB246_9 Depth=1
	s_or_b64 exec, exec, s[36:37]
.LBB246_87:                             ;   in Loop: Header=BB246_9 Depth=1
	s_or_b64 exec, exec, s[34:35]
	v_lshrrev_b16_e32 v2, 8, v2
	v_cmp_ne_u16_e64 s[0:1], 0, v2
	v_mov_b32_e32 v33, 0
	v_mov_b32_e32 v32, 0
	s_and_saveexec_b64 s[34:35], s[0:1]
	s_cbranch_execz .LBB246_93
; %bb.88:                               ;   in Loop: Header=BB246_9 Depth=1
	v_cmp_ne_u16_e64 s[0:1], s42, v2
	v_bfrev_b32_e32 v32, 1
	s_and_saveexec_b64 s[36:37], s[0:1]
	s_cbranch_execz .LBB246_92
; %bb.89:                               ;   in Loop: Header=BB246_9 Depth=1
	v_and_b32_e32 v34, 0x7f, v2
	v_cmp_ne_u32_e64 s[0:1], s43, v34
	v_mov_b32_e32 v32, 0x7c010000
	s_and_saveexec_b64 s[38:39], s[0:1]
	s_cbranch_execz .LBB246_91
; %bb.90:                               ;   in Loop: Header=BB246_9 Depth=1
	v_and_b32_e32 v32, 7, v2
	v_ffbh_u32_e32 v36, v32
	v_min_u32_e32 v38, 32, v36
	v_subrev_u32_e32 v36, 28, v38
	v_lshlrev_b64 v[36:37], v36, v[2:3]
	v_lshrrev_b32_e32 v35, 3, v34
	v_sub_u32_e32 v37, 29, v38
	v_cmp_gt_u32_e64 s[0:1], 8, v34
	v_lshlrev_b32_e32 v2, 8, v2
	s_nop 0
	v_cndmask_b32_e64 v34, v35, v37, s[0:1]
	v_lshl_add_u32 v34, v34, 10, v15
	v_and_b32_e32 v35, 7, v36
	v_and_or_b32 v2, v2, s44, v34
	v_cndmask_b32_e64 v32, v32, v35, s[0:1]
	v_lshlrev_b32_e32 v2, 16, v2
	v_lshl_or_b32 v32, v32, 23, v2
.LBB246_91:                             ;   in Loop: Header=BB246_9 Depth=1
	s_or_b64 exec, exec, s[38:39]
.LBB246_92:                             ;   in Loop: Header=BB246_9 Depth=1
	s_or_b64 exec, exec, s[36:37]
.LBB246_93:                             ;   in Loop: Header=BB246_9 Depth=1
	s_or_b64 exec, exec, s[34:35]
	global_load_ushort v34, v[8:9], off offset:776
	s_waitcnt vmcnt(0)
	v_and_b32_e32 v2, 0xffff, v34
	v_cmp_ne_u16_sdwa s[0:1], v34, v3 src0_sel:BYTE_0 src1_sel:DWORD
	s_and_saveexec_b64 s[34:35], s[0:1]
	s_cbranch_execz .LBB246_99
; %bb.94:                               ;   in Loop: Header=BB246_9 Depth=1
	v_cmp_ne_u16_sdwa s[0:1], v2, s42 src0_sel:BYTE_0 src1_sel:DWORD
	v_mov_b32_e32 v33, 0x8000
	s_and_saveexec_b64 s[36:37], s[0:1]
	s_cbranch_execz .LBB246_98
; %bb.95:                               ;   in Loop: Header=BB246_9 Depth=1
	v_and_b32_e32 v34, 0x7f, v2
	v_cmp_ne_u32_e64 s[0:1], s43, v34
	v_mov_b32_e32 v33, 0x7c01
	s_and_saveexec_b64 s[38:39], s[0:1]
	s_cbranch_execz .LBB246_97
; %bb.96:                               ;   in Loop: Header=BB246_9 Depth=1
	v_and_b32_e32 v33, 7, v2
	v_ffbh_u32_e32 v36, v33
	v_min_u32_e32 v38, 32, v36
	v_subrev_u32_e32 v36, 28, v38
	v_lshlrev_b64 v[36:37], v36, v[2:3]
	v_lshrrev_b32_e32 v35, 3, v34
	v_sub_u32_e32 v37, 29, v38
	v_cmp_gt_u32_e64 s[0:1], 8, v34
	v_and_b32_e32 v36, 7, v36
	s_nop 0
	v_cndmask_b32_e64 v34, v35, v37, s[0:1]
	v_lshl_add_u32 v34, v34, 10, v15
	v_lshlrev_b32_e32 v35, 8, v2
	v_and_b32_e32 v34, 0xfc00, v34
	v_cndmask_b32_e64 v33, v33, v36, s[0:1]
	v_and_or_b32 v34, v35, s44, v34
	v_lshl_or_b32 v33, v33, 7, v34
.LBB246_97:                             ;   in Loop: Header=BB246_9 Depth=1
	s_or_b64 exec, exec, s[38:39]
.LBB246_98:                             ;   in Loop: Header=BB246_9 Depth=1
	s_or_b64 exec, exec, s[36:37]
.LBB246_99:                             ;   in Loop: Header=BB246_9 Depth=1
	s_or_b64 exec, exec, s[34:35]
	v_lshrrev_b16_e32 v2, 8, v2
	v_cmp_ne_u16_e64 s[0:1], 0, v2
	v_mov_b32_e32 v35, 0
	v_mov_b32_e32 v34, 0
	s_and_saveexec_b64 s[34:35], s[0:1]
	s_cbranch_execz .LBB246_105
; %bb.100:                              ;   in Loop: Header=BB246_9 Depth=1
	v_cmp_ne_u16_e64 s[0:1], s42, v2
	v_bfrev_b32_e32 v34, 1
	s_and_saveexec_b64 s[36:37], s[0:1]
	s_cbranch_execz .LBB246_104
; %bb.101:                              ;   in Loop: Header=BB246_9 Depth=1
	v_and_b32_e32 v36, 0x7f, v2
	v_cmp_ne_u32_e64 s[0:1], s43, v36
	v_mov_b32_e32 v34, 0x7c010000
	s_and_saveexec_b64 s[38:39], s[0:1]
	s_cbranch_execz .LBB246_103
; %bb.102:                              ;   in Loop: Header=BB246_9 Depth=1
	v_and_b32_e32 v34, 7, v2
	v_ffbh_u32_e32 v38, v34
	v_min_u32_e32 v40, 32, v38
	v_subrev_u32_e32 v38, 28, v40
	v_lshlrev_b64 v[38:39], v38, v[2:3]
	v_lshrrev_b32_e32 v37, 3, v36
	v_sub_u32_e32 v39, 29, v40
	v_cmp_gt_u32_e64 s[0:1], 8, v36
	v_lshlrev_b32_e32 v2, 8, v2
	s_nop 0
	v_cndmask_b32_e64 v36, v37, v39, s[0:1]
	v_lshl_add_u32 v36, v36, 10, v15
	v_and_b32_e32 v37, 7, v38
	v_and_or_b32 v2, v2, s44, v36
	v_cndmask_b32_e64 v34, v34, v37, s[0:1]
	v_lshlrev_b32_e32 v2, 16, v2
	v_lshl_or_b32 v34, v34, 23, v2
.LBB246_103:                            ;   in Loop: Header=BB246_9 Depth=1
	s_or_b64 exec, exec, s[38:39]
.LBB246_104:                            ;   in Loop: Header=BB246_9 Depth=1
	s_or_b64 exec, exec, s[36:37]
.LBB246_105:                            ;   in Loop: Header=BB246_9 Depth=1
	s_or_b64 exec, exec, s[34:35]
	global_load_ushort v36, v[8:9], off offset:1024
	s_waitcnt vmcnt(0)
	v_and_b32_e32 v2, 0xffff, v36
	v_cmp_ne_u16_sdwa s[0:1], v36, v3 src0_sel:BYTE_0 src1_sel:DWORD
	s_and_saveexec_b64 s[34:35], s[0:1]
	s_cbranch_execz .LBB246_111
; %bb.106:                              ;   in Loop: Header=BB246_9 Depth=1
	v_cmp_ne_u16_sdwa s[0:1], v2, s42 src0_sel:BYTE_0 src1_sel:DWORD
	v_mov_b32_e32 v35, 0x8000
	s_and_saveexec_b64 s[36:37], s[0:1]
	s_cbranch_execz .LBB246_110
; %bb.107:                              ;   in Loop: Header=BB246_9 Depth=1
	v_and_b32_e32 v36, 0x7f, v2
	v_cmp_ne_u32_e64 s[0:1], s43, v36
	v_mov_b32_e32 v35, 0x7c01
	s_and_saveexec_b64 s[38:39], s[0:1]
	s_cbranch_execz .LBB246_109
; %bb.108:                              ;   in Loop: Header=BB246_9 Depth=1
	v_and_b32_e32 v35, 7, v2
	v_ffbh_u32_e32 v38, v35
	v_min_u32_e32 v40, 32, v38
	v_subrev_u32_e32 v38, 28, v40
	v_lshlrev_b64 v[38:39], v38, v[2:3]
	v_lshrrev_b32_e32 v37, 3, v36
	v_sub_u32_e32 v39, 29, v40
	v_cmp_gt_u32_e64 s[0:1], 8, v36
	v_and_b32_e32 v38, 7, v38
	s_nop 0
	v_cndmask_b32_e64 v36, v37, v39, s[0:1]
	v_lshl_add_u32 v36, v36, 10, v15
	v_lshlrev_b32_e32 v37, 8, v2
	v_and_b32_e32 v36, 0xfc00, v36
	v_cndmask_b32_e64 v35, v35, v38, s[0:1]
	v_and_or_b32 v36, v37, s44, v36
	v_lshl_or_b32 v35, v35, 7, v36
.LBB246_109:                            ;   in Loop: Header=BB246_9 Depth=1
	s_or_b64 exec, exec, s[38:39]
.LBB246_110:                            ;   in Loop: Header=BB246_9 Depth=1
	s_or_b64 exec, exec, s[36:37]
.LBB246_111:                            ;   in Loop: Header=BB246_9 Depth=1
	s_or_b64 exec, exec, s[34:35]
	v_lshrrev_b16_e32 v2, 8, v2
	v_cmp_ne_u16_e64 s[0:1], 0, v2
	v_mov_b32_e32 v37, 0
	v_mov_b32_e32 v36, 0
	s_and_saveexec_b64 s[34:35], s[0:1]
	s_cbranch_execz .LBB246_117
; %bb.112:                              ;   in Loop: Header=BB246_9 Depth=1
	v_cmp_ne_u16_e64 s[0:1], s42, v2
	v_bfrev_b32_e32 v36, 1
	s_and_saveexec_b64 s[36:37], s[0:1]
	s_cbranch_execz .LBB246_116
; %bb.113:                              ;   in Loop: Header=BB246_9 Depth=1
	v_and_b32_e32 v38, 0x7f, v2
	v_cmp_ne_u32_e64 s[0:1], s43, v38
	v_mov_b32_e32 v36, 0x7c010000
	s_and_saveexec_b64 s[38:39], s[0:1]
	s_cbranch_execz .LBB246_115
; %bb.114:                              ;   in Loop: Header=BB246_9 Depth=1
	v_and_b32_e32 v36, 7, v2
	v_ffbh_u32_e32 v40, v36
	v_min_u32_e32 v42, 32, v40
	v_subrev_u32_e32 v40, 28, v42
	v_lshlrev_b64 v[40:41], v40, v[2:3]
	v_lshrrev_b32_e32 v39, 3, v38
	v_sub_u32_e32 v41, 29, v42
	v_cmp_gt_u32_e64 s[0:1], 8, v38
	v_lshlrev_b32_e32 v2, 8, v2
	s_nop 0
	v_cndmask_b32_e64 v38, v39, v41, s[0:1]
	v_lshl_add_u32 v38, v38, 10, v15
	v_and_b32_e32 v39, 7, v40
	v_and_or_b32 v2, v2, s44, v38
	v_cndmask_b32_e64 v36, v36, v39, s[0:1]
	v_lshlrev_b32_e32 v2, 16, v2
	v_lshl_or_b32 v36, v36, 23, v2
.LBB246_115:                            ;   in Loop: Header=BB246_9 Depth=1
	s_or_b64 exec, exec, s[38:39]
.LBB246_116:                            ;   in Loop: Header=BB246_9 Depth=1
	s_or_b64 exec, exec, s[36:37]
.LBB246_117:                            ;   in Loop: Header=BB246_9 Depth=1
	s_or_b64 exec, exec, s[34:35]
	global_load_ushort v38, v[8:9], off offset:1032
	s_waitcnt vmcnt(0)
	v_and_b32_e32 v2, 0xffff, v38
	v_cmp_ne_u16_sdwa s[0:1], v38, v3 src0_sel:BYTE_0 src1_sel:DWORD
	s_and_saveexec_b64 s[34:35], s[0:1]
	s_cbranch_execz .LBB246_123
; %bb.118:                              ;   in Loop: Header=BB246_9 Depth=1
	v_cmp_ne_u16_sdwa s[0:1], v2, s42 src0_sel:BYTE_0 src1_sel:DWORD
	v_mov_b32_e32 v37, 0x8000
	s_and_saveexec_b64 s[36:37], s[0:1]
	s_cbranch_execz .LBB246_122
; %bb.119:                              ;   in Loop: Header=BB246_9 Depth=1
	v_and_b32_e32 v38, 0x7f, v2
	v_cmp_ne_u32_e64 s[0:1], s43, v38
	v_mov_b32_e32 v37, 0x7c01
	s_and_saveexec_b64 s[38:39], s[0:1]
	s_cbranch_execz .LBB246_121
; %bb.120:                              ;   in Loop: Header=BB246_9 Depth=1
	v_and_b32_e32 v37, 7, v2
	v_ffbh_u32_e32 v40, v37
	v_min_u32_e32 v42, 32, v40
	v_subrev_u32_e32 v40, 28, v42
	v_lshlrev_b64 v[40:41], v40, v[2:3]
	v_lshrrev_b32_e32 v39, 3, v38
	v_sub_u32_e32 v41, 29, v42
	v_cmp_gt_u32_e64 s[0:1], 8, v38
	v_and_b32_e32 v40, 7, v40
	s_nop 0
	v_cndmask_b32_e64 v38, v39, v41, s[0:1]
	v_lshl_add_u32 v38, v38, 10, v15
	v_lshlrev_b32_e32 v39, 8, v2
	v_and_b32_e32 v38, 0xfc00, v38
	v_cndmask_b32_e64 v37, v37, v40, s[0:1]
	v_and_or_b32 v38, v39, s44, v38
	v_lshl_or_b32 v37, v37, 7, v38
.LBB246_121:                            ;   in Loop: Header=BB246_9 Depth=1
	s_or_b64 exec, exec, s[38:39]
.LBB246_122:                            ;   in Loop: Header=BB246_9 Depth=1
	s_or_b64 exec, exec, s[36:37]
.LBB246_123:                            ;   in Loop: Header=BB246_9 Depth=1
	s_or_b64 exec, exec, s[34:35]
	v_lshrrev_b16_e32 v2, 8, v2
	v_cmp_ne_u16_e64 s[0:1], 0, v2
	v_mov_b32_e32 v40, 0
	v_mov_b32_e32 v39, 0
	s_and_saveexec_b64 s[34:35], s[0:1]
	s_cbranch_execz .LBB246_129
; %bb.124:                              ;   in Loop: Header=BB246_9 Depth=1
	v_cmp_ne_u16_e64 s[0:1], s42, v2
	v_bfrev_b32_e32 v39, 1
	s_and_saveexec_b64 s[36:37], s[0:1]
	s_cbranch_execz .LBB246_128
; %bb.125:                              ;   in Loop: Header=BB246_9 Depth=1
	v_and_b32_e32 v38, 0x7f, v2
	v_cmp_ne_u32_e64 s[0:1], s43, v38
	v_mov_b32_e32 v39, 0x7c010000
	s_and_saveexec_b64 s[38:39], s[0:1]
	s_cbranch_execz .LBB246_127
; %bb.126:                              ;   in Loop: Header=BB246_9 Depth=1
	v_and_b32_e32 v39, 7, v2
	v_ffbh_u32_e32 v42, v39
	v_min_u32_e32 v44, 32, v42
	v_subrev_u32_e32 v42, 28, v44
	v_lshlrev_b64 v[42:43], v42, v[2:3]
	v_lshrrev_b32_e32 v41, 3, v38
	v_sub_u32_e32 v43, 29, v44
	v_cmp_gt_u32_e64 s[0:1], 8, v38
	v_lshlrev_b32_e32 v2, 8, v2
	s_nop 0
	v_cndmask_b32_e64 v38, v41, v43, s[0:1]
	v_lshl_add_u32 v38, v38, 10, v15
	v_and_b32_e32 v41, 7, v42
	v_and_or_b32 v2, v2, s44, v38
	v_cndmask_b32_e64 v39, v39, v41, s[0:1]
	v_lshlrev_b32_e32 v2, 16, v2
	v_lshl_or_b32 v39, v39, 23, v2
.LBB246_127:                            ;   in Loop: Header=BB246_9 Depth=1
	s_or_b64 exec, exec, s[38:39]
.LBB246_128:                            ;   in Loop: Header=BB246_9 Depth=1
	s_or_b64 exec, exec, s[36:37]
.LBB246_129:                            ;   in Loop: Header=BB246_9 Depth=1
	s_or_b64 exec, exec, s[34:35]
	global_load_ushort v38, v[8:9], off offset:1280
	s_waitcnt vmcnt(0)
	v_and_b32_e32 v2, 0xffff, v38
	v_cmp_ne_u16_sdwa s[0:1], v38, v3 src0_sel:BYTE_0 src1_sel:DWORD
	s_and_saveexec_b64 s[34:35], s[0:1]
	s_cbranch_execz .LBB246_135
; %bb.130:                              ;   in Loop: Header=BB246_9 Depth=1
	v_cmp_ne_u16_sdwa s[0:1], v2, s42 src0_sel:BYTE_0 src1_sel:DWORD
	v_mov_b32_e32 v40, 0x8000
	s_and_saveexec_b64 s[36:37], s[0:1]
	s_cbranch_execz .LBB246_134
; %bb.131:                              ;   in Loop: Header=BB246_9 Depth=1
	v_and_b32_e32 v38, 0x7f, v2
	v_cmp_ne_u32_e64 s[0:1], s43, v38
	v_mov_b32_e32 v40, 0x7c01
	s_and_saveexec_b64 s[38:39], s[0:1]
	s_cbranch_execz .LBB246_133
; %bb.132:                              ;   in Loop: Header=BB246_9 Depth=1
	v_and_b32_e32 v42, 7, v2
	v_ffbh_u32_e32 v40, v42
	v_min_u32_e32 v44, 32, v40
	v_subrev_u32_e32 v40, 28, v44
	v_lshlrev_b64 v[40:41], v40, v[2:3]
	v_lshrrev_b32_e32 v43, 3, v38
	v_sub_u32_e32 v41, 29, v44
	v_cmp_gt_u32_e64 s[0:1], 8, v38
	v_and_b32_e32 v40, 7, v40
	s_nop 0
	v_cndmask_b32_e64 v38, v43, v41, s[0:1]
	v_lshl_add_u32 v38, v38, 10, v15
	v_lshlrev_b32_e32 v41, 8, v2
	v_and_b32_e32 v38, 0xfc00, v38
	v_cndmask_b32_e64 v40, v42, v40, s[0:1]
	v_and_or_b32 v38, v41, s44, v38
	v_lshl_or_b32 v40, v40, 7, v38
.LBB246_133:                            ;   in Loop: Header=BB246_9 Depth=1
	s_or_b64 exec, exec, s[38:39]
.LBB246_134:                            ;   in Loop: Header=BB246_9 Depth=1
	s_or_b64 exec, exec, s[36:37]
.LBB246_135:                            ;   in Loop: Header=BB246_9 Depth=1
	s_or_b64 exec, exec, s[34:35]
	v_lshrrev_b16_e32 v2, 8, v2
	v_cmp_ne_u16_e64 s[0:1], 0, v2
	v_mov_b32_e32 v38, 0
	v_mov_b32_e32 v41, 0
	s_and_saveexec_b64 s[34:35], s[0:1]
	s_cbranch_execz .LBB246_141
; %bb.136:                              ;   in Loop: Header=BB246_9 Depth=1
	v_cmp_ne_u16_e64 s[0:1], s42, v2
	v_bfrev_b32_e32 v41, 1
	s_and_saveexec_b64 s[36:37], s[0:1]
	s_cbranch_execz .LBB246_140
; %bb.137:                              ;   in Loop: Header=BB246_9 Depth=1
	v_and_b32_e32 v42, 0x7f, v2
	v_cmp_ne_u32_e64 s[0:1], s43, v42
	v_mov_b32_e32 v41, 0x7c010000
	s_and_saveexec_b64 s[38:39], s[0:1]
	s_cbranch_execz .LBB246_139
; %bb.138:                              ;   in Loop: Header=BB246_9 Depth=1
	v_and_b32_e32 v41, 7, v2
	v_ffbh_u32_e32 v44, v41
	v_min_u32_e32 v46, 32, v44
	v_subrev_u32_e32 v44, 28, v46
	v_lshlrev_b64 v[44:45], v44, v[2:3]
	v_lshrrev_b32_e32 v43, 3, v42
	v_sub_u32_e32 v45, 29, v46
	v_cmp_gt_u32_e64 s[0:1], 8, v42
	v_lshlrev_b32_e32 v2, 8, v2
	s_nop 0
	v_cndmask_b32_e64 v42, v43, v45, s[0:1]
	v_lshl_add_u32 v42, v42, 10, v15
	v_and_b32_e32 v43, 7, v44
	v_and_or_b32 v2, v2, s44, v42
	v_cndmask_b32_e64 v41, v41, v43, s[0:1]
	v_lshlrev_b32_e32 v2, 16, v2
	v_lshl_or_b32 v41, v41, 23, v2
.LBB246_139:                            ;   in Loop: Header=BB246_9 Depth=1
	s_or_b64 exec, exec, s[38:39]
.LBB246_140:                            ;   in Loop: Header=BB246_9 Depth=1
	s_or_b64 exec, exec, s[36:37]
.LBB246_141:                            ;   in Loop: Header=BB246_9 Depth=1
	s_or_b64 exec, exec, s[34:35]
	global_load_ushort v8, v[8:9], off offset:1288
	s_waitcnt vmcnt(0)
	v_and_b32_e32 v2, 0xffff, v8
	v_cmp_ne_u16_sdwa s[0:1], v8, v3 src0_sel:BYTE_0 src1_sel:DWORD
	s_and_saveexec_b64 s[34:35], s[0:1]
	s_cbranch_execz .LBB246_147
; %bb.142:                              ;   in Loop: Header=BB246_9 Depth=1
	v_cmp_ne_u16_sdwa s[0:1], v2, s42 src0_sel:BYTE_0 src1_sel:DWORD
	v_mov_b32_e32 v38, 0x8000
	s_and_saveexec_b64 s[36:37], s[0:1]
	s_cbranch_execz .LBB246_146
; %bb.143:                              ;   in Loop: Header=BB246_9 Depth=1
	v_and_b32_e32 v8, 0x7f, v2
	v_cmp_ne_u32_e64 s[0:1], s43, v8
	v_mov_b32_e32 v38, 0x7c01
	s_and_saveexec_b64 s[38:39], s[0:1]
	s_cbranch_execz .LBB246_145
; %bb.144:                              ;   in Loop: Header=BB246_9 Depth=1
	v_and_b32_e32 v9, 7, v2
	v_ffbh_u32_e32 v42, v9
	v_min_u32_e32 v44, 32, v42
	v_subrev_u32_e32 v42, 28, v44
	v_lshlrev_b64 v[42:43], v42, v[2:3]
	v_lshrrev_b32_e32 v38, 3, v8
	v_sub_u32_e32 v43, 29, v44
	v_cmp_gt_u32_e64 s[0:1], 8, v8
	v_and_b32_e32 v42, 7, v42
	s_nop 0
	v_cndmask_b32_e64 v8, v38, v43, s[0:1]
	v_lshl_add_u32 v8, v8, 10, v15
	v_lshlrev_b32_e32 v38, 8, v2
	v_and_b32_e32 v8, 0xfc00, v8
	v_cndmask_b32_e64 v9, v9, v42, s[0:1]
	v_and_or_b32 v8, v38, s44, v8
	v_lshl_or_b32 v38, v9, 7, v8
.LBB246_145:                            ;   in Loop: Header=BB246_9 Depth=1
	s_or_b64 exec, exec, s[38:39]
.LBB246_146:                            ;   in Loop: Header=BB246_9 Depth=1
	s_or_b64 exec, exec, s[36:37]
.LBB246_147:                            ;   in Loop: Header=BB246_9 Depth=1
	s_or_b64 exec, exec, s[34:35]
	v_lshrrev_b16_e32 v2, 8, v2
	v_cmp_ne_u16_e64 s[0:1], 0, v2
	v_mov_b32_e32 v8, 0
	s_and_saveexec_b64 s[34:35], s[0:1]
	s_cbranch_execz .LBB246_153
; %bb.148:                              ;   in Loop: Header=BB246_9 Depth=1
	v_cmp_ne_u16_e64 s[0:1], s42, v2
	v_bfrev_b32_e32 v8, 1
	s_and_saveexec_b64 s[36:37], s[0:1]
	s_cbranch_execz .LBB246_152
; %bb.149:                              ;   in Loop: Header=BB246_9 Depth=1
	v_and_b32_e32 v9, 0x7f, v2
	v_cmp_ne_u32_e64 s[0:1], s43, v9
	v_mov_b32_e32 v8, 0x7c010000
	s_and_saveexec_b64 s[38:39], s[0:1]
	s_cbranch_execz .LBB246_151
; %bb.150:                              ;   in Loop: Header=BB246_9 Depth=1
	v_and_b32_e32 v8, 7, v2
	v_ffbh_u32_e32 v42, v8
	v_min_u32_e32 v45, 32, v42
	v_subrev_u32_e32 v42, 28, v45
	v_lshlrev_b64 v[42:43], v42, v[2:3]
	v_lshrrev_b32_e32 v44, 3, v9
	v_sub_u32_e32 v43, 29, v45
	v_cmp_gt_u32_e64 s[0:1], 8, v9
	v_lshlrev_b32_e32 v2, 8, v2
	v_and_b32_e32 v42, 7, v42
	v_cndmask_b32_e64 v9, v44, v43, s[0:1]
	v_lshl_add_u32 v9, v9, 10, v15
	v_and_or_b32 v2, v2, s44, v9
	v_cndmask_b32_e64 v8, v8, v42, s[0:1]
	v_lshlrev_b32_e32 v2, 16, v2
	v_lshl_or_b32 v8, v8, 23, v2
.LBB246_151:                            ;   in Loop: Header=BB246_9 Depth=1
	s_or_b64 exec, exec, s[38:39]
.LBB246_152:                            ;   in Loop: Header=BB246_9 Depth=1
	s_or_b64 exec, exec, s[36:37]
.LBB246_153:                            ;   in Loop: Header=BB246_9 Depth=1
	s_or_b64 exec, exec, s[34:35]
	v_or_b32_e32 v2, v41, v40
	ds_read_b32 v40, v12
	v_or_b32_e32 v18, v20, v18
	v_fma_mixlo_f16 v18, v17, v18, 0 op_sel_hi:[0,1,0]
	v_fma_mixlo_f16 v20, v17, v20, 0 op_sel:[0,1,0] op_sel_hi:[0,1,0]
	v_fma_mixlo_f16 v9, v17, v41, 0 op_sel:[0,1,0] op_sel_hi:[0,1,0]
	s_waitcnt lgkmcnt(0)
	v_lshrrev_b32_e32 v41, 16, v40
	v_and_b32_e32 v40, 0xffff, v40
	v_and_b32_e32 v18, 0xffff, v18
	;; [unrolled: 1-line block ×3, first 2 shown]
	;;#ASMSTART
	v_cvt_f32_f16 v40, v40;
	;;#ASMEND
	;;#ASMSTART
	v_cvt_f32_f16 v41, v41;
	;;#ASMEND
	;;#ASMSTART
	v_cvt_f32_f16 v18, v18;
	;;#ASMEND
	;;#ASMSTART
	v_cvt_f32_f16 v20, v20;
	;;#ASMEND
	ds_read_b32 v42, v12 offset:4
	v_or_b32_e32 v19, v23, v19
	v_fma_mixlo_f16 v19, v17, v19, 0 op_sel_hi:[0,1,0]
	v_fma_mixlo_f16 v23, v17, v23, 0 op_sel:[0,1,0] op_sel_hi:[0,1,0]
	v_and_b32_e32 v19, 0xffff, v19
	s_waitcnt lgkmcnt(0)
	v_lshrrev_b32_e32 v43, 16, v42
	v_and_b32_e32 v42, 0xffff, v42
	v_and_b32_e32 v23, 0xffff, v23
	;;#ASMSTART
	v_cvt_f32_f16 v42, v42;
	;;#ASMEND
	;;#ASMSTART
	v_cvt_f32_f16 v43, v43;
	;;#ASMEND
	;;#ASMSTART
	v_cvt_f32_f16 v19, v19;
	;;#ASMEND
	;;#ASMSTART
	v_cvt_f32_f16 v23, v23;
	;;#ASMEND
	ds_read_b32 v44, v12 offset:8
	v_or_b32_e32 v21, v25, v21
	v_fma_mixlo_f16 v21, v17, v21, 0 op_sel_hi:[0,1,0]
	v_fma_mixlo_f16 v25, v17, v25, 0 op_sel:[0,1,0] op_sel_hi:[0,1,0]
	v_and_b32_e32 v21, 0xffff, v21
	s_waitcnt lgkmcnt(0)
	v_lshrrev_b32_e32 v45, 16, v44
	v_and_b32_e32 v44, 0xffff, v44
	v_and_b32_e32 v25, 0xffff, v25
	;; [unrolled: 21-line block ×5, first 2 shown]
	;;#ASMSTART
	v_cvt_f32_f16 v50, v50;
	;;#ASMEND
	;;#ASMSTART
	v_cvt_f32_f16 v51, v51;
	;;#ASMEND
	;; [unrolled: 3-line block ×4, first 2 shown]
	ds_read_b32 v52, v12 offset:24
	v_or_b32_e32 v37, v39, v37
	v_or_b32_e32 v35, v36, v35
	;; [unrolled: 1-line block ×5, first 2 shown]
	v_fma_mixlo_f16 v2, v17, v2, 0 op_sel_hi:[0,1,0]
	v_fma_mixlo_f16 v37, v17, v37, 0 op_sel_hi:[0,1,0]
	v_fma_mixlo_f16 v39, v17, v39, 0 op_sel:[0,1,0] op_sel_hi:[0,1,0]
	v_fma_mixlo_f16 v35, v17, v35, 0 op_sel_hi:[0,1,0]
	v_fma_mixlo_f16 v36, v17, v36, 0 op_sel:[0,1,0] op_sel_hi:[0,1,0]
	;; [unrolled: 2-line block ×5, first 2 shown]
	v_mul_f32_e32 v17, v42, v19
	v_fmac_f32_e32 v17, v40, v18
	s_waitcnt lgkmcnt(0)
	v_lshrrev_b32_e32 v19, 16, v52
	v_and_b32_e32 v18, 0xffff, v52
	v_and_b32_e32 v31, 0xffff, v31
	;; [unrolled: 1-line block ×3, first 2 shown]
	;;#ASMSTART
	v_cvt_f32_f16 v18, v18;
	;;#ASMEND
	;;#ASMSTART
	v_cvt_f32_f16 v19, v19;
	;;#ASMEND
	;;#ASMSTART
	v_cvt_f32_f16 v31, v31;
	;;#ASMEND
	;;#ASMSTART
	v_cvt_f32_f16 v32, v32;
	;;#ASMEND
	ds_read_b32 v40, v12 offset:28
	v_mul_f32_e32 v23, v43, v23
	v_fmac_f32_e32 v23, v41, v20
	v_fmac_f32_e32 v17, v44, v21
	v_fmac_f32_e32 v23, v45, v25
	s_waitcnt lgkmcnt(0)
	v_lshrrev_b32_e32 v21, 16, v40
	v_and_b32_e32 v20, 0xffff, v40
	v_and_b32_e32 v25, 0xffff, v33
	v_and_b32_e32 v33, 0xffff, v34
	;;#ASMSTART
	v_cvt_f32_f16 v20, v20;
	;;#ASMEND
	;;#ASMSTART
	v_cvt_f32_f16 v21, v21;
	;;#ASMEND
	;;#ASMSTART
	v_cvt_f32_f16 v25, v25;
	;;#ASMEND
	;;#ASMSTART
	v_cvt_f32_f16 v33, v33;
	;;#ASMEND
	ds_read_b32 v34, v12 offset:32
	v_fmac_f32_e32 v17, v46, v24
	v_fmac_f32_e32 v23, v47, v27
	v_fmac_f32_e32 v17, v48, v26
	v_fmac_f32_e32 v23, v49, v29
	s_waitcnt lgkmcnt(0)
	v_lshrrev_b32_e32 v26, 16, v34
	v_and_b32_e32 v24, 0xffff, v34
	v_and_b32_e32 v27, 0xffff, v35
	v_and_b32_e32 v29, 0xffff, v36
	;;#ASMSTART
	v_cvt_f32_f16 v24, v24;
	;;#ASMEND
	;;#ASMSTART
	v_cvt_f32_f16 v26, v26;
	;;#ASMEND
	;;#ASMSTART
	v_cvt_f32_f16 v27, v27;
	;;#ASMEND
	;;#ASMSTART
	v_cvt_f32_f16 v29, v29;
	;;#ASMEND
	ds_read_b32 v34, v12 offset:36
	v_fmac_f32_e32 v17, v50, v28
	;; [unrolled: 22-line block ×3, first 2 shown]
	v_fmac_f32_e32 v23, v21, v33
	v_and_b32_e32 v2, 0xffff, v2
	v_and_b32_e32 v9, 0xffff, v9
	s_waitcnt lgkmcnt(0)
	v_lshrrev_b32_e32 v21, 16, v31
	v_and_b32_e32 v20, 0xffff, v31
	v_fmac_f32_e32 v17, v24, v27
	;;#ASMSTART
	v_cvt_f32_f16 v20, v20;
	;;#ASMEND
	;;#ASMSTART
	v_cvt_f32_f16 v21, v21;
	;;#ASMEND
	;; [unrolled: 3-line block ×4, first 2 shown]
	ds_read_b32 v24, v12 offset:44
	v_fmac_f32_e32 v23, v26, v29
	v_fmac_f32_e32 v17, v18, v28
	;; [unrolled: 1-line block ×5, first 2 shown]
	s_waitcnt lgkmcnt(0)
	v_lshrrev_b32_e32 v9, 16, v24
	v_and_b32_e32 v2, 0xffff, v24
	v_and_b32_e32 v18, 0xffff, v38
	;; [unrolled: 1-line block ×3, first 2 shown]
	;;#ASMSTART
	v_cvt_f32_f16 v2, v2;
	;;#ASMEND
	;;#ASMSTART
	v_cvt_f32_f16 v9, v9;
	;;#ASMEND
	;; [unrolled: 3-line block ×4, first 2 shown]
	s_nop 0
	v_fmac_f32_e32 v17, v2, v18
	v_fmac_f32_e32 v23, v9, v8
	v_and_b32_e32 v8, 64, v10
	v_add_f32_e32 v9, v17, v23
	v_add_u32_e32 v2, 64, v8
	v_xor_b32_e32 v17, 2, v10
	v_cmp_lt_i32_e64 s[0:1], v17, v2
	s_nop 1
	v_cndmask_b32_e64 v17, v10, v17, s[0:1]
	v_lshlrev_b32_e32 v17, 2, v17
	ds_bpermute_b32 v17, v17, v9
	s_waitcnt lgkmcnt(0)
	v_add_f32_e32 v9, v9, v17
	v_xor_b32_e32 v17, 1, v10
	v_cmp_lt_i32_e64 s[0:1], v17, v2
	s_nop 1
	v_cndmask_b32_e64 v17, v10, v17, s[0:1]
	v_lshlrev_b32_e32 v17, 2, v17
	ds_bpermute_b32 v17, v17, v9
	s_and_saveexec_b64 s[34:35], vcc
	s_cbranch_execz .LBB246_8
; %bb.154:                              ;   in Loop: Header=BB246_9 Depth=1
	v_add_u32_e32 v18, s41, v13
	v_cvt_f32_i32_e32 v18, v18
	s_waitcnt lgkmcnt(0)
	v_add_f32_e32 v9, v9, v17
	v_cmp_gt_i32_e64 s[0:1], s33, v13
	v_max_f32_e32 v17, v11, v11
	v_mul_f32_e32 v18, s28, v18
	v_cndmask_b32_e64 v18, 0, v18, s[2:3]
	v_fmac_f32_e32 v18, s29, v9
	v_cndmask_b32_e64 v9, 0, v18, s[0:1]
	ds_write_b32 v14, v9
	v_max_f32_e32 v9, v17, v18
	v_cndmask_b32_e64 v11, v11, v9, s[0:1]
	s_branch .LBB246_8
.LBB246_155:
	s_or_b64 exec, exec, s[14:15]
.LBB246_156:
	s_or_b64 exec, exec, s[30:31]
	v_xor_b32_e32 v3, 32, v10
	v_cmp_lt_i32_e32 vcc, v3, v2
	v_xor_b32_e32 v6, 16, v10
	v_max_f32_e32 v5, v11, v11
	v_cndmask_b32_e32 v3, v10, v3, vcc
	v_lshlrev_b32_e32 v3, 2, v3
	ds_bpermute_b32 v4, v3, v11
	v_cmp_lt_i32_e32 vcc, v6, v2
	v_xor_b32_e32 v7, 8, v10
	v_xor_b32_e32 v9, 4, v10
	v_and_b32_e32 v23, 63, v0
	s_waitcnt lgkmcnt(0)
	v_max_f32_e32 v4, v4, v4
	v_max_f32_e32 v5, v5, v4
	v_cndmask_b32_e32 v4, v10, v6, vcc
	v_lshlrev_b32_e32 v4, 2, v4
	ds_bpermute_b32 v6, v4, v5
	v_cmp_lt_i32_e32 vcc, v7, v2
	s_waitcnt lgkmcnt(0)
	v_max_f32_e32 v6, v6, v6
	v_max_f32_e32 v5, v5, v6
	v_cndmask_b32_e32 v6, v10, v7, vcc
	v_lshlrev_b32_e32 v7, 2, v6
	ds_bpermute_b32 v6, v7, v5
	v_cmp_lt_i32_e32 vcc, v9, v2
	s_waitcnt lgkmcnt(0)
	v_max_f32_e32 v6, v6, v6
	v_max_f32_e32 v6, v5, v6
	v_cndmask_b32_e32 v5, v10, v9, vcc
	v_lshlrev_b32_e32 v9, 2, v5
	ds_bpermute_b32 v11, v9, v6
	v_cmp_eq_u32_e32 vcc, 0, v23
	v_lshlrev_b32_e32 v5, 2, v22
	s_and_saveexec_b64 s[0:1], vcc
	s_cbranch_execz .LBB246_158
; %bb.157:
	s_waitcnt lgkmcnt(0)
	v_max_f32_e32 v11, v11, v11
	v_max_f32_e32 v6, v6, v6
	;; [unrolled: 1-line block ×3, first 2 shown]
	ds_write_b32 v5, v6 offset:192
.LBB246_158:
	s_or_b64 exec, exec, s[0:1]
	v_cmp_gt_u32_e64 s[0:1], 2, v23
	s_waitcnt lgkmcnt(0)
	v_mov_b32_e32 v11, 0xff7fffff
	v_lshlrev_b32_e32 v6, 2, v23
	s_barrier
	s_and_saveexec_b64 s[2:3], s[0:1]
; %bb.159:
	ds_read_b32 v11, v6 offset:192
; %bb.160:
	s_or_b64 exec, exec, s[2:3]
	v_xor_b32_e32 v12, 1, v10
	v_cmp_lt_i32_e64 s[2:3], v12, v2
	v_lshlrev_b32_e32 v8, 2, v8
	s_nop 0
	v_cndmask_b32_e64 v12, v10, v12, s[2:3]
	v_lshlrev_b32_e32 v24, 2, v12
	s_waitcnt lgkmcnt(0)
	ds_bpermute_b32 v12, v24, v11
	v_max_f32_e32 v11, v11, v11
	s_lshl_b32 s2, s19, 4
	s_min_i32 s30, s2, s33
	v_cmp_gt_i32_e64 s[2:3], s30, v0
	s_waitcnt lgkmcnt(0)
	v_max_f32_e32 v12, v12, v12
	v_max_f32_e32 v11, v11, v12
	ds_bpermute_b32 v11, v8, v11
	v_mov_b32_e32 v8, 0
	s_and_saveexec_b64 s[14:15], s[2:3]
	s_cbranch_execz .LBB246_164
; %bb.161:
	v_mov_b32_e32 v8, 0xd0
	v_lshl_add_u32 v12, v0, 2, v8
	v_mov_b32_e32 v8, 0
	s_mov_b64 s[28:29], 0
	v_mov_b32_e32 v13, v0
.LBB246_162:                            ; =>This Inner Loop Header: Depth=1
	ds_read_b32 v14, v12
	v_add_u32_e32 v13, 0x80, v13
	v_cmp_le_i32_e64 s[8:9], s30, v13
	s_or_b64 s[28:29], s[8:9], s[28:29]
	s_waitcnt lgkmcnt(0)
	v_sub_f32_e32 v14, v14, v11
	v_mul_f32_e32 v14, 0x3fb8aa3b, v14
	v_exp_f32_e32 v14, v14
	ds_write_b32 v12, v14
	v_add_f32_e32 v8, v8, v14
	v_add_u32_e32 v12, 0x200, v12
	s_andn2_b64 exec, exec, s[28:29]
	s_cbranch_execnz .LBB246_162
; %bb.163:
	s_or_b64 exec, exec, s[28:29]
.LBB246_164:
	s_or_b64 exec, exec, s[14:15]
	ds_bpermute_b32 v3, v3, v8
	s_waitcnt lgkmcnt(0)
	v_add_f32_e32 v3, v8, v3
	ds_bpermute_b32 v4, v4, v3
	s_waitcnt lgkmcnt(0)
	v_add_f32_e32 v3, v3, v4
	ds_bpermute_b32 v4, v7, v3
	v_xor_b32_e32 v7, 2, v10
	v_cmp_lt_i32_e64 s[8:9], v7, v2
	s_waitcnt lgkmcnt(0)
	v_add_f32_e32 v3, v3, v4
	ds_bpermute_b32 v4, v9, v3
	v_cndmask_b32_e64 v2, v10, v7, s[8:9]
	v_lshlrev_b32_e32 v2, 2, v2
	s_waitcnt lgkmcnt(0)
	v_add_f32_e32 v3, v3, v4
	ds_bpermute_b32 v2, v2, v3
	s_waitcnt lgkmcnt(0)
	v_add_f32_e32 v2, v3, v2
	ds_bpermute_b32 v3, v24, v2
	s_waitcnt lgkmcnt(0)
	v_add_f32_e32 v2, v2, v3
	s_and_saveexec_b64 s[8:9], vcc
; %bb.165:
	ds_write_b32 v5, v2 offset:200
; %bb.166:
	s_or_b64 exec, exec, s[8:9]
	s_waitcnt lgkmcnt(0)
	s_barrier
	s_and_saveexec_b64 s[8:9], s[0:1]
; %bb.167:
	ds_read_b32 v2, v6 offset:200
; %bb.168:
	s_or_b64 exec, exec, s[8:9]
	s_waitcnt lgkmcnt(0)
	ds_bpermute_b32 v3, v24, v2
	v_lshlrev_b32_e32 v4, 2, v10
	s_waitcnt lgkmcnt(0)
	v_add_f32_e32 v2, v2, v3
	v_and_b32_e32 v3, 0xffffff00, v4
	ds_bpermute_b32 v2, v3, v2
	s_and_saveexec_b64 s[0:1], s[2:3]
	s_cbranch_execz .LBB246_181
; %bb.169:
	s_waitcnt lgkmcnt(0)
	v_add_f32_e32 v2, 0x358637bd, v2
	v_div_scale_f32 v3, s[2:3], v2, v2, 1.0
	v_rcp_f32_e32 v4, v3
	v_div_scale_f32 v5, vcc, 1.0, v2, 1.0
	s_movk_i32 s2, 0x7f
	v_fma_f32 v6, -v3, v4, 1.0
	v_fmac_f32_e32 v4, v6, v4
	v_mul_f32_e32 v6, v5, v4
	v_fma_f32 v7, -v3, v6, v5
	v_fmac_f32_e32 v6, v7, v4
	v_fma_f32 v3, -v3, v6, v5
	v_div_fmas_f32 v3, v3, v4, v6
	v_xad_u32 v4, v0, -1, s30
	v_div_fixup_f32 v2, v3, v2, 1.0
	v_cmp_lt_u32_e32 vcc, s2, v4
	s_mov_b64 s[8:9], -1
	v_mov_b32_e32 v3, v0
	s_and_saveexec_b64 s[2:3], vcc
	s_cbranch_execz .LBB246_178
; %bb.170:
	v_lshrrev_b32_e32 v4, 7, v4
	v_add_u32_e32 v6, -1, v4
	v_lshrrev_b32_e32 v5, 1, v6
	v_mov_b32_e32 v3, v2
	v_add_u32_e32 v5, 1, v5
	v_cmp_lt_u32_e32 vcc, 13, v6
	v_mov_b32_e32 v8, 0
	s_and_saveexec_b64 s[8:9], vcc
	s_cbranch_execz .LBB246_174
; %bb.171:
	v_mov_b32_e32 v7, 0xd0
	v_and_b32_e32 v6, -8, v5
	v_lshl_add_u32 v7, v0, 2, v7
	s_mov_b32 s28, 0
	s_mov_b64 s[14:15], 0
.LBB246_172:                            ; =>This Inner Loop Header: Depth=1
	ds_read2st64_b32 v[8:9], v7 offset1:2
	ds_read2st64_b32 v[10:11], v7 offset0:4 offset1:6
	ds_read2st64_b32 v[12:13], v7 offset0:8 offset1:10
	;; [unrolled: 1-line block ×3, first 2 shown]
	v_add_u32_e32 v6, -8, v6
	s_waitcnt lgkmcnt(3)
	v_pk_mul_f32 v[8:9], v[2:3], v[8:9]
	s_waitcnt lgkmcnt(2)
	v_pk_mul_f32 v[10:11], v[2:3], v[10:11]
	ds_write2st64_b32 v7, v8, v9 offset1:2
	ds_write2st64_b32 v7, v10, v11 offset0:4 offset1:6
	ds_read2st64_b32 v[10:11], v7 offset0:16 offset1:18
	s_waitcnt lgkmcnt(4)
	v_pk_mul_f32 v[8:9], v[2:3], v[12:13]
	ds_write2st64_b32 v7, v8, v9 offset0:8 offset1:10
	s_waitcnt lgkmcnt(4)
	v_pk_mul_f32 v[8:9], v[2:3], v[14:15]
	ds_write2st64_b32 v7, v8, v9 offset0:12 offset1:14
	ds_read2st64_b32 v[8:9], v7 offset0:20 offset1:22
	s_waitcnt lgkmcnt(3)
	v_pk_mul_f32 v[10:11], v[2:3], v[10:11]
	ds_read2st64_b32 v[12:13], v7 offset0:24 offset1:26
	ds_write2st64_b32 v7, v10, v11 offset0:16 offset1:18
	ds_read2st64_b32 v[10:11], v7 offset0:28 offset1:30
	s_waitcnt lgkmcnt(3)
	v_pk_mul_f32 v[8:9], v[2:3], v[8:9]
	ds_write2st64_b32 v7, v8, v9 offset0:20 offset1:22
	s_waitcnt lgkmcnt(3)
	v_pk_mul_f32 v[8:9], v[2:3], v[12:13]
	ds_write2st64_b32 v7, v8, v9 offset0:24 offset1:26
	s_waitcnt lgkmcnt(2)
	v_pk_mul_f32 v[8:9], v[2:3], v[10:11]
	s_add_i32 s28, s28, 16
	v_cmp_eq_u32_e32 vcc, 0, v6
	ds_write2st64_b32 v7, v8, v9 offset0:28 offset1:30
	v_add_u32_e32 v7, 0x2000, v7
	s_or_b64 s[14:15], vcc, s[14:15]
	v_mov_b32_e32 v8, s28
	s_andn2_b64 exec, exec, s[14:15]
	s_cbranch_execnz .LBB246_172
; %bb.173:
	s_or_b64 exec, exec, s[14:15]
.LBB246_174:
	s_or_b64 exec, exec, s[8:9]
	v_and_b32_e32 v5, 7, v5
	v_cmp_ne_u32_e32 vcc, 0, v5
	s_and_saveexec_b64 s[8:9], vcc
	s_cbranch_execz .LBB246_177
; %bb.175:
	v_lshlrev_b32_e32 v6, 9, v8
	v_lshlrev_b32_e32 v7, 2, v0
	s_movk_i32 s14, 0xd0
	v_add3_u32 v6, v6, v7, s14
	s_mov_b64 s[14:15], 0
.LBB246_176:                            ; =>This Inner Loop Header: Depth=1
	ds_read2st64_b32 v[8:9], v6 offset1:2
	v_add_u32_e32 v5, -1, v5
	v_cmp_eq_u32_e32 vcc, 0, v5
	s_or_b64 s[14:15], vcc, s[14:15]
	s_waitcnt lgkmcnt(0)
	v_pk_mul_f32 v[8:9], v[2:3], v[8:9]
	ds_write2st64_b32 v6, v8, v9 offset1:2
	v_add_u32_e32 v6, 0x400, v6
	s_andn2_b64 exec, exec, s[14:15]
	s_cbranch_execnz .LBB246_176
.LBB246_177:
	s_or_b64 exec, exec, s[8:9]
	v_add_u32_e32 v4, 1, v4
	v_and_b32_e32 v5, 0x3fffffe, v4
	v_cmp_ne_u32_e32 vcc, v4, v5
	v_lshl_add_u32 v3, v5, 7, v0
	s_orn2_b64 s[8:9], vcc, exec
.LBB246_178:
	s_or_b64 exec, exec, s[2:3]
	s_and_b64 exec, exec, s[8:9]
	s_cbranch_execz .LBB246_181
; %bb.179:
	v_mov_b32_e32 v4, 0xd0
	v_lshl_add_u32 v4, v3, 2, v4
	s_mov_b64 s[2:3], 0
.LBB246_180:                            ; =>This Inner Loop Header: Depth=1
	ds_read_b32 v5, v4
	v_add_u32_e32 v3, 0x80, v3
	v_cmp_le_i32_e32 vcc, s30, v3
	s_or_b64 s[2:3], vcc, s[2:3]
	s_waitcnt lgkmcnt(0)
	v_mul_f32_e32 v5, v2, v5
	ds_write_b32 v4, v5
	v_add_u32_e32 v4, 0x200, v4
	s_andn2_b64 exec, exec, s[2:3]
	s_cbranch_execnz .LBB246_180
.LBB246_181:
	s_or_b64 exec, exec, s[0:1]
	v_mov_b32_e32 v5, 0
	v_and_b32_e32 v25, 1, v0
	v_mov_b32_e32 v4, 0
	v_mov_b32_e32 v26, 0
	s_waitcnt lgkmcnt(0)
	s_barrier
	s_and_saveexec_b64 s[2:3], s[6:7]
	s_cbranch_execz .LBB246_335
; %bb.182:
	s_ashr_i32 s1, s12, 31
	v_lshlrev_b32_e32 v2, 3, v0
	s_add_u32 s0, s26, s12
	v_and_b32_e32 v4, 8, v2
	s_addc_u32 s1, s27, s1
	v_and_b32_e32 v2, 0x1f8, v2
	v_mov_b32_e32 v3, 0
	s_add_i32 s26, s19, -1
	v_lshl_add_u64 v[6:7], s[0:1], 0, v[2:3]
	v_lshlrev_b32_e32 v2, 5, v25
	s_lshl_b64 s[0:1], s[24:25], 2
	v_lshl_or_b32 v2, v22, 6, v2
	s_add_u32 s0, s22, s0
	s_mov_b32 s6, -1
	v_add_u32_e32 v28, 0xd0, v2
	v_and_b32_e32 v2, 60, v1
	s_addc_u32 s1, s23, s1
	s_mov_b32 s28, s13
	s_mov_b32 s7, 0xffffff
	;; [unrolled: 1-line block ×3, first 2 shown]
	v_lshl_or_b32 v27, v22, 4, v4
	v_lshl_add_u64 v[8:9], s[0:1], 0, v[2:3]
	s_mov_b64 s[8:9], 0
	s_movk_i32 s24, 0x80
	s_movk_i32 s25, 0x7f
	s_mov_b32 s29, 0x8000
	v_mov_b32_e32 v29, 0x2000
	v_mov_b32_e32 v26, 0
	;; [unrolled: 1-line block ×4, first 2 shown]
	s_branch .LBB246_184
.LBB246_183:                            ;   in Loop: Header=BB246_184 Depth=1
	s_or_b64 exec, exec, s[0:1]
	v_add_f32_e32 v10, v20, v21
	v_add_f32_e32 v5, v5, v10
	;; [unrolled: 1-line block ×3, first 2 shown]
	;;#ASMSTART
	v_pk_mul_f16 v1, v40, v1;

	;;#ASMEND
	v_add_f32_e32 v4, v4, v10
	;;#ASMSTART
	v_pk_mul_f16 v2, v39, v2;

	;;#ASMEND
	;;#ASMSTART
	v_pk_mul_f16 v10, v38, v17;

	;;#ASMEND
	;; [unrolled: 4-line block ×3, first 2 shown]
	v_add_u32_e32 v22, 2, v22
	;;#ASMSTART
	v_pk_add_f16 v1, v1, v2;

	;;#ASMEND
	v_cmp_le_i32_e32 vcc, s19, v22
	;;#ASMSTART
	v_pk_add_f16 v1, v1, v10;

	;;#ASMEND
	v_add_u32_e32 v27, 32, v27
	;;#ASMSTART
	v_pk_add_f16 v1, v1, v11;

	;;#ASMEND
	v_add_u32_e32 v28, 0x80, v28
	v_lshrrev_b32_e32 v2, 16, v1
	v_and_b32_e32 v1, 0xffff, v1
	;;#ASMSTART
	v_cvt_f32_f16 v1, v1;
	;;#ASMEND
	;;#ASMSTART
	v_cvt_f32_f16 v2, v2;
	;;#ASMEND
	s_or_b64 s[8:9], vcc, s[8:9]
	v_add_f32_e32 v1, v1, v2
	v_add_f32_e32 v26, v26, v1
	v_lshl_add_u64 v[8:9], v[8:9], 0, 8
	s_andn2_b64 exec, exec, s[8:9]
	s_cbranch_execz .LBB246_334
.LBB246_184:                            ; =>This Inner Loop Header: Depth=1
	global_load_dword v1, v[8:9], off
	ds_read2_b64 v[10:13], v28 offset1:1
	ds_read2_b64 v[14:17], v28 offset0:2 offset1:3
	s_waitcnt lgkmcnt(1)
	;;#ASMSTART
	v_cvt_f16_f32 v37, v10;

	;;#ASMEND
	;;#ASMSTART
	v_cvt_f16_f32 v38, v11;

	;;#ASMEND
	;; [unrolled: 4-line block ×4, first 2 shown]
	s_waitcnt lgkmcnt(0)
	;;#ASMSTART
	v_cvt_f16_f32 v42, v14;

	;;#ASMEND
	;;#ASMSTART
	v_cvt_f16_f32 v43, v15;

	;;#ASMEND
	;; [unrolled: 4-line block ×4, first 2 shown]
	s_waitcnt vmcnt(0)
	v_mad_i64_i32 v[10:11], s[0:1], v1, s28, v[6:7]
	global_load_dwordx2 v[14:15], v[10:11], off
	global_load_dword v12, v3, s[10:11]
	v_mov_b32_e32 v1, 0
	s_waitcnt vmcnt(1)
	v_cmp_ne_u16_sdwa s[12:13], v14, v3 src0_sel:BYTE_0 src1_sel:DWORD
	s_and_saveexec_b64 s[0:1], s[12:13]
	s_cbranch_execz .LBB246_190
; %bb.185:                              ;   in Loop: Header=BB246_184 Depth=1
	v_cmp_ne_u16_sdwa s[14:15], v14, s24 src0_sel:BYTE_0 src1_sel:DWORD
	v_mov_b32_e32 v1, 0x8000
	s_and_saveexec_b64 s[12:13], s[14:15]
	s_cbranch_execz .LBB246_189
; %bb.186:                              ;   in Loop: Header=BB246_184 Depth=1
	v_and_b32_e32 v2, 0x7f, v14
	v_cmp_ne_u32_e32 vcc, s25, v2
	v_mov_b32_e32 v1, 0x7c01
	s_and_saveexec_b64 s[14:15], vcc
	s_cbranch_execz .LBB246_188
; %bb.187:                              ;   in Loop: Header=BB246_184 Depth=1
	v_and_b32_e32 v1, 7, v14
	v_ffbh_u32_e32 v16, v1
	v_min_u32_e32 v18, 32, v16
	v_subrev_u32_e32 v16, 28, v18
	v_lshlrev_b64 v[16:17], v16, v[14:15]
	v_lshrrev_b32_e32 v13, 3, v2
	v_sub_u32_e32 v17, 29, v18
	v_cmp_gt_u32_e32 vcc, 8, v2
	v_and_b32_e32 v16, 7, v16
	s_nop 0
	v_cndmask_b32_e32 v2, v13, v17, vcc
	v_lshl_add_u32 v2, v2, 10, v29
	v_lshlrev_b32_e32 v13, 8, v14
	v_and_b32_e32 v2, 0xfc00, v2
	v_cndmask_b32_e32 v1, v1, v16, vcc
	v_and_or_b32 v2, v13, s29, v2
	v_lshl_or_b32 v1, v1, 7, v2
.LBB246_188:                            ;   in Loop: Header=BB246_184 Depth=1
	s_or_b64 exec, exec, s[14:15]
.LBB246_189:                            ;   in Loop: Header=BB246_184 Depth=1
	s_or_b64 exec, exec, s[12:13]
.LBB246_190:                            ;   in Loop: Header=BB246_184 Depth=1
	s_or_b64 exec, exec, s[0:1]
	v_lshrrev_b16_e32 v2, 8, v14
	v_cmp_ne_u16_e32 vcc, 0, v2
	v_mov_b32_e32 v13, 0
	v_mov_b32_e32 v16, 0
	s_and_saveexec_b64 s[0:1], vcc
	s_cbranch_execz .LBB246_196
; %bb.191:                              ;   in Loop: Header=BB246_184 Depth=1
	v_cmp_ne_u16_e32 vcc, s24, v2
	v_bfrev_b32_e32 v16, 1
	s_and_saveexec_b64 s[12:13], vcc
	s_cbranch_execz .LBB246_195
; %bb.192:                              ;   in Loop: Header=BB246_184 Depth=1
	v_and_b32_e32 v17, 0x7f, v2
	v_cmp_ne_u32_e32 vcc, s25, v17
	v_mov_b32_e32 v16, 0x7c010000
	s_and_saveexec_b64 s[14:15], vcc
	s_cbranch_execz .LBB246_194
; %bb.193:                              ;   in Loop: Header=BB246_184 Depth=1
	v_and_b32_e32 v16, 7, v2
	v_ffbh_u32_e32 v18, v16
	v_min_u32_e32 v21, 32, v18
	v_subrev_u32_e32 v18, 28, v21
	v_lshlrev_b64 v[18:19], v18, v[2:3]
	v_lshrrev_b32_e32 v20, 3, v17
	v_sub_u32_e32 v19, 29, v21
	v_cmp_gt_u32_e32 vcc, 8, v17
	v_lshlrev_b32_e32 v2, 8, v2
	v_and_b32_e32 v18, 7, v18
	v_cndmask_b32_e32 v17, v20, v19, vcc
	v_lshl_add_u32 v17, v17, 10, v29
	v_and_or_b32 v2, v2, s29, v17
	v_cndmask_b32_e32 v16, v16, v18, vcc
	v_lshlrev_b32_e32 v2, 16, v2
	v_lshl_or_b32 v16, v16, 23, v2
.LBB246_194:                            ;   in Loop: Header=BB246_184 Depth=1
	s_or_b64 exec, exec, s[14:15]
.LBB246_195:                            ;   in Loop: Header=BB246_184 Depth=1
	s_or_b64 exec, exec, s[12:13]
.LBB246_196:                            ;   in Loop: Header=BB246_184 Depth=1
	s_or_b64 exec, exec, s[0:1]
	v_lshrrev_b32_e32 v2, 16, v14
	v_cmp_ne_u16_sdwa s[12:13], v2, v3 src0_sel:BYTE_0 src1_sel:DWORD
	s_and_saveexec_b64 s[0:1], s[12:13]
	s_cbranch_execz .LBB246_202
; %bb.197:                              ;   in Loop: Header=BB246_184 Depth=1
	v_cmp_ne_u16_sdwa s[14:15], v2, s24 src0_sel:BYTE_0 src1_sel:DWORD
	v_mov_b32_e32 v13, 0x8000
	s_and_saveexec_b64 s[12:13], s[14:15]
	s_cbranch_execz .LBB246_201
; %bb.198:                              ;   in Loop: Header=BB246_184 Depth=1
	v_bfe_u32 v17, v14, 16, 7
	v_cmp_ne_u32_e32 vcc, s25, v17
	v_mov_b32_e32 v13, 0x7c01
	s_and_saveexec_b64 s[14:15], vcc
	s_cbranch_execz .LBB246_200
; %bb.199:                              ;   in Loop: Header=BB246_184 Depth=1
	v_and_b32_e32 v13, 7, v2
	v_ffbh_u32_e32 v18, v13
	v_min_u32_e32 v21, 32, v18
	v_subrev_u32_e32 v18, 28, v21
	v_lshlrev_b64 v[18:19], v18, v[2:3]
	v_lshrrev_b32_e32 v20, 3, v17
	v_sub_u32_e32 v19, 29, v21
	v_cmp_gt_u32_e32 vcc, 8, v17
	v_lshlrev_b32_e32 v2, 8, v2
	v_and_b32_e32 v18, 7, v18
	v_cndmask_b32_e32 v17, v20, v19, vcc
	v_lshl_add_u32 v17, v17, 10, v29
	v_and_b32_e32 v17, 0xfc00, v17
	v_cndmask_b32_e32 v13, v13, v18, vcc
	v_and_or_b32 v2, v2, s29, v17
	v_lshl_or_b32 v13, v13, 7, v2
.LBB246_200:                            ;   in Loop: Header=BB246_184 Depth=1
	s_or_b64 exec, exec, s[14:15]
.LBB246_201:                            ;   in Loop: Header=BB246_184 Depth=1
	s_or_b64 exec, exec, s[12:13]
.LBB246_202:                            ;   in Loop: Header=BB246_184 Depth=1
	s_or_b64 exec, exec, s[0:1]
	v_cmp_lt_u32_e32 vcc, s7, v14
	v_mov_b32_e32 v17, 0
	v_mov_b32_e32 v18, 0
	s_and_saveexec_b64 s[0:1], vcc
	s_cbranch_execz .LBB246_208
; %bb.203:                              ;   in Loop: Header=BB246_184 Depth=1
	v_lshrrev_b32_e32 v2, 24, v14
	v_cmp_ne_u32_e32 vcc, s24, v2
	v_bfrev_b32_e32 v18, 1
	s_and_saveexec_b64 s[12:13], vcc
	s_cbranch_execz .LBB246_207
; %bb.204:                              ;   in Loop: Header=BB246_184 Depth=1
	v_and_b32_e32 v19, 0x7f, v2
	v_cmp_ne_u32_e32 vcc, s25, v19
	v_mov_b32_e32 v18, 0x7c010000
	s_and_saveexec_b64 s[14:15], vcc
	s_cbranch_execz .LBB246_206
; %bb.205:                              ;   in Loop: Header=BB246_184 Depth=1
	v_and_b32_e32 v18, 7, v2
	v_ffbh_u32_e32 v20, v18
	v_min_u32_e32 v31, 32, v20
	v_subrev_u32_e32 v20, 28, v31
	v_lshlrev_b64 v[20:21], v20, v[2:3]
	v_lshrrev_b32_e32 v30, 3, v19
	v_sub_u32_e32 v21, 29, v31
	v_cmp_gt_u32_e32 vcc, 8, v19
	v_lshlrev_b32_e32 v2, 8, v2
	v_and_b32_e32 v20, 7, v20
	v_cndmask_b32_e32 v19, v30, v21, vcc
	v_lshl_add_u32 v19, v19, 10, v29
	v_and_or_b32 v2, v2, s29, v19
	v_cndmask_b32_e32 v18, v18, v20, vcc
	v_lshlrev_b32_e32 v2, 16, v2
	v_lshl_or_b32 v18, v18, 23, v2
.LBB246_206:                            ;   in Loop: Header=BB246_184 Depth=1
	s_or_b64 exec, exec, s[14:15]
.LBB246_207:                            ;   in Loop: Header=BB246_184 Depth=1
	s_or_b64 exec, exec, s[12:13]
.LBB246_208:                            ;   in Loop: Header=BB246_184 Depth=1
	s_or_b64 exec, exec, s[0:1]
	v_mov_b32_e32 v2, v15
	v_cmp_ne_u16_sdwa s[12:13], v15, v3 src0_sel:BYTE_0 src1_sel:DWORD
	s_and_saveexec_b64 s[0:1], s[12:13]
	s_cbranch_execz .LBB246_214
; %bb.209:                              ;   in Loop: Header=BB246_184 Depth=1
	v_cmp_ne_u16_sdwa s[14:15], v15, s24 src0_sel:BYTE_0 src1_sel:DWORD
	v_mov_b32_e32 v17, 0x8000
	s_and_saveexec_b64 s[12:13], s[14:15]
	s_cbranch_execz .LBB246_213
; %bb.210:                              ;   in Loop: Header=BB246_184 Depth=1
	v_and_b32_e32 v19, 0x7f, v15
	v_cmp_ne_u32_e32 vcc, s25, v19
	v_mov_b32_e32 v17, 0x7c01
	s_and_saveexec_b64 s[14:15], vcc
	s_cbranch_execz .LBB246_212
; %bb.211:                              ;   in Loop: Header=BB246_184 Depth=1
	v_and_b32_e32 v17, 7, v15
	v_ffbh_u32_e32 v20, v17
	v_min_u32_e32 v31, 32, v20
	v_subrev_u32_e32 v20, 28, v31
	v_lshlrev_b64 v[20:21], v20, v[2:3]
	v_lshrrev_b32_e32 v30, 3, v19
	v_sub_u32_e32 v21, 29, v31
	v_cmp_gt_u32_e32 vcc, 8, v19
	v_and_b32_e32 v20, 7, v20
	s_nop 0
	v_cndmask_b32_e32 v19, v30, v21, vcc
	v_lshl_add_u32 v19, v19, 10, v29
	v_lshlrev_b32_e32 v21, 8, v15
	v_and_b32_e32 v19, 0xfc00, v19
	v_cndmask_b32_e32 v17, v17, v20, vcc
	v_and_or_b32 v19, v21, s29, v19
	v_lshl_or_b32 v17, v17, 7, v19
.LBB246_212:                            ;   in Loop: Header=BB246_184 Depth=1
	s_or_b64 exec, exec, s[14:15]
.LBB246_213:                            ;   in Loop: Header=BB246_184 Depth=1
	s_or_b64 exec, exec, s[12:13]
.LBB246_214:                            ;   in Loop: Header=BB246_184 Depth=1
	s_or_b64 exec, exec, s[0:1]
	v_lshrrev_b16_e32 v2, 8, v2
	v_cmp_ne_u16_e32 vcc, 0, v2
	v_mov_b32_e32 v20, 0
	v_mov_b32_e32 v19, 0
	s_and_saveexec_b64 s[0:1], vcc
	s_cbranch_execz .LBB246_220
; %bb.215:                              ;   in Loop: Header=BB246_184 Depth=1
	v_cmp_ne_u16_e32 vcc, s24, v2
	v_bfrev_b32_e32 v19, 1
	s_and_saveexec_b64 s[12:13], vcc
	s_cbranch_execz .LBB246_219
; %bb.216:                              ;   in Loop: Header=BB246_184 Depth=1
	v_and_b32_e32 v21, 0x7f, v2
	v_cmp_ne_u32_e32 vcc, s25, v21
	v_mov_b32_e32 v19, 0x7c010000
	s_and_saveexec_b64 s[14:15], vcc
	s_cbranch_execz .LBB246_218
; %bb.217:                              ;   in Loop: Header=BB246_184 Depth=1
	v_and_b32_e32 v19, 7, v2
	v_ffbh_u32_e32 v30, v19
	v_min_u32_e32 v33, 32, v30
	v_subrev_u32_e32 v30, 28, v33
	v_lshlrev_b64 v[30:31], v30, v[2:3]
	v_lshrrev_b32_e32 v32, 3, v21
	v_sub_u32_e32 v31, 29, v33
	v_cmp_gt_u32_e32 vcc, 8, v21
	v_lshlrev_b32_e32 v2, 8, v2
	v_and_b32_e32 v30, 7, v30
	v_cndmask_b32_e32 v21, v32, v31, vcc
	v_lshl_add_u32 v21, v21, 10, v29
	v_and_or_b32 v2, v2, s29, v21
	v_cndmask_b32_e32 v19, v19, v30, vcc
	v_lshlrev_b32_e32 v2, 16, v2
	v_lshl_or_b32 v19, v19, 23, v2
.LBB246_218:                            ;   in Loop: Header=BB246_184 Depth=1
	s_or_b64 exec, exec, s[14:15]
.LBB246_219:                            ;   in Loop: Header=BB246_184 Depth=1
	s_or_b64 exec, exec, s[12:13]
.LBB246_220:                            ;   in Loop: Header=BB246_184 Depth=1
	s_or_b64 exec, exec, s[0:1]
	v_lshrrev_b32_e32 v2, 16, v15
	v_cmp_ne_u16_sdwa s[12:13], v2, v3 src0_sel:BYTE_0 src1_sel:DWORD
	s_and_saveexec_b64 s[0:1], s[12:13]
	s_cbranch_execz .LBB246_226
; %bb.221:                              ;   in Loop: Header=BB246_184 Depth=1
	v_cmp_ne_u16_sdwa s[14:15], v2, s24 src0_sel:BYTE_0 src1_sel:DWORD
	v_mov_b32_e32 v20, 0x8000
	s_and_saveexec_b64 s[12:13], s[14:15]
	s_cbranch_execz .LBB246_225
; %bb.222:                              ;   in Loop: Header=BB246_184 Depth=1
	v_bfe_u32 v21, v15, 16, 7
	v_cmp_ne_u32_e32 vcc, s25, v21
	v_mov_b32_e32 v20, 0x7c01
	s_and_saveexec_b64 s[14:15], vcc
	s_cbranch_execz .LBB246_224
; %bb.223:                              ;   in Loop: Header=BB246_184 Depth=1
	v_and_b32_e32 v20, 7, v2
	v_ffbh_u32_e32 v30, v20
	v_min_u32_e32 v33, 32, v30
	v_subrev_u32_e32 v30, 28, v33
	v_lshlrev_b64 v[30:31], v30, v[2:3]
	v_lshrrev_b32_e32 v32, 3, v21
	v_sub_u32_e32 v31, 29, v33
	v_cmp_gt_u32_e32 vcc, 8, v21
	v_lshlrev_b32_e32 v2, 8, v2
	v_and_b32_e32 v30, 7, v30
	v_cndmask_b32_e32 v21, v32, v31, vcc
	v_lshl_add_u32 v21, v21, 10, v29
	v_and_b32_e32 v21, 0xfc00, v21
	v_cndmask_b32_e32 v20, v20, v30, vcc
	v_and_or_b32 v2, v2, s29, v21
	v_lshl_or_b32 v20, v20, 7, v2
.LBB246_224:                            ;   in Loop: Header=BB246_184 Depth=1
	s_or_b64 exec, exec, s[14:15]
.LBB246_225:                            ;   in Loop: Header=BB246_184 Depth=1
	s_or_b64 exec, exec, s[12:13]
.LBB246_226:                            ;   in Loop: Header=BB246_184 Depth=1
	s_or_b64 exec, exec, s[0:1]
	v_cmp_lt_u64_e32 vcc, s[6:7], v[14:15]
	v_mov_b32_e32 v21, 0
	s_and_saveexec_b64 s[0:1], vcc
	s_cbranch_execz .LBB246_232
; %bb.227:                              ;   in Loop: Header=BB246_184 Depth=1
	v_lshrrev_b32_e32 v2, 24, v15
	v_cmp_ne_u32_e32 vcc, s24, v2
	v_bfrev_b32_e32 v21, 1
	s_and_saveexec_b64 s[12:13], vcc
	s_cbranch_execz .LBB246_231
; %bb.228:                              ;   in Loop: Header=BB246_184 Depth=1
	v_and_b32_e32 v14, 0x7f, v2
	v_cmp_ne_u32_e32 vcc, s25, v14
	v_mov_b32_e32 v21, 0x7c010000
	s_and_saveexec_b64 s[14:15], vcc
	s_cbranch_execz .LBB246_230
; %bb.229:                              ;   in Loop: Header=BB246_184 Depth=1
	v_and_b32_e32 v15, 7, v2
	v_ffbh_u32_e32 v30, v15
	v_min_u32_e32 v32, 32, v30
	v_subrev_u32_e32 v30, 28, v32
	v_lshlrev_b64 v[30:31], v30, v[2:3]
	v_lshrrev_b32_e32 v21, 3, v14
	v_sub_u32_e32 v31, 29, v32
	v_cmp_gt_u32_e32 vcc, 8, v14
	v_lshlrev_b32_e32 v2, 8, v2
	s_nop 0
	v_cndmask_b32_e32 v14, v21, v31, vcc
	v_lshl_add_u32 v14, v14, 10, v29
	v_and_b32_e32 v21, 7, v30
	v_and_or_b32 v2, v2, s29, v14
	v_cndmask_b32_e32 v15, v15, v21, vcc
	v_lshlrev_b32_e32 v2, 16, v2
	v_lshl_or_b32 v21, v15, 23, v2
.LBB246_230:                            ;   in Loop: Header=BB246_184 Depth=1
	s_or_b64 exec, exec, s[14:15]
.LBB246_231:                            ;   in Loop: Header=BB246_184 Depth=1
	s_or_b64 exec, exec, s[12:13]
.LBB246_232:                            ;   in Loop: Header=BB246_184 Depth=1
	s_or_b64 exec, exec, s[0:1]
	v_cvt_f32_f16_sdwa v15, v16 dst_sel:DWORD dst_unused:UNUSED_PAD src0_sel:WORD_1
	v_cvt_f32_f16_sdwa v14, v18 dst_sel:DWORD dst_unused:UNUSED_PAD src0_sel:WORD_1
	v_or_b32_e32 v1, v16, v1
	v_or_b32_e32 v2, v18, v13
	v_cvt_f32_f16_e32 v30, v2
	v_cvt_f32_f16_e32 v31, v1
	s_waitcnt vmcnt(0)
	v_pk_mul_f32 v[14:15], v[12:13], v[14:15] op_sel_hi:[0,1]
	v_cvt_pk_f16_f32 v1, v14, v15
	v_and_b32_e32 v13, 0xffff0000, v1
	v_pk_mul_f32 v[30:31], v[12:13], v[30:31] op_sel_hi:[0,1]
	v_or_b32_e32 v2, v19, v17
	v_or_b32_e32 v17, v21, v20
	v_lshlrev_b32_e32 v14, 16, v1
	v_cvt_pk_f16_f32 v1, v30, v31
	v_cvt_f32_f16_e32 v30, v17
	v_cvt_f32_f16_e32 v31, v2
	v_cvt_f32_f16_sdwa v19, v19 dst_sel:DWORD dst_unused:UNUSED_PAD src0_sel:WORD_1
	v_cvt_f32_f16_sdwa v18, v21 dst_sel:DWORD dst_unused:UNUSED_PAD src0_sel:WORD_1
	v_lshrrev_b32_e32 v15, 16, v1
	v_pk_mul_f32 v[20:21], v[12:13], v[30:31] op_sel_hi:[0,1]
	v_cvt_pk_f16_f32 v20, v20, v21
	v_pk_mul_f32 v[18:19], v[12:13], v[18:19] op_sel_hi:[0,1]
	v_cvt_pk_f16_f32 v12, v18, v19
	v_and_b32_e32 v16, 0xffff, v1
	v_and_b32_e32 v17, 0xffff0000, v12
	v_lshlrev_b32_e32 v12, 16, v12
	v_lshrrev_b32_e32 v21, 16, v20
	v_and_b32_e32 v20, 0xffff, v20
	v_cmp_eq_u32_e32 vcc, s26, v22
	v_or_b32_e32 v1, v13, v15
	v_or_b32_e32 v2, v14, v16
	;; [unrolled: 1-line block ×4, first 2 shown]
	v_add_u32_e32 v36, 2, v27
	v_or_b32_e32 v35, 1, v27
	v_or_b32_e32 v34, 3, v27
	;; [unrolled: 1-line block ×6, first 2 shown]
	s_and_saveexec_b64 s[12:13], vcc
	s_cbranch_execz .LBB246_234
; %bb.233:                              ;   in Loop: Header=BB246_184 Depth=1
	v_cmp_gt_i32_e64 s[0:1], s27, v27
	s_nop 1
	v_cndmask_b32_e64 v1, 0, v15, s[0:1]
	v_cmp_gt_i32_e64 s[0:1], s33, v36
	s_nop 1
	v_cndmask_b32_e64 v2, 0, v16, s[0:1]
	;; [unrolled: 3-line block ×3, first 2 shown]
	v_cmp_gt_i32_e64 s[0:1], s33, v34
	v_or_b32_e32 v1, v13, v1
	s_nop 0
	v_cndmask_b32_e64 v14, 0, v14, s[0:1]
	v_cmp_gt_i32_e64 s[0:1], s27, v33
	v_or_b32_e32 v2, v14, v2
	s_nop 0
	v_cndmask_b32_e64 v13, 0, v21, s[0:1]
	v_cmp_gt_i32_e64 s[0:1], s33, v32
	s_nop 1
	v_cndmask_b32_e64 v14, 0, v20, s[0:1]
	v_cmp_gt_i32_e64 s[0:1], s27, v31
	;; [unrolled: 3-line block ×3, first 2 shown]
	v_or_b32_e32 v19, v15, v13
	s_nop 0
	v_cndmask_b32_e64 v12, 0, v12, s[0:1]
	v_or_b32_e32 v18, v12, v14
.LBB246_234:                            ;   in Loop: Header=BB246_184 Depth=1
	s_or_b64 exec, exec, s[12:13]
	v_and_b32_e32 v12, 0xffff, v37
	v_lshl_or_b32 v40, v38, 16, v12
	v_and_b32_e32 v12, 0xffff, v39
	v_lshl_or_b32 v39, v41, 16, v12
	v_and_b32_e32 v12, 0xffff, v42
	v_lshl_or_b32 v38, v43, 16, v12
	v_and_b32_e32 v12, 0xffff, v44
	;;#ASMSTART
	v_pk_mul_f16 v1, v40, v1;

	;;#ASMEND
	v_lshl_or_b32 v37, v45, 16, v12
	;;#ASMSTART
	v_pk_mul_f16 v2, v39, v2;

	;;#ASMEND
	;;#ASMSTART
	v_pk_mul_f16 v12, v38, v19;

	;;#ASMEND
	;; [unrolled: 4-line block ×3, first 2 shown]
	s_nop 0
	;;#ASMSTART
	v_pk_add_f16 v1, v1, v2;

	;;#ASMEND
	s_nop 0
	;;#ASMSTART
	v_pk_add_f16 v1, v1, v12;

	;;#ASMEND
	;; [unrolled: 5-line block ×3, first 2 shown]
	v_mov_b32_e32 v13, 0
	v_lshrrev_b32_e32 v2, 16, v1
	v_and_b32_e32 v1, 0xffff, v1
	;;#ASMSTART
	v_cvt_f32_f16 v41, v1;
	;;#ASMEND
	;;#ASMSTART
	v_cvt_f32_f16 v42, v2;
	;;#ASMEND
	global_load_dwordx2 v[14:15], v[10:11], off offset:512
	v_mov_b32_e32 v1, 0
	global_load_dword v12, v1, s[10:11]
	s_waitcnt vmcnt(1)
	v_cmp_ne_u16_sdwa s[0:1], v14, v3 src0_sel:BYTE_0 src1_sel:DWORD
	s_and_saveexec_b64 s[12:13], s[0:1]
	s_cbranch_execz .LBB246_240
; %bb.235:                              ;   in Loop: Header=BB246_184 Depth=1
	v_cmp_ne_u16_sdwa s[0:1], v14, s24 src0_sel:BYTE_0 src1_sel:DWORD
	v_mov_b32_e32 v13, 0x8000
	s_and_saveexec_b64 s[14:15], s[0:1]
	s_cbranch_execz .LBB246_239
; %bb.236:                              ;   in Loop: Header=BB246_184 Depth=1
	v_and_b32_e32 v2, 0x7f, v14
	v_cmp_ne_u32_e64 s[0:1], s25, v2
	v_mov_b32_e32 v13, 0x7c01
	s_and_saveexec_b64 s[22:23], s[0:1]
	s_cbranch_execz .LBB246_238
; %bb.237:                              ;   in Loop: Header=BB246_184 Depth=1
	v_and_b32_e32 v13, 7, v14
	v_ffbh_u32_e32 v16, v13
	v_min_u32_e32 v19, 32, v16
	v_subrev_u32_e32 v16, 28, v19
	v_lshlrev_b64 v[16:17], v16, v[14:15]
	v_lshrrev_b32_e32 v18, 3, v2
	v_sub_u32_e32 v17, 29, v19
	v_cmp_gt_u32_e64 s[0:1], 8, v2
	v_and_b32_e32 v16, 7, v16
	s_nop 0
	v_cndmask_b32_e64 v2, v18, v17, s[0:1]
	v_lshl_add_u32 v2, v2, 10, v29
	v_lshlrev_b32_e32 v17, 8, v14
	v_and_b32_e32 v2, 0xfc00, v2
	v_cndmask_b32_e64 v13, v13, v16, s[0:1]
	v_and_or_b32 v2, v17, s29, v2
	v_lshl_or_b32 v13, v13, 7, v2
.LBB246_238:                            ;   in Loop: Header=BB246_184 Depth=1
	s_or_b64 exec, exec, s[22:23]
.LBB246_239:                            ;   in Loop: Header=BB246_184 Depth=1
	s_or_b64 exec, exec, s[14:15]
.LBB246_240:                            ;   in Loop: Header=BB246_184 Depth=1
	s_or_b64 exec, exec, s[12:13]
	v_lshrrev_b16_e32 v2, 8, v14
	v_cmp_ne_u16_e64 s[0:1], 0, v2
	s_and_saveexec_b64 s[12:13], s[0:1]
	s_cbranch_execz .LBB246_246
; %bb.241:                              ;   in Loop: Header=BB246_184 Depth=1
	v_cmp_ne_u16_e64 s[0:1], s24, v2
	v_bfrev_b32_e32 v1, 1
	s_and_saveexec_b64 s[14:15], s[0:1]
	s_cbranch_execz .LBB246_245
; %bb.242:                              ;   in Loop: Header=BB246_184 Depth=1
	v_and_b32_e32 v16, 0x7f, v2
	v_cmp_ne_u32_e64 s[0:1], s25, v16
	v_mov_b32_e32 v1, 0x7c010000
	s_and_saveexec_b64 s[22:23], s[0:1]
	s_cbranch_execz .LBB246_244
; %bb.243:                              ;   in Loop: Header=BB246_184 Depth=1
	v_and_b32_e32 v1, 7, v2
	v_ffbh_u32_e32 v18, v1
	v_min_u32_e32 v20, 32, v18
	v_subrev_u32_e32 v18, 28, v20
	v_lshlrev_b64 v[18:19], v18, v[2:3]
	v_lshrrev_b32_e32 v17, 3, v16
	v_sub_u32_e32 v19, 29, v20
	v_cmp_gt_u32_e64 s[0:1], 8, v16
	v_lshlrev_b32_e32 v2, 8, v2
	s_nop 0
	v_cndmask_b32_e64 v16, v17, v19, s[0:1]
	v_lshl_add_u32 v16, v16, 10, v29
	v_and_b32_e32 v17, 7, v18
	v_and_or_b32 v2, v2, s29, v16
	v_cndmask_b32_e64 v1, v1, v17, s[0:1]
	v_lshlrev_b32_e32 v2, 16, v2
	v_lshl_or_b32 v1, v1, 23, v2
.LBB246_244:                            ;   in Loop: Header=BB246_184 Depth=1
	s_or_b64 exec, exec, s[22:23]
.LBB246_245:                            ;   in Loop: Header=BB246_184 Depth=1
	s_or_b64 exec, exec, s[14:15]
.LBB246_246:                            ;   in Loop: Header=BB246_184 Depth=1
	s_or_b64 exec, exec, s[12:13]
	v_lshrrev_b32_e32 v2, 16, v14
	v_cmp_ne_u16_sdwa s[0:1], v2, v3 src0_sel:BYTE_0 src1_sel:DWORD
	v_mov_b32_e32 v17, 0
	v_mov_b32_e32 v16, 0
	s_and_saveexec_b64 s[12:13], s[0:1]
	s_cbranch_execz .LBB246_252
; %bb.247:                              ;   in Loop: Header=BB246_184 Depth=1
	v_cmp_ne_u16_sdwa s[0:1], v2, s24 src0_sel:BYTE_0 src1_sel:DWORD
	v_mov_b32_e32 v16, 0x8000
	s_and_saveexec_b64 s[14:15], s[0:1]
	s_cbranch_execz .LBB246_251
; %bb.248:                              ;   in Loop: Header=BB246_184 Depth=1
	v_bfe_u32 v18, v14, 16, 7
	v_cmp_ne_u32_e64 s[0:1], s25, v18
	v_mov_b32_e32 v16, 0x7c01
	s_and_saveexec_b64 s[22:23], s[0:1]
	s_cbranch_execz .LBB246_250
; %bb.249:                              ;   in Loop: Header=BB246_184 Depth=1
	v_and_b32_e32 v16, 7, v2
	v_ffbh_u32_e32 v20, v16
	v_min_u32_e32 v43, 32, v20
	v_subrev_u32_e32 v20, 28, v43
	v_lshlrev_b64 v[20:21], v20, v[2:3]
	v_lshrrev_b32_e32 v19, 3, v18
	v_sub_u32_e32 v21, 29, v43
	v_cmp_gt_u32_e64 s[0:1], 8, v18
	v_lshlrev_b32_e32 v2, 8, v2
	s_nop 0
	v_cndmask_b32_e64 v18, v19, v21, s[0:1]
	v_lshl_add_u32 v18, v18, 10, v29
	v_and_b32_e32 v19, 7, v20
	v_and_b32_e32 v18, 0xfc00, v18
	v_cndmask_b32_e64 v16, v16, v19, s[0:1]
	v_and_or_b32 v2, v2, s29, v18
	v_lshl_or_b32 v16, v16, 7, v2
.LBB246_250:                            ;   in Loop: Header=BB246_184 Depth=1
	s_or_b64 exec, exec, s[22:23]
.LBB246_251:                            ;   in Loop: Header=BB246_184 Depth=1
	s_or_b64 exec, exec, s[14:15]
.LBB246_252:                            ;   in Loop: Header=BB246_184 Depth=1
	s_or_b64 exec, exec, s[12:13]
	v_cmp_lt_u32_e64 s[0:1], s7, v14
	s_and_saveexec_b64 s[12:13], s[0:1]
	s_cbranch_execz .LBB246_258
; %bb.253:                              ;   in Loop: Header=BB246_184 Depth=1
	v_lshrrev_b32_e32 v2, 24, v14
	v_cmp_ne_u32_e64 s[0:1], s24, v2
	v_bfrev_b32_e32 v17, 1
	s_and_saveexec_b64 s[14:15], s[0:1]
	s_cbranch_execz .LBB246_257
; %bb.254:                              ;   in Loop: Header=BB246_184 Depth=1
	v_and_b32_e32 v18, 0x7f, v2
	v_cmp_ne_u32_e64 s[0:1], s25, v18
	v_mov_b32_e32 v17, 0x7c010000
	s_and_saveexec_b64 s[22:23], s[0:1]
	s_cbranch_execz .LBB246_256
; %bb.255:                              ;   in Loop: Header=BB246_184 Depth=1
	v_and_b32_e32 v17, 7, v2
	v_ffbh_u32_e32 v20, v17
	v_min_u32_e32 v43, 32, v20
	v_subrev_u32_e32 v20, 28, v43
	v_lshlrev_b64 v[20:21], v20, v[2:3]
	v_lshrrev_b32_e32 v19, 3, v18
	v_sub_u32_e32 v21, 29, v43
	v_cmp_gt_u32_e64 s[0:1], 8, v18
	v_lshlrev_b32_e32 v2, 8, v2
	s_nop 0
	v_cndmask_b32_e64 v18, v19, v21, s[0:1]
	v_lshl_add_u32 v18, v18, 10, v29
	v_and_b32_e32 v19, 7, v20
	v_and_or_b32 v2, v2, s29, v18
	v_cndmask_b32_e64 v17, v17, v19, s[0:1]
	v_lshlrev_b32_e32 v2, 16, v2
	v_lshl_or_b32 v17, v17, 23, v2
.LBB246_256:                            ;   in Loop: Header=BB246_184 Depth=1
	s_or_b64 exec, exec, s[22:23]
.LBB246_257:                            ;   in Loop: Header=BB246_184 Depth=1
	s_or_b64 exec, exec, s[14:15]
.LBB246_258:                            ;   in Loop: Header=BB246_184 Depth=1
	s_or_b64 exec, exec, s[12:13]
	v_mov_b32_e32 v2, v15
	v_cmp_ne_u16_sdwa s[0:1], v15, v3 src0_sel:BYTE_0 src1_sel:DWORD
	v_mov_b32_e32 v18, 0
	v_mov_b32_e32 v19, 0
	s_and_saveexec_b64 s[12:13], s[0:1]
	s_cbranch_execz .LBB246_264
; %bb.259:                              ;   in Loop: Header=BB246_184 Depth=1
	v_cmp_ne_u16_sdwa s[0:1], v15, s24 src0_sel:BYTE_0 src1_sel:DWORD
	v_mov_b32_e32 v19, 0x8000
	s_and_saveexec_b64 s[14:15], s[0:1]
	s_cbranch_execz .LBB246_263
; %bb.260:                              ;   in Loop: Header=BB246_184 Depth=1
	v_and_b32_e32 v20, 0x7f, v15
	v_cmp_ne_u32_e64 s[0:1], s25, v20
	v_mov_b32_e32 v19, 0x7c01
	s_and_saveexec_b64 s[22:23], s[0:1]
	s_cbranch_execz .LBB246_262
; %bb.261:                              ;   in Loop: Header=BB246_184 Depth=1
	v_and_b32_e32 v19, 7, v15
	v_ffbh_u32_e32 v43, v19
	v_min_u32_e32 v43, 32, v43
	v_lshrrev_b32_e32 v21, 3, v20
	v_subrev_u32_e32 v44, 28, v43
	v_sub_u32_e32 v43, 29, v43
	v_cmp_gt_u32_e64 s[0:1], 8, v20
	v_lshlrev_b64 v[44:45], v44, v[2:3]
	s_nop 0
	v_cndmask_b32_e64 v20, v21, v43, s[0:1]
	v_lshl_add_u32 v20, v20, 10, v29
	v_lshlrev_b32_e32 v21, 8, v15
	v_and_b32_e32 v43, 7, v44
	v_and_b32_e32 v20, 0xfc00, v20
	v_cndmask_b32_e64 v19, v19, v43, s[0:1]
	v_and_or_b32 v20, v21, s29, v20
	v_lshl_or_b32 v19, v19, 7, v20
.LBB246_262:                            ;   in Loop: Header=BB246_184 Depth=1
	s_or_b64 exec, exec, s[22:23]
.LBB246_263:                            ;   in Loop: Header=BB246_184 Depth=1
	s_or_b64 exec, exec, s[14:15]
.LBB246_264:                            ;   in Loop: Header=BB246_184 Depth=1
	s_or_b64 exec, exec, s[12:13]
	v_lshrrev_b16_e32 v2, 8, v2
	v_cmp_ne_u16_e64 s[0:1], 0, v2
	v_mov_b32_e32 v20, 0
	s_and_saveexec_b64 s[12:13], s[0:1]
	s_cbranch_execz .LBB246_270
; %bb.265:                              ;   in Loop: Header=BB246_184 Depth=1
	v_cmp_ne_u16_e64 s[0:1], s24, v2
	v_bfrev_b32_e32 v20, 1
	s_and_saveexec_b64 s[14:15], s[0:1]
	s_cbranch_execz .LBB246_269
; %bb.266:                              ;   in Loop: Header=BB246_184 Depth=1
	v_and_b32_e32 v21, 0x7f, v2
	v_cmp_ne_u32_e64 s[0:1], s25, v21
	v_mov_b32_e32 v20, 0x7c010000
	s_and_saveexec_b64 s[22:23], s[0:1]
	s_cbranch_execz .LBB246_268
; %bb.267:                              ;   in Loop: Header=BB246_184 Depth=1
	v_and_b32_e32 v20, 7, v2
	v_ffbh_u32_e32 v44, v20
	v_min_u32_e32 v46, 32, v44
	v_subrev_u32_e32 v44, 28, v46
	v_lshlrev_b64 v[44:45], v44, v[2:3]
	v_lshrrev_b32_e32 v43, 3, v21
	v_sub_u32_e32 v45, 29, v46
	v_cmp_gt_u32_e64 s[0:1], 8, v21
	v_lshlrev_b32_e32 v2, 8, v2
	s_nop 0
	v_cndmask_b32_e64 v21, v43, v45, s[0:1]
	v_lshl_add_u32 v21, v21, 10, v29
	v_and_b32_e32 v43, 7, v44
	v_and_or_b32 v2, v2, s29, v21
	v_cndmask_b32_e64 v20, v20, v43, s[0:1]
	v_lshlrev_b32_e32 v2, 16, v2
	v_lshl_or_b32 v20, v20, 23, v2
.LBB246_268:                            ;   in Loop: Header=BB246_184 Depth=1
	s_or_b64 exec, exec, s[22:23]
.LBB246_269:                            ;   in Loop: Header=BB246_184 Depth=1
	s_or_b64 exec, exec, s[14:15]
.LBB246_270:                            ;   in Loop: Header=BB246_184 Depth=1
	s_or_b64 exec, exec, s[12:13]
	v_lshrrev_b32_e32 v2, 16, v15
	v_cmp_ne_u16_sdwa s[0:1], v2, v3 src0_sel:BYTE_0 src1_sel:DWORD
	s_and_saveexec_b64 s[12:13], s[0:1]
	s_cbranch_execz .LBB246_276
; %bb.271:                              ;   in Loop: Header=BB246_184 Depth=1
	v_cmp_ne_u16_sdwa s[0:1], v2, s24 src0_sel:BYTE_0 src1_sel:DWORD
	v_mov_b32_e32 v18, 0x8000
	s_and_saveexec_b64 s[14:15], s[0:1]
	s_cbranch_execz .LBB246_275
; %bb.272:                              ;   in Loop: Header=BB246_184 Depth=1
	v_bfe_u32 v21, v15, 16, 7
	v_cmp_ne_u32_e64 s[0:1], s25, v21
	v_mov_b32_e32 v18, 0x7c01
	s_and_saveexec_b64 s[22:23], s[0:1]
	s_cbranch_execz .LBB246_274
; %bb.273:                              ;   in Loop: Header=BB246_184 Depth=1
	v_and_b32_e32 v18, 7, v2
	v_ffbh_u32_e32 v44, v18
	v_min_u32_e32 v46, 32, v44
	v_subrev_u32_e32 v44, 28, v46
	v_lshlrev_b64 v[44:45], v44, v[2:3]
	v_lshrrev_b32_e32 v43, 3, v21
	v_sub_u32_e32 v45, 29, v46
	v_cmp_gt_u32_e64 s[0:1], 8, v21
	v_lshlrev_b32_e32 v2, 8, v2
	s_nop 0
	v_cndmask_b32_e64 v21, v43, v45, s[0:1]
	v_lshl_add_u32 v21, v21, 10, v29
	v_and_b32_e32 v43, 7, v44
	v_and_b32_e32 v21, 0xfc00, v21
	v_cndmask_b32_e64 v18, v18, v43, s[0:1]
	v_and_or_b32 v2, v2, s29, v21
	v_lshl_or_b32 v18, v18, 7, v2
.LBB246_274:                            ;   in Loop: Header=BB246_184 Depth=1
	s_or_b64 exec, exec, s[22:23]
.LBB246_275:                            ;   in Loop: Header=BB246_184 Depth=1
	s_or_b64 exec, exec, s[14:15]
.LBB246_276:                            ;   in Loop: Header=BB246_184 Depth=1
	s_or_b64 exec, exec, s[12:13]
	v_cmp_lt_u64_e64 s[0:1], s[6:7], v[14:15]
	v_mov_b32_e32 v14, 0
	s_and_saveexec_b64 s[12:13], s[0:1]
	s_cbranch_execz .LBB246_282
; %bb.277:                              ;   in Loop: Header=BB246_184 Depth=1
	v_lshrrev_b32_e32 v2, 24, v15
	v_cmp_ne_u32_e64 s[0:1], s24, v2
	v_bfrev_b32_e32 v14, 1
	s_and_saveexec_b64 s[14:15], s[0:1]
	s_cbranch_execz .LBB246_281
; %bb.278:                              ;   in Loop: Header=BB246_184 Depth=1
	v_and_b32_e32 v15, 0x7f, v2
	v_cmp_ne_u32_e64 s[0:1], s25, v15
	v_mov_b32_e32 v14, 0x7c010000
	s_and_saveexec_b64 s[22:23], s[0:1]
	s_cbranch_execz .LBB246_280
; %bb.279:                              ;   in Loop: Header=BB246_184 Depth=1
	v_and_b32_e32 v14, 7, v2
	v_ffbh_u32_e32 v43, v14
	v_min_u32_e32 v43, 32, v43
	v_lshrrev_b32_e32 v21, 3, v15
	v_subrev_u32_e32 v44, 28, v43
	v_sub_u32_e32 v43, 29, v43
	v_cmp_gt_u32_e64 s[0:1], 8, v15
	v_lshlrev_b64 v[44:45], v44, v[2:3]
	v_lshlrev_b32_e32 v2, 8, v2
	v_cndmask_b32_e64 v15, v21, v43, s[0:1]
	v_lshl_add_u32 v15, v15, 10, v29
	v_and_b32_e32 v21, 7, v44
	v_and_or_b32 v2, v2, s29, v15
	v_cndmask_b32_e64 v14, v14, v21, s[0:1]
	v_lshlrev_b32_e32 v2, 16, v2
	v_lshl_or_b32 v14, v14, 23, v2
.LBB246_280:                            ;   in Loop: Header=BB246_184 Depth=1
	s_or_b64 exec, exec, s[22:23]
.LBB246_281:                            ;   in Loop: Header=BB246_184 Depth=1
	s_or_b64 exec, exec, s[14:15]
.LBB246_282:                            ;   in Loop: Header=BB246_184 Depth=1
	s_or_b64 exec, exec, s[12:13]
	v_cvt_f32_f16_sdwa v45, v1 dst_sel:DWORD dst_unused:UNUSED_PAD src0_sel:WORD_1
	v_cvt_f32_f16_sdwa v44, v17 dst_sel:DWORD dst_unused:UNUSED_PAD src0_sel:WORD_1
	v_or_b32_e32 v1, v1, v13
	v_or_b32_e32 v2, v17, v16
	;; [unrolled: 1-line block ×3, first 2 shown]
	s_waitcnt vmcnt(0)
	v_pk_mul_f32 v[16:17], v[12:13], v[44:45] op_sel_hi:[0,1]
	v_cvt_f32_f16_e32 v44, v2
	v_cvt_f32_f16_e32 v45, v1
	v_cvt_pk_f16_f32 v1, v16, v17
	v_and_b32_e32 v13, 0xffff0000, v1
	v_lshlrev_b32_e32 v2, 16, v1
	v_pk_mul_f32 v[16:17], v[12:13], v[44:45] op_sel_hi:[0,1]
	v_cvt_pk_f16_f32 v1, v16, v17
	v_or_b32_e32 v17, v20, v19
	v_cvt_f32_f16_e32 v18, v18
	v_cvt_f32_f16_e32 v19, v17
	v_cvt_f32_f16_sdwa v21, v20 dst_sel:DWORD dst_unused:UNUSED_PAD src0_sel:WORD_1
	v_cvt_f32_f16_sdwa v20, v14 dst_sel:DWORD dst_unused:UNUSED_PAD src0_sel:WORD_1
	v_lshrrev_b32_e32 v15, 16, v1
	v_pk_mul_f32 v[18:19], v[12:13], v[18:19] op_sel_hi:[0,1]
	v_cvt_pk_f16_f32 v43, v18, v19
	v_pk_mul_f32 v[18:19], v[12:13], v[20:21] op_sel_hi:[0,1]
	v_cvt_pk_f16_f32 v12, v18, v19
	v_and_b32_e32 v16, 0xffff, v1
	v_and_b32_e32 v17, 0xffff0000, v12
	v_lshlrev_b32_e32 v12, 16, v12
	v_lshrrev_b32_e32 v19, 16, v43
	v_and_b32_e32 v18, 0xffff, v43
	v_or_b32_e32 v1, v13, v15
	v_or_b32_e32 v14, v2, v16
	;; [unrolled: 1-line block ×4, first 2 shown]
	s_and_saveexec_b64 s[12:13], vcc
	s_cbranch_execz .LBB246_284
; %bb.283:                              ;   in Loop: Header=BB246_184 Depth=1
	v_cmp_gt_i32_e64 s[0:1], s27, v27
	s_nop 1
	v_cndmask_b32_e64 v1, 0, v15, s[0:1]
	v_cmp_gt_i32_e64 s[0:1], s33, v36
	s_nop 1
	v_cndmask_b32_e64 v14, 0, v16, s[0:1]
	;; [unrolled: 3-line block ×3, first 2 shown]
	v_cmp_gt_i32_e64 s[0:1], s33, v34
	v_or_b32_e32 v1, v13, v1
	s_nop 0
	v_cndmask_b32_e64 v2, 0, v2, s[0:1]
	v_cmp_gt_i32_e64 s[0:1], s27, v33
	v_or_b32_e32 v14, v2, v14
	s_nop 0
	v_cndmask_b32_e64 v2, 0, v19, s[0:1]
	v_cmp_gt_i32_e64 s[0:1], s33, v32
	s_nop 1
	v_cndmask_b32_e64 v13, 0, v18, s[0:1]
	v_cmp_gt_i32_e64 s[0:1], s27, v31
	;; [unrolled: 3-line block ×3, first 2 shown]
	v_or_b32_e32 v21, v15, v2
	s_nop 0
	v_cndmask_b32_e64 v12, 0, v12, s[0:1]
	v_or_b32_e32 v20, v12, v13
.LBB246_284:                            ;   in Loop: Header=BB246_184 Depth=1
	s_or_b64 exec, exec, s[12:13]
	;;#ASMSTART
	v_pk_mul_f16 v1, v40, v1;

	;;#ASMEND
	;;#ASMSTART
	v_pk_mul_f16 v2, v39, v14;

	;;#ASMEND
	;; [unrolled: 4-line block ×4, first 2 shown]
	s_nop 0
	;;#ASMSTART
	v_pk_add_f16 v1, v1, v2;

	;;#ASMEND
	s_nop 0
	;;#ASMSTART
	v_pk_add_f16 v1, v1, v12;

	;;#ASMEND
	;; [unrolled: 5-line block ×3, first 2 shown]
	s_nop 0
	v_lshrrev_b32_e32 v2, 16, v1
	v_and_b32_e32 v1, 0xffff, v1
	;;#ASMSTART
	v_cvt_f32_f16 v20, v1;
	;;#ASMEND
	;;#ASMSTART
	v_cvt_f32_f16 v21, v2;
	;;#ASMEND
	global_load_dwordx2 v[12:13], v[10:11], off offset:1024
	v_mov_b32_e32 v1, 0
	global_load_dword v10, v1, s[10:11]
	v_mov_b32_e32 v11, 0
	s_waitcnt vmcnt(1)
	v_cmp_ne_u16_sdwa s[0:1], v12, v3 src0_sel:BYTE_0 src1_sel:DWORD
	s_and_saveexec_b64 s[12:13], s[0:1]
	s_cbranch_execz .LBB246_290
; %bb.285:                              ;   in Loop: Header=BB246_184 Depth=1
	v_cmp_ne_u16_sdwa s[0:1], v12, s24 src0_sel:BYTE_0 src1_sel:DWORD
	v_mov_b32_e32 v11, 0x8000
	s_and_saveexec_b64 s[14:15], s[0:1]
	s_cbranch_execz .LBB246_289
; %bb.286:                              ;   in Loop: Header=BB246_184 Depth=1
	v_and_b32_e32 v2, 0x7f, v12
	v_cmp_ne_u32_e64 s[0:1], s25, v2
	v_mov_b32_e32 v11, 0x7c01
	s_and_saveexec_b64 s[22:23], s[0:1]
	s_cbranch_execz .LBB246_288
; %bb.287:                              ;   in Loop: Header=BB246_184 Depth=1
	v_and_b32_e32 v11, 7, v12
	v_ffbh_u32_e32 v14, v11
	v_min_u32_e32 v17, 32, v14
	v_subrev_u32_e32 v14, 28, v17
	v_lshlrev_b64 v[14:15], v14, v[12:13]
	v_lshrrev_b32_e32 v16, 3, v2
	v_sub_u32_e32 v15, 29, v17
	v_cmp_gt_u32_e64 s[0:1], 8, v2
	v_and_b32_e32 v14, 7, v14
	s_nop 0
	v_cndmask_b32_e64 v2, v16, v15, s[0:1]
	v_lshl_add_u32 v2, v2, 10, v29
	v_lshlrev_b32_e32 v15, 8, v12
	v_and_b32_e32 v2, 0xfc00, v2
	v_cndmask_b32_e64 v11, v11, v14, s[0:1]
	v_and_or_b32 v2, v15, s29, v2
	v_lshl_or_b32 v11, v11, 7, v2
.LBB246_288:                            ;   in Loop: Header=BB246_184 Depth=1
	s_or_b64 exec, exec, s[22:23]
.LBB246_289:                            ;   in Loop: Header=BB246_184 Depth=1
	s_or_b64 exec, exec, s[14:15]
.LBB246_290:                            ;   in Loop: Header=BB246_184 Depth=1
	s_or_b64 exec, exec, s[12:13]
	v_lshrrev_b16_e32 v2, 8, v12
	v_cmp_ne_u16_e64 s[0:1], 0, v2
	s_and_saveexec_b64 s[12:13], s[0:1]
	s_cbranch_execz .LBB246_296
; %bb.291:                              ;   in Loop: Header=BB246_184 Depth=1
	v_cmp_ne_u16_e64 s[0:1], s24, v2
	v_bfrev_b32_e32 v1, 1
	s_and_saveexec_b64 s[14:15], s[0:1]
	s_cbranch_execz .LBB246_295
; %bb.292:                              ;   in Loop: Header=BB246_184 Depth=1
	v_and_b32_e32 v14, 0x7f, v2
	v_cmp_ne_u32_e64 s[0:1], s25, v14
	v_mov_b32_e32 v1, 0x7c010000
	s_and_saveexec_b64 s[22:23], s[0:1]
	s_cbranch_execz .LBB246_294
; %bb.293:                              ;   in Loop: Header=BB246_184 Depth=1
	v_and_b32_e32 v1, 7, v2
	v_ffbh_u32_e32 v16, v1
	v_min_u32_e32 v18, 32, v16
	v_subrev_u32_e32 v16, 28, v18
	v_lshlrev_b64 v[16:17], v16, v[2:3]
	v_lshrrev_b32_e32 v15, 3, v14
	v_sub_u32_e32 v17, 29, v18
	v_cmp_gt_u32_e64 s[0:1], 8, v14
	v_lshlrev_b32_e32 v2, 8, v2
	s_nop 0
	v_cndmask_b32_e64 v14, v15, v17, s[0:1]
	v_lshl_add_u32 v14, v14, 10, v29
	v_and_b32_e32 v15, 7, v16
	v_and_or_b32 v2, v2, s29, v14
	v_cndmask_b32_e64 v1, v1, v15, s[0:1]
	v_lshlrev_b32_e32 v2, 16, v2
	v_lshl_or_b32 v1, v1, 23, v2
.LBB246_294:                            ;   in Loop: Header=BB246_184 Depth=1
	s_or_b64 exec, exec, s[22:23]
.LBB246_295:                            ;   in Loop: Header=BB246_184 Depth=1
	s_or_b64 exec, exec, s[14:15]
.LBB246_296:                            ;   in Loop: Header=BB246_184 Depth=1
	s_or_b64 exec, exec, s[12:13]
	v_lshrrev_b32_e32 v2, 16, v12
	v_cmp_ne_u16_sdwa s[0:1], v2, v3 src0_sel:BYTE_0 src1_sel:DWORD
	v_mov_b32_e32 v15, 0
	v_mov_b32_e32 v14, 0
	s_and_saveexec_b64 s[12:13], s[0:1]
	s_cbranch_execz .LBB246_302
; %bb.297:                              ;   in Loop: Header=BB246_184 Depth=1
	v_cmp_ne_u16_sdwa s[0:1], v2, s24 src0_sel:BYTE_0 src1_sel:DWORD
	v_mov_b32_e32 v14, 0x8000
	s_and_saveexec_b64 s[14:15], s[0:1]
	s_cbranch_execz .LBB246_301
; %bb.298:                              ;   in Loop: Header=BB246_184 Depth=1
	v_bfe_u32 v16, v12, 16, 7
	v_cmp_ne_u32_e64 s[0:1], s25, v16
	v_mov_b32_e32 v14, 0x7c01
	s_and_saveexec_b64 s[22:23], s[0:1]
	s_cbranch_execz .LBB246_300
; %bb.299:                              ;   in Loop: Header=BB246_184 Depth=1
	v_and_b32_e32 v14, 7, v2
	v_ffbh_u32_e32 v18, v14
	v_min_u32_e32 v43, 32, v18
	v_subrev_u32_e32 v18, 28, v43
	v_lshlrev_b64 v[18:19], v18, v[2:3]
	v_lshrrev_b32_e32 v17, 3, v16
	v_sub_u32_e32 v19, 29, v43
	v_cmp_gt_u32_e64 s[0:1], 8, v16
	v_lshlrev_b32_e32 v2, 8, v2
	s_nop 0
	v_cndmask_b32_e64 v16, v17, v19, s[0:1]
	v_lshl_add_u32 v16, v16, 10, v29
	v_and_b32_e32 v17, 7, v18
	v_and_b32_e32 v16, 0xfc00, v16
	v_cndmask_b32_e64 v14, v14, v17, s[0:1]
	v_and_or_b32 v2, v2, s29, v16
	v_lshl_or_b32 v14, v14, 7, v2
.LBB246_300:                            ;   in Loop: Header=BB246_184 Depth=1
	s_or_b64 exec, exec, s[22:23]
.LBB246_301:                            ;   in Loop: Header=BB246_184 Depth=1
	s_or_b64 exec, exec, s[14:15]
.LBB246_302:                            ;   in Loop: Header=BB246_184 Depth=1
	s_or_b64 exec, exec, s[12:13]
	v_cmp_lt_u32_e64 s[0:1], s7, v12
	s_and_saveexec_b64 s[12:13], s[0:1]
	s_cbranch_execz .LBB246_308
; %bb.303:                              ;   in Loop: Header=BB246_184 Depth=1
	v_lshrrev_b32_e32 v2, 24, v12
	v_cmp_ne_u32_e64 s[0:1], s24, v2
	v_bfrev_b32_e32 v15, 1
	s_and_saveexec_b64 s[14:15], s[0:1]
	s_cbranch_execz .LBB246_307
; %bb.304:                              ;   in Loop: Header=BB246_184 Depth=1
	v_and_b32_e32 v16, 0x7f, v2
	v_cmp_ne_u32_e64 s[0:1], s25, v16
	v_mov_b32_e32 v15, 0x7c010000
	s_and_saveexec_b64 s[22:23], s[0:1]
	s_cbranch_execz .LBB246_306
; %bb.305:                              ;   in Loop: Header=BB246_184 Depth=1
	v_and_b32_e32 v15, 7, v2
	v_ffbh_u32_e32 v18, v15
	v_min_u32_e32 v43, 32, v18
	v_subrev_u32_e32 v18, 28, v43
	v_lshlrev_b64 v[18:19], v18, v[2:3]
	v_lshrrev_b32_e32 v17, 3, v16
	v_sub_u32_e32 v19, 29, v43
	v_cmp_gt_u32_e64 s[0:1], 8, v16
	v_lshlrev_b32_e32 v2, 8, v2
	s_nop 0
	v_cndmask_b32_e64 v16, v17, v19, s[0:1]
	v_lshl_add_u32 v16, v16, 10, v29
	v_and_b32_e32 v17, 7, v18
	v_and_or_b32 v2, v2, s29, v16
	v_cndmask_b32_e64 v15, v15, v17, s[0:1]
	v_lshlrev_b32_e32 v2, 16, v2
	v_lshl_or_b32 v15, v15, 23, v2
.LBB246_306:                            ;   in Loop: Header=BB246_184 Depth=1
	s_or_b64 exec, exec, s[22:23]
.LBB246_307:                            ;   in Loop: Header=BB246_184 Depth=1
	s_or_b64 exec, exec, s[14:15]
.LBB246_308:                            ;   in Loop: Header=BB246_184 Depth=1
	s_or_b64 exec, exec, s[12:13]
	v_mov_b32_e32 v2, v13
	v_cmp_ne_u16_sdwa s[0:1], v13, v3 src0_sel:BYTE_0 src1_sel:DWORD
	v_mov_b32_e32 v16, 0
	v_mov_b32_e32 v17, 0
	s_and_saveexec_b64 s[12:13], s[0:1]
	s_cbranch_execz .LBB246_314
; %bb.309:                              ;   in Loop: Header=BB246_184 Depth=1
	v_cmp_ne_u16_sdwa s[0:1], v13, s24 src0_sel:BYTE_0 src1_sel:DWORD
	v_mov_b32_e32 v17, 0x8000
	s_and_saveexec_b64 s[14:15], s[0:1]
	s_cbranch_execz .LBB246_313
; %bb.310:                              ;   in Loop: Header=BB246_184 Depth=1
	v_and_b32_e32 v18, 0x7f, v13
	v_cmp_ne_u32_e64 s[0:1], s25, v18
	v_mov_b32_e32 v17, 0x7c01
	s_and_saveexec_b64 s[22:23], s[0:1]
	s_cbranch_execz .LBB246_312
; %bb.311:                              ;   in Loop: Header=BB246_184 Depth=1
	v_and_b32_e32 v17, 7, v13
	v_ffbh_u32_e32 v43, v17
	v_min_u32_e32 v43, 32, v43
	v_lshrrev_b32_e32 v19, 3, v18
	v_subrev_u32_e32 v44, 28, v43
	v_sub_u32_e32 v43, 29, v43
	v_cmp_gt_u32_e64 s[0:1], 8, v18
	v_lshlrev_b64 v[44:45], v44, v[2:3]
	s_nop 0
	v_cndmask_b32_e64 v18, v19, v43, s[0:1]
	v_lshl_add_u32 v18, v18, 10, v29
	v_lshlrev_b32_e32 v19, 8, v13
	v_and_b32_e32 v43, 7, v44
	v_and_b32_e32 v18, 0xfc00, v18
	v_cndmask_b32_e64 v17, v17, v43, s[0:1]
	v_and_or_b32 v18, v19, s29, v18
	v_lshl_or_b32 v17, v17, 7, v18
.LBB246_312:                            ;   in Loop: Header=BB246_184 Depth=1
	s_or_b64 exec, exec, s[22:23]
.LBB246_313:                            ;   in Loop: Header=BB246_184 Depth=1
	s_or_b64 exec, exec, s[14:15]
.LBB246_314:                            ;   in Loop: Header=BB246_184 Depth=1
	s_or_b64 exec, exec, s[12:13]
	v_lshrrev_b16_e32 v2, 8, v2
	v_cmp_ne_u16_e64 s[0:1], 0, v2
	v_mov_b32_e32 v18, 0
	s_and_saveexec_b64 s[12:13], s[0:1]
	s_cbranch_execz .LBB246_320
; %bb.315:                              ;   in Loop: Header=BB246_184 Depth=1
	v_cmp_ne_u16_e64 s[0:1], s24, v2
	v_bfrev_b32_e32 v18, 1
	s_and_saveexec_b64 s[14:15], s[0:1]
	s_cbranch_execz .LBB246_319
; %bb.316:                              ;   in Loop: Header=BB246_184 Depth=1
	v_and_b32_e32 v19, 0x7f, v2
	v_cmp_ne_u32_e64 s[0:1], s25, v19
	v_mov_b32_e32 v18, 0x7c010000
	s_and_saveexec_b64 s[22:23], s[0:1]
	s_cbranch_execz .LBB246_318
; %bb.317:                              ;   in Loop: Header=BB246_184 Depth=1
	v_and_b32_e32 v18, 7, v2
	v_ffbh_u32_e32 v44, v18
	v_min_u32_e32 v46, 32, v44
	v_subrev_u32_e32 v44, 28, v46
	v_lshlrev_b64 v[44:45], v44, v[2:3]
	v_lshrrev_b32_e32 v43, 3, v19
	v_sub_u32_e32 v45, 29, v46
	v_cmp_gt_u32_e64 s[0:1], 8, v19
	v_lshlrev_b32_e32 v2, 8, v2
	s_nop 0
	v_cndmask_b32_e64 v19, v43, v45, s[0:1]
	v_lshl_add_u32 v19, v19, 10, v29
	v_and_b32_e32 v43, 7, v44
	v_and_or_b32 v2, v2, s29, v19
	v_cndmask_b32_e64 v18, v18, v43, s[0:1]
	v_lshlrev_b32_e32 v2, 16, v2
	v_lshl_or_b32 v18, v18, 23, v2
.LBB246_318:                            ;   in Loop: Header=BB246_184 Depth=1
	s_or_b64 exec, exec, s[22:23]
.LBB246_319:                            ;   in Loop: Header=BB246_184 Depth=1
	s_or_b64 exec, exec, s[14:15]
.LBB246_320:                            ;   in Loop: Header=BB246_184 Depth=1
	s_or_b64 exec, exec, s[12:13]
	v_lshrrev_b32_e32 v2, 16, v13
	v_cmp_ne_u16_sdwa s[0:1], v2, v3 src0_sel:BYTE_0 src1_sel:DWORD
	s_and_saveexec_b64 s[12:13], s[0:1]
	s_cbranch_execz .LBB246_326
; %bb.321:                              ;   in Loop: Header=BB246_184 Depth=1
	v_cmp_ne_u16_sdwa s[0:1], v2, s24 src0_sel:BYTE_0 src1_sel:DWORD
	v_mov_b32_e32 v16, 0x8000
	s_and_saveexec_b64 s[14:15], s[0:1]
	s_cbranch_execz .LBB246_325
; %bb.322:                              ;   in Loop: Header=BB246_184 Depth=1
	v_bfe_u32 v19, v13, 16, 7
	v_cmp_ne_u32_e64 s[0:1], s25, v19
	v_mov_b32_e32 v16, 0x7c01
	s_and_saveexec_b64 s[22:23], s[0:1]
	s_cbranch_execz .LBB246_324
; %bb.323:                              ;   in Loop: Header=BB246_184 Depth=1
	v_and_b32_e32 v16, 7, v2
	v_ffbh_u32_e32 v44, v16
	v_min_u32_e32 v46, 32, v44
	v_subrev_u32_e32 v44, 28, v46
	v_lshlrev_b64 v[44:45], v44, v[2:3]
	v_lshrrev_b32_e32 v43, 3, v19
	v_sub_u32_e32 v45, 29, v46
	v_cmp_gt_u32_e64 s[0:1], 8, v19
	v_lshlrev_b32_e32 v2, 8, v2
	s_nop 0
	v_cndmask_b32_e64 v19, v43, v45, s[0:1]
	v_lshl_add_u32 v19, v19, 10, v29
	v_and_b32_e32 v43, 7, v44
	v_and_b32_e32 v19, 0xfc00, v19
	v_cndmask_b32_e64 v16, v16, v43, s[0:1]
	v_and_or_b32 v2, v2, s29, v19
	v_lshl_or_b32 v16, v16, 7, v2
.LBB246_324:                            ;   in Loop: Header=BB246_184 Depth=1
	s_or_b64 exec, exec, s[22:23]
.LBB246_325:                            ;   in Loop: Header=BB246_184 Depth=1
	s_or_b64 exec, exec, s[14:15]
.LBB246_326:                            ;   in Loop: Header=BB246_184 Depth=1
	s_or_b64 exec, exec, s[12:13]
	v_cmp_lt_u64_e64 s[0:1], s[6:7], v[12:13]
	v_mov_b32_e32 v19, 0
	s_and_saveexec_b64 s[12:13], s[0:1]
	s_cbranch_execz .LBB246_332
; %bb.327:                              ;   in Loop: Header=BB246_184 Depth=1
	v_lshrrev_b32_e32 v2, 24, v13
	v_cmp_ne_u32_e64 s[0:1], s24, v2
	v_bfrev_b32_e32 v19, 1
	s_and_saveexec_b64 s[14:15], s[0:1]
	s_cbranch_execz .LBB246_331
; %bb.328:                              ;   in Loop: Header=BB246_184 Depth=1
	v_and_b32_e32 v12, 0x7f, v2
	v_cmp_ne_u32_e64 s[0:1], s25, v12
	v_mov_b32_e32 v19, 0x7c010000
	s_and_saveexec_b64 s[22:23], s[0:1]
	s_cbranch_execz .LBB246_330
; %bb.329:                              ;   in Loop: Header=BB246_184 Depth=1
	v_and_b32_e32 v13, 7, v2
	v_ffbh_u32_e32 v43, v13
	v_min_u32_e32 v43, 32, v43
	v_lshrrev_b32_e32 v19, 3, v12
	v_subrev_u32_e32 v44, 28, v43
	v_sub_u32_e32 v43, 29, v43
	v_cmp_gt_u32_e64 s[0:1], 8, v12
	v_lshlrev_b64 v[44:45], v44, v[2:3]
	v_lshlrev_b32_e32 v2, 8, v2
	v_cndmask_b32_e64 v12, v19, v43, s[0:1]
	v_lshl_add_u32 v12, v12, 10, v29
	v_and_b32_e32 v19, 7, v44
	v_and_or_b32 v2, v2, s29, v12
	v_cndmask_b32_e64 v13, v13, v19, s[0:1]
	v_lshlrev_b32_e32 v2, 16, v2
	v_lshl_or_b32 v19, v13, 23, v2
.LBB246_330:                            ;   in Loop: Header=BB246_184 Depth=1
	s_or_b64 exec, exec, s[22:23]
.LBB246_331:                            ;   in Loop: Header=BB246_184 Depth=1
	s_or_b64 exec, exec, s[14:15]
.LBB246_332:                            ;   in Loop: Header=BB246_184 Depth=1
	s_or_b64 exec, exec, s[12:13]
	v_cvt_f32_f16_sdwa v13, v1 dst_sel:DWORD dst_unused:UNUSED_PAD src0_sel:WORD_1
	v_cvt_f32_f16_sdwa v12, v15 dst_sel:DWORD dst_unused:UNUSED_PAD src0_sel:WORD_1
	v_or_b32_e32 v1, v1, v11
	v_or_b32_e32 v2, v15, v14
	v_cvt_f32_f16_e32 v14, v2
	v_cvt_f32_f16_e32 v15, v1
	s_waitcnt vmcnt(0)
	v_pk_mul_f32 v[12:13], v[10:11], v[12:13] op_sel_hi:[0,1]
	v_cvt_pk_f16_f32 v1, v12, v13
	v_and_b32_e32 v11, 0xffff0000, v1
	v_pk_mul_f32 v[14:15], v[10:11], v[14:15] op_sel_hi:[0,1]
	v_lshlrev_b32_e32 v12, 16, v1
	v_cvt_pk_f16_f32 v1, v14, v15
	v_or_b32_e32 v2, v18, v17
	v_or_b32_e32 v15, v19, v16
	v_cvt_f32_f16_e32 v16, v15
	v_cvt_f32_f16_e32 v17, v2
	v_cvt_f32_f16_sdwa v45, v18 dst_sel:DWORD dst_unused:UNUSED_PAD src0_sel:WORD_1
	v_cvt_f32_f16_sdwa v44, v19 dst_sel:DWORD dst_unused:UNUSED_PAD src0_sel:WORD_1
	v_lshrrev_b32_e32 v13, 16, v1
	v_pk_mul_f32 v[16:17], v[10:11], v[16:17] op_sel_hi:[0,1]
	v_cvt_pk_f16_f32 v18, v16, v17
	v_pk_mul_f32 v[16:17], v[10:11], v[44:45] op_sel_hi:[0,1]
	v_cvt_pk_f16_f32 v10, v16, v17
	v_and_b32_e32 v14, 0xffff, v1
	v_and_b32_e32 v15, 0xffff0000, v10
	v_lshlrev_b32_e32 v10, 16, v10
	v_lshrrev_b32_e32 v19, 16, v18
	v_and_b32_e32 v18, 0xffff, v18
	v_or_b32_e32 v1, v11, v13
	v_or_b32_e32 v2, v12, v14
	;; [unrolled: 1-line block ×4, first 2 shown]
	s_and_saveexec_b64 s[0:1], vcc
	s_cbranch_execz .LBB246_183
; %bb.333:                              ;   in Loop: Header=BB246_184 Depth=1
	v_cmp_gt_i32_e32 vcc, s27, v27
	s_nop 1
	v_cndmask_b32_e32 v1, 0, v13, vcc
	v_cmp_gt_i32_e32 vcc, s33, v36
	s_nop 1
	v_cndmask_b32_e32 v2, 0, v14, vcc
	;; [unrolled: 3-line block ×3, first 2 shown]
	v_cmp_gt_i32_e32 vcc, s33, v34
	v_or_b32_e32 v1, v11, v1
	s_nop 0
	v_cndmask_b32_e32 v12, 0, v12, vcc
	v_cmp_gt_i32_e32 vcc, s27, v33
	v_or_b32_e32 v2, v12, v2
	s_nop 0
	v_cndmask_b32_e32 v11, 0, v19, vcc
	v_cmp_gt_i32_e32 vcc, s33, v32
	s_nop 1
	v_cndmask_b32_e32 v12, 0, v18, vcc
	v_cmp_gt_i32_e32 vcc, s27, v31
	;; [unrolled: 3-line block ×3, first 2 shown]
	v_or_b32_e32 v17, v13, v11
	s_nop 0
	v_cndmask_b32_e32 v10, 0, v10, vcc
	v_or_b32_e32 v16, v10, v12
	s_branch .LBB246_183
.LBB246_334:
	s_or_b64 exec, exec, s[8:9]
.LBB246_335:
	s_or_b64 exec, exec, s[2:3]
	ds_bpermute_b32 v2, v24, v4
	ds_bpermute_b32 v3, v24, v5
	;; [unrolled: 1-line block ×3, first 2 shown]
	s_waitcnt lgkmcnt(0)
	s_barrier
	v_pk_add_f32 v[2:3], v[4:5], v[2:3]
	v_and_b32_e32 v4, 0x3c1, v0
	v_cmp_ne_u32_e32 vcc, 64, v4
	s_and_saveexec_b64 s[0:1], vcc
	s_xor_b64 s[0:1], exec, s[0:1]
; %bb.336:
                                        ; implicit-def: $vgpr23
; %bb.337:
	s_or_saveexec_b64 s[0:1], s[0:1]
	v_add_f32_e32 v1, v26, v1
	s_xor_b64 exec, exec, s[0:1]
	s_cbranch_execz .LBB246_339
; %bb.338:
	v_mov_b32_e32 v5, 0xd0
	v_lshl_add_u32 v5, v23, 1, v5
	ds_write2_b32 v5, v2, v3 offset1:32
	ds_write_b32 v5, v1 offset:256
.LBB246_339:
	s_or_b64 exec, exec, s[0:1]
	v_cmp_gt_u32_e32 vcc, 64, v0
	v_lshrrev_b32_e32 v0, 1, v0
	s_waitcnt lgkmcnt(0)
	s_barrier
	s_and_saveexec_b64 s[0:1], vcc
	s_cbranch_execz .LBB246_345
; %bb.340:
	v_mov_b32_e32 v5, 0xd0
	v_cmp_eq_u32_e32 vcc, 0, v25
	v_lshl_add_u32 v5, v0, 2, v5
	s_and_saveexec_b64 s[2:3], vcc
	s_cbranch_execnz .LBB246_348
; %bb.341:
	s_or_b64 exec, exec, s[2:3]
	s_and_saveexec_b64 s[2:3], vcc
	s_cbranch_execnz .LBB246_349
.LBB246_342:
	s_or_b64 exec, exec, s[2:3]
	s_and_saveexec_b64 s[2:3], vcc
	s_cbranch_execz .LBB246_344
.LBB246_343:
	ds_read_b32 v5, v5 offset:256
	s_waitcnt lgkmcnt(0)
	v_add_f32_e32 v1, v1, v5
.LBB246_344:
	s_or_b64 exec, exec, s[2:3]
.LBB246_345:
	s_or_b64 exec, exec, s[0:1]
	v_cmp_eq_u32_e32 vcc, 0, v4
	s_barrier
	s_and_saveexec_b64 s[0:1], vcc
	s_cbranch_execz .LBB246_347
; %bb.346:
	s_mul_i32 s0, s16, s17
	s_mul_i32 s0, s0, s5
	s_mulk_i32 s0, 0x60
	s_ashr_i32 s1, s0, 31
	s_lshl_b64 s[0:1], s[0:1], 1
	s_add_u32 s2, s20, s0
	s_mul_i32 s0, s17, s18
	s_addc_u32 s3, s21, s1
	s_ashr_i32 s1, s0, 31
	s_lshl_b64 s[0:1], s[0:1], 1
	s_add_u32 s2, s2, s0
	s_mul_i32 s0, s4, 0x60
	s_addc_u32 s3, s3, s1
	s_ashr_i32 s1, s0, 31
	s_lshl_b64 s[0:1], s[0:1], 1
	s_add_u32 s0, s2, s0
	s_addc_u32 s1, s3, s1
	v_lshlrev_b32_e32 v0, 1, v0
	;;#ASMSTART
	v_cvt_f16_f32 v2, v2;

	;;#ASMEND
	global_store_short v0, v2, s[0:1]
	;;#ASMSTART
	v_cvt_f16_f32 v2, v3;

	;;#ASMEND
	global_store_short v0, v2, s[0:1] offset:64
	;;#ASMSTART
	v_cvt_f16_f32 v1, v1;

	;;#ASMEND
	global_store_short v0, v1, s[0:1] offset:128
.LBB246_347:
	s_endpgm
.LBB246_348:
	ds_read_b32 v6, v5
	s_waitcnt lgkmcnt(0)
	v_add_f32_e32 v2, v2, v6
	s_or_b64 exec, exec, s[2:3]
	s_and_saveexec_b64 s[2:3], vcc
	s_cbranch_execz .LBB246_342
.LBB246_349:
	ds_read_b32 v6, v5 offset:128
	s_waitcnt lgkmcnt(0)
	v_add_f32_e32 v3, v3, v6
	s_or_b64 exec, exec, s[2:3]
	s_and_saveexec_b64 s[2:3], vcc
	s_cbranch_execnz .LBB246_343
	s_branch .LBB246_344
	.section	.rodata,"a",@progbits
	.p2align	6, 0x0
	.amdhsa_kernel _ZN4vllm25paged_attention_v1_kernelIthLi96ELi16ELi128ELNS_18Fp8KVCacheDataTypeE1ELb0EEEvPT_PKS2_PKT0_S8_ifPKiSA_iPKfiiiSC_SC_iiiii
		.amdhsa_group_segment_fixed_size 208
		.amdhsa_private_segment_fixed_size 0
		.amdhsa_kernarg_size 384
		.amdhsa_user_sgpr_count 2
		.amdhsa_user_sgpr_dispatch_ptr 0
		.amdhsa_user_sgpr_queue_ptr 0
		.amdhsa_user_sgpr_kernarg_segment_ptr 1
		.amdhsa_user_sgpr_dispatch_id 0
		.amdhsa_user_sgpr_kernarg_preload_length 0
		.amdhsa_user_sgpr_kernarg_preload_offset 0
		.amdhsa_user_sgpr_private_segment_size 0
		.amdhsa_uses_dynamic_stack 0
		.amdhsa_enable_private_segment 0
		.amdhsa_system_sgpr_workgroup_id_x 1
		.amdhsa_system_sgpr_workgroup_id_y 1
		.amdhsa_system_sgpr_workgroup_id_z 1
		.amdhsa_system_sgpr_workgroup_info 0
		.amdhsa_system_vgpr_workitem_id 0
		.amdhsa_next_free_vgpr 53
		.amdhsa_next_free_sgpr 45
		.amdhsa_accum_offset 56
		.amdhsa_reserve_vcc 1
		.amdhsa_float_round_mode_32 0
		.amdhsa_float_round_mode_16_64 0
		.amdhsa_float_denorm_mode_32 3
		.amdhsa_float_denorm_mode_16_64 3
		.amdhsa_dx10_clamp 1
		.amdhsa_ieee_mode 1
		.amdhsa_fp16_overflow 0
		.amdhsa_tg_split 0
		.amdhsa_exception_fp_ieee_invalid_op 0
		.amdhsa_exception_fp_denorm_src 0
		.amdhsa_exception_fp_ieee_div_zero 0
		.amdhsa_exception_fp_ieee_overflow 0
		.amdhsa_exception_fp_ieee_underflow 0
		.amdhsa_exception_fp_ieee_inexact 0
		.amdhsa_exception_int_div_zero 0
	.end_amdhsa_kernel
	.section	.text._ZN4vllm25paged_attention_v1_kernelIthLi96ELi16ELi128ELNS_18Fp8KVCacheDataTypeE1ELb0EEEvPT_PKS2_PKT0_S8_ifPKiSA_iPKfiiiSC_SC_iiiii,"axG",@progbits,_ZN4vllm25paged_attention_v1_kernelIthLi96ELi16ELi128ELNS_18Fp8KVCacheDataTypeE1ELb0EEEvPT_PKS2_PKT0_S8_ifPKiSA_iPKfiiiSC_SC_iiiii,comdat
.Lfunc_end246:
	.size	_ZN4vllm25paged_attention_v1_kernelIthLi96ELi16ELi128ELNS_18Fp8KVCacheDataTypeE1ELb0EEEvPT_PKS2_PKT0_S8_ifPKiSA_iPKfiiiSC_SC_iiiii, .Lfunc_end246-_ZN4vllm25paged_attention_v1_kernelIthLi96ELi16ELi128ELNS_18Fp8KVCacheDataTypeE1ELb0EEEvPT_PKS2_PKT0_S8_ifPKiSA_iPKfiiiSC_SC_iiiii
                                        ; -- End function
	.set _ZN4vllm25paged_attention_v1_kernelIthLi96ELi16ELi128ELNS_18Fp8KVCacheDataTypeE1ELb0EEEvPT_PKS2_PKT0_S8_ifPKiSA_iPKfiiiSC_SC_iiiii.num_vgpr, 53
	.set _ZN4vllm25paged_attention_v1_kernelIthLi96ELi16ELi128ELNS_18Fp8KVCacheDataTypeE1ELb0EEEvPT_PKS2_PKT0_S8_ifPKiSA_iPKfiiiSC_SC_iiiii.num_agpr, 0
	.set _ZN4vllm25paged_attention_v1_kernelIthLi96ELi16ELi128ELNS_18Fp8KVCacheDataTypeE1ELb0EEEvPT_PKS2_PKT0_S8_ifPKiSA_iPKfiiiSC_SC_iiiii.numbered_sgpr, 45
	.set _ZN4vllm25paged_attention_v1_kernelIthLi96ELi16ELi128ELNS_18Fp8KVCacheDataTypeE1ELb0EEEvPT_PKS2_PKT0_S8_ifPKiSA_iPKfiiiSC_SC_iiiii.num_named_barrier, 0
	.set _ZN4vllm25paged_attention_v1_kernelIthLi96ELi16ELi128ELNS_18Fp8KVCacheDataTypeE1ELb0EEEvPT_PKS2_PKT0_S8_ifPKiSA_iPKfiiiSC_SC_iiiii.private_seg_size, 0
	.set _ZN4vllm25paged_attention_v1_kernelIthLi96ELi16ELi128ELNS_18Fp8KVCacheDataTypeE1ELb0EEEvPT_PKS2_PKT0_S8_ifPKiSA_iPKfiiiSC_SC_iiiii.uses_vcc, 1
	.set _ZN4vllm25paged_attention_v1_kernelIthLi96ELi16ELi128ELNS_18Fp8KVCacheDataTypeE1ELb0EEEvPT_PKS2_PKT0_S8_ifPKiSA_iPKfiiiSC_SC_iiiii.uses_flat_scratch, 0
	.set _ZN4vllm25paged_attention_v1_kernelIthLi96ELi16ELi128ELNS_18Fp8KVCacheDataTypeE1ELb0EEEvPT_PKS2_PKT0_S8_ifPKiSA_iPKfiiiSC_SC_iiiii.has_dyn_sized_stack, 0
	.set _ZN4vllm25paged_attention_v1_kernelIthLi96ELi16ELi128ELNS_18Fp8KVCacheDataTypeE1ELb0EEEvPT_PKS2_PKT0_S8_ifPKiSA_iPKfiiiSC_SC_iiiii.has_recursion, 0
	.set _ZN4vllm25paged_attention_v1_kernelIthLi96ELi16ELi128ELNS_18Fp8KVCacheDataTypeE1ELb0EEEvPT_PKS2_PKT0_S8_ifPKiSA_iPKfiiiSC_SC_iiiii.has_indirect_call, 0
	.section	.AMDGPU.csdata,"",@progbits
; Kernel info:
; codeLenInByte = 15608
; TotalNumSgprs: 51
; NumVgprs: 53
; NumAgprs: 0
; TotalNumVgprs: 53
; ScratchSize: 0
; MemoryBound: 0
; FloatMode: 240
; IeeeMode: 1
; LDSByteSize: 208 bytes/workgroup (compile time only)
; SGPRBlocks: 6
; VGPRBlocks: 6
; NumSGPRsForWavesPerEU: 51
; NumVGPRsForWavesPerEU: 53
; AccumOffset: 56
; Occupancy: 8
; WaveLimiterHint : 1
; COMPUTE_PGM_RSRC2:SCRATCH_EN: 0
; COMPUTE_PGM_RSRC2:USER_SGPR: 2
; COMPUTE_PGM_RSRC2:TRAP_HANDLER: 0
; COMPUTE_PGM_RSRC2:TGID_X_EN: 1
; COMPUTE_PGM_RSRC2:TGID_Y_EN: 1
; COMPUTE_PGM_RSRC2:TGID_Z_EN: 1
; COMPUTE_PGM_RSRC2:TIDIG_COMP_CNT: 0
; COMPUTE_PGM_RSRC3_GFX90A:ACCUM_OFFSET: 13
; COMPUTE_PGM_RSRC3_GFX90A:TG_SPLIT: 0
	.section	.text._ZN4vllm25paged_attention_v1_kernelIthLi112ELi16ELi128ELNS_18Fp8KVCacheDataTypeE1ELb0EEEvPT_PKS2_PKT0_S8_ifPKiSA_iPKfiiiSC_SC_iiiii,"axG",@progbits,_ZN4vllm25paged_attention_v1_kernelIthLi112ELi16ELi128ELNS_18Fp8KVCacheDataTypeE1ELb0EEEvPT_PKS2_PKT0_S8_ifPKiSA_iPKfiiiSC_SC_iiiii,comdat
	.protected	_ZN4vllm25paged_attention_v1_kernelIthLi112ELi16ELi128ELNS_18Fp8KVCacheDataTypeE1ELb0EEEvPT_PKS2_PKT0_S8_ifPKiSA_iPKfiiiSC_SC_iiiii ; -- Begin function _ZN4vllm25paged_attention_v1_kernelIthLi112ELi16ELi128ELNS_18Fp8KVCacheDataTypeE1ELb0EEEvPT_PKS2_PKT0_S8_ifPKiSA_iPKfiiiSC_SC_iiiii
	.globl	_ZN4vllm25paged_attention_v1_kernelIthLi112ELi16ELi128ELNS_18Fp8KVCacheDataTypeE1ELb0EEEvPT_PKS2_PKT0_S8_ifPKiSA_iPKfiiiSC_SC_iiiii
	.p2align	8
	.type	_ZN4vllm25paged_attention_v1_kernelIthLi112ELi16ELi128ELNS_18Fp8KVCacheDataTypeE1ELb0EEEvPT_PKS2_PKT0_S8_ifPKiSA_iPKfiiiSC_SC_iiiii,@function
_ZN4vllm25paged_attention_v1_kernelIthLi112ELi16ELi128ELNS_18Fp8KVCacheDataTypeE1ELb0EEEvPT_PKS2_PKT0_S8_ifPKiSA_iPKfiiiSC_SC_iiiii: ; @_ZN4vllm25paged_attention_v1_kernelIthLi112ELi16ELi128ELNS_18Fp8KVCacheDataTypeE1ELb0EEEvPT_PKS2_PKT0_S8_ifPKiSA_iPKfiiiSC_SC_iiiii
; %bb.0:
	s_load_dword s5, s[0:1], 0x80
	s_load_dwordx2 s[6:7], s[0:1], 0x30
	s_load_dwordx2 s[28:29], s[0:1], 0x20
	s_mov_b32 s16, s3
	s_ashr_i32 s17, s3, 31
	s_lshl_b64 s[8:9], s[16:17], 2
	s_waitcnt lgkmcnt(0)
	s_add_u32 s6, s6, s8
	s_addc_u32 s7, s7, s9
	s_abs_i32 s3, s28
	v_cvt_f32_u32_e32 v1, s3
	s_sub_i32 s10, 0, s3
	s_abs_i32 s9, s5
	s_xor_b32 s8, s5, s28
	v_rcp_iflag_f32_e32 v1, v1
	s_ashr_i32 s8, s8, 31
	s_mov_b32 s28, 0
	v_mul_f32_e32 v1, 0x4f7ffffe, v1
	v_cvt_u32_f32_e32 v1, v1
	s_nop 0
	v_readfirstlane_b32 s11, v1
	s_mul_i32 s10, s10, s11
	s_mul_hi_u32 s10, s11, s10
	s_add_i32 s11, s11, s10
	s_mul_hi_u32 s10, s9, s11
	s_mul_i32 s11, s10, s3
	s_sub_i32 s9, s9, s11
	s_add_i32 s11, s10, 1
	s_sub_i32 s12, s9, s3
	s_cmp_ge_u32 s9, s3
	s_cselect_b32 s10, s11, s10
	s_cselect_b32 s9, s12, s9
	s_add_i32 s11, s10, 1
	s_cmp_ge_u32 s9, s3
	s_cselect_b32 s3, s11, s10
	s_xor_b32 s3, s3, s8
	s_sub_i32 s18, s3, s8
	s_abs_i32 s10, s18
	v_cvt_f32_u32_e32 v1, s10
	s_load_dwordx2 s[8:9], s[0:1], 0x40
	s_sub_i32 s3, 0, s10
	s_abs_i32 s11, s2
	v_rcp_iflag_f32_e32 v1, v1
	s_nop 0
	v_mul_f32_e32 v1, 0x4f7ffffe, v1
	v_cvt_u32_f32_e32 v1, v1
	s_nop 0
	v_readfirstlane_b32 s12, v1
	s_mul_i32 s3, s3, s12
	s_mul_hi_u32 s3, s12, s3
	s_add_i32 s12, s12, s3
	s_waitcnt lgkmcnt(0)
	s_cmp_eq_u64 s[8:9], 0
	s_mul_hi_u32 s17, s11, s12
	s_cbranch_scc1 .LBB247_2
; %bb.1:
	s_ashr_i32 s3, s2, 31
	s_lshl_b64 s[12:13], s[2:3], 2
	s_add_u32 s8, s8, s12
	s_addc_u32 s9, s9, s13
	s_load_dword s28, s[8:9], 0x0
.LBB247_2:
	s_load_dword s33, s[6:7], 0x0
	s_load_dwordx4 s[12:15], s[0:1], 0x48
	s_ashr_i32 s6, s2, 31
	s_ashr_i32 s7, s18, 31
	v_and_b32_e32 v4, 3, v0
	s_mul_i32 s18, s2, 0x70
	v_cmp_gt_u32_e32 vcc, 56, v0
	s_and_saveexec_b64 s[2:3], vcc
	s_cbranch_execz .LBB247_4
; %bb.3:
	s_load_dwordx2 s[8:9], s[0:1], 0x8
	s_waitcnt lgkmcnt(0)
	s_mul_i32 s20, s12, s16
	s_ashr_i32 s21, s20, 31
	s_lshl_b64 s[20:21], s[20:21], 1
	v_lshlrev_b32_e32 v1, 2, v0
	s_add_u32 s12, s8, s20
	s_addc_u32 s15, s9, s21
	s_ashr_i32 s19, s18, 31
	s_lshl_b64 s[8:9], s[18:19], 1
	s_add_u32 s8, s12, s8
	s_addc_u32 s9, s15, s9
	global_load_dword v1, v1, s[8:9]
	v_and_b32_e32 v2, 0x3fc, v0
	v_mad_u32_u24 v2, v4, 56, v2
	s_waitcnt vmcnt(0)
	ds_write_b32 v2, v1
.LBB247_4:
	s_or_b64 exec, exec, s[2:3]
	s_waitcnt lgkmcnt(0)
	s_add_i32 s3, s33, 15
	s_ashr_i32 s8, s3, 31
	s_lshr_b32 s8, s8, 28
	s_add_i32 s3, s3, s8
	s_ashr_i32 s19, s3, 4
	s_xor_b32 s3, s6, s7
	s_mul_i32 s6, s17, s10
	s_sub_i32 s6, s11, s6
	s_add_i32 s7, s17, 1
	s_sub_i32 s8, s6, s10
	s_load_dwordx2 s[22:23], s[0:1], 0x28
	s_load_dword s2, s[0:1], 0x38
	s_cmp_ge_u32 s6, s10
	s_cselect_b32 s7, s7, s17
	s_cselect_b32 s6, s8, s6
	s_add_i32 s8, s7, 1
	s_cmp_ge_u32 s6, s10
	s_cselect_b32 s6, s8, s7
	v_lshrrev_b32_e32 v30, 6, v0
	s_xor_b32 s6, s6, s3
	s_waitcnt lgkmcnt(0)
	s_mul_i32 s24, s2, s16
	s_sub_i32 s12, s6, s3
	s_ashr_i32 s25, s24, 31
	v_cmp_le_i32_e64 s[6:7], s19, v30
	v_mbcnt_lo_u32_b32 v9, -1, 0
	s_barrier
                                        ; implicit-def: $vgpr10
                                        ; implicit-def: $vgpr8
                                        ; implicit-def: $vgpr2
	s_and_saveexec_b64 s[2:3], s[6:7]
	s_xor_b64 s[2:3], exec, s[2:3]
; %bb.5:
	v_mbcnt_hi_u32_b32 v10, -1, v9
	v_and_b32_e32 v8, 64, v10
	v_add_u32_e32 v2, 64, v8
                                        ; implicit-def: $vgpr4
                                        ; implicit-def: $vgpr9
; %bb.6:
	s_or_saveexec_b64 s[30:31], s[2:3]
	s_load_dwordx2 s[20:21], s[0:1], 0x0
	s_load_dwordx2 s[26:27], s[0:1], 0x18
	s_load_dword s17, s[0:1], 0x88
	s_load_dwordx4 s[8:11], s[0:1], 0x58
	v_mov_b32_e32 v11, 0xff7fffff
	s_mul_i32 s12, s12, s14
	v_lshrrev_b32_e32 v1, 4, v0
	s_xor_b64 exec, exec, s[30:31]
	s_cbranch_execz .LBB247_180
; %bb.7:
	s_load_dwordx2 s[0:1], s[0:1], 0x10
	s_ashr_i32 s2, s12, 31
	v_bfe_u32 v8, v0, 2, 4
	v_lshlrev_b32_e32 v2, 4, v8
	v_mov_b32_e32 v3, 0
	s_waitcnt lgkmcnt(0)
	s_add_u32 s0, s0, s12
	s_addc_u32 s1, s1, s2
	v_lshl_add_u64 v[6:7], s[0:1], 0, v[2:3]
	v_lshlrev_b32_e32 v2, 1, v4
	v_mul_u32_u24_e32 v12, 56, v4
	v_cmp_eq_u32_e32 vcc, 0, v4
	v_lshl_add_u64 v[4:5], v[6:7], 0, v[2:3]
	s_sub_i32 s41, 1, s33
	v_lshlrev_b32_e32 v2, 2, v8
	s_lshl_b64 s[0:1], s[24:25], 2
	v_lshl_or_b32 v2, v30, 6, v2
	s_add_u32 s0, s22, s0
	v_add_u32_e32 v14, 0xf0, v2
	v_and_b32_e32 v2, 60, v1
	s_addc_u32 s1, s23, s1
	s_mov_b32 s40, s13
	v_cmp_neq_f32_e64 s[2:3], s28, 0
	v_lshl_or_b32 v13, v30, 4, v8
	v_lshl_add_u64 v[6:7], s[0:1], 0, v[2:3]
	v_mov_b32_e32 v11, 0xff7fffff
	s_mov_b64 s[14:15], 0
	s_movk_i32 s42, 0x80
	s_movk_i32 s43, 0x7f
	s_mov_b32 s44, 0x8000
	v_mbcnt_hi_u32_b32 v10, -1, v9
	v_mov_b32_e32 v15, 0x2000
	v_mov_b32_e32 v16, v30
	s_branch .LBB247_9
.LBB247_8:                              ;   in Loop: Header=BB247_9 Depth=1
	s_or_b64 exec, exec, s[34:35]
	v_add_u32_e32 v16, 2, v16
	v_cmp_le_i32_e64 s[0:1], s19, v16
	v_add_u32_e32 v13, 32, v13
	v_add_u32_e32 v14, 0x80, v14
	s_or_b64 s[14:15], s[0:1], s[14:15]
	v_lshl_add_u64 v[6:7], v[6:7], 0, 8
	s_andn2_b64 exec, exec, s[14:15]
	s_cbranch_execz .LBB247_179
.LBB247_9:                              ; =>This Inner Loop Header: Depth=1
	global_load_dword v2, v[6:7], off
	s_waitcnt vmcnt(0)
	v_mad_i64_i32 v[8:9], s[0:1], v2, s40, v[4:5]
	global_load_ushort v18, v[8:9], off
	s_waitcnt lgkmcnt(0)
	global_load_dword v17, v3, s[8:9]
	s_waitcnt vmcnt(1)
	v_and_b32_e32 v2, 0xffff, v18
	v_cmp_ne_u16_sdwa s[0:1], v18, v3 src0_sel:BYTE_0 src1_sel:DWORD
	v_mov_b32_e32 v18, 0
	s_and_saveexec_b64 s[34:35], s[0:1]
	s_cbranch_execz .LBB247_15
; %bb.10:                               ;   in Loop: Header=BB247_9 Depth=1
	v_cmp_ne_u16_sdwa s[0:1], v2, s42 src0_sel:BYTE_0 src1_sel:DWORD
	v_mov_b32_e32 v18, 0x8000
	s_and_saveexec_b64 s[36:37], s[0:1]
	s_cbranch_execz .LBB247_14
; %bb.11:                               ;   in Loop: Header=BB247_9 Depth=1
	v_and_b32_e32 v19, 0x7f, v2
	v_cmp_ne_u32_e64 s[0:1], s43, v19
	v_mov_b32_e32 v18, 0x7c01
	s_and_saveexec_b64 s[38:39], s[0:1]
	s_cbranch_execz .LBB247_13
; %bb.12:                               ;   in Loop: Header=BB247_9 Depth=1
	v_and_b32_e32 v18, 7, v2
	v_ffbh_u32_e32 v20, v18
	v_min_u32_e32 v23, 32, v20
	v_subrev_u32_e32 v20, 28, v23
	v_lshlrev_b64 v[20:21], v20, v[2:3]
	v_lshrrev_b32_e32 v22, 3, v19
	v_sub_u32_e32 v21, 29, v23
	v_cmp_gt_u32_e64 s[0:1], 8, v19
	v_and_b32_e32 v20, 7, v20
	s_nop 0
	v_cndmask_b32_e64 v19, v22, v21, s[0:1]
	v_lshl_add_u32 v19, v19, 10, v15
	v_lshlrev_b32_e32 v21, 8, v2
	v_and_b32_e32 v19, 0xfc00, v19
	v_cndmask_b32_e64 v18, v18, v20, s[0:1]
	v_and_or_b32 v19, v21, s44, v19
	v_lshl_or_b32 v18, v18, 7, v19
.LBB247_13:                             ;   in Loop: Header=BB247_9 Depth=1
	s_or_b64 exec, exec, s[38:39]
.LBB247_14:                             ;   in Loop: Header=BB247_9 Depth=1
	s_or_b64 exec, exec, s[36:37]
.LBB247_15:                             ;   in Loop: Header=BB247_9 Depth=1
	s_or_b64 exec, exec, s[34:35]
	v_lshrrev_b16_e32 v2, 8, v2
	v_cmp_ne_u16_e64 s[0:1], 0, v2
	v_mov_b32_e32 v19, 0
	v_mov_b32_e32 v20, 0
	s_and_saveexec_b64 s[34:35], s[0:1]
	s_cbranch_execz .LBB247_21
; %bb.16:                               ;   in Loop: Header=BB247_9 Depth=1
	v_cmp_ne_u16_e64 s[0:1], s42, v2
	v_bfrev_b32_e32 v20, 1
	s_and_saveexec_b64 s[36:37], s[0:1]
	s_cbranch_execz .LBB247_20
; %bb.17:                               ;   in Loop: Header=BB247_9 Depth=1
	v_and_b32_e32 v21, 0x7f, v2
	v_cmp_ne_u32_e64 s[0:1], s43, v21
	v_mov_b32_e32 v20, 0x7c010000
	s_and_saveexec_b64 s[38:39], s[0:1]
	s_cbranch_execz .LBB247_19
; %bb.18:                               ;   in Loop: Header=BB247_9 Depth=1
	v_and_b32_e32 v20, 7, v2
	v_ffbh_u32_e32 v22, v20
	v_min_u32_e32 v25, 32, v22
	v_subrev_u32_e32 v22, 28, v25
	v_lshlrev_b64 v[22:23], v22, v[2:3]
	v_lshrrev_b32_e32 v24, 3, v21
	v_sub_u32_e32 v23, 29, v25
	v_cmp_gt_u32_e64 s[0:1], 8, v21
	v_lshlrev_b32_e32 v2, 8, v2
	v_and_b32_e32 v22, 7, v22
	v_cndmask_b32_e64 v21, v24, v23, s[0:1]
	v_lshl_add_u32 v21, v21, 10, v15
	v_and_or_b32 v2, v2, s44, v21
	v_cndmask_b32_e64 v20, v20, v22, s[0:1]
	v_lshlrev_b32_e32 v2, 16, v2
	v_lshl_or_b32 v20, v20, 23, v2
.LBB247_19:                             ;   in Loop: Header=BB247_9 Depth=1
	s_or_b64 exec, exec, s[38:39]
.LBB247_20:                             ;   in Loop: Header=BB247_9 Depth=1
	s_or_b64 exec, exec, s[36:37]
.LBB247_21:                             ;   in Loop: Header=BB247_9 Depth=1
	s_or_b64 exec, exec, s[34:35]
	global_load_ushort v21, v[8:9], off offset:8
	s_waitcnt vmcnt(0)
	v_and_b32_e32 v2, 0xffff, v21
	v_cmp_ne_u16_sdwa s[0:1], v21, v3 src0_sel:BYTE_0 src1_sel:DWORD
	s_and_saveexec_b64 s[34:35], s[0:1]
	s_cbranch_execz .LBB247_27
; %bb.22:                               ;   in Loop: Header=BB247_9 Depth=1
	v_cmp_ne_u16_sdwa s[0:1], v2, s42 src0_sel:BYTE_0 src1_sel:DWORD
	v_mov_b32_e32 v19, 0x8000
	s_and_saveexec_b64 s[36:37], s[0:1]
	s_cbranch_execz .LBB247_26
; %bb.23:                               ;   in Loop: Header=BB247_9 Depth=1
	v_and_b32_e32 v21, 0x7f, v2
	v_cmp_ne_u32_e64 s[0:1], s43, v21
	v_mov_b32_e32 v19, 0x7c01
	s_and_saveexec_b64 s[38:39], s[0:1]
	s_cbranch_execz .LBB247_25
; %bb.24:                               ;   in Loop: Header=BB247_9 Depth=1
	v_and_b32_e32 v19, 7, v2
	v_ffbh_u32_e32 v22, v19
	v_min_u32_e32 v25, 32, v22
	v_subrev_u32_e32 v22, 28, v25
	v_lshlrev_b64 v[22:23], v22, v[2:3]
	v_lshrrev_b32_e32 v24, 3, v21
	v_sub_u32_e32 v23, 29, v25
	v_cmp_gt_u32_e64 s[0:1], 8, v21
	v_and_b32_e32 v22, 7, v22
	s_nop 0
	v_cndmask_b32_e64 v21, v24, v23, s[0:1]
	v_lshl_add_u32 v21, v21, 10, v15
	v_lshlrev_b32_e32 v23, 8, v2
	v_and_b32_e32 v21, 0xfc00, v21
	v_cndmask_b32_e64 v19, v19, v22, s[0:1]
	v_and_or_b32 v21, v23, s44, v21
	v_lshl_or_b32 v19, v19, 7, v21
.LBB247_25:                             ;   in Loop: Header=BB247_9 Depth=1
	s_or_b64 exec, exec, s[38:39]
.LBB247_26:                             ;   in Loop: Header=BB247_9 Depth=1
	s_or_b64 exec, exec, s[36:37]
.LBB247_27:                             ;   in Loop: Header=BB247_9 Depth=1
	s_or_b64 exec, exec, s[34:35]
	v_lshrrev_b16_e32 v2, 8, v2
	v_cmp_ne_u16_e64 s[0:1], 0, v2
	v_mov_b32_e32 v21, 0
	v_mov_b32_e32 v22, 0
	s_and_saveexec_b64 s[34:35], s[0:1]
	s_cbranch_execz .LBB247_33
; %bb.28:                               ;   in Loop: Header=BB247_9 Depth=1
	v_cmp_ne_u16_e64 s[0:1], s42, v2
	v_bfrev_b32_e32 v22, 1
	s_and_saveexec_b64 s[36:37], s[0:1]
	s_cbranch_execz .LBB247_32
; %bb.29:                               ;   in Loop: Header=BB247_9 Depth=1
	v_and_b32_e32 v23, 0x7f, v2
	v_cmp_ne_u32_e64 s[0:1], s43, v23
	v_mov_b32_e32 v22, 0x7c010000
	s_and_saveexec_b64 s[38:39], s[0:1]
	s_cbranch_execz .LBB247_31
; %bb.30:                               ;   in Loop: Header=BB247_9 Depth=1
	v_and_b32_e32 v22, 7, v2
	v_ffbh_u32_e32 v24, v22
	v_min_u32_e32 v27, 32, v24
	v_subrev_u32_e32 v24, 28, v27
	v_lshlrev_b64 v[24:25], v24, v[2:3]
	v_lshrrev_b32_e32 v26, 3, v23
	v_sub_u32_e32 v25, 29, v27
	v_cmp_gt_u32_e64 s[0:1], 8, v23
	v_lshlrev_b32_e32 v2, 8, v2
	v_and_b32_e32 v24, 7, v24
	v_cndmask_b32_e64 v23, v26, v25, s[0:1]
	v_lshl_add_u32 v23, v23, 10, v15
	v_and_or_b32 v2, v2, s44, v23
	v_cndmask_b32_e64 v22, v22, v24, s[0:1]
	v_lshlrev_b32_e32 v2, 16, v2
	v_lshl_or_b32 v22, v22, 23, v2
.LBB247_31:                             ;   in Loop: Header=BB247_9 Depth=1
	s_or_b64 exec, exec, s[38:39]
.LBB247_32:                             ;   in Loop: Header=BB247_9 Depth=1
	s_or_b64 exec, exec, s[36:37]
.LBB247_33:                             ;   in Loop: Header=BB247_9 Depth=1
	s_or_b64 exec, exec, s[34:35]
	global_load_ushort v23, v[8:9], off offset:256
	s_waitcnt vmcnt(0)
	v_and_b32_e32 v2, 0xffff, v23
	v_cmp_ne_u16_sdwa s[0:1], v23, v3 src0_sel:BYTE_0 src1_sel:DWORD
	s_and_saveexec_b64 s[34:35], s[0:1]
	s_cbranch_execz .LBB247_39
; %bb.34:                               ;   in Loop: Header=BB247_9 Depth=1
	v_cmp_ne_u16_sdwa s[0:1], v2, s42 src0_sel:BYTE_0 src1_sel:DWORD
	v_mov_b32_e32 v21, 0x8000
	s_and_saveexec_b64 s[36:37], s[0:1]
	s_cbranch_execz .LBB247_38
; %bb.35:                               ;   in Loop: Header=BB247_9 Depth=1
	v_and_b32_e32 v23, 0x7f, v2
	v_cmp_ne_u32_e64 s[0:1], s43, v23
	v_mov_b32_e32 v21, 0x7c01
	s_and_saveexec_b64 s[38:39], s[0:1]
	s_cbranch_execz .LBB247_37
; %bb.36:                               ;   in Loop: Header=BB247_9 Depth=1
	v_and_b32_e32 v21, 7, v2
	v_ffbh_u32_e32 v24, v21
	v_min_u32_e32 v27, 32, v24
	v_subrev_u32_e32 v24, 28, v27
	v_lshlrev_b64 v[24:25], v24, v[2:3]
	v_lshrrev_b32_e32 v26, 3, v23
	v_sub_u32_e32 v25, 29, v27
	v_cmp_gt_u32_e64 s[0:1], 8, v23
	v_and_b32_e32 v24, 7, v24
	s_nop 0
	v_cndmask_b32_e64 v23, v26, v25, s[0:1]
	v_lshl_add_u32 v23, v23, 10, v15
	v_lshlrev_b32_e32 v25, 8, v2
	v_and_b32_e32 v23, 0xfc00, v23
	v_cndmask_b32_e64 v21, v21, v24, s[0:1]
	v_and_or_b32 v23, v25, s44, v23
	v_lshl_or_b32 v21, v21, 7, v23
.LBB247_37:                             ;   in Loop: Header=BB247_9 Depth=1
	s_or_b64 exec, exec, s[38:39]
.LBB247_38:                             ;   in Loop: Header=BB247_9 Depth=1
	s_or_b64 exec, exec, s[36:37]
.LBB247_39:                             ;   in Loop: Header=BB247_9 Depth=1
	s_or_b64 exec, exec, s[34:35]
	v_lshrrev_b16_e32 v2, 8, v2
	v_cmp_ne_u16_e64 s[0:1], 0, v2
	v_mov_b32_e32 v23, 0
	v_mov_b32_e32 v24, 0
	s_and_saveexec_b64 s[34:35], s[0:1]
	s_cbranch_execz .LBB247_45
; %bb.40:                               ;   in Loop: Header=BB247_9 Depth=1
	v_cmp_ne_u16_e64 s[0:1], s42, v2
	v_bfrev_b32_e32 v24, 1
	s_and_saveexec_b64 s[36:37], s[0:1]
	s_cbranch_execz .LBB247_44
; %bb.41:                               ;   in Loop: Header=BB247_9 Depth=1
	v_and_b32_e32 v25, 0x7f, v2
	v_cmp_ne_u32_e64 s[0:1], s43, v25
	v_mov_b32_e32 v24, 0x7c010000
	s_and_saveexec_b64 s[38:39], s[0:1]
	s_cbranch_execz .LBB247_43
; %bb.42:                               ;   in Loop: Header=BB247_9 Depth=1
	v_and_b32_e32 v24, 7, v2
	v_ffbh_u32_e32 v26, v24
	v_min_u32_e32 v29, 32, v26
	v_subrev_u32_e32 v26, 28, v29
	v_lshlrev_b64 v[26:27], v26, v[2:3]
	v_lshrrev_b32_e32 v28, 3, v25
	v_sub_u32_e32 v27, 29, v29
	v_cmp_gt_u32_e64 s[0:1], 8, v25
	v_lshlrev_b32_e32 v2, 8, v2
	v_and_b32_e32 v26, 7, v26
	v_cndmask_b32_e64 v25, v28, v27, s[0:1]
	v_lshl_add_u32 v25, v25, 10, v15
	v_and_or_b32 v2, v2, s44, v25
	v_cndmask_b32_e64 v24, v24, v26, s[0:1]
	v_lshlrev_b32_e32 v2, 16, v2
	v_lshl_or_b32 v24, v24, 23, v2
.LBB247_43:                             ;   in Loop: Header=BB247_9 Depth=1
	s_or_b64 exec, exec, s[38:39]
.LBB247_44:                             ;   in Loop: Header=BB247_9 Depth=1
	s_or_b64 exec, exec, s[36:37]
.LBB247_45:                             ;   in Loop: Header=BB247_9 Depth=1
	s_or_b64 exec, exec, s[34:35]
	global_load_ushort v25, v[8:9], off offset:264
	s_waitcnt vmcnt(0)
	v_and_b32_e32 v2, 0xffff, v25
	v_cmp_ne_u16_sdwa s[0:1], v25, v3 src0_sel:BYTE_0 src1_sel:DWORD
	s_and_saveexec_b64 s[34:35], s[0:1]
	s_cbranch_execz .LBB247_51
; %bb.46:                               ;   in Loop: Header=BB247_9 Depth=1
	v_cmp_ne_u16_sdwa s[0:1], v2, s42 src0_sel:BYTE_0 src1_sel:DWORD
	v_mov_b32_e32 v23, 0x8000
	s_and_saveexec_b64 s[36:37], s[0:1]
	s_cbranch_execz .LBB247_50
; %bb.47:                               ;   in Loop: Header=BB247_9 Depth=1
	v_and_b32_e32 v25, 0x7f, v2
	v_cmp_ne_u32_e64 s[0:1], s43, v25
	v_mov_b32_e32 v23, 0x7c01
	s_and_saveexec_b64 s[38:39], s[0:1]
	s_cbranch_execz .LBB247_49
; %bb.48:                               ;   in Loop: Header=BB247_9 Depth=1
	v_and_b32_e32 v23, 7, v2
	v_ffbh_u32_e32 v26, v23
	v_min_u32_e32 v29, 32, v26
	v_subrev_u32_e32 v26, 28, v29
	v_lshlrev_b64 v[26:27], v26, v[2:3]
	v_lshrrev_b32_e32 v28, 3, v25
	v_sub_u32_e32 v27, 29, v29
	v_cmp_gt_u32_e64 s[0:1], 8, v25
	v_and_b32_e32 v26, 7, v26
	s_nop 0
	v_cndmask_b32_e64 v25, v28, v27, s[0:1]
	v_lshl_add_u32 v25, v25, 10, v15
	v_lshlrev_b32_e32 v27, 8, v2
	v_and_b32_e32 v25, 0xfc00, v25
	v_cndmask_b32_e64 v23, v23, v26, s[0:1]
	v_and_or_b32 v25, v27, s44, v25
	v_lshl_or_b32 v23, v23, 7, v25
.LBB247_49:                             ;   in Loop: Header=BB247_9 Depth=1
	s_or_b64 exec, exec, s[38:39]
.LBB247_50:                             ;   in Loop: Header=BB247_9 Depth=1
	s_or_b64 exec, exec, s[36:37]
.LBB247_51:                             ;   in Loop: Header=BB247_9 Depth=1
	s_or_b64 exec, exec, s[34:35]
	v_lshrrev_b16_e32 v2, 8, v2
	v_cmp_ne_u16_e64 s[0:1], 0, v2
	v_mov_b32_e32 v25, 0
	v_mov_b32_e32 v26, 0
	s_and_saveexec_b64 s[34:35], s[0:1]
	s_cbranch_execz .LBB247_57
; %bb.52:                               ;   in Loop: Header=BB247_9 Depth=1
	v_cmp_ne_u16_e64 s[0:1], s42, v2
	v_bfrev_b32_e32 v26, 1
	s_and_saveexec_b64 s[36:37], s[0:1]
	s_cbranch_execz .LBB247_56
; %bb.53:                               ;   in Loop: Header=BB247_9 Depth=1
	v_and_b32_e32 v27, 0x7f, v2
	v_cmp_ne_u32_e64 s[0:1], s43, v27
	v_mov_b32_e32 v26, 0x7c010000
	s_and_saveexec_b64 s[38:39], s[0:1]
	s_cbranch_execz .LBB247_55
; %bb.54:                               ;   in Loop: Header=BB247_9 Depth=1
	v_and_b32_e32 v26, 7, v2
	v_ffbh_u32_e32 v28, v26
	v_min_u32_e32 v32, 32, v28
	v_subrev_u32_e32 v28, 28, v32
	v_lshlrev_b64 v[28:29], v28, v[2:3]
	v_lshrrev_b32_e32 v31, 3, v27
	v_sub_u32_e32 v29, 29, v32
	v_cmp_gt_u32_e64 s[0:1], 8, v27
	v_lshlrev_b32_e32 v2, 8, v2
	v_and_b32_e32 v28, 7, v28
	v_cndmask_b32_e64 v27, v31, v29, s[0:1]
	v_lshl_add_u32 v27, v27, 10, v15
	v_and_or_b32 v2, v2, s44, v27
	v_cndmask_b32_e64 v26, v26, v28, s[0:1]
	v_lshlrev_b32_e32 v2, 16, v2
	v_lshl_or_b32 v26, v26, 23, v2
.LBB247_55:                             ;   in Loop: Header=BB247_9 Depth=1
	s_or_b64 exec, exec, s[38:39]
.LBB247_56:                             ;   in Loop: Header=BB247_9 Depth=1
	s_or_b64 exec, exec, s[36:37]
.LBB247_57:                             ;   in Loop: Header=BB247_9 Depth=1
	s_or_b64 exec, exec, s[34:35]
	global_load_ushort v27, v[8:9], off offset:512
	s_waitcnt vmcnt(0)
	v_and_b32_e32 v2, 0xffff, v27
	v_cmp_ne_u16_sdwa s[0:1], v27, v3 src0_sel:BYTE_0 src1_sel:DWORD
	s_and_saveexec_b64 s[34:35], s[0:1]
	s_cbranch_execz .LBB247_63
; %bb.58:                               ;   in Loop: Header=BB247_9 Depth=1
	v_cmp_ne_u16_sdwa s[0:1], v2, s42 src0_sel:BYTE_0 src1_sel:DWORD
	v_mov_b32_e32 v25, 0x8000
	s_and_saveexec_b64 s[36:37], s[0:1]
	s_cbranch_execz .LBB247_62
; %bb.59:                               ;   in Loop: Header=BB247_9 Depth=1
	v_and_b32_e32 v27, 0x7f, v2
	v_cmp_ne_u32_e64 s[0:1], s43, v27
	v_mov_b32_e32 v25, 0x7c01
	s_and_saveexec_b64 s[38:39], s[0:1]
	s_cbranch_execz .LBB247_61
; %bb.60:                               ;   in Loop: Header=BB247_9 Depth=1
	v_and_b32_e32 v25, 7, v2
	v_ffbh_u32_e32 v28, v25
	v_min_u32_e32 v32, 32, v28
	v_subrev_u32_e32 v28, 28, v32
	v_lshlrev_b64 v[28:29], v28, v[2:3]
	v_lshrrev_b32_e32 v31, 3, v27
	v_sub_u32_e32 v29, 29, v32
	v_cmp_gt_u32_e64 s[0:1], 8, v27
	v_and_b32_e32 v28, 7, v28
	s_nop 0
	v_cndmask_b32_e64 v27, v31, v29, s[0:1]
	v_lshl_add_u32 v27, v27, 10, v15
	v_lshlrev_b32_e32 v29, 8, v2
	v_and_b32_e32 v27, 0xfc00, v27
	v_cndmask_b32_e64 v25, v25, v28, s[0:1]
	v_and_or_b32 v27, v29, s44, v27
	v_lshl_or_b32 v25, v25, 7, v27
.LBB247_61:                             ;   in Loop: Header=BB247_9 Depth=1
	s_or_b64 exec, exec, s[38:39]
.LBB247_62:                             ;   in Loop: Header=BB247_9 Depth=1
	s_or_b64 exec, exec, s[36:37]
.LBB247_63:                             ;   in Loop: Header=BB247_9 Depth=1
	s_or_b64 exec, exec, s[34:35]
	v_lshrrev_b16_e32 v2, 8, v2
	v_cmp_ne_u16_e64 s[0:1], 0, v2
	v_mov_b32_e32 v27, 0
	v_mov_b32_e32 v28, 0
	s_and_saveexec_b64 s[34:35], s[0:1]
	s_cbranch_execz .LBB247_69
; %bb.64:                               ;   in Loop: Header=BB247_9 Depth=1
	v_cmp_ne_u16_e64 s[0:1], s42, v2
	v_bfrev_b32_e32 v28, 1
	s_and_saveexec_b64 s[36:37], s[0:1]
	s_cbranch_execz .LBB247_68
; %bb.65:                               ;   in Loop: Header=BB247_9 Depth=1
	v_and_b32_e32 v29, 0x7f, v2
	v_cmp_ne_u32_e64 s[0:1], s43, v29
	v_mov_b32_e32 v28, 0x7c010000
	s_and_saveexec_b64 s[38:39], s[0:1]
	s_cbranch_execz .LBB247_67
; %bb.66:                               ;   in Loop: Header=BB247_9 Depth=1
	v_and_b32_e32 v28, 7, v2
	v_ffbh_u32_e32 v32, v28
	v_min_u32_e32 v34, 32, v32
	v_subrev_u32_e32 v32, 28, v34
	v_lshlrev_b64 v[32:33], v32, v[2:3]
	v_lshrrev_b32_e32 v31, 3, v29
	v_sub_u32_e32 v33, 29, v34
	v_cmp_gt_u32_e64 s[0:1], 8, v29
	v_lshlrev_b32_e32 v2, 8, v2
	s_nop 0
	v_cndmask_b32_e64 v29, v31, v33, s[0:1]
	v_lshl_add_u32 v29, v29, 10, v15
	v_and_b32_e32 v31, 7, v32
	v_and_or_b32 v2, v2, s44, v29
	v_cndmask_b32_e64 v28, v28, v31, s[0:1]
	v_lshlrev_b32_e32 v2, 16, v2
	v_lshl_or_b32 v28, v28, 23, v2
.LBB247_67:                             ;   in Loop: Header=BB247_9 Depth=1
	s_or_b64 exec, exec, s[38:39]
.LBB247_68:                             ;   in Loop: Header=BB247_9 Depth=1
	s_or_b64 exec, exec, s[36:37]
.LBB247_69:                             ;   in Loop: Header=BB247_9 Depth=1
	s_or_b64 exec, exec, s[34:35]
	global_load_ushort v29, v[8:9], off offset:520
	s_waitcnt vmcnt(0)
	v_and_b32_e32 v2, 0xffff, v29
	v_cmp_ne_u16_sdwa s[0:1], v29, v3 src0_sel:BYTE_0 src1_sel:DWORD
	s_and_saveexec_b64 s[34:35], s[0:1]
	s_cbranch_execz .LBB247_75
; %bb.70:                               ;   in Loop: Header=BB247_9 Depth=1
	v_cmp_ne_u16_sdwa s[0:1], v2, s42 src0_sel:BYTE_0 src1_sel:DWORD
	v_mov_b32_e32 v27, 0x8000
	s_and_saveexec_b64 s[36:37], s[0:1]
	s_cbranch_execz .LBB247_74
; %bb.71:                               ;   in Loop: Header=BB247_9 Depth=1
	v_and_b32_e32 v29, 0x7f, v2
	v_cmp_ne_u32_e64 s[0:1], s43, v29
	v_mov_b32_e32 v27, 0x7c01
	s_and_saveexec_b64 s[38:39], s[0:1]
	s_cbranch_execz .LBB247_73
; %bb.72:                               ;   in Loop: Header=BB247_9 Depth=1
	v_and_b32_e32 v27, 7, v2
	v_ffbh_u32_e32 v32, v27
	v_min_u32_e32 v34, 32, v32
	v_subrev_u32_e32 v32, 28, v34
	v_lshlrev_b64 v[32:33], v32, v[2:3]
	v_lshrrev_b32_e32 v31, 3, v29
	v_sub_u32_e32 v33, 29, v34
	v_cmp_gt_u32_e64 s[0:1], 8, v29
	v_and_b32_e32 v32, 7, v32
	s_nop 0
	v_cndmask_b32_e64 v29, v31, v33, s[0:1]
	v_lshl_add_u32 v29, v29, 10, v15
	v_lshlrev_b32_e32 v31, 8, v2
	v_and_b32_e32 v29, 0xfc00, v29
	v_cndmask_b32_e64 v27, v27, v32, s[0:1]
	v_and_or_b32 v29, v31, s44, v29
	v_lshl_or_b32 v27, v27, 7, v29
.LBB247_73:                             ;   in Loop: Header=BB247_9 Depth=1
	s_or_b64 exec, exec, s[38:39]
.LBB247_74:                             ;   in Loop: Header=BB247_9 Depth=1
	s_or_b64 exec, exec, s[36:37]
.LBB247_75:                             ;   in Loop: Header=BB247_9 Depth=1
	s_or_b64 exec, exec, s[34:35]
	v_lshrrev_b16_e32 v2, 8, v2
	v_cmp_ne_u16_e64 s[0:1], 0, v2
	v_mov_b32_e32 v29, 0
	v_mov_b32_e32 v31, 0
	s_and_saveexec_b64 s[34:35], s[0:1]
	s_cbranch_execz .LBB247_81
; %bb.76:                               ;   in Loop: Header=BB247_9 Depth=1
	v_cmp_ne_u16_e64 s[0:1], s42, v2
	v_bfrev_b32_e32 v31, 1
	s_and_saveexec_b64 s[36:37], s[0:1]
	s_cbranch_execz .LBB247_80
; %bb.77:                               ;   in Loop: Header=BB247_9 Depth=1
	v_and_b32_e32 v32, 0x7f, v2
	v_cmp_ne_u32_e64 s[0:1], s43, v32
	v_mov_b32_e32 v31, 0x7c010000
	s_and_saveexec_b64 s[38:39], s[0:1]
	s_cbranch_execz .LBB247_79
; %bb.78:                               ;   in Loop: Header=BB247_9 Depth=1
	v_and_b32_e32 v31, 7, v2
	v_ffbh_u32_e32 v34, v31
	v_min_u32_e32 v36, 32, v34
	v_subrev_u32_e32 v34, 28, v36
	v_lshlrev_b64 v[34:35], v34, v[2:3]
	v_lshrrev_b32_e32 v33, 3, v32
	v_sub_u32_e32 v35, 29, v36
	v_cmp_gt_u32_e64 s[0:1], 8, v32
	v_lshlrev_b32_e32 v2, 8, v2
	s_nop 0
	v_cndmask_b32_e64 v32, v33, v35, s[0:1]
	v_lshl_add_u32 v32, v32, 10, v15
	v_and_b32_e32 v33, 7, v34
	v_and_or_b32 v2, v2, s44, v32
	v_cndmask_b32_e64 v31, v31, v33, s[0:1]
	v_lshlrev_b32_e32 v2, 16, v2
	v_lshl_or_b32 v31, v31, 23, v2
.LBB247_79:                             ;   in Loop: Header=BB247_9 Depth=1
	s_or_b64 exec, exec, s[38:39]
.LBB247_80:                             ;   in Loop: Header=BB247_9 Depth=1
	s_or_b64 exec, exec, s[36:37]
.LBB247_81:                             ;   in Loop: Header=BB247_9 Depth=1
	s_or_b64 exec, exec, s[34:35]
	global_load_ushort v32, v[8:9], off offset:768
	s_waitcnt vmcnt(0)
	v_and_b32_e32 v2, 0xffff, v32
	v_cmp_ne_u16_sdwa s[0:1], v32, v3 src0_sel:BYTE_0 src1_sel:DWORD
	s_and_saveexec_b64 s[34:35], s[0:1]
	s_cbranch_execz .LBB247_87
; %bb.82:                               ;   in Loop: Header=BB247_9 Depth=1
	v_cmp_ne_u16_sdwa s[0:1], v2, s42 src0_sel:BYTE_0 src1_sel:DWORD
	v_mov_b32_e32 v29, 0x8000
	s_and_saveexec_b64 s[36:37], s[0:1]
	s_cbranch_execz .LBB247_86
; %bb.83:                               ;   in Loop: Header=BB247_9 Depth=1
	v_and_b32_e32 v32, 0x7f, v2
	v_cmp_ne_u32_e64 s[0:1], s43, v32
	v_mov_b32_e32 v29, 0x7c01
	s_and_saveexec_b64 s[38:39], s[0:1]
	s_cbranch_execz .LBB247_85
; %bb.84:                               ;   in Loop: Header=BB247_9 Depth=1
	v_and_b32_e32 v29, 7, v2
	v_ffbh_u32_e32 v34, v29
	v_min_u32_e32 v36, 32, v34
	v_subrev_u32_e32 v34, 28, v36
	v_lshlrev_b64 v[34:35], v34, v[2:3]
	v_lshrrev_b32_e32 v33, 3, v32
	v_sub_u32_e32 v35, 29, v36
	v_cmp_gt_u32_e64 s[0:1], 8, v32
	v_and_b32_e32 v34, 7, v34
	s_nop 0
	v_cndmask_b32_e64 v32, v33, v35, s[0:1]
	v_lshl_add_u32 v32, v32, 10, v15
	v_lshlrev_b32_e32 v33, 8, v2
	v_and_b32_e32 v32, 0xfc00, v32
	v_cndmask_b32_e64 v29, v29, v34, s[0:1]
	v_and_or_b32 v32, v33, s44, v32
	v_lshl_or_b32 v29, v29, 7, v32
.LBB247_85:                             ;   in Loop: Header=BB247_9 Depth=1
	s_or_b64 exec, exec, s[38:39]
.LBB247_86:                             ;   in Loop: Header=BB247_9 Depth=1
	s_or_b64 exec, exec, s[36:37]
.LBB247_87:                             ;   in Loop: Header=BB247_9 Depth=1
	s_or_b64 exec, exec, s[34:35]
	v_lshrrev_b16_e32 v2, 8, v2
	v_cmp_ne_u16_e64 s[0:1], 0, v2
	v_mov_b32_e32 v33, 0
	v_mov_b32_e32 v32, 0
	s_and_saveexec_b64 s[34:35], s[0:1]
	s_cbranch_execz .LBB247_93
; %bb.88:                               ;   in Loop: Header=BB247_9 Depth=1
	v_cmp_ne_u16_e64 s[0:1], s42, v2
	v_bfrev_b32_e32 v32, 1
	s_and_saveexec_b64 s[36:37], s[0:1]
	s_cbranch_execz .LBB247_92
; %bb.89:                               ;   in Loop: Header=BB247_9 Depth=1
	v_and_b32_e32 v34, 0x7f, v2
	v_cmp_ne_u32_e64 s[0:1], s43, v34
	v_mov_b32_e32 v32, 0x7c010000
	s_and_saveexec_b64 s[38:39], s[0:1]
	s_cbranch_execz .LBB247_91
; %bb.90:                               ;   in Loop: Header=BB247_9 Depth=1
	v_and_b32_e32 v32, 7, v2
	v_ffbh_u32_e32 v36, v32
	v_min_u32_e32 v38, 32, v36
	v_subrev_u32_e32 v36, 28, v38
	v_lshlrev_b64 v[36:37], v36, v[2:3]
	v_lshrrev_b32_e32 v35, 3, v34
	v_sub_u32_e32 v37, 29, v38
	v_cmp_gt_u32_e64 s[0:1], 8, v34
	v_lshlrev_b32_e32 v2, 8, v2
	s_nop 0
	v_cndmask_b32_e64 v34, v35, v37, s[0:1]
	v_lshl_add_u32 v34, v34, 10, v15
	v_and_b32_e32 v35, 7, v36
	v_and_or_b32 v2, v2, s44, v34
	v_cndmask_b32_e64 v32, v32, v35, s[0:1]
	v_lshlrev_b32_e32 v2, 16, v2
	v_lshl_or_b32 v32, v32, 23, v2
.LBB247_91:                             ;   in Loop: Header=BB247_9 Depth=1
	s_or_b64 exec, exec, s[38:39]
.LBB247_92:                             ;   in Loop: Header=BB247_9 Depth=1
	s_or_b64 exec, exec, s[36:37]
.LBB247_93:                             ;   in Loop: Header=BB247_9 Depth=1
	s_or_b64 exec, exec, s[34:35]
	global_load_ushort v34, v[8:9], off offset:776
	s_waitcnt vmcnt(0)
	v_and_b32_e32 v2, 0xffff, v34
	v_cmp_ne_u16_sdwa s[0:1], v34, v3 src0_sel:BYTE_0 src1_sel:DWORD
	s_and_saveexec_b64 s[34:35], s[0:1]
	s_cbranch_execz .LBB247_99
; %bb.94:                               ;   in Loop: Header=BB247_9 Depth=1
	v_cmp_ne_u16_sdwa s[0:1], v2, s42 src0_sel:BYTE_0 src1_sel:DWORD
	v_mov_b32_e32 v33, 0x8000
	s_and_saveexec_b64 s[36:37], s[0:1]
	s_cbranch_execz .LBB247_98
; %bb.95:                               ;   in Loop: Header=BB247_9 Depth=1
	v_and_b32_e32 v34, 0x7f, v2
	v_cmp_ne_u32_e64 s[0:1], s43, v34
	v_mov_b32_e32 v33, 0x7c01
	s_and_saveexec_b64 s[38:39], s[0:1]
	s_cbranch_execz .LBB247_97
; %bb.96:                               ;   in Loop: Header=BB247_9 Depth=1
	v_and_b32_e32 v33, 7, v2
	v_ffbh_u32_e32 v36, v33
	v_min_u32_e32 v38, 32, v36
	v_subrev_u32_e32 v36, 28, v38
	v_lshlrev_b64 v[36:37], v36, v[2:3]
	v_lshrrev_b32_e32 v35, 3, v34
	v_sub_u32_e32 v37, 29, v38
	v_cmp_gt_u32_e64 s[0:1], 8, v34
	v_and_b32_e32 v36, 7, v36
	s_nop 0
	v_cndmask_b32_e64 v34, v35, v37, s[0:1]
	v_lshl_add_u32 v34, v34, 10, v15
	v_lshlrev_b32_e32 v35, 8, v2
	v_and_b32_e32 v34, 0xfc00, v34
	v_cndmask_b32_e64 v33, v33, v36, s[0:1]
	v_and_or_b32 v34, v35, s44, v34
	v_lshl_or_b32 v33, v33, 7, v34
.LBB247_97:                             ;   in Loop: Header=BB247_9 Depth=1
	s_or_b64 exec, exec, s[38:39]
.LBB247_98:                             ;   in Loop: Header=BB247_9 Depth=1
	s_or_b64 exec, exec, s[36:37]
.LBB247_99:                             ;   in Loop: Header=BB247_9 Depth=1
	s_or_b64 exec, exec, s[34:35]
	v_lshrrev_b16_e32 v2, 8, v2
	v_cmp_ne_u16_e64 s[0:1], 0, v2
	v_mov_b32_e32 v35, 0
	v_mov_b32_e32 v34, 0
	s_and_saveexec_b64 s[34:35], s[0:1]
	s_cbranch_execz .LBB247_105
; %bb.100:                              ;   in Loop: Header=BB247_9 Depth=1
	v_cmp_ne_u16_e64 s[0:1], s42, v2
	v_bfrev_b32_e32 v34, 1
	s_and_saveexec_b64 s[36:37], s[0:1]
	s_cbranch_execz .LBB247_104
; %bb.101:                              ;   in Loop: Header=BB247_9 Depth=1
	v_and_b32_e32 v36, 0x7f, v2
	v_cmp_ne_u32_e64 s[0:1], s43, v36
	v_mov_b32_e32 v34, 0x7c010000
	s_and_saveexec_b64 s[38:39], s[0:1]
	s_cbranch_execz .LBB247_103
; %bb.102:                              ;   in Loop: Header=BB247_9 Depth=1
	v_and_b32_e32 v34, 7, v2
	v_ffbh_u32_e32 v38, v34
	v_min_u32_e32 v40, 32, v38
	v_subrev_u32_e32 v38, 28, v40
	v_lshlrev_b64 v[38:39], v38, v[2:3]
	v_lshrrev_b32_e32 v37, 3, v36
	v_sub_u32_e32 v39, 29, v40
	v_cmp_gt_u32_e64 s[0:1], 8, v36
	v_lshlrev_b32_e32 v2, 8, v2
	s_nop 0
	v_cndmask_b32_e64 v36, v37, v39, s[0:1]
	v_lshl_add_u32 v36, v36, 10, v15
	v_and_b32_e32 v37, 7, v38
	v_and_or_b32 v2, v2, s44, v36
	v_cndmask_b32_e64 v34, v34, v37, s[0:1]
	v_lshlrev_b32_e32 v2, 16, v2
	v_lshl_or_b32 v34, v34, 23, v2
.LBB247_103:                            ;   in Loop: Header=BB247_9 Depth=1
	s_or_b64 exec, exec, s[38:39]
.LBB247_104:                            ;   in Loop: Header=BB247_9 Depth=1
	s_or_b64 exec, exec, s[36:37]
.LBB247_105:                            ;   in Loop: Header=BB247_9 Depth=1
	s_or_b64 exec, exec, s[34:35]
	global_load_ushort v36, v[8:9], off offset:1024
	s_waitcnt vmcnt(0)
	v_and_b32_e32 v2, 0xffff, v36
	v_cmp_ne_u16_sdwa s[0:1], v36, v3 src0_sel:BYTE_0 src1_sel:DWORD
	s_and_saveexec_b64 s[34:35], s[0:1]
	s_cbranch_execz .LBB247_111
; %bb.106:                              ;   in Loop: Header=BB247_9 Depth=1
	v_cmp_ne_u16_sdwa s[0:1], v2, s42 src0_sel:BYTE_0 src1_sel:DWORD
	v_mov_b32_e32 v35, 0x8000
	s_and_saveexec_b64 s[36:37], s[0:1]
	s_cbranch_execz .LBB247_110
; %bb.107:                              ;   in Loop: Header=BB247_9 Depth=1
	v_and_b32_e32 v36, 0x7f, v2
	v_cmp_ne_u32_e64 s[0:1], s43, v36
	v_mov_b32_e32 v35, 0x7c01
	s_and_saveexec_b64 s[38:39], s[0:1]
	s_cbranch_execz .LBB247_109
; %bb.108:                              ;   in Loop: Header=BB247_9 Depth=1
	v_and_b32_e32 v35, 7, v2
	v_ffbh_u32_e32 v38, v35
	v_min_u32_e32 v40, 32, v38
	v_subrev_u32_e32 v38, 28, v40
	v_lshlrev_b64 v[38:39], v38, v[2:3]
	v_lshrrev_b32_e32 v37, 3, v36
	v_sub_u32_e32 v39, 29, v40
	v_cmp_gt_u32_e64 s[0:1], 8, v36
	v_and_b32_e32 v38, 7, v38
	s_nop 0
	v_cndmask_b32_e64 v36, v37, v39, s[0:1]
	v_lshl_add_u32 v36, v36, 10, v15
	v_lshlrev_b32_e32 v37, 8, v2
	v_and_b32_e32 v36, 0xfc00, v36
	v_cndmask_b32_e64 v35, v35, v38, s[0:1]
	v_and_or_b32 v36, v37, s44, v36
	v_lshl_or_b32 v35, v35, 7, v36
.LBB247_109:                            ;   in Loop: Header=BB247_9 Depth=1
	s_or_b64 exec, exec, s[38:39]
.LBB247_110:                            ;   in Loop: Header=BB247_9 Depth=1
	s_or_b64 exec, exec, s[36:37]
.LBB247_111:                            ;   in Loop: Header=BB247_9 Depth=1
	s_or_b64 exec, exec, s[34:35]
	v_lshrrev_b16_e32 v2, 8, v2
	v_cmp_ne_u16_e64 s[0:1], 0, v2
	v_mov_b32_e32 v37, 0
	v_mov_b32_e32 v36, 0
	s_and_saveexec_b64 s[34:35], s[0:1]
	s_cbranch_execz .LBB247_117
; %bb.112:                              ;   in Loop: Header=BB247_9 Depth=1
	v_cmp_ne_u16_e64 s[0:1], s42, v2
	v_bfrev_b32_e32 v36, 1
	s_and_saveexec_b64 s[36:37], s[0:1]
	s_cbranch_execz .LBB247_116
; %bb.113:                              ;   in Loop: Header=BB247_9 Depth=1
	v_and_b32_e32 v38, 0x7f, v2
	v_cmp_ne_u32_e64 s[0:1], s43, v38
	v_mov_b32_e32 v36, 0x7c010000
	s_and_saveexec_b64 s[38:39], s[0:1]
	s_cbranch_execz .LBB247_115
; %bb.114:                              ;   in Loop: Header=BB247_9 Depth=1
	v_and_b32_e32 v36, 7, v2
	v_ffbh_u32_e32 v40, v36
	v_min_u32_e32 v42, 32, v40
	v_subrev_u32_e32 v40, 28, v42
	v_lshlrev_b64 v[40:41], v40, v[2:3]
	v_lshrrev_b32_e32 v39, 3, v38
	v_sub_u32_e32 v41, 29, v42
	v_cmp_gt_u32_e64 s[0:1], 8, v38
	v_lshlrev_b32_e32 v2, 8, v2
	s_nop 0
	v_cndmask_b32_e64 v38, v39, v41, s[0:1]
	v_lshl_add_u32 v38, v38, 10, v15
	v_and_b32_e32 v39, 7, v40
	v_and_or_b32 v2, v2, s44, v38
	v_cndmask_b32_e64 v36, v36, v39, s[0:1]
	v_lshlrev_b32_e32 v2, 16, v2
	v_lshl_or_b32 v36, v36, 23, v2
.LBB247_115:                            ;   in Loop: Header=BB247_9 Depth=1
	s_or_b64 exec, exec, s[38:39]
.LBB247_116:                            ;   in Loop: Header=BB247_9 Depth=1
	s_or_b64 exec, exec, s[36:37]
.LBB247_117:                            ;   in Loop: Header=BB247_9 Depth=1
	s_or_b64 exec, exec, s[34:35]
	global_load_ushort v38, v[8:9], off offset:1032
	s_waitcnt vmcnt(0)
	v_and_b32_e32 v2, 0xffff, v38
	v_cmp_ne_u16_sdwa s[0:1], v38, v3 src0_sel:BYTE_0 src1_sel:DWORD
	s_and_saveexec_b64 s[34:35], s[0:1]
	s_cbranch_execz .LBB247_123
; %bb.118:                              ;   in Loop: Header=BB247_9 Depth=1
	v_cmp_ne_u16_sdwa s[0:1], v2, s42 src0_sel:BYTE_0 src1_sel:DWORD
	v_mov_b32_e32 v37, 0x8000
	s_and_saveexec_b64 s[36:37], s[0:1]
	s_cbranch_execz .LBB247_122
; %bb.119:                              ;   in Loop: Header=BB247_9 Depth=1
	v_and_b32_e32 v38, 0x7f, v2
	v_cmp_ne_u32_e64 s[0:1], s43, v38
	v_mov_b32_e32 v37, 0x7c01
	s_and_saveexec_b64 s[38:39], s[0:1]
	s_cbranch_execz .LBB247_121
; %bb.120:                              ;   in Loop: Header=BB247_9 Depth=1
	v_and_b32_e32 v37, 7, v2
	v_ffbh_u32_e32 v40, v37
	v_min_u32_e32 v42, 32, v40
	v_subrev_u32_e32 v40, 28, v42
	v_lshlrev_b64 v[40:41], v40, v[2:3]
	v_lshrrev_b32_e32 v39, 3, v38
	v_sub_u32_e32 v41, 29, v42
	v_cmp_gt_u32_e64 s[0:1], 8, v38
	v_and_b32_e32 v40, 7, v40
	s_nop 0
	v_cndmask_b32_e64 v38, v39, v41, s[0:1]
	v_lshl_add_u32 v38, v38, 10, v15
	v_lshlrev_b32_e32 v39, 8, v2
	v_and_b32_e32 v38, 0xfc00, v38
	v_cndmask_b32_e64 v37, v37, v40, s[0:1]
	v_and_or_b32 v38, v39, s44, v38
	v_lshl_or_b32 v37, v37, 7, v38
.LBB247_121:                            ;   in Loop: Header=BB247_9 Depth=1
	s_or_b64 exec, exec, s[38:39]
.LBB247_122:                            ;   in Loop: Header=BB247_9 Depth=1
	s_or_b64 exec, exec, s[36:37]
.LBB247_123:                            ;   in Loop: Header=BB247_9 Depth=1
	s_or_b64 exec, exec, s[34:35]
	v_lshrrev_b16_e32 v2, 8, v2
	v_cmp_ne_u16_e64 s[0:1], 0, v2
	v_mov_b32_e32 v39, 0
	v_mov_b32_e32 v38, 0
	s_and_saveexec_b64 s[34:35], s[0:1]
	s_cbranch_execz .LBB247_129
; %bb.124:                              ;   in Loop: Header=BB247_9 Depth=1
	v_cmp_ne_u16_e64 s[0:1], s42, v2
	v_bfrev_b32_e32 v38, 1
	s_and_saveexec_b64 s[36:37], s[0:1]
	s_cbranch_execz .LBB247_128
; %bb.125:                              ;   in Loop: Header=BB247_9 Depth=1
	v_and_b32_e32 v40, 0x7f, v2
	v_cmp_ne_u32_e64 s[0:1], s43, v40
	v_mov_b32_e32 v38, 0x7c010000
	s_and_saveexec_b64 s[38:39], s[0:1]
	s_cbranch_execz .LBB247_127
; %bb.126:                              ;   in Loop: Header=BB247_9 Depth=1
	v_and_b32_e32 v38, 7, v2
	v_ffbh_u32_e32 v42, v38
	v_min_u32_e32 v44, 32, v42
	v_subrev_u32_e32 v42, 28, v44
	v_lshlrev_b64 v[42:43], v42, v[2:3]
	v_lshrrev_b32_e32 v41, 3, v40
	v_sub_u32_e32 v43, 29, v44
	v_cmp_gt_u32_e64 s[0:1], 8, v40
	v_lshlrev_b32_e32 v2, 8, v2
	s_nop 0
	v_cndmask_b32_e64 v40, v41, v43, s[0:1]
	v_lshl_add_u32 v40, v40, 10, v15
	v_and_b32_e32 v41, 7, v42
	v_and_or_b32 v2, v2, s44, v40
	v_cndmask_b32_e64 v38, v38, v41, s[0:1]
	v_lshlrev_b32_e32 v2, 16, v2
	v_lshl_or_b32 v38, v38, 23, v2
.LBB247_127:                            ;   in Loop: Header=BB247_9 Depth=1
	s_or_b64 exec, exec, s[38:39]
.LBB247_128:                            ;   in Loop: Header=BB247_9 Depth=1
	s_or_b64 exec, exec, s[36:37]
.LBB247_129:                            ;   in Loop: Header=BB247_9 Depth=1
	s_or_b64 exec, exec, s[34:35]
	global_load_ushort v40, v[8:9], off offset:1280
	s_waitcnt vmcnt(0)
	v_and_b32_e32 v2, 0xffff, v40
	v_cmp_ne_u16_sdwa s[0:1], v40, v3 src0_sel:BYTE_0 src1_sel:DWORD
	s_and_saveexec_b64 s[34:35], s[0:1]
	s_cbranch_execz .LBB247_135
; %bb.130:                              ;   in Loop: Header=BB247_9 Depth=1
	v_cmp_ne_u16_sdwa s[0:1], v2, s42 src0_sel:BYTE_0 src1_sel:DWORD
	v_mov_b32_e32 v39, 0x8000
	s_and_saveexec_b64 s[36:37], s[0:1]
	s_cbranch_execz .LBB247_134
; %bb.131:                              ;   in Loop: Header=BB247_9 Depth=1
	v_and_b32_e32 v40, 0x7f, v2
	v_cmp_ne_u32_e64 s[0:1], s43, v40
	v_mov_b32_e32 v39, 0x7c01
	s_and_saveexec_b64 s[38:39], s[0:1]
	s_cbranch_execz .LBB247_133
; %bb.132:                              ;   in Loop: Header=BB247_9 Depth=1
	v_and_b32_e32 v39, 7, v2
	v_ffbh_u32_e32 v42, v39
	v_min_u32_e32 v44, 32, v42
	v_subrev_u32_e32 v42, 28, v44
	v_lshlrev_b64 v[42:43], v42, v[2:3]
	v_lshrrev_b32_e32 v41, 3, v40
	v_sub_u32_e32 v43, 29, v44
	v_cmp_gt_u32_e64 s[0:1], 8, v40
	v_and_b32_e32 v42, 7, v42
	s_nop 0
	v_cndmask_b32_e64 v40, v41, v43, s[0:1]
	v_lshl_add_u32 v40, v40, 10, v15
	v_lshlrev_b32_e32 v41, 8, v2
	v_and_b32_e32 v40, 0xfc00, v40
	v_cndmask_b32_e64 v39, v39, v42, s[0:1]
	v_and_or_b32 v40, v41, s44, v40
	v_lshl_or_b32 v39, v39, 7, v40
.LBB247_133:                            ;   in Loop: Header=BB247_9 Depth=1
	s_or_b64 exec, exec, s[38:39]
.LBB247_134:                            ;   in Loop: Header=BB247_9 Depth=1
	s_or_b64 exec, exec, s[36:37]
.LBB247_135:                            ;   in Loop: Header=BB247_9 Depth=1
	s_or_b64 exec, exec, s[34:35]
	v_lshrrev_b16_e32 v2, 8, v2
	v_cmp_ne_u16_e64 s[0:1], 0, v2
	v_mov_b32_e32 v41, 0
	v_mov_b32_e32 v40, 0
	s_and_saveexec_b64 s[34:35], s[0:1]
	s_cbranch_execz .LBB247_141
; %bb.136:                              ;   in Loop: Header=BB247_9 Depth=1
	v_cmp_ne_u16_e64 s[0:1], s42, v2
	v_bfrev_b32_e32 v40, 1
	s_and_saveexec_b64 s[36:37], s[0:1]
	s_cbranch_execz .LBB247_140
; %bb.137:                              ;   in Loop: Header=BB247_9 Depth=1
	v_and_b32_e32 v42, 0x7f, v2
	v_cmp_ne_u32_e64 s[0:1], s43, v42
	v_mov_b32_e32 v40, 0x7c010000
	s_and_saveexec_b64 s[38:39], s[0:1]
	s_cbranch_execz .LBB247_139
; %bb.138:                              ;   in Loop: Header=BB247_9 Depth=1
	v_and_b32_e32 v40, 7, v2
	v_ffbh_u32_e32 v44, v40
	v_min_u32_e32 v46, 32, v44
	v_subrev_u32_e32 v44, 28, v46
	v_lshlrev_b64 v[44:45], v44, v[2:3]
	v_lshrrev_b32_e32 v43, 3, v42
	v_sub_u32_e32 v45, 29, v46
	v_cmp_gt_u32_e64 s[0:1], 8, v42
	v_lshlrev_b32_e32 v2, 8, v2
	s_nop 0
	v_cndmask_b32_e64 v42, v43, v45, s[0:1]
	v_lshl_add_u32 v42, v42, 10, v15
	v_and_b32_e32 v43, 7, v44
	v_and_or_b32 v2, v2, s44, v42
	v_cndmask_b32_e64 v40, v40, v43, s[0:1]
	v_lshlrev_b32_e32 v2, 16, v2
	v_lshl_or_b32 v40, v40, 23, v2
.LBB247_139:                            ;   in Loop: Header=BB247_9 Depth=1
	s_or_b64 exec, exec, s[38:39]
.LBB247_140:                            ;   in Loop: Header=BB247_9 Depth=1
	s_or_b64 exec, exec, s[36:37]
.LBB247_141:                            ;   in Loop: Header=BB247_9 Depth=1
	s_or_b64 exec, exec, s[34:35]
	global_load_ushort v42, v[8:9], off offset:1288
	s_waitcnt vmcnt(0)
	v_and_b32_e32 v2, 0xffff, v42
	v_cmp_ne_u16_sdwa s[0:1], v42, v3 src0_sel:BYTE_0 src1_sel:DWORD
	s_and_saveexec_b64 s[34:35], s[0:1]
	s_cbranch_execz .LBB247_147
; %bb.142:                              ;   in Loop: Header=BB247_9 Depth=1
	v_cmp_ne_u16_sdwa s[0:1], v2, s42 src0_sel:BYTE_0 src1_sel:DWORD
	v_mov_b32_e32 v41, 0x8000
	s_and_saveexec_b64 s[36:37], s[0:1]
	s_cbranch_execz .LBB247_146
; %bb.143:                              ;   in Loop: Header=BB247_9 Depth=1
	v_and_b32_e32 v42, 0x7f, v2
	v_cmp_ne_u32_e64 s[0:1], s43, v42
	v_mov_b32_e32 v41, 0x7c01
	s_and_saveexec_b64 s[38:39], s[0:1]
	s_cbranch_execz .LBB247_145
; %bb.144:                              ;   in Loop: Header=BB247_9 Depth=1
	v_and_b32_e32 v41, 7, v2
	v_ffbh_u32_e32 v44, v41
	v_min_u32_e32 v46, 32, v44
	v_subrev_u32_e32 v44, 28, v46
	v_lshlrev_b64 v[44:45], v44, v[2:3]
	v_lshrrev_b32_e32 v43, 3, v42
	v_sub_u32_e32 v45, 29, v46
	v_cmp_gt_u32_e64 s[0:1], 8, v42
	v_and_b32_e32 v44, 7, v44
	s_nop 0
	v_cndmask_b32_e64 v42, v43, v45, s[0:1]
	v_lshl_add_u32 v42, v42, 10, v15
	v_lshlrev_b32_e32 v43, 8, v2
	v_and_b32_e32 v42, 0xfc00, v42
	v_cndmask_b32_e64 v41, v41, v44, s[0:1]
	v_and_or_b32 v42, v43, s44, v42
	v_lshl_or_b32 v41, v41, 7, v42
.LBB247_145:                            ;   in Loop: Header=BB247_9 Depth=1
	s_or_b64 exec, exec, s[38:39]
.LBB247_146:                            ;   in Loop: Header=BB247_9 Depth=1
	s_or_b64 exec, exec, s[36:37]
.LBB247_147:                            ;   in Loop: Header=BB247_9 Depth=1
	s_or_b64 exec, exec, s[34:35]
	v_lshrrev_b16_e32 v2, 8, v2
	v_cmp_ne_u16_e64 s[0:1], 0, v2
	v_mov_b32_e32 v44, 0
	v_mov_b32_e32 v43, 0
	s_and_saveexec_b64 s[34:35], s[0:1]
	s_cbranch_execz .LBB247_153
; %bb.148:                              ;   in Loop: Header=BB247_9 Depth=1
	v_cmp_ne_u16_e64 s[0:1], s42, v2
	v_bfrev_b32_e32 v43, 1
	s_and_saveexec_b64 s[36:37], s[0:1]
	s_cbranch_execz .LBB247_152
; %bb.149:                              ;   in Loop: Header=BB247_9 Depth=1
	v_and_b32_e32 v42, 0x7f, v2
	v_cmp_ne_u32_e64 s[0:1], s43, v42
	v_mov_b32_e32 v43, 0x7c010000
	s_and_saveexec_b64 s[38:39], s[0:1]
	s_cbranch_execz .LBB247_151
; %bb.150:                              ;   in Loop: Header=BB247_9 Depth=1
	v_and_b32_e32 v43, 7, v2
	v_ffbh_u32_e32 v46, v43
	v_min_u32_e32 v48, 32, v46
	v_subrev_u32_e32 v46, 28, v48
	v_lshlrev_b64 v[46:47], v46, v[2:3]
	v_lshrrev_b32_e32 v45, 3, v42
	v_sub_u32_e32 v47, 29, v48
	v_cmp_gt_u32_e64 s[0:1], 8, v42
	v_lshlrev_b32_e32 v2, 8, v2
	s_nop 0
	v_cndmask_b32_e64 v42, v45, v47, s[0:1]
	v_lshl_add_u32 v42, v42, 10, v15
	v_and_b32_e32 v45, 7, v46
	v_and_or_b32 v2, v2, s44, v42
	v_cndmask_b32_e64 v43, v43, v45, s[0:1]
	v_lshlrev_b32_e32 v2, 16, v2
	v_lshl_or_b32 v43, v43, 23, v2
.LBB247_151:                            ;   in Loop: Header=BB247_9 Depth=1
	s_or_b64 exec, exec, s[38:39]
.LBB247_152:                            ;   in Loop: Header=BB247_9 Depth=1
	s_or_b64 exec, exec, s[36:37]
.LBB247_153:                            ;   in Loop: Header=BB247_9 Depth=1
	s_or_b64 exec, exec, s[34:35]
	global_load_ushort v42, v[8:9], off offset:1536
	s_waitcnt vmcnt(0)
	v_and_b32_e32 v2, 0xffff, v42
	v_cmp_ne_u16_sdwa s[0:1], v42, v3 src0_sel:BYTE_0 src1_sel:DWORD
	s_and_saveexec_b64 s[34:35], s[0:1]
	s_cbranch_execz .LBB247_159
; %bb.154:                              ;   in Loop: Header=BB247_9 Depth=1
	v_cmp_ne_u16_sdwa s[0:1], v2, s42 src0_sel:BYTE_0 src1_sel:DWORD
	v_mov_b32_e32 v44, 0x8000
	s_and_saveexec_b64 s[36:37], s[0:1]
	s_cbranch_execz .LBB247_158
; %bb.155:                              ;   in Loop: Header=BB247_9 Depth=1
	v_and_b32_e32 v42, 0x7f, v2
	v_cmp_ne_u32_e64 s[0:1], s43, v42
	v_mov_b32_e32 v44, 0x7c01
	s_and_saveexec_b64 s[38:39], s[0:1]
	s_cbranch_execz .LBB247_157
; %bb.156:                              ;   in Loop: Header=BB247_9 Depth=1
	v_and_b32_e32 v46, 7, v2
	v_ffbh_u32_e32 v44, v46
	v_min_u32_e32 v48, 32, v44
	v_subrev_u32_e32 v44, 28, v48
	v_lshlrev_b64 v[44:45], v44, v[2:3]
	v_lshrrev_b32_e32 v47, 3, v42
	v_sub_u32_e32 v45, 29, v48
	v_cmp_gt_u32_e64 s[0:1], 8, v42
	v_and_b32_e32 v44, 7, v44
	s_nop 0
	v_cndmask_b32_e64 v42, v47, v45, s[0:1]
	v_lshl_add_u32 v42, v42, 10, v15
	v_lshlrev_b32_e32 v45, 8, v2
	v_and_b32_e32 v42, 0xfc00, v42
	v_cndmask_b32_e64 v44, v46, v44, s[0:1]
	v_and_or_b32 v42, v45, s44, v42
	v_lshl_or_b32 v44, v44, 7, v42
.LBB247_157:                            ;   in Loop: Header=BB247_9 Depth=1
	s_or_b64 exec, exec, s[38:39]
.LBB247_158:                            ;   in Loop: Header=BB247_9 Depth=1
	s_or_b64 exec, exec, s[36:37]
.LBB247_159:                            ;   in Loop: Header=BB247_9 Depth=1
	s_or_b64 exec, exec, s[34:35]
	v_lshrrev_b16_e32 v2, 8, v2
	v_cmp_ne_u16_e64 s[0:1], 0, v2
	v_mov_b32_e32 v42, 0
	v_mov_b32_e32 v46, 0
	s_and_saveexec_b64 s[34:35], s[0:1]
	s_cbranch_execz .LBB247_165
; %bb.160:                              ;   in Loop: Header=BB247_9 Depth=1
	v_cmp_ne_u16_e64 s[0:1], s42, v2
	v_bfrev_b32_e32 v46, 1
	s_and_saveexec_b64 s[36:37], s[0:1]
	s_cbranch_execz .LBB247_164
; %bb.161:                              ;   in Loop: Header=BB247_9 Depth=1
	v_and_b32_e32 v45, 0x7f, v2
	v_cmp_ne_u32_e64 s[0:1], s43, v45
	v_mov_b32_e32 v46, 0x7c010000
	s_and_saveexec_b64 s[38:39], s[0:1]
	s_cbranch_execz .LBB247_163
; %bb.162:                              ;   in Loop: Header=BB247_9 Depth=1
	v_and_b32_e32 v48, 7, v2
	v_ffbh_u32_e32 v46, v48
	v_min_u32_e32 v50, 32, v46
	v_subrev_u32_e32 v46, 28, v50
	v_lshlrev_b64 v[46:47], v46, v[2:3]
	v_lshrrev_b32_e32 v49, 3, v45
	v_sub_u32_e32 v47, 29, v50
	v_cmp_gt_u32_e64 s[0:1], 8, v45
	v_lshlrev_b32_e32 v2, 8, v2
	v_and_b32_e32 v46, 7, v46
	v_cndmask_b32_e64 v45, v49, v47, s[0:1]
	v_lshl_add_u32 v45, v45, 10, v15
	v_and_or_b32 v2, v2, s44, v45
	v_cndmask_b32_e64 v46, v48, v46, s[0:1]
	v_lshlrev_b32_e32 v2, 16, v2
	v_lshl_or_b32 v46, v46, 23, v2
.LBB247_163:                            ;   in Loop: Header=BB247_9 Depth=1
	s_or_b64 exec, exec, s[38:39]
.LBB247_164:                            ;   in Loop: Header=BB247_9 Depth=1
	s_or_b64 exec, exec, s[36:37]
.LBB247_165:                            ;   in Loop: Header=BB247_9 Depth=1
	s_or_b64 exec, exec, s[34:35]
	global_load_ushort v8, v[8:9], off offset:1544
	s_waitcnt vmcnt(0)
	v_and_b32_e32 v2, 0xffff, v8
	v_cmp_ne_u16_sdwa s[0:1], v8, v3 src0_sel:BYTE_0 src1_sel:DWORD
	s_and_saveexec_b64 s[34:35], s[0:1]
	s_cbranch_execz .LBB247_171
; %bb.166:                              ;   in Loop: Header=BB247_9 Depth=1
	v_cmp_ne_u16_sdwa s[0:1], v2, s42 src0_sel:BYTE_0 src1_sel:DWORD
	v_mov_b32_e32 v42, 0x8000
	s_and_saveexec_b64 s[36:37], s[0:1]
	s_cbranch_execz .LBB247_170
; %bb.167:                              ;   in Loop: Header=BB247_9 Depth=1
	v_and_b32_e32 v8, 0x7f, v2
	v_cmp_ne_u32_e64 s[0:1], s43, v8
	v_mov_b32_e32 v42, 0x7c01
	s_and_saveexec_b64 s[38:39], s[0:1]
	s_cbranch_execz .LBB247_169
; %bb.168:                              ;   in Loop: Header=BB247_9 Depth=1
	v_and_b32_e32 v9, 7, v2
	v_ffbh_u32_e32 v45, v9
	v_min_u32_e32 v45, 32, v45
	v_lshrrev_b32_e32 v42, 3, v8
	v_subrev_u32_e32 v47, 28, v45
	v_sub_u32_e32 v45, 29, v45
	v_cmp_gt_u32_e64 s[0:1], 8, v8
	v_lshlrev_b64 v[48:49], v47, v[2:3]
	s_nop 0
	v_cndmask_b32_e64 v8, v42, v45, s[0:1]
	v_lshl_add_u32 v8, v8, 10, v15
	v_lshlrev_b32_e32 v42, 8, v2
	v_and_b32_e32 v45, 7, v48
	v_and_b32_e32 v8, 0xfc00, v8
	v_cndmask_b32_e64 v9, v9, v45, s[0:1]
	v_and_or_b32 v8, v42, s44, v8
	v_lshl_or_b32 v42, v9, 7, v8
.LBB247_169:                            ;   in Loop: Header=BB247_9 Depth=1
	s_or_b64 exec, exec, s[38:39]
.LBB247_170:                            ;   in Loop: Header=BB247_9 Depth=1
	s_or_b64 exec, exec, s[36:37]
.LBB247_171:                            ;   in Loop: Header=BB247_9 Depth=1
	s_or_b64 exec, exec, s[34:35]
	v_lshrrev_b16_e32 v2, 8, v2
	v_cmp_ne_u16_e64 s[0:1], 0, v2
	v_mov_b32_e32 v45, 0
	s_and_saveexec_b64 s[34:35], s[0:1]
	s_cbranch_execz .LBB247_177
; %bb.172:                              ;   in Loop: Header=BB247_9 Depth=1
	v_cmp_ne_u16_e64 s[0:1], s42, v2
	v_bfrev_b32_e32 v45, 1
	s_and_saveexec_b64 s[36:37], s[0:1]
	s_cbranch_execz .LBB247_176
; %bb.173:                              ;   in Loop: Header=BB247_9 Depth=1
	v_and_b32_e32 v8, 0x7f, v2
	v_cmp_ne_u32_e64 s[0:1], s43, v8
	v_mov_b32_e32 v45, 0x7c010000
	s_and_saveexec_b64 s[38:39], s[0:1]
	s_cbranch_execz .LBB247_175
; %bb.174:                              ;   in Loop: Header=BB247_9 Depth=1
	v_and_b32_e32 v9, 7, v2
	v_ffbh_u32_e32 v47, v9
	v_min_u32_e32 v47, 32, v47
	v_lshrrev_b32_e32 v45, 3, v8
	v_subrev_u32_e32 v48, 28, v47
	v_sub_u32_e32 v47, 29, v47
	v_cmp_gt_u32_e64 s[0:1], 8, v8
	v_lshlrev_b64 v[48:49], v48, v[2:3]
	v_lshlrev_b32_e32 v2, 8, v2
	v_cndmask_b32_e64 v8, v45, v47, s[0:1]
	v_lshl_add_u32 v8, v8, 10, v15
	v_and_b32_e32 v45, 7, v48
	v_and_or_b32 v2, v2, s44, v8
	v_cndmask_b32_e64 v9, v9, v45, s[0:1]
	v_lshlrev_b32_e32 v2, 16, v2
	v_lshl_or_b32 v45, v9, 23, v2
.LBB247_175:                            ;   in Loop: Header=BB247_9 Depth=1
	s_or_b64 exec, exec, s[38:39]
.LBB247_176:                            ;   in Loop: Header=BB247_9 Depth=1
	s_or_b64 exec, exec, s[36:37]
.LBB247_177:                            ;   in Loop: Header=BB247_9 Depth=1
	s_or_b64 exec, exec, s[34:35]
	v_or_b32_e32 v9, v43, v41
	v_fma_mixlo_f16 v41, v17, v9, 0 op_sel_hi:[0,1,0]
	v_fma_mixlo_f16 v9, v17, v43, 0 op_sel:[0,1,0] op_sel_hi:[0,1,0]
	ds_read_b32 v43, v12
	v_or_b32_e32 v18, v20, v18
	v_fma_mixlo_f16 v18, v17, v18, 0 op_sel_hi:[0,1,0]
	v_fma_mixlo_f16 v20, v17, v20, 0 op_sel:[0,1,0] op_sel_hi:[0,1,0]
	v_or_b32_e32 v2, v46, v44
	s_waitcnt lgkmcnt(0)
	v_lshrrev_b32_e32 v44, 16, v43
	v_and_b32_e32 v43, 0xffff, v43
	v_and_b32_e32 v18, 0xffff, v18
	;; [unrolled: 1-line block ×3, first 2 shown]
	v_fma_mixlo_f16 v8, v17, v2, 0 op_sel_hi:[0,1,0]
	v_fma_mixlo_f16 v2, v17, v46, 0 op_sel:[0,1,0] op_sel_hi:[0,1,0]
	;;#ASMSTART
	v_cvt_f32_f16 v43, v43;
	;;#ASMEND
	;;#ASMSTART
	v_cvt_f32_f16 v44, v44;
	;;#ASMEND
	;;#ASMSTART
	v_cvt_f32_f16 v18, v18;
	;;#ASMEND
	;;#ASMSTART
	v_cvt_f32_f16 v20, v20;
	;;#ASMEND
	ds_read_b32 v46, v12 offset:4
	v_or_b32_e32 v19, v22, v19
	v_fma_mixlo_f16 v19, v17, v19, 0 op_sel_hi:[0,1,0]
	v_fma_mixlo_f16 v22, v17, v22, 0 op_sel:[0,1,0] op_sel_hi:[0,1,0]
	v_and_b32_e32 v19, 0xffff, v19
	s_waitcnt lgkmcnt(0)
	v_lshrrev_b32_e32 v47, 16, v46
	v_and_b32_e32 v46, 0xffff, v46
	v_and_b32_e32 v22, 0xffff, v22
	;;#ASMSTART
	v_cvt_f32_f16 v46, v46;
	;;#ASMEND
	;;#ASMSTART
	v_cvt_f32_f16 v47, v47;
	;;#ASMEND
	;;#ASMSTART
	v_cvt_f32_f16 v19, v19;
	;;#ASMEND
	;;#ASMSTART
	v_cvt_f32_f16 v22, v22;
	;;#ASMEND
	ds_read_b32 v48, v12 offset:8
	v_or_b32_e32 v21, v24, v21
	v_fma_mixlo_f16 v21, v17, v21, 0 op_sel_hi:[0,1,0]
	v_fma_mixlo_f16 v24, v17, v24, 0 op_sel:[0,1,0] op_sel_hi:[0,1,0]
	v_and_b32_e32 v21, 0xffff, v21
	s_waitcnt lgkmcnt(0)
	v_lshrrev_b32_e32 v49, 16, v48
	v_and_b32_e32 v48, 0xffff, v48
	v_and_b32_e32 v24, 0xffff, v24
	;; [unrolled: 21-line block ×6, first 2 shown]
	;;#ASMSTART
	v_cvt_f32_f16 v56, v56;
	;;#ASMEND
	;;#ASMSTART
	v_cvt_f32_f16 v57, v57;
	;;#ASMEND
	;; [unrolled: 3-line block ×4, first 2 shown]
	ds_read_b32 v58, v12 offset:28
	v_or_b32_e32 v33, v34, v33
	v_fma_mixlo_f16 v33, v17, v33, 0 op_sel_hi:[0,1,0]
	v_fma_mixlo_f16 v34, v17, v34, 0 op_sel:[0,1,0] op_sel_hi:[0,1,0]
	v_mul_f32_e32 v19, v46, v19
	v_or_b32_e32 v39, v40, v39
	v_or_b32_e32 v37, v38, v37
	v_or_b32_e32 v35, v36, v35
	v_or_b32_e32 v42, v45, v42
	v_fmac_f32_e32 v19, v43, v18
	s_waitcnt lgkmcnt(0)
	v_lshrrev_b32_e32 v43, 16, v58
	v_and_b32_e32 v18, 0xffff, v58
	v_and_b32_e32 v33, 0xffff, v33
	;; [unrolled: 1-line block ×3, first 2 shown]
	v_fma_mixlo_f16 v39, v17, v39, 0 op_sel_hi:[0,1,0]
	v_fma_mixlo_f16 v40, v17, v40, 0 op_sel:[0,1,0] op_sel_hi:[0,1,0]
	v_fma_mixlo_f16 v37, v17, v37, 0 op_sel_hi:[0,1,0]
	v_fma_mixlo_f16 v38, v17, v38, 0 op_sel:[0,1,0] op_sel_hi:[0,1,0]
	;; [unrolled: 2-line block ×4, first 2 shown]
	;;#ASMSTART
	v_cvt_f32_f16 v18, v18;
	;;#ASMEND
	;;#ASMSTART
	v_cvt_f32_f16 v43, v43;
	;;#ASMEND
	;; [unrolled: 3-line block ×4, first 2 shown]
	ds_read_b32 v45, v12 offset:32
	v_mul_f32_e32 v22, v47, v22
	v_fmac_f32_e32 v22, v44, v20
	v_fmac_f32_e32 v19, v48, v21
	v_fmac_f32_e32 v22, v49, v24
	s_waitcnt lgkmcnt(0)
	v_lshrrev_b32_e32 v21, 16, v45
	v_and_b32_e32 v20, 0xffff, v45
	v_and_b32_e32 v24, 0xffff, v35
	v_and_b32_e32 v35, 0xffff, v36
	;;#ASMSTART
	v_cvt_f32_f16 v20, v20;
	;;#ASMEND
	;;#ASMSTART
	v_cvt_f32_f16 v21, v21;
	;;#ASMEND
	;;#ASMSTART
	v_cvt_f32_f16 v24, v24;
	;;#ASMEND
	;;#ASMSTART
	v_cvt_f32_f16 v35, v35;
	;;#ASMEND
	ds_read_b32 v36, v12 offset:36
	v_fmac_f32_e32 v19, v50, v23
	v_fmac_f32_e32 v22, v51, v26
	v_fmac_f32_e32 v19, v52, v25
	v_fmac_f32_e32 v22, v53, v28
	s_waitcnt lgkmcnt(0)
	v_lshrrev_b32_e32 v25, 16, v36
	v_and_b32_e32 v23, 0xffff, v36
	v_and_b32_e32 v26, 0xffff, v37
	v_and_b32_e32 v28, 0xffff, v38
	;;#ASMSTART
	v_cvt_f32_f16 v23, v23;
	;;#ASMEND
	;;#ASMSTART
	v_cvt_f32_f16 v25, v25;
	;;#ASMEND
	;;#ASMSTART
	v_cvt_f32_f16 v26, v26;
	;;#ASMEND
	;;#ASMSTART
	v_cvt_f32_f16 v28, v28;
	;;#ASMEND
	ds_read_b32 v36, v12 offset:40
	v_fmac_f32_e32 v19, v54, v27
	;; [unrolled: 22-line block ×4, first 2 shown]
	v_fmac_f32_e32 v22, v25, v28
	v_and_b32_e32 v8, 0xffff, v8
	v_and_b32_e32 v2, 0xffff, v2
	s_waitcnt lgkmcnt(0)
	v_lshrrev_b32_e32 v25, 16, v24
	v_and_b32_e32 v23, 0xffff, v24
	;;#ASMSTART
	v_cvt_f32_f16 v23, v23;
	;;#ASMEND
	;;#ASMSTART
	v_cvt_f32_f16 v24, v25;
	;;#ASMEND
	;; [unrolled: 3-line block ×4, first 2 shown]
	ds_read_b32 v25, v12 offset:52
	v_fmac_f32_e32 v19, v27, v31
	v_fmac_f32_e32 v22, v29, v32
	;; [unrolled: 1-line block ×6, first 2 shown]
	s_waitcnt lgkmcnt(0)
	v_lshrrev_b32_e32 v8, 16, v25
	v_and_b32_e32 v2, 0xffff, v25
	;;#ASMSTART
	v_cvt_f32_f16 v2, v2;
	;;#ASMEND
	;;#ASMSTART
	v_cvt_f32_f16 v8, v8;
	;;#ASMEND
	v_and_b32_e32 v9, 0xffff, v42
	v_and_b32_e32 v17, 0xffff, v17
	;;#ASMSTART
	v_cvt_f32_f16 v9, v9;
	;;#ASMEND
	;;#ASMSTART
	v_cvt_f32_f16 v17, v17;
	;;#ASMEND
	s_nop 0
	v_fmac_f32_e32 v22, v8, v17
	v_and_b32_e32 v8, 64, v10
	v_fmac_f32_e32 v19, v2, v9
	v_add_u32_e32 v2, 64, v8
	v_xor_b32_e32 v17, 2, v10
	v_cmp_lt_i32_e64 s[0:1], v17, v2
	v_add_f32_e32 v9, v19, v22
	s_nop 0
	v_cndmask_b32_e64 v17, v10, v17, s[0:1]
	v_lshlrev_b32_e32 v17, 2, v17
	ds_bpermute_b32 v17, v17, v9
	s_waitcnt lgkmcnt(0)
	v_add_f32_e32 v9, v9, v17
	v_xor_b32_e32 v17, 1, v10
	v_cmp_lt_i32_e64 s[0:1], v17, v2
	s_nop 1
	v_cndmask_b32_e64 v17, v10, v17, s[0:1]
	v_lshlrev_b32_e32 v17, 2, v17
	ds_bpermute_b32 v17, v17, v9
	s_and_saveexec_b64 s[34:35], vcc
	s_cbranch_execz .LBB247_8
; %bb.178:                              ;   in Loop: Header=BB247_9 Depth=1
	v_add_u32_e32 v18, s41, v13
	v_cvt_f32_i32_e32 v18, v18
	s_waitcnt lgkmcnt(0)
	v_add_f32_e32 v9, v9, v17
	v_cmp_gt_i32_e64 s[0:1], s33, v13
	v_max_f32_e32 v17, v11, v11
	v_mul_f32_e32 v18, s28, v18
	v_cndmask_b32_e64 v18, 0, v18, s[2:3]
	v_fmac_f32_e32 v18, s29, v9
	v_cndmask_b32_e64 v9, 0, v18, s[0:1]
	ds_write_b32 v14, v9
	v_max_f32_e32 v9, v17, v18
	v_cndmask_b32_e64 v11, v11, v9, s[0:1]
	s_branch .LBB247_8
.LBB247_179:
	s_or_b64 exec, exec, s[14:15]
.LBB247_180:
	s_or_b64 exec, exec, s[30:31]
	v_xor_b32_e32 v3, 32, v10
	v_cmp_lt_i32_e32 vcc, v3, v2
	v_xor_b32_e32 v6, 16, v10
	v_max_f32_e32 v5, v11, v11
	v_cndmask_b32_e32 v3, v10, v3, vcc
	v_lshlrev_b32_e32 v3, 2, v3
	ds_bpermute_b32 v4, v3, v11
	v_cmp_lt_i32_e32 vcc, v6, v2
	v_xor_b32_e32 v7, 8, v10
	v_xor_b32_e32 v11, 4, v10
	s_waitcnt lgkmcnt(0)
	v_max_f32_e32 v4, v4, v4
	v_max_f32_e32 v4, v5, v4
	v_cndmask_b32_e32 v5, v10, v6, vcc
	v_lshlrev_b32_e32 v5, 2, v5
	ds_bpermute_b32 v6, v5, v4
	v_cmp_lt_i32_e32 vcc, v7, v2
	s_waitcnt lgkmcnt(0)
	v_max_f32_e32 v6, v6, v6
	v_max_f32_e32 v4, v4, v6
	v_cndmask_b32_e32 v6, v10, v7, vcc
	v_lshlrev_b32_e32 v9, 2, v6
	ds_bpermute_b32 v6, v9, v4
	v_cmp_lt_i32_e32 vcc, v11, v2
	s_waitcnt lgkmcnt(0)
	v_max_f32_e32 v6, v6, v6
	v_max_f32_e32 v7, v4, v6
	v_cndmask_b32_e32 v4, v10, v11, vcc
	v_lshlrev_b32_e32 v11, 2, v4
	ds_bpermute_b32 v12, v11, v7
	v_and_b32_e32 v4, 63, v0
	v_cmp_eq_u32_e32 vcc, 0, v4
	v_lshlrev_b32_e32 v6, 2, v30
	s_and_saveexec_b64 s[0:1], vcc
	s_cbranch_execz .LBB247_182
; %bb.181:
	s_waitcnt lgkmcnt(0)
	v_max_f32_e32 v12, v12, v12
	v_max_f32_e32 v7, v7, v7
	;; [unrolled: 1-line block ×3, first 2 shown]
	ds_write_b32 v6, v7 offset:224
.LBB247_182:
	s_or_b64 exec, exec, s[0:1]
	v_cmp_gt_u32_e64 s[0:1], 2, v4
	s_waitcnt lgkmcnt(0)
	v_mov_b32_e32 v12, 0xff7fffff
	v_lshlrev_b32_e32 v7, 2, v4
	s_barrier
	s_and_saveexec_b64 s[2:3], s[0:1]
; %bb.183:
	ds_read_b32 v12, v7 offset:224
; %bb.184:
	s_or_b64 exec, exec, s[2:3]
	v_xor_b32_e32 v13, 1, v10
	v_cmp_lt_i32_e64 s[2:3], v13, v2
	v_lshlrev_b32_e32 v8, 2, v8
	s_nop 0
	v_cndmask_b32_e64 v13, v10, v13, s[2:3]
	v_lshlrev_b32_e32 v31, 2, v13
	s_waitcnt lgkmcnt(0)
	ds_bpermute_b32 v13, v31, v12
	v_max_f32_e32 v12, v12, v12
	s_lshl_b32 s2, s19, 4
	s_min_i32 s30, s2, s33
	v_cmp_gt_i32_e64 s[2:3], s30, v0
	s_waitcnt lgkmcnt(0)
	v_max_f32_e32 v13, v13, v13
	v_max_f32_e32 v12, v12, v13
	ds_bpermute_b32 v12, v8, v12
	v_mov_b32_e32 v8, 0
	s_and_saveexec_b64 s[14:15], s[2:3]
	s_cbranch_execz .LBB247_188
; %bb.185:
	v_mov_b32_e32 v8, 0xf0
	v_lshl_add_u32 v13, v0, 2, v8
	v_mov_b32_e32 v8, 0
	s_mov_b64 s[28:29], 0
	v_mov_b32_e32 v14, v0
.LBB247_186:                            ; =>This Inner Loop Header: Depth=1
	ds_read_b32 v15, v13
	v_add_u32_e32 v14, 0x80, v14
	v_cmp_le_i32_e64 s[8:9], s30, v14
	s_or_b64 s[28:29], s[8:9], s[28:29]
	s_waitcnt lgkmcnt(0)
	v_sub_f32_e32 v15, v15, v12
	v_mul_f32_e32 v15, 0x3fb8aa3b, v15
	v_exp_f32_e32 v15, v15
	ds_write_b32 v13, v15
	v_add_f32_e32 v8, v8, v15
	v_add_u32_e32 v13, 0x200, v13
	s_andn2_b64 exec, exec, s[28:29]
	s_cbranch_execnz .LBB247_186
; %bb.187:
	s_or_b64 exec, exec, s[28:29]
.LBB247_188:
	s_or_b64 exec, exec, s[14:15]
	ds_bpermute_b32 v3, v3, v8
	s_waitcnt lgkmcnt(0)
	v_add_f32_e32 v3, v8, v3
	ds_bpermute_b32 v5, v5, v3
	v_xor_b32_e32 v8, 2, v10
	v_cmp_lt_i32_e64 s[8:9], v8, v2
	s_waitcnt lgkmcnt(0)
	v_add_f32_e32 v3, v3, v5
	ds_bpermute_b32 v5, v9, v3
	v_cndmask_b32_e64 v2, v10, v8, s[8:9]
	v_lshlrev_b32_e32 v2, 2, v2
	s_waitcnt lgkmcnt(0)
	v_add_f32_e32 v3, v3, v5
	ds_bpermute_b32 v5, v11, v3
	s_waitcnt lgkmcnt(0)
	v_add_f32_e32 v3, v3, v5
	ds_bpermute_b32 v2, v2, v3
	;; [unrolled: 3-line block ×3, first 2 shown]
	s_waitcnt lgkmcnt(0)
	v_add_f32_e32 v2, v2, v3
	s_and_saveexec_b64 s[8:9], vcc
; %bb.189:
	ds_write_b32 v6, v2 offset:232
; %bb.190:
	s_or_b64 exec, exec, s[8:9]
	s_waitcnt lgkmcnt(0)
	s_barrier
	s_and_saveexec_b64 s[8:9], s[0:1]
; %bb.191:
	ds_read_b32 v2, v7 offset:232
; %bb.192:
	s_or_b64 exec, exec, s[8:9]
	s_waitcnt lgkmcnt(0)
	ds_bpermute_b32 v3, v31, v2
	v_lshlrev_b32_e32 v5, 2, v10
	s_waitcnt lgkmcnt(0)
	v_add_f32_e32 v2, v2, v3
	v_and_b32_e32 v3, 0xffffff00, v5
	ds_bpermute_b32 v2, v3, v2
	s_and_saveexec_b64 s[0:1], s[2:3]
	s_cbranch_execz .LBB247_205
; %bb.193:
	s_waitcnt lgkmcnt(0)
	v_add_f32_e32 v2, 0x358637bd, v2
	v_div_scale_f32 v3, s[2:3], v2, v2, 1.0
	v_rcp_f32_e32 v5, v3
	v_div_scale_f32 v6, vcc, 1.0, v2, 1.0
	s_movk_i32 s2, 0x7f
	v_fma_f32 v7, -v3, v5, 1.0
	v_fmac_f32_e32 v5, v7, v5
	v_mul_f32_e32 v7, v6, v5
	v_fma_f32 v8, -v3, v7, v6
	v_fmac_f32_e32 v7, v8, v5
	v_fma_f32 v3, -v3, v7, v6
	v_div_fmas_f32 v3, v3, v5, v7
	v_xad_u32 v5, v0, -1, s30
	v_div_fixup_f32 v2, v3, v2, 1.0
	v_cmp_lt_u32_e32 vcc, s2, v5
	s_mov_b64 s[8:9], -1
	v_mov_b32_e32 v3, v0
	s_and_saveexec_b64 s[2:3], vcc
	s_cbranch_execz .LBB247_202
; %bb.194:
	v_lshrrev_b32_e32 v5, 7, v5
	v_add_u32_e32 v7, -1, v5
	v_lshrrev_b32_e32 v6, 1, v7
	v_mov_b32_e32 v3, v2
	v_add_u32_e32 v6, 1, v6
	v_cmp_lt_u32_e32 vcc, 13, v7
	v_mov_b32_e32 v9, 0
	s_and_saveexec_b64 s[8:9], vcc
	s_cbranch_execz .LBB247_198
; %bb.195:
	v_mov_b32_e32 v8, 0xf0
	v_and_b32_e32 v7, -8, v6
	v_lshl_add_u32 v8, v0, 2, v8
	s_mov_b32 s28, 0
	s_mov_b64 s[14:15], 0
.LBB247_196:                            ; =>This Inner Loop Header: Depth=1
	ds_read2st64_b32 v[10:11], v8 offset1:2
	ds_read2st64_b32 v[12:13], v8 offset0:4 offset1:6
	ds_read2st64_b32 v[14:15], v8 offset0:8 offset1:10
	ds_read2st64_b32 v[16:17], v8 offset0:12 offset1:14
	v_add_u32_e32 v7, -8, v7
	s_waitcnt lgkmcnt(3)
	v_pk_mul_f32 v[10:11], v[2:3], v[10:11]
	s_waitcnt lgkmcnt(2)
	v_pk_mul_f32 v[12:13], v[2:3], v[12:13]
	ds_write2st64_b32 v8, v10, v11 offset1:2
	ds_write2st64_b32 v8, v12, v13 offset0:4 offset1:6
	ds_read2st64_b32 v[12:13], v8 offset0:16 offset1:18
	s_waitcnt lgkmcnt(4)
	v_pk_mul_f32 v[10:11], v[2:3], v[14:15]
	ds_write2st64_b32 v8, v10, v11 offset0:8 offset1:10
	s_waitcnt lgkmcnt(4)
	v_pk_mul_f32 v[10:11], v[2:3], v[16:17]
	ds_write2st64_b32 v8, v10, v11 offset0:12 offset1:14
	ds_read2st64_b32 v[10:11], v8 offset0:20 offset1:22
	s_waitcnt lgkmcnt(3)
	v_pk_mul_f32 v[12:13], v[2:3], v[12:13]
	ds_read2st64_b32 v[14:15], v8 offset0:24 offset1:26
	ds_write2st64_b32 v8, v12, v13 offset0:16 offset1:18
	ds_read2st64_b32 v[12:13], v8 offset0:28 offset1:30
	s_waitcnt lgkmcnt(3)
	v_pk_mul_f32 v[10:11], v[2:3], v[10:11]
	ds_write2st64_b32 v8, v10, v11 offset0:20 offset1:22
	s_waitcnt lgkmcnt(3)
	v_pk_mul_f32 v[10:11], v[2:3], v[14:15]
	ds_write2st64_b32 v8, v10, v11 offset0:24 offset1:26
	s_waitcnt lgkmcnt(2)
	v_pk_mul_f32 v[10:11], v[2:3], v[12:13]
	s_add_i32 s28, s28, 16
	v_cmp_eq_u32_e32 vcc, 0, v7
	ds_write2st64_b32 v8, v10, v11 offset0:28 offset1:30
	v_add_u32_e32 v8, 0x2000, v8
	s_or_b64 s[14:15], vcc, s[14:15]
	v_mov_b32_e32 v9, s28
	s_andn2_b64 exec, exec, s[14:15]
	s_cbranch_execnz .LBB247_196
; %bb.197:
	s_or_b64 exec, exec, s[14:15]
.LBB247_198:
	s_or_b64 exec, exec, s[8:9]
	v_and_b32_e32 v6, 7, v6
	v_cmp_ne_u32_e32 vcc, 0, v6
	s_and_saveexec_b64 s[8:9], vcc
	s_cbranch_execz .LBB247_201
; %bb.199:
	v_lshlrev_b32_e32 v7, 9, v9
	v_lshlrev_b32_e32 v8, 2, v0
	s_movk_i32 s14, 0xf0
	v_add3_u32 v7, v7, v8, s14
	s_mov_b64 s[14:15], 0
.LBB247_200:                            ; =>This Inner Loop Header: Depth=1
	ds_read2st64_b32 v[8:9], v7 offset1:2
	v_add_u32_e32 v6, -1, v6
	v_cmp_eq_u32_e32 vcc, 0, v6
	s_or_b64 s[14:15], vcc, s[14:15]
	s_waitcnt lgkmcnt(0)
	v_pk_mul_f32 v[8:9], v[2:3], v[8:9]
	ds_write2st64_b32 v7, v8, v9 offset1:2
	v_add_u32_e32 v7, 0x400, v7
	s_andn2_b64 exec, exec, s[14:15]
	s_cbranch_execnz .LBB247_200
.LBB247_201:
	s_or_b64 exec, exec, s[8:9]
	v_add_u32_e32 v5, 1, v5
	v_and_b32_e32 v6, 0x3fffffe, v5
	v_cmp_ne_u32_e32 vcc, v5, v6
	v_lshl_add_u32 v3, v6, 7, v0
	s_orn2_b64 s[8:9], vcc, exec
.LBB247_202:
	s_or_b64 exec, exec, s[2:3]
	s_and_b64 exec, exec, s[8:9]
	s_cbranch_execz .LBB247_205
; %bb.203:
	v_mov_b32_e32 v5, 0xf0
	v_lshl_add_u32 v5, v3, 2, v5
	s_mov_b64 s[2:3], 0
.LBB247_204:                            ; =>This Inner Loop Header: Depth=1
	ds_read_b32 v6, v5
	v_add_u32_e32 v3, 0x80, v3
	v_cmp_le_i32_e32 vcc, s30, v3
	s_or_b64 s[2:3], vcc, s[2:3]
	s_waitcnt lgkmcnt(0)
	v_mul_f32_e32 v6, v2, v6
	ds_write_b32 v5, v6
	v_add_u32_e32 v5, 0x200, v5
	s_andn2_b64 exec, exec, s[2:3]
	s_cbranch_execnz .LBB247_204
.LBB247_205:
	s_or_b64 exec, exec, s[0:1]
	v_lshrrev_b32_e32 v32, 1, v4
	s_waitcnt lgkmcnt(0)
	s_barrier
	s_and_saveexec_b64 s[0:1], s[6:7]
	s_xor_b64 s[0:1], exec, s[0:1]
; %bb.206:
	v_lshrrev_b32_e32 v32, 1, v4
                                        ; implicit-def: $vgpr30
                                        ; implicit-def: $vgpr1
; %bb.207:
	s_or_saveexec_b64 s[6:7], s[0:1]
	v_mov_b32_e32 v3, 0
	v_and_b32_e32 v33, 1, v0
	v_mov_b32_e32 v2, 0
	v_mov_b32_e32 v9, 0
	;; [unrolled: 1-line block ×3, first 2 shown]
	s_xor_b64 exec, exec, s[6:7]
	s_cbranch_execz .LBB247_413
; %bb.208:
	s_ashr_i32 s1, s12, 31
	v_lshlrev_b32_e32 v2, 3, v0
	s_add_u32 s0, s26, s12
	v_or_b32_e32 v3, 0x60, v32
	s_movk_i32 s2, 0x70
	v_and_b32_e32 v2, 8, v2
	s_addc_u32 s1, s27, s1
	s_add_i32 s29, s19, -1
	v_cmp_gt_u32_e32 vcc, s2, v3
	s_lshl_b64 s[2:3], s[24:25], 2
	v_lshl_or_b32 v4, v32, 4, v2
	v_lshl_or_b32 v10, v3, 4, v2
	;; [unrolled: 1-line block ×3, first 2 shown]
	v_lshlrev_b32_e32 v2, 5, v33
	s_add_u32 s2, s22, s2
	s_mov_b32 s8, -1
	v_mov_b32_e32 v7, 0
	v_lshl_or_b32 v2, v30, 6, v2
	v_and_b32_e32 v6, 60, v1
	s_addc_u32 s3, s23, s3
	s_mov_b32 s28, s13
	s_mov_b32 s9, 0xffffff
	v_mov_b32_e32 v5, v7
	v_mov_b32_e32 v11, v7
	s_mov_b32 s30, s33
	v_add_u32_e32 v35, 0xf0, v2
	v_lshl_add_u64 v[12:13], s[2:3], 0, v[6:7]
	s_mov_b64 s[12:13], 0
	v_mov_b64_e32 v[14:15], s[0:1]
	s_movk_i32 s31, 0x80
	s_movk_i32 s34, 0x7f
	s_mov_b32 s35, 0x8000
	v_mov_b32_e32 v36, 0x2000
	v_mov_b32_e32 v3, 0
	;; [unrolled: 1-line block ×5, first 2 shown]
	s_branch .LBB247_211
.LBB247_209:                            ;   in Loop: Header=BB247_211 Depth=1
	s_or_b64 exec, exec, s[2:3]
	;;#ASMSTART
	v_pk_mul_f16 v1, v42, v1;

	;;#ASMEND
	;;#ASMSTART
	v_pk_mul_f16 v6, v41, v18;

	;;#ASMEND
	;; [unrolled: 4-line block ×4, first 2 shown]
	s_nop 0
	;;#ASMSTART
	v_pk_add_f16 v1, v1, v6;

	;;#ASMEND
	s_nop 0
	;;#ASMSTART
	v_pk_add_f16 v1, v1, v16;

	;;#ASMEND
	s_nop 0
	;;#ASMSTART
	v_pk_add_f16 v1, v1, v17;

	;;#ASMEND
	s_nop 0
	v_lshrrev_b32_e32 v6, 16, v1
	v_and_b32_e32 v1, 0xffff, v1
	;;#ASMSTART
	v_cvt_f32_f16 v1, v1;
	;;#ASMEND
	;;#ASMSTART
	v_cvt_f32_f16 v6, v6;
	;;#ASMEND
	s_nop 0
	v_add_f32_e32 v1, v1, v6
	v_add_f32_e32 v3, v3, v1
.LBB247_210:                            ;   in Loop: Header=BB247_211 Depth=1
	s_or_b64 exec, exec, s[14:15]
	v_add_f32_e32 v1, v26, v27
	v_add_f32_e32 v2, v2, v1
	;; [unrolled: 1-line block ×3, first 2 shown]
	v_add_u32_e32 v30, 2, v30
	v_add_f32_e32 v9, v9, v1
	v_add_f32_e32 v1, v37, v38
	v_cmp_le_i32_e64 s[0:1], s19, v30
	v_add_f32_e32 v8, v8, v1
	v_add_u32_e32 v34, 32, v34
	v_add_u32_e32 v35, 0x80, v35
	s_or_b64 s[12:13], s[0:1], s[12:13]
	v_lshl_add_u64 v[12:13], v[12:13], 0, 8
	s_andn2_b64 exec, exec, s[12:13]
	s_cbranch_execz .LBB247_412
.LBB247_211:                            ; =>This Inner Loop Header: Depth=1
	global_load_dword v1, v[12:13], off
	ds_read2_b64 v[16:19], v35 offset1:1
	ds_read2_b64 v[20:23], v35 offset0:2 offset1:3
	s_waitcnt lgkmcnt(1)
	;;#ASMSTART
	v_cvt_f16_f32 v37, v16;

	;;#ASMEND
	;;#ASMSTART
	v_cvt_f16_f32 v38, v17;

	;;#ASMEND
	;;#ASMSTART
	v_cvt_f16_f32 v39, v18;

	;;#ASMEND
	;;#ASMSTART
	v_cvt_f16_f32 v40, v19;

	;;#ASMEND
	s_waitcnt lgkmcnt(0)
	;;#ASMSTART
	v_cvt_f16_f32 v43, v20;

	;;#ASMEND
	;;#ASMSTART
	v_cvt_f16_f32 v44, v21;

	;;#ASMEND
	;;#ASMSTART
	v_cvt_f16_f32 v45, v22;

	;;#ASMEND
	;;#ASMSTART
	v_cvt_f16_f32 v46, v23;

	;;#ASMEND
	s_waitcnt vmcnt(0)
	v_mad_i64_i32 v[16:17], s[0:1], v1, s28, v[14:15]
	v_lshl_add_u64 v[18:19], v[16:17], 0, v[4:5]
	global_load_dwordx2 v[22:23], v[18:19], off
	global_load_dword v20, v7, s[10:11]
	v_mov_b32_e32 v1, 0
	s_waitcnt vmcnt(1)
	v_cmp_ne_u16_sdwa s[0:1], v22, v7 src0_sel:BYTE_0 src1_sel:DWORD
	s_and_saveexec_b64 s[2:3], s[0:1]
	s_cbranch_execz .LBB247_217
; %bb.212:                              ;   in Loop: Header=BB247_211 Depth=1
	v_cmp_ne_u16_sdwa s[0:1], v22, s31 src0_sel:BYTE_0 src1_sel:DWORD
	v_mov_b32_e32 v1, 0x8000
	s_and_saveexec_b64 s[14:15], s[0:1]
	s_cbranch_execz .LBB247_216
; %bb.213:                              ;   in Loop: Header=BB247_211 Depth=1
	v_and_b32_e32 v6, 0x7f, v22
	v_cmp_ne_u32_e64 s[0:1], s34, v6
	v_mov_b32_e32 v1, 0x7c01
	s_and_saveexec_b64 s[22:23], s[0:1]
	s_cbranch_execz .LBB247_215
; %bb.214:                              ;   in Loop: Header=BB247_211 Depth=1
	v_and_b32_e32 v1, 7, v22
	v_ffbh_u32_e32 v24, v1
	v_min_u32_e32 v26, 32, v24
	v_subrev_u32_e32 v24, 28, v26
	v_lshlrev_b64 v[24:25], v24, v[22:23]
	v_lshrrev_b32_e32 v21, 3, v6
	v_sub_u32_e32 v25, 29, v26
	v_cmp_gt_u32_e64 s[0:1], 8, v6
	v_and_b32_e32 v24, 7, v24
	s_nop 0
	v_cndmask_b32_e64 v6, v21, v25, s[0:1]
	v_lshl_add_u32 v6, v6, 10, v36
	v_lshlrev_b32_e32 v21, 8, v22
	v_and_b32_e32 v6, 0xfc00, v6
	v_cndmask_b32_e64 v1, v1, v24, s[0:1]
	v_and_or_b32 v6, v21, s35, v6
	v_lshl_or_b32 v1, v1, 7, v6
.LBB247_215:                            ;   in Loop: Header=BB247_211 Depth=1
	s_or_b64 exec, exec, s[22:23]
.LBB247_216:                            ;   in Loop: Header=BB247_211 Depth=1
	s_or_b64 exec, exec, s[14:15]
.LBB247_217:                            ;   in Loop: Header=BB247_211 Depth=1
	s_or_b64 exec, exec, s[2:3]
	v_lshrrev_b16_e32 v6, 8, v22
	v_cmp_ne_u16_e64 s[0:1], 0, v6
	v_mov_b32_e32 v21, 0
	v_mov_b32_e32 v24, 0
	s_and_saveexec_b64 s[2:3], s[0:1]
	s_cbranch_execz .LBB247_223
; %bb.218:                              ;   in Loop: Header=BB247_211 Depth=1
	v_cmp_ne_u16_e64 s[0:1], s31, v6
	v_bfrev_b32_e32 v24, 1
	s_and_saveexec_b64 s[14:15], s[0:1]
	s_cbranch_execz .LBB247_222
; %bb.219:                              ;   in Loop: Header=BB247_211 Depth=1
	v_and_b32_e32 v25, 0x7f, v6
	v_cmp_ne_u32_e64 s[0:1], s34, v25
	v_mov_b32_e32 v24, 0x7c010000
	s_and_saveexec_b64 s[22:23], s[0:1]
	s_cbranch_execz .LBB247_221
; %bb.220:                              ;   in Loop: Header=BB247_211 Depth=1
	v_and_b32_e32 v24, 7, v6
	v_ffbh_u32_e32 v26, v24
	v_min_u32_e32 v29, 32, v26
	v_subrev_u32_e32 v26, 28, v29
	v_lshlrev_b64 v[26:27], v26, v[6:7]
	v_lshrrev_b32_e32 v28, 3, v25
	v_sub_u32_e32 v27, 29, v29
	v_cmp_gt_u32_e64 s[0:1], 8, v25
	v_lshlrev_b32_e32 v6, 8, v6
	v_and_b32_e32 v26, 7, v26
	v_cndmask_b32_e64 v25, v28, v27, s[0:1]
	v_lshl_add_u32 v25, v25, 10, v36
	v_and_or_b32 v6, v6, s35, v25
	v_cndmask_b32_e64 v24, v24, v26, s[0:1]
	v_lshlrev_b32_e32 v6, 16, v6
	v_lshl_or_b32 v24, v24, 23, v6
.LBB247_221:                            ;   in Loop: Header=BB247_211 Depth=1
	s_or_b64 exec, exec, s[22:23]
.LBB247_222:                            ;   in Loop: Header=BB247_211 Depth=1
	s_or_b64 exec, exec, s[14:15]
.LBB247_223:                            ;   in Loop: Header=BB247_211 Depth=1
	s_or_b64 exec, exec, s[2:3]
	v_lshrrev_b32_e32 v6, 16, v22
	v_cmp_ne_u16_sdwa s[0:1], v6, v7 src0_sel:BYTE_0 src1_sel:DWORD
	s_and_saveexec_b64 s[2:3], s[0:1]
	s_cbranch_execz .LBB247_229
; %bb.224:                              ;   in Loop: Header=BB247_211 Depth=1
	v_cmp_ne_u16_sdwa s[0:1], v6, s31 src0_sel:BYTE_0 src1_sel:DWORD
	v_mov_b32_e32 v21, 0x8000
	s_and_saveexec_b64 s[14:15], s[0:1]
	s_cbranch_execz .LBB247_228
; %bb.225:                              ;   in Loop: Header=BB247_211 Depth=1
	v_bfe_u32 v25, v22, 16, 7
	v_cmp_ne_u32_e64 s[0:1], s34, v25
	v_mov_b32_e32 v21, 0x7c01
	s_and_saveexec_b64 s[22:23], s[0:1]
	s_cbranch_execz .LBB247_227
; %bb.226:                              ;   in Loop: Header=BB247_211 Depth=1
	v_and_b32_e32 v21, 7, v6
	v_ffbh_u32_e32 v26, v21
	v_min_u32_e32 v29, 32, v26
	v_subrev_u32_e32 v26, 28, v29
	v_lshlrev_b64 v[26:27], v26, v[6:7]
	v_lshrrev_b32_e32 v28, 3, v25
	v_sub_u32_e32 v27, 29, v29
	v_cmp_gt_u32_e64 s[0:1], 8, v25
	v_lshlrev_b32_e32 v6, 8, v6
	v_and_b32_e32 v26, 7, v26
	v_cndmask_b32_e64 v25, v28, v27, s[0:1]
	v_lshl_add_u32 v25, v25, 10, v36
	v_and_b32_e32 v25, 0xfc00, v25
	v_cndmask_b32_e64 v21, v21, v26, s[0:1]
	v_and_or_b32 v6, v6, s35, v25
	v_lshl_or_b32 v21, v21, 7, v6
.LBB247_227:                            ;   in Loop: Header=BB247_211 Depth=1
	s_or_b64 exec, exec, s[22:23]
.LBB247_228:                            ;   in Loop: Header=BB247_211 Depth=1
	s_or_b64 exec, exec, s[14:15]
.LBB247_229:                            ;   in Loop: Header=BB247_211 Depth=1
	s_or_b64 exec, exec, s[2:3]
	v_cmp_lt_u32_e64 s[0:1], s9, v22
	v_mov_b32_e32 v25, 0
	v_mov_b32_e32 v26, 0
	s_and_saveexec_b64 s[2:3], s[0:1]
	s_cbranch_execz .LBB247_235
; %bb.230:                              ;   in Loop: Header=BB247_211 Depth=1
	v_lshrrev_b32_e32 v6, 24, v22
	v_cmp_ne_u32_e64 s[0:1], s31, v6
	v_bfrev_b32_e32 v26, 1
	s_and_saveexec_b64 s[14:15], s[0:1]
	s_cbranch_execz .LBB247_234
; %bb.231:                              ;   in Loop: Header=BB247_211 Depth=1
	v_and_b32_e32 v27, 0x7f, v6
	v_cmp_ne_u32_e64 s[0:1], s34, v27
	v_mov_b32_e32 v26, 0x7c010000
	s_and_saveexec_b64 s[22:23], s[0:1]
	s_cbranch_execz .LBB247_233
; %bb.232:                              ;   in Loop: Header=BB247_211 Depth=1
	v_and_b32_e32 v26, 7, v6
	v_ffbh_u32_e32 v28, v26
	v_min_u32_e32 v42, 32, v28
	v_subrev_u32_e32 v28, 28, v42
	v_lshlrev_b64 v[28:29], v28, v[6:7]
	v_lshrrev_b32_e32 v41, 3, v27
	v_sub_u32_e32 v29, 29, v42
	v_cmp_gt_u32_e64 s[0:1], 8, v27
	v_lshlrev_b32_e32 v6, 8, v6
	v_and_b32_e32 v28, 7, v28
	v_cndmask_b32_e64 v27, v41, v29, s[0:1]
	v_lshl_add_u32 v27, v27, 10, v36
	v_and_or_b32 v6, v6, s35, v27
	v_cndmask_b32_e64 v26, v26, v28, s[0:1]
	v_lshlrev_b32_e32 v6, 16, v6
	v_lshl_or_b32 v26, v26, 23, v6
.LBB247_233:                            ;   in Loop: Header=BB247_211 Depth=1
	s_or_b64 exec, exec, s[22:23]
.LBB247_234:                            ;   in Loop: Header=BB247_211 Depth=1
	s_or_b64 exec, exec, s[14:15]
.LBB247_235:                            ;   in Loop: Header=BB247_211 Depth=1
	s_or_b64 exec, exec, s[2:3]
	v_mov_b32_e32 v6, v23
	v_cmp_ne_u16_sdwa s[0:1], v23, v7 src0_sel:BYTE_0 src1_sel:DWORD
	s_and_saveexec_b64 s[2:3], s[0:1]
	s_cbranch_execz .LBB247_241
; %bb.236:                              ;   in Loop: Header=BB247_211 Depth=1
	v_cmp_ne_u16_sdwa s[0:1], v23, s31 src0_sel:BYTE_0 src1_sel:DWORD
	v_mov_b32_e32 v25, 0x8000
	s_and_saveexec_b64 s[14:15], s[0:1]
	s_cbranch_execz .LBB247_240
; %bb.237:                              ;   in Loop: Header=BB247_211 Depth=1
	v_and_b32_e32 v27, 0x7f, v23
	v_cmp_ne_u32_e64 s[0:1], s34, v27
	v_mov_b32_e32 v25, 0x7c01
	s_and_saveexec_b64 s[22:23], s[0:1]
	s_cbranch_execz .LBB247_239
; %bb.238:                              ;   in Loop: Header=BB247_211 Depth=1
	v_and_b32_e32 v25, 7, v23
	v_ffbh_u32_e32 v28, v25
	v_min_u32_e32 v42, 32, v28
	v_subrev_u32_e32 v28, 28, v42
	v_lshlrev_b64 v[28:29], v28, v[6:7]
	v_lshrrev_b32_e32 v41, 3, v27
	v_sub_u32_e32 v29, 29, v42
	v_cmp_gt_u32_e64 s[0:1], 8, v27
	v_and_b32_e32 v28, 7, v28
	s_nop 0
	v_cndmask_b32_e64 v27, v41, v29, s[0:1]
	v_lshl_add_u32 v27, v27, 10, v36
	v_lshlrev_b32_e32 v29, 8, v23
	v_and_b32_e32 v27, 0xfc00, v27
	v_cndmask_b32_e64 v25, v25, v28, s[0:1]
	v_and_or_b32 v27, v29, s35, v27
	v_lshl_or_b32 v25, v25, 7, v27
.LBB247_239:                            ;   in Loop: Header=BB247_211 Depth=1
	s_or_b64 exec, exec, s[22:23]
.LBB247_240:                            ;   in Loop: Header=BB247_211 Depth=1
	s_or_b64 exec, exec, s[14:15]
.LBB247_241:                            ;   in Loop: Header=BB247_211 Depth=1
	s_or_b64 exec, exec, s[2:3]
	v_lshrrev_b16_e32 v6, 8, v6
	v_cmp_ne_u16_e64 s[0:1], 0, v6
	v_mov_b32_e32 v28, 0
	v_mov_b32_e32 v27, 0
	s_and_saveexec_b64 s[2:3], s[0:1]
	s_cbranch_execz .LBB247_247
; %bb.242:                              ;   in Loop: Header=BB247_211 Depth=1
	v_cmp_ne_u16_e64 s[0:1], s31, v6
	v_bfrev_b32_e32 v27, 1
	s_and_saveexec_b64 s[14:15], s[0:1]
	s_cbranch_execz .LBB247_246
; %bb.243:                              ;   in Loop: Header=BB247_211 Depth=1
	v_and_b32_e32 v29, 0x7f, v6
	v_cmp_ne_u32_e64 s[0:1], s34, v29
	v_mov_b32_e32 v27, 0x7c010000
	s_and_saveexec_b64 s[22:23], s[0:1]
	s_cbranch_execz .LBB247_245
; %bb.244:                              ;   in Loop: Header=BB247_211 Depth=1
	v_and_b32_e32 v27, 7, v6
	v_ffbh_u32_e32 v42, v27
	v_min_u32_e32 v42, 32, v42
	v_lshrrev_b32_e32 v41, 3, v29
	v_subrev_u32_e32 v47, 28, v42
	v_sub_u32_e32 v42, 29, v42
	v_cmp_gt_u32_e64 s[0:1], 8, v29
	v_lshlrev_b64 v[48:49], v47, v[6:7]
	v_lshlrev_b32_e32 v6, 8, v6
	v_cndmask_b32_e64 v29, v41, v42, s[0:1]
	v_lshl_add_u32 v29, v29, 10, v36
	v_and_b32_e32 v41, 7, v48
	v_and_or_b32 v6, v6, s35, v29
	v_cndmask_b32_e64 v27, v27, v41, s[0:1]
	v_lshlrev_b32_e32 v6, 16, v6
	v_lshl_or_b32 v27, v27, 23, v6
.LBB247_245:                            ;   in Loop: Header=BB247_211 Depth=1
	s_or_b64 exec, exec, s[22:23]
.LBB247_246:                            ;   in Loop: Header=BB247_211 Depth=1
	s_or_b64 exec, exec, s[14:15]
.LBB247_247:                            ;   in Loop: Header=BB247_211 Depth=1
	s_or_b64 exec, exec, s[2:3]
	v_lshrrev_b32_e32 v6, 16, v23
	v_cmp_ne_u16_sdwa s[0:1], v6, v7 src0_sel:BYTE_0 src1_sel:DWORD
	s_and_saveexec_b64 s[2:3], s[0:1]
	s_cbranch_execz .LBB247_253
; %bb.248:                              ;   in Loop: Header=BB247_211 Depth=1
	v_cmp_ne_u16_sdwa s[0:1], v6, s31 src0_sel:BYTE_0 src1_sel:DWORD
	v_mov_b32_e32 v28, 0x8000
	s_and_saveexec_b64 s[14:15], s[0:1]
	s_cbranch_execz .LBB247_252
; %bb.249:                              ;   in Loop: Header=BB247_211 Depth=1
	v_bfe_u32 v29, v23, 16, 7
	v_cmp_ne_u32_e64 s[0:1], s34, v29
	v_mov_b32_e32 v28, 0x7c01
	s_and_saveexec_b64 s[22:23], s[0:1]
	s_cbranch_execz .LBB247_251
; %bb.250:                              ;   in Loop: Header=BB247_211 Depth=1
	v_and_b32_e32 v28, 7, v6
	v_ffbh_u32_e32 v42, v28
	v_min_u32_e32 v42, 32, v42
	v_lshrrev_b32_e32 v41, 3, v29
	v_subrev_u32_e32 v47, 28, v42
	v_sub_u32_e32 v42, 29, v42
	v_cmp_gt_u32_e64 s[0:1], 8, v29
	v_lshlrev_b64 v[48:49], v47, v[6:7]
	v_lshlrev_b32_e32 v6, 8, v6
	v_cndmask_b32_e64 v29, v41, v42, s[0:1]
	v_lshl_add_u32 v29, v29, 10, v36
	v_and_b32_e32 v41, 7, v48
	v_and_b32_e32 v29, 0xfc00, v29
	v_cndmask_b32_e64 v28, v28, v41, s[0:1]
	v_and_or_b32 v6, v6, s35, v29
	v_lshl_or_b32 v28, v28, 7, v6
.LBB247_251:                            ;   in Loop: Header=BB247_211 Depth=1
	s_or_b64 exec, exec, s[22:23]
.LBB247_252:                            ;   in Loop: Header=BB247_211 Depth=1
	s_or_b64 exec, exec, s[14:15]
.LBB247_253:                            ;   in Loop: Header=BB247_211 Depth=1
	s_or_b64 exec, exec, s[2:3]
	v_cmp_lt_u64_e64 s[0:1], s[8:9], v[22:23]
	v_mov_b32_e32 v29, 0
	s_and_saveexec_b64 s[2:3], s[0:1]
	s_cbranch_execz .LBB247_259
; %bb.254:                              ;   in Loop: Header=BB247_211 Depth=1
	v_lshrrev_b32_e32 v6, 24, v23
	v_cmp_ne_u32_e64 s[0:1], s31, v6
	v_bfrev_b32_e32 v29, 1
	s_and_saveexec_b64 s[14:15], s[0:1]
	s_cbranch_execz .LBB247_258
; %bb.255:                              ;   in Loop: Header=BB247_211 Depth=1
	v_and_b32_e32 v22, 0x7f, v6
	v_cmp_ne_u32_e64 s[0:1], s34, v22
	v_mov_b32_e32 v29, 0x7c010000
	s_and_saveexec_b64 s[22:23], s[0:1]
	s_cbranch_execz .LBB247_257
; %bb.256:                              ;   in Loop: Header=BB247_211 Depth=1
	v_and_b32_e32 v23, 7, v6
	v_ffbh_u32_e32 v41, v23
	v_min_u32_e32 v41, 32, v41
	v_lshrrev_b32_e32 v29, 3, v22
	v_subrev_u32_e32 v42, 28, v41
	v_sub_u32_e32 v41, 29, v41
	v_cmp_gt_u32_e64 s[0:1], 8, v22
	v_lshlrev_b64 v[48:49], v42, v[6:7]
	v_lshlrev_b32_e32 v6, 8, v6
	v_cndmask_b32_e64 v22, v29, v41, s[0:1]
	v_lshl_add_u32 v22, v22, 10, v36
	v_and_b32_e32 v29, 7, v48
	v_and_or_b32 v6, v6, s35, v22
	v_cndmask_b32_e64 v23, v23, v29, s[0:1]
	v_lshlrev_b32_e32 v6, 16, v6
	v_lshl_or_b32 v29, v23, 23, v6
.LBB247_257:                            ;   in Loop: Header=BB247_211 Depth=1
	s_or_b64 exec, exec, s[22:23]
.LBB247_258:                            ;   in Loop: Header=BB247_211 Depth=1
	s_or_b64 exec, exec, s[14:15]
.LBB247_259:                            ;   in Loop: Header=BB247_211 Depth=1
	s_or_b64 exec, exec, s[2:3]
	v_cvt_f32_f16_sdwa v23, v24 dst_sel:DWORD dst_unused:UNUSED_PAD src0_sel:WORD_1
	v_cvt_f32_f16_sdwa v22, v26 dst_sel:DWORD dst_unused:UNUSED_PAD src0_sel:WORD_1
	v_or_b32_e32 v1, v24, v1
	v_or_b32_e32 v6, v26, v21
	v_cvt_f32_f16_e32 v48, v6
	v_cvt_f32_f16_e32 v49, v1
	s_waitcnt vmcnt(0)
	v_pk_mul_f32 v[22:23], v[20:21], v[22:23] op_sel_hi:[0,1]
	v_cvt_pk_f16_f32 v1, v22, v23
	v_and_b32_e32 v21, 0xffff0000, v1
	v_pk_mul_f32 v[48:49], v[20:21], v[48:49] op_sel_hi:[0,1]
	v_or_b32_e32 v6, v27, v25
	v_or_b32_e32 v25, v29, v28
	v_lshlrev_b32_e32 v22, 16, v1
	v_cvt_pk_f16_f32 v1, v48, v49
	v_cvt_f32_f16_e32 v48, v25
	v_cvt_f32_f16_e32 v49, v6
	v_cvt_f32_f16_sdwa v27, v27 dst_sel:DWORD dst_unused:UNUSED_PAD src0_sel:WORD_1
	v_cvt_f32_f16_sdwa v26, v29 dst_sel:DWORD dst_unused:UNUSED_PAD src0_sel:WORD_1
	v_lshrrev_b32_e32 v23, 16, v1
	v_pk_mul_f32 v[28:29], v[20:21], v[48:49] op_sel_hi:[0,1]
	v_cvt_pk_f16_f32 v28, v28, v29
	v_pk_mul_f32 v[26:27], v[20:21], v[26:27] op_sel_hi:[0,1]
	v_cvt_pk_f16_f32 v20, v26, v27
	v_and_b32_e32 v24, 0xffff, v1
	v_and_b32_e32 v25, 0xffff0000, v20
	v_lshlrev_b32_e32 v20, 16, v20
	v_lshrrev_b32_e32 v27, 16, v28
	v_and_b32_e32 v26, 0xffff, v28
	v_cmp_eq_u32_e64 s[0:1], s29, v30
	v_or_b32_e32 v1, v21, v23
	v_or_b32_e32 v6, v22, v24
	;; [unrolled: 1-line block ×4, first 2 shown]
	s_and_saveexec_b64 s[14:15], s[0:1]
	s_cbranch_execz .LBB247_261
; %bb.260:                              ;   in Loop: Header=BB247_211 Depth=1
	v_add_u32_e32 v28, 2, v34
	v_cmp_gt_i32_e64 s[2:3], s30, v34
	v_or_b32_e32 v1, 1, v34
	v_or_b32_e32 v6, 3, v34
	v_cndmask_b32_e64 v23, 0, v23, s[2:3]
	v_cmp_gt_i32_e64 s[2:3], s33, v28
	s_nop 1
	v_cndmask_b32_e64 v24, 0, v24, s[2:3]
	v_cmp_gt_i32_e64 s[2:3], s30, v1
	s_nop 1
	v_cndmask_b32_e64 v1, 0, v21, s[2:3]
	v_cmp_gt_i32_e64 s[2:3], s33, v6
	v_or_b32_e32 v21, 4, v34
	v_or_b32_e32 v1, v1, v23
	v_cndmask_b32_e64 v6, 0, v22, s[2:3]
	v_or_b32_e32 v22, 6, v34
	v_cmp_gt_i32_e64 s[2:3], s30, v21
	v_or_b32_e32 v23, 5, v34
	v_or_b32_e32 v6, v6, v24
	v_cndmask_b32_e64 v21, 0, v27, s[2:3]
	v_cmp_gt_i32_e64 s[2:3], s33, v22
	v_or_b32_e32 v24, 7, v34
	s_nop 0
	v_cndmask_b32_e64 v22, 0, v26, s[2:3]
	v_cmp_gt_i32_e64 s[2:3], s30, v23
	s_nop 1
	v_cndmask_b32_e64 v23, 0, v25, s[2:3]
	v_cmp_gt_i32_e64 s[2:3], s33, v24
	v_or_b32_e32 v29, v23, v21
	s_nop 0
	v_cndmask_b32_e64 v20, 0, v20, s[2:3]
	v_or_b32_e32 v28, v20, v22
.LBB247_261:                            ;   in Loop: Header=BB247_211 Depth=1
	s_or_b64 exec, exec, s[14:15]
	v_and_b32_e32 v20, 0xffff, v37
	v_lshl_or_b32 v42, v38, 16, v20
	v_and_b32_e32 v20, 0xffff, v39
	v_lshl_or_b32 v41, v40, 16, v20
	;; [unrolled: 2-line block ×3, first 2 shown]
	v_and_b32_e32 v20, 0xffff, v45
	;;#ASMSTART
	v_pk_mul_f16 v1, v42, v1;

	;;#ASMEND
	v_lshl_or_b32 v39, v46, 16, v20
	;;#ASMSTART
	v_pk_mul_f16 v6, v41, v6;

	;;#ASMEND
	;;#ASMSTART
	v_pk_mul_f16 v20, v40, v29;

	;;#ASMEND
	;; [unrolled: 4-line block ×3, first 2 shown]
	s_nop 0
	;;#ASMSTART
	v_pk_add_f16 v1, v1, v6;

	;;#ASMEND
	s_nop 0
	;;#ASMSTART
	v_pk_add_f16 v1, v1, v20;

	;;#ASMEND
	;; [unrolled: 5-line block ×3, first 2 shown]
	v_mov_b32_e32 v21, 0
	v_lshrrev_b32_e32 v6, 16, v1
	v_and_b32_e32 v1, 0xffff, v1
	;;#ASMSTART
	v_cvt_f32_f16 v37, v1;
	;;#ASMEND
	;;#ASMSTART
	v_cvt_f32_f16 v38, v6;
	;;#ASMEND
	global_load_dwordx2 v[22:23], v[18:19], off offset:512
	v_mov_b32_e32 v1, 0
	global_load_dword v20, v1, s[10:11]
	s_waitcnt vmcnt(1)
	v_cmp_ne_u16_sdwa s[2:3], v22, v7 src0_sel:BYTE_0 src1_sel:DWORD
	s_and_saveexec_b64 s[14:15], s[2:3]
	s_cbranch_execz .LBB247_267
; %bb.262:                              ;   in Loop: Header=BB247_211 Depth=1
	v_cmp_ne_u16_sdwa s[2:3], v22, s31 src0_sel:BYTE_0 src1_sel:DWORD
	v_mov_b32_e32 v21, 0x8000
	s_and_saveexec_b64 s[22:23], s[2:3]
	s_cbranch_execz .LBB247_266
; %bb.263:                              ;   in Loop: Header=BB247_211 Depth=1
	v_and_b32_e32 v6, 0x7f, v22
	v_cmp_ne_u32_e64 s[2:3], s34, v6
	v_mov_b32_e32 v21, 0x7c01
	s_and_saveexec_b64 s[24:25], s[2:3]
	s_cbranch_execz .LBB247_265
; %bb.264:                              ;   in Loop: Header=BB247_211 Depth=1
	v_and_b32_e32 v21, 7, v22
	v_ffbh_u32_e32 v24, v21
	v_min_u32_e32 v27, 32, v24
	v_subrev_u32_e32 v24, 28, v27
	v_lshlrev_b64 v[24:25], v24, v[22:23]
	v_lshrrev_b32_e32 v26, 3, v6
	v_sub_u32_e32 v25, 29, v27
	v_cmp_gt_u32_e64 s[2:3], 8, v6
	v_and_b32_e32 v24, 7, v24
	s_nop 0
	v_cndmask_b32_e64 v6, v26, v25, s[2:3]
	v_lshl_add_u32 v6, v6, 10, v36
	v_lshlrev_b32_e32 v25, 8, v22
	v_and_b32_e32 v6, 0xfc00, v6
	v_cndmask_b32_e64 v21, v21, v24, s[2:3]
	v_and_or_b32 v6, v25, s35, v6
	v_lshl_or_b32 v21, v21, 7, v6
.LBB247_265:                            ;   in Loop: Header=BB247_211 Depth=1
	s_or_b64 exec, exec, s[24:25]
.LBB247_266:                            ;   in Loop: Header=BB247_211 Depth=1
	s_or_b64 exec, exec, s[22:23]
.LBB247_267:                            ;   in Loop: Header=BB247_211 Depth=1
	s_or_b64 exec, exec, s[14:15]
	v_lshrrev_b16_e32 v6, 8, v22
	v_cmp_ne_u16_e64 s[2:3], 0, v6
	s_and_saveexec_b64 s[14:15], s[2:3]
	s_cbranch_execz .LBB247_273
; %bb.268:                              ;   in Loop: Header=BB247_211 Depth=1
	v_cmp_ne_u16_e64 s[2:3], s31, v6
	v_bfrev_b32_e32 v1, 1
	s_and_saveexec_b64 s[22:23], s[2:3]
	s_cbranch_execz .LBB247_272
; %bb.269:                              ;   in Loop: Header=BB247_211 Depth=1
	v_and_b32_e32 v24, 0x7f, v6
	v_cmp_ne_u32_e64 s[2:3], s34, v24
	v_mov_b32_e32 v1, 0x7c010000
	s_and_saveexec_b64 s[24:25], s[2:3]
	s_cbranch_execz .LBB247_271
; %bb.270:                              ;   in Loop: Header=BB247_211 Depth=1
	v_and_b32_e32 v1, 7, v6
	v_ffbh_u32_e32 v26, v1
	v_min_u32_e32 v28, 32, v26
	v_subrev_u32_e32 v26, 28, v28
	v_lshlrev_b64 v[26:27], v26, v[6:7]
	v_lshrrev_b32_e32 v25, 3, v24
	v_sub_u32_e32 v27, 29, v28
	v_cmp_gt_u32_e64 s[2:3], 8, v24
	v_lshlrev_b32_e32 v6, 8, v6
	s_nop 0
	v_cndmask_b32_e64 v24, v25, v27, s[2:3]
	v_lshl_add_u32 v24, v24, 10, v36
	v_and_b32_e32 v25, 7, v26
	v_and_or_b32 v6, v6, s35, v24
	v_cndmask_b32_e64 v1, v1, v25, s[2:3]
	v_lshlrev_b32_e32 v6, 16, v6
	v_lshl_or_b32 v1, v1, 23, v6
.LBB247_271:                            ;   in Loop: Header=BB247_211 Depth=1
	s_or_b64 exec, exec, s[24:25]
.LBB247_272:                            ;   in Loop: Header=BB247_211 Depth=1
	s_or_b64 exec, exec, s[22:23]
.LBB247_273:                            ;   in Loop: Header=BB247_211 Depth=1
	s_or_b64 exec, exec, s[14:15]
	v_lshrrev_b32_e32 v6, 16, v22
	v_cmp_ne_u16_sdwa s[2:3], v6, v7 src0_sel:BYTE_0 src1_sel:DWORD
	v_mov_b32_e32 v25, 0
	v_mov_b32_e32 v24, 0
	s_and_saveexec_b64 s[14:15], s[2:3]
	s_cbranch_execz .LBB247_279
; %bb.274:                              ;   in Loop: Header=BB247_211 Depth=1
	v_cmp_ne_u16_sdwa s[2:3], v6, s31 src0_sel:BYTE_0 src1_sel:DWORD
	v_mov_b32_e32 v24, 0x8000
	s_and_saveexec_b64 s[22:23], s[2:3]
	s_cbranch_execz .LBB247_278
; %bb.275:                              ;   in Loop: Header=BB247_211 Depth=1
	v_bfe_u32 v26, v22, 16, 7
	v_cmp_ne_u32_e64 s[2:3], s34, v26
	v_mov_b32_e32 v24, 0x7c01
	s_and_saveexec_b64 s[24:25], s[2:3]
	s_cbranch_execz .LBB247_277
; %bb.276:                              ;   in Loop: Header=BB247_211 Depth=1
	v_and_b32_e32 v24, 7, v6
	v_ffbh_u32_e32 v28, v24
	v_min_u32_e32 v43, 32, v28
	v_subrev_u32_e32 v28, 28, v43
	v_lshlrev_b64 v[28:29], v28, v[6:7]
	v_lshrrev_b32_e32 v27, 3, v26
	v_sub_u32_e32 v29, 29, v43
	v_cmp_gt_u32_e64 s[2:3], 8, v26
	v_lshlrev_b32_e32 v6, 8, v6
	s_nop 0
	v_cndmask_b32_e64 v26, v27, v29, s[2:3]
	v_lshl_add_u32 v26, v26, 10, v36
	v_and_b32_e32 v27, 7, v28
	v_and_b32_e32 v26, 0xfc00, v26
	v_cndmask_b32_e64 v24, v24, v27, s[2:3]
	v_and_or_b32 v6, v6, s35, v26
	v_lshl_or_b32 v24, v24, 7, v6
.LBB247_277:                            ;   in Loop: Header=BB247_211 Depth=1
	s_or_b64 exec, exec, s[24:25]
.LBB247_278:                            ;   in Loop: Header=BB247_211 Depth=1
	s_or_b64 exec, exec, s[22:23]
.LBB247_279:                            ;   in Loop: Header=BB247_211 Depth=1
	s_or_b64 exec, exec, s[14:15]
	v_cmp_lt_u32_e64 s[2:3], s9, v22
	s_and_saveexec_b64 s[14:15], s[2:3]
	s_cbranch_execz .LBB247_285
; %bb.280:                              ;   in Loop: Header=BB247_211 Depth=1
	v_lshrrev_b32_e32 v6, 24, v22
	v_cmp_ne_u32_e64 s[2:3], s31, v6
	v_bfrev_b32_e32 v25, 1
	s_and_saveexec_b64 s[22:23], s[2:3]
	s_cbranch_execz .LBB247_284
; %bb.281:                              ;   in Loop: Header=BB247_211 Depth=1
	v_and_b32_e32 v26, 0x7f, v6
	v_cmp_ne_u32_e64 s[2:3], s34, v26
	v_mov_b32_e32 v25, 0x7c010000
	s_and_saveexec_b64 s[24:25], s[2:3]
	s_cbranch_execz .LBB247_283
; %bb.282:                              ;   in Loop: Header=BB247_211 Depth=1
	v_and_b32_e32 v25, 7, v6
	v_ffbh_u32_e32 v28, v25
	v_min_u32_e32 v43, 32, v28
	v_subrev_u32_e32 v28, 28, v43
	v_lshlrev_b64 v[28:29], v28, v[6:7]
	v_lshrrev_b32_e32 v27, 3, v26
	v_sub_u32_e32 v29, 29, v43
	v_cmp_gt_u32_e64 s[2:3], 8, v26
	v_lshlrev_b32_e32 v6, 8, v6
	s_nop 0
	v_cndmask_b32_e64 v26, v27, v29, s[2:3]
	v_lshl_add_u32 v26, v26, 10, v36
	v_and_b32_e32 v27, 7, v28
	v_and_or_b32 v6, v6, s35, v26
	v_cndmask_b32_e64 v25, v25, v27, s[2:3]
	v_lshlrev_b32_e32 v6, 16, v6
	v_lshl_or_b32 v25, v25, 23, v6
.LBB247_283:                            ;   in Loop: Header=BB247_211 Depth=1
	s_or_b64 exec, exec, s[24:25]
.LBB247_284:                            ;   in Loop: Header=BB247_211 Depth=1
	s_or_b64 exec, exec, s[22:23]
.LBB247_285:                            ;   in Loop: Header=BB247_211 Depth=1
	s_or_b64 exec, exec, s[14:15]
	v_mov_b32_e32 v6, v23
	v_cmp_ne_u16_sdwa s[2:3], v23, v7 src0_sel:BYTE_0 src1_sel:DWORD
	v_mov_b32_e32 v26, 0
	v_mov_b32_e32 v27, 0
	s_and_saveexec_b64 s[14:15], s[2:3]
	s_cbranch_execz .LBB247_291
; %bb.286:                              ;   in Loop: Header=BB247_211 Depth=1
	v_cmp_ne_u16_sdwa s[2:3], v23, s31 src0_sel:BYTE_0 src1_sel:DWORD
	v_mov_b32_e32 v27, 0x8000
	s_and_saveexec_b64 s[22:23], s[2:3]
	s_cbranch_execz .LBB247_290
; %bb.287:                              ;   in Loop: Header=BB247_211 Depth=1
	v_and_b32_e32 v28, 0x7f, v23
	v_cmp_ne_u32_e64 s[2:3], s34, v28
	v_mov_b32_e32 v27, 0x7c01
	s_and_saveexec_b64 s[24:25], s[2:3]
	s_cbranch_execz .LBB247_289
; %bb.288:                              ;   in Loop: Header=BB247_211 Depth=1
	v_and_b32_e32 v27, 7, v23
	v_ffbh_u32_e32 v43, v27
	v_min_u32_e32 v43, 32, v43
	v_lshrrev_b32_e32 v29, 3, v28
	v_subrev_u32_e32 v44, 28, v43
	v_sub_u32_e32 v43, 29, v43
	v_cmp_gt_u32_e64 s[2:3], 8, v28
	v_lshlrev_b64 v[44:45], v44, v[6:7]
	s_nop 0
	v_cndmask_b32_e64 v28, v29, v43, s[2:3]
	v_lshl_add_u32 v28, v28, 10, v36
	v_lshlrev_b32_e32 v29, 8, v23
	v_and_b32_e32 v43, 7, v44
	v_and_b32_e32 v28, 0xfc00, v28
	v_cndmask_b32_e64 v27, v27, v43, s[2:3]
	v_and_or_b32 v28, v29, s35, v28
	v_lshl_or_b32 v27, v27, 7, v28
.LBB247_289:                            ;   in Loop: Header=BB247_211 Depth=1
	s_or_b64 exec, exec, s[24:25]
.LBB247_290:                            ;   in Loop: Header=BB247_211 Depth=1
	s_or_b64 exec, exec, s[22:23]
.LBB247_291:                            ;   in Loop: Header=BB247_211 Depth=1
	s_or_b64 exec, exec, s[14:15]
	v_lshrrev_b16_e32 v6, 8, v6
	v_cmp_ne_u16_e64 s[2:3], 0, v6
	v_mov_b32_e32 v28, 0
	s_and_saveexec_b64 s[14:15], s[2:3]
	s_cbranch_execz .LBB247_297
; %bb.292:                              ;   in Loop: Header=BB247_211 Depth=1
	v_cmp_ne_u16_e64 s[2:3], s31, v6
	v_bfrev_b32_e32 v28, 1
	s_and_saveexec_b64 s[22:23], s[2:3]
	s_cbranch_execz .LBB247_296
; %bb.293:                              ;   in Loop: Header=BB247_211 Depth=1
	v_and_b32_e32 v29, 0x7f, v6
	v_cmp_ne_u32_e64 s[2:3], s34, v29
	v_mov_b32_e32 v28, 0x7c010000
	s_and_saveexec_b64 s[24:25], s[2:3]
	s_cbranch_execz .LBB247_295
; %bb.294:                              ;   in Loop: Header=BB247_211 Depth=1
	v_and_b32_e32 v28, 7, v6
	v_ffbh_u32_e32 v44, v28
	v_min_u32_e32 v46, 32, v44
	v_subrev_u32_e32 v44, 28, v46
	v_lshlrev_b64 v[44:45], v44, v[6:7]
	v_lshrrev_b32_e32 v43, 3, v29
	v_sub_u32_e32 v45, 29, v46
	v_cmp_gt_u32_e64 s[2:3], 8, v29
	v_lshlrev_b32_e32 v6, 8, v6
	s_nop 0
	v_cndmask_b32_e64 v29, v43, v45, s[2:3]
	v_lshl_add_u32 v29, v29, 10, v36
	v_and_b32_e32 v43, 7, v44
	v_and_or_b32 v6, v6, s35, v29
	v_cndmask_b32_e64 v28, v28, v43, s[2:3]
	v_lshlrev_b32_e32 v6, 16, v6
	v_lshl_or_b32 v28, v28, 23, v6
.LBB247_295:                            ;   in Loop: Header=BB247_211 Depth=1
	s_or_b64 exec, exec, s[24:25]
.LBB247_296:                            ;   in Loop: Header=BB247_211 Depth=1
	s_or_b64 exec, exec, s[22:23]
.LBB247_297:                            ;   in Loop: Header=BB247_211 Depth=1
	s_or_b64 exec, exec, s[14:15]
	v_lshrrev_b32_e32 v6, 16, v23
	v_cmp_ne_u16_sdwa s[2:3], v6, v7 src0_sel:BYTE_0 src1_sel:DWORD
	s_and_saveexec_b64 s[14:15], s[2:3]
	s_cbranch_execz .LBB247_303
; %bb.298:                              ;   in Loop: Header=BB247_211 Depth=1
	v_cmp_ne_u16_sdwa s[2:3], v6, s31 src0_sel:BYTE_0 src1_sel:DWORD
	v_mov_b32_e32 v26, 0x8000
	s_and_saveexec_b64 s[22:23], s[2:3]
	s_cbranch_execz .LBB247_302
; %bb.299:                              ;   in Loop: Header=BB247_211 Depth=1
	v_bfe_u32 v29, v23, 16, 7
	v_cmp_ne_u32_e64 s[2:3], s34, v29
	v_mov_b32_e32 v26, 0x7c01
	s_and_saveexec_b64 s[24:25], s[2:3]
	s_cbranch_execz .LBB247_301
; %bb.300:                              ;   in Loop: Header=BB247_211 Depth=1
	v_and_b32_e32 v26, 7, v6
	v_ffbh_u32_e32 v44, v26
	v_min_u32_e32 v46, 32, v44
	v_subrev_u32_e32 v44, 28, v46
	v_lshlrev_b64 v[44:45], v44, v[6:7]
	v_lshrrev_b32_e32 v43, 3, v29
	v_sub_u32_e32 v45, 29, v46
	v_cmp_gt_u32_e64 s[2:3], 8, v29
	v_lshlrev_b32_e32 v6, 8, v6
	s_nop 0
	v_cndmask_b32_e64 v29, v43, v45, s[2:3]
	v_lshl_add_u32 v29, v29, 10, v36
	v_and_b32_e32 v43, 7, v44
	v_and_b32_e32 v29, 0xfc00, v29
	v_cndmask_b32_e64 v26, v26, v43, s[2:3]
	v_and_or_b32 v6, v6, s35, v29
	v_lshl_or_b32 v26, v26, 7, v6
.LBB247_301:                            ;   in Loop: Header=BB247_211 Depth=1
	s_or_b64 exec, exec, s[24:25]
.LBB247_302:                            ;   in Loop: Header=BB247_211 Depth=1
	s_or_b64 exec, exec, s[22:23]
.LBB247_303:                            ;   in Loop: Header=BB247_211 Depth=1
	s_or_b64 exec, exec, s[14:15]
	v_cmp_lt_u64_e64 s[2:3], s[8:9], v[22:23]
	v_mov_b32_e32 v22, 0
	s_and_saveexec_b64 s[14:15], s[2:3]
	s_cbranch_execz .LBB247_309
; %bb.304:                              ;   in Loop: Header=BB247_211 Depth=1
	v_lshrrev_b32_e32 v6, 24, v23
	v_cmp_ne_u32_e64 s[2:3], s31, v6
	v_bfrev_b32_e32 v22, 1
	s_and_saveexec_b64 s[22:23], s[2:3]
	s_cbranch_execz .LBB247_308
; %bb.305:                              ;   in Loop: Header=BB247_211 Depth=1
	v_and_b32_e32 v23, 0x7f, v6
	v_cmp_ne_u32_e64 s[2:3], s34, v23
	v_mov_b32_e32 v22, 0x7c010000
	s_and_saveexec_b64 s[24:25], s[2:3]
	s_cbranch_execz .LBB247_307
; %bb.306:                              ;   in Loop: Header=BB247_211 Depth=1
	v_and_b32_e32 v22, 7, v6
	v_ffbh_u32_e32 v43, v22
	v_min_u32_e32 v43, 32, v43
	v_lshrrev_b32_e32 v29, 3, v23
	v_subrev_u32_e32 v44, 28, v43
	v_sub_u32_e32 v43, 29, v43
	v_cmp_gt_u32_e64 s[2:3], 8, v23
	v_lshlrev_b64 v[44:45], v44, v[6:7]
	v_lshlrev_b32_e32 v6, 8, v6
	v_cndmask_b32_e64 v23, v29, v43, s[2:3]
	v_lshl_add_u32 v23, v23, 10, v36
	v_and_b32_e32 v29, 7, v44
	v_and_or_b32 v6, v6, s35, v23
	v_cndmask_b32_e64 v22, v22, v29, s[2:3]
	v_lshlrev_b32_e32 v6, 16, v6
	v_lshl_or_b32 v22, v22, 23, v6
.LBB247_307:                            ;   in Loop: Header=BB247_211 Depth=1
	s_or_b64 exec, exec, s[24:25]
.LBB247_308:                            ;   in Loop: Header=BB247_211 Depth=1
	s_or_b64 exec, exec, s[22:23]
.LBB247_309:                            ;   in Loop: Header=BB247_211 Depth=1
	s_or_b64 exec, exec, s[14:15]
	v_cvt_f32_f16_sdwa v45, v1 dst_sel:DWORD dst_unused:UNUSED_PAD src0_sel:WORD_1
	v_cvt_f32_f16_sdwa v44, v25 dst_sel:DWORD dst_unused:UNUSED_PAD src0_sel:WORD_1
	v_or_b32_e32 v1, v1, v21
	v_or_b32_e32 v6, v25, v24
	;; [unrolled: 1-line block ×3, first 2 shown]
	s_waitcnt vmcnt(0)
	v_pk_mul_f32 v[24:25], v[20:21], v[44:45] op_sel_hi:[0,1]
	v_cvt_f32_f16_e32 v44, v6
	v_cvt_f32_f16_e32 v45, v1
	v_cvt_pk_f16_f32 v1, v24, v25
	v_and_b32_e32 v21, 0xffff0000, v1
	v_lshlrev_b32_e32 v6, 16, v1
	v_pk_mul_f32 v[24:25], v[20:21], v[44:45] op_sel_hi:[0,1]
	v_cvt_pk_f16_f32 v1, v24, v25
	v_or_b32_e32 v25, v28, v27
	v_cvt_f32_f16_e32 v26, v26
	v_cvt_f32_f16_e32 v27, v25
	v_cvt_f32_f16_sdwa v29, v28 dst_sel:DWORD dst_unused:UNUSED_PAD src0_sel:WORD_1
	v_cvt_f32_f16_sdwa v28, v22 dst_sel:DWORD dst_unused:UNUSED_PAD src0_sel:WORD_1
	v_lshrrev_b32_e32 v23, 16, v1
	v_pk_mul_f32 v[26:27], v[20:21], v[26:27] op_sel_hi:[0,1]
	v_cvt_pk_f16_f32 v43, v26, v27
	v_pk_mul_f32 v[26:27], v[20:21], v[28:29] op_sel_hi:[0,1]
	v_cvt_pk_f16_f32 v20, v26, v27
	v_and_b32_e32 v24, 0xffff, v1
	v_and_b32_e32 v25, 0xffff0000, v20
	v_lshlrev_b32_e32 v20, 16, v20
	v_lshrrev_b32_e32 v27, 16, v43
	v_and_b32_e32 v26, 0xffff, v43
	v_or_b32_e32 v1, v21, v23
	v_or_b32_e32 v22, v6, v24
	;; [unrolled: 1-line block ×4, first 2 shown]
	s_and_saveexec_b64 s[14:15], s[0:1]
	s_cbranch_execz .LBB247_311
; %bb.310:                              ;   in Loop: Header=BB247_211 Depth=1
	v_add_u32_e32 v28, 2, v34
	v_cmp_gt_i32_e64 s[2:3], s30, v34
	v_or_b32_e32 v1, 1, v34
	v_or_b32_e32 v22, 3, v34
	v_cndmask_b32_e64 v23, 0, v23, s[2:3]
	v_cmp_gt_i32_e64 s[2:3], s33, v28
	s_nop 1
	v_cndmask_b32_e64 v24, 0, v24, s[2:3]
	v_cmp_gt_i32_e64 s[2:3], s30, v1
	s_nop 1
	v_cndmask_b32_e64 v1, 0, v21, s[2:3]
	v_cmp_gt_i32_e64 s[2:3], s33, v22
	v_or_b32_e32 v21, 6, v34
	v_or_b32_e32 v1, v1, v23
	v_cndmask_b32_e64 v6, 0, v6, s[2:3]
	v_or_b32_e32 v22, v6, v24
	v_or_b32_e32 v6, 4, v34
	v_cmp_gt_i32_e64 s[2:3], s30, v6
	v_or_b32_e32 v23, 5, v34
	v_or_b32_e32 v24, 7, v34
	v_cndmask_b32_e64 v6, 0, v27, s[2:3]
	v_cmp_gt_i32_e64 s[2:3], s33, v21
	s_nop 1
	v_cndmask_b32_e64 v21, 0, v26, s[2:3]
	v_cmp_gt_i32_e64 s[2:3], s30, v23
	s_nop 1
	v_cndmask_b32_e64 v23, 0, v25, s[2:3]
	v_cmp_gt_i32_e64 s[2:3], s33, v24
	v_or_b32_e32 v29, v23, v6
	s_nop 0
	v_cndmask_b32_e64 v20, 0, v20, s[2:3]
	v_or_b32_e32 v28, v20, v21
.LBB247_311:                            ;   in Loop: Header=BB247_211 Depth=1
	s_or_b64 exec, exec, s[14:15]
	;;#ASMSTART
	v_pk_mul_f16 v1, v42, v1;

	;;#ASMEND
	;;#ASMSTART
	v_pk_mul_f16 v6, v41, v22;

	;;#ASMEND
	;; [unrolled: 4-line block ×4, first 2 shown]
	s_nop 0
	;;#ASMSTART
	v_pk_add_f16 v1, v1, v6;

	;;#ASMEND
	s_nop 0
	;;#ASMSTART
	v_pk_add_f16 v1, v1, v20;

	;;#ASMEND
	;; [unrolled: 5-line block ×3, first 2 shown]
	s_nop 0
	v_lshrrev_b32_e32 v6, 16, v1
	v_and_b32_e32 v1, 0xffff, v1
	;;#ASMSTART
	v_cvt_f32_f16 v28, v1;
	;;#ASMEND
	;;#ASMSTART
	v_cvt_f32_f16 v29, v6;
	;;#ASMEND
	global_load_dwordx2 v[20:21], v[18:19], off offset:1024
	v_mov_b32_e32 v1, 0
	global_load_dword v18, v1, s[10:11]
	v_mov_b32_e32 v19, 0
	s_waitcnt vmcnt(1)
	v_cmp_ne_u16_sdwa s[2:3], v20, v7 src0_sel:BYTE_0 src1_sel:DWORD
	s_and_saveexec_b64 s[14:15], s[2:3]
	s_cbranch_execz .LBB247_317
; %bb.312:                              ;   in Loop: Header=BB247_211 Depth=1
	v_cmp_ne_u16_sdwa s[2:3], v20, s31 src0_sel:BYTE_0 src1_sel:DWORD
	v_mov_b32_e32 v19, 0x8000
	s_and_saveexec_b64 s[22:23], s[2:3]
	s_cbranch_execz .LBB247_316
; %bb.313:                              ;   in Loop: Header=BB247_211 Depth=1
	v_and_b32_e32 v6, 0x7f, v20
	v_cmp_ne_u32_e64 s[2:3], s34, v6
	v_mov_b32_e32 v19, 0x7c01
	s_and_saveexec_b64 s[24:25], s[2:3]
	s_cbranch_execz .LBB247_315
; %bb.314:                              ;   in Loop: Header=BB247_211 Depth=1
	v_and_b32_e32 v19, 7, v20
	v_ffbh_u32_e32 v22, v19
	v_min_u32_e32 v25, 32, v22
	v_subrev_u32_e32 v22, 28, v25
	v_lshlrev_b64 v[22:23], v22, v[20:21]
	v_lshrrev_b32_e32 v24, 3, v6
	v_sub_u32_e32 v23, 29, v25
	v_cmp_gt_u32_e64 s[2:3], 8, v6
	v_and_b32_e32 v22, 7, v22
	s_nop 0
	v_cndmask_b32_e64 v6, v24, v23, s[2:3]
	v_lshl_add_u32 v6, v6, 10, v36
	v_lshlrev_b32_e32 v23, 8, v20
	v_and_b32_e32 v6, 0xfc00, v6
	v_cndmask_b32_e64 v19, v19, v22, s[2:3]
	v_and_or_b32 v6, v23, s35, v6
	v_lshl_or_b32 v19, v19, 7, v6
.LBB247_315:                            ;   in Loop: Header=BB247_211 Depth=1
	s_or_b64 exec, exec, s[24:25]
.LBB247_316:                            ;   in Loop: Header=BB247_211 Depth=1
	s_or_b64 exec, exec, s[22:23]
.LBB247_317:                            ;   in Loop: Header=BB247_211 Depth=1
	s_or_b64 exec, exec, s[14:15]
	v_lshrrev_b16_e32 v6, 8, v20
	v_cmp_ne_u16_e64 s[2:3], 0, v6
	s_and_saveexec_b64 s[14:15], s[2:3]
	s_cbranch_execz .LBB247_323
; %bb.318:                              ;   in Loop: Header=BB247_211 Depth=1
	v_cmp_ne_u16_e64 s[2:3], s31, v6
	v_bfrev_b32_e32 v1, 1
	s_and_saveexec_b64 s[22:23], s[2:3]
	s_cbranch_execz .LBB247_322
; %bb.319:                              ;   in Loop: Header=BB247_211 Depth=1
	v_and_b32_e32 v22, 0x7f, v6
	v_cmp_ne_u32_e64 s[2:3], s34, v22
	v_mov_b32_e32 v1, 0x7c010000
	s_and_saveexec_b64 s[24:25], s[2:3]
	s_cbranch_execz .LBB247_321
; %bb.320:                              ;   in Loop: Header=BB247_211 Depth=1
	v_and_b32_e32 v1, 7, v6
	v_ffbh_u32_e32 v24, v1
	v_min_u32_e32 v26, 32, v24
	v_subrev_u32_e32 v24, 28, v26
	v_lshlrev_b64 v[24:25], v24, v[6:7]
	v_lshrrev_b32_e32 v23, 3, v22
	v_sub_u32_e32 v25, 29, v26
	v_cmp_gt_u32_e64 s[2:3], 8, v22
	v_lshlrev_b32_e32 v6, 8, v6
	s_nop 0
	v_cndmask_b32_e64 v22, v23, v25, s[2:3]
	v_lshl_add_u32 v22, v22, 10, v36
	v_and_b32_e32 v23, 7, v24
	v_and_or_b32 v6, v6, s35, v22
	v_cndmask_b32_e64 v1, v1, v23, s[2:3]
	v_lshlrev_b32_e32 v6, 16, v6
	v_lshl_or_b32 v1, v1, 23, v6
.LBB247_321:                            ;   in Loop: Header=BB247_211 Depth=1
	s_or_b64 exec, exec, s[24:25]
.LBB247_322:                            ;   in Loop: Header=BB247_211 Depth=1
	s_or_b64 exec, exec, s[22:23]
.LBB247_323:                            ;   in Loop: Header=BB247_211 Depth=1
	s_or_b64 exec, exec, s[14:15]
	v_lshrrev_b32_e32 v6, 16, v20
	v_cmp_ne_u16_sdwa s[2:3], v6, v7 src0_sel:BYTE_0 src1_sel:DWORD
	v_mov_b32_e32 v23, 0
	v_mov_b32_e32 v22, 0
	s_and_saveexec_b64 s[14:15], s[2:3]
	s_cbranch_execz .LBB247_329
; %bb.324:                              ;   in Loop: Header=BB247_211 Depth=1
	v_cmp_ne_u16_sdwa s[2:3], v6, s31 src0_sel:BYTE_0 src1_sel:DWORD
	v_mov_b32_e32 v22, 0x8000
	s_and_saveexec_b64 s[22:23], s[2:3]
	s_cbranch_execz .LBB247_328
; %bb.325:                              ;   in Loop: Header=BB247_211 Depth=1
	v_bfe_u32 v24, v20, 16, 7
	v_cmp_ne_u32_e64 s[2:3], s34, v24
	v_mov_b32_e32 v22, 0x7c01
	s_and_saveexec_b64 s[24:25], s[2:3]
	s_cbranch_execz .LBB247_327
; %bb.326:                              ;   in Loop: Header=BB247_211 Depth=1
	v_and_b32_e32 v22, 7, v6
	v_ffbh_u32_e32 v26, v22
	v_min_u32_e32 v43, 32, v26
	v_subrev_u32_e32 v26, 28, v43
	v_lshlrev_b64 v[26:27], v26, v[6:7]
	v_lshrrev_b32_e32 v25, 3, v24
	v_sub_u32_e32 v27, 29, v43
	v_cmp_gt_u32_e64 s[2:3], 8, v24
	v_lshlrev_b32_e32 v6, 8, v6
	s_nop 0
	v_cndmask_b32_e64 v24, v25, v27, s[2:3]
	v_lshl_add_u32 v24, v24, 10, v36
	v_and_b32_e32 v25, 7, v26
	v_and_b32_e32 v24, 0xfc00, v24
	v_cndmask_b32_e64 v22, v22, v25, s[2:3]
	v_and_or_b32 v6, v6, s35, v24
	v_lshl_or_b32 v22, v22, 7, v6
.LBB247_327:                            ;   in Loop: Header=BB247_211 Depth=1
	s_or_b64 exec, exec, s[24:25]
.LBB247_328:                            ;   in Loop: Header=BB247_211 Depth=1
	s_or_b64 exec, exec, s[22:23]
.LBB247_329:                            ;   in Loop: Header=BB247_211 Depth=1
	s_or_b64 exec, exec, s[14:15]
	v_cmp_lt_u32_e64 s[2:3], s9, v20
	s_and_saveexec_b64 s[14:15], s[2:3]
	s_cbranch_execz .LBB247_335
; %bb.330:                              ;   in Loop: Header=BB247_211 Depth=1
	v_lshrrev_b32_e32 v6, 24, v20
	v_cmp_ne_u32_e64 s[2:3], s31, v6
	v_bfrev_b32_e32 v23, 1
	s_and_saveexec_b64 s[22:23], s[2:3]
	s_cbranch_execz .LBB247_334
; %bb.331:                              ;   in Loop: Header=BB247_211 Depth=1
	v_and_b32_e32 v24, 0x7f, v6
	v_cmp_ne_u32_e64 s[2:3], s34, v24
	v_mov_b32_e32 v23, 0x7c010000
	s_and_saveexec_b64 s[24:25], s[2:3]
	s_cbranch_execz .LBB247_333
; %bb.332:                              ;   in Loop: Header=BB247_211 Depth=1
	v_and_b32_e32 v23, 7, v6
	v_ffbh_u32_e32 v26, v23
	v_min_u32_e32 v43, 32, v26
	v_subrev_u32_e32 v26, 28, v43
	v_lshlrev_b64 v[26:27], v26, v[6:7]
	v_lshrrev_b32_e32 v25, 3, v24
	v_sub_u32_e32 v27, 29, v43
	v_cmp_gt_u32_e64 s[2:3], 8, v24
	v_lshlrev_b32_e32 v6, 8, v6
	s_nop 0
	v_cndmask_b32_e64 v24, v25, v27, s[2:3]
	v_lshl_add_u32 v24, v24, 10, v36
	v_and_b32_e32 v25, 7, v26
	v_and_or_b32 v6, v6, s35, v24
	v_cndmask_b32_e64 v23, v23, v25, s[2:3]
	v_lshlrev_b32_e32 v6, 16, v6
	v_lshl_or_b32 v23, v23, 23, v6
.LBB247_333:                            ;   in Loop: Header=BB247_211 Depth=1
	s_or_b64 exec, exec, s[24:25]
.LBB247_334:                            ;   in Loop: Header=BB247_211 Depth=1
	s_or_b64 exec, exec, s[22:23]
.LBB247_335:                            ;   in Loop: Header=BB247_211 Depth=1
	s_or_b64 exec, exec, s[14:15]
	v_mov_b32_e32 v6, v21
	v_cmp_ne_u16_sdwa s[2:3], v21, v7 src0_sel:BYTE_0 src1_sel:DWORD
	v_mov_b32_e32 v24, 0
	v_mov_b32_e32 v25, 0
	s_and_saveexec_b64 s[14:15], s[2:3]
	s_cbranch_execz .LBB247_341
; %bb.336:                              ;   in Loop: Header=BB247_211 Depth=1
	v_cmp_ne_u16_sdwa s[2:3], v21, s31 src0_sel:BYTE_0 src1_sel:DWORD
	v_mov_b32_e32 v25, 0x8000
	s_and_saveexec_b64 s[22:23], s[2:3]
	s_cbranch_execz .LBB247_340
; %bb.337:                              ;   in Loop: Header=BB247_211 Depth=1
	v_and_b32_e32 v26, 0x7f, v21
	v_cmp_ne_u32_e64 s[2:3], s34, v26
	v_mov_b32_e32 v25, 0x7c01
	s_and_saveexec_b64 s[24:25], s[2:3]
	s_cbranch_execz .LBB247_339
; %bb.338:                              ;   in Loop: Header=BB247_211 Depth=1
	v_and_b32_e32 v25, 7, v21
	v_ffbh_u32_e32 v43, v25
	v_min_u32_e32 v43, 32, v43
	v_lshrrev_b32_e32 v27, 3, v26
	v_subrev_u32_e32 v44, 28, v43
	v_sub_u32_e32 v43, 29, v43
	v_cmp_gt_u32_e64 s[2:3], 8, v26
	v_lshlrev_b64 v[44:45], v44, v[6:7]
	s_nop 0
	v_cndmask_b32_e64 v26, v27, v43, s[2:3]
	v_lshl_add_u32 v26, v26, 10, v36
	v_lshlrev_b32_e32 v27, 8, v21
	v_and_b32_e32 v43, 7, v44
	v_and_b32_e32 v26, 0xfc00, v26
	v_cndmask_b32_e64 v25, v25, v43, s[2:3]
	v_and_or_b32 v26, v27, s35, v26
	v_lshl_or_b32 v25, v25, 7, v26
.LBB247_339:                            ;   in Loop: Header=BB247_211 Depth=1
	s_or_b64 exec, exec, s[24:25]
.LBB247_340:                            ;   in Loop: Header=BB247_211 Depth=1
	s_or_b64 exec, exec, s[22:23]
.LBB247_341:                            ;   in Loop: Header=BB247_211 Depth=1
	s_or_b64 exec, exec, s[14:15]
	v_lshrrev_b16_e32 v6, 8, v6
	v_cmp_ne_u16_e64 s[2:3], 0, v6
	v_mov_b32_e32 v26, 0
	s_and_saveexec_b64 s[14:15], s[2:3]
	s_cbranch_execz .LBB247_347
; %bb.342:                              ;   in Loop: Header=BB247_211 Depth=1
	v_cmp_ne_u16_e64 s[2:3], s31, v6
	v_bfrev_b32_e32 v26, 1
	s_and_saveexec_b64 s[22:23], s[2:3]
	s_cbranch_execz .LBB247_346
; %bb.343:                              ;   in Loop: Header=BB247_211 Depth=1
	v_and_b32_e32 v27, 0x7f, v6
	v_cmp_ne_u32_e64 s[2:3], s34, v27
	v_mov_b32_e32 v26, 0x7c010000
	s_and_saveexec_b64 s[24:25], s[2:3]
	s_cbranch_execz .LBB247_345
; %bb.344:                              ;   in Loop: Header=BB247_211 Depth=1
	v_and_b32_e32 v26, 7, v6
	v_ffbh_u32_e32 v44, v26
	v_min_u32_e32 v46, 32, v44
	v_subrev_u32_e32 v44, 28, v46
	v_lshlrev_b64 v[44:45], v44, v[6:7]
	v_lshrrev_b32_e32 v43, 3, v27
	v_sub_u32_e32 v45, 29, v46
	v_cmp_gt_u32_e64 s[2:3], 8, v27
	v_lshlrev_b32_e32 v6, 8, v6
	s_nop 0
	v_cndmask_b32_e64 v27, v43, v45, s[2:3]
	v_lshl_add_u32 v27, v27, 10, v36
	v_and_b32_e32 v43, 7, v44
	v_and_or_b32 v6, v6, s35, v27
	v_cndmask_b32_e64 v26, v26, v43, s[2:3]
	v_lshlrev_b32_e32 v6, 16, v6
	v_lshl_or_b32 v26, v26, 23, v6
.LBB247_345:                            ;   in Loop: Header=BB247_211 Depth=1
	s_or_b64 exec, exec, s[24:25]
.LBB247_346:                            ;   in Loop: Header=BB247_211 Depth=1
	s_or_b64 exec, exec, s[22:23]
.LBB247_347:                            ;   in Loop: Header=BB247_211 Depth=1
	s_or_b64 exec, exec, s[14:15]
	v_lshrrev_b32_e32 v6, 16, v21
	v_cmp_ne_u16_sdwa s[2:3], v6, v7 src0_sel:BYTE_0 src1_sel:DWORD
	s_and_saveexec_b64 s[14:15], s[2:3]
	s_cbranch_execz .LBB247_353
; %bb.348:                              ;   in Loop: Header=BB247_211 Depth=1
	v_cmp_ne_u16_sdwa s[2:3], v6, s31 src0_sel:BYTE_0 src1_sel:DWORD
	v_mov_b32_e32 v24, 0x8000
	s_and_saveexec_b64 s[22:23], s[2:3]
	s_cbranch_execz .LBB247_352
; %bb.349:                              ;   in Loop: Header=BB247_211 Depth=1
	v_bfe_u32 v27, v21, 16, 7
	v_cmp_ne_u32_e64 s[2:3], s34, v27
	v_mov_b32_e32 v24, 0x7c01
	s_and_saveexec_b64 s[24:25], s[2:3]
	s_cbranch_execz .LBB247_351
; %bb.350:                              ;   in Loop: Header=BB247_211 Depth=1
	v_and_b32_e32 v24, 7, v6
	v_ffbh_u32_e32 v44, v24
	v_min_u32_e32 v46, 32, v44
	v_subrev_u32_e32 v44, 28, v46
	v_lshlrev_b64 v[44:45], v44, v[6:7]
	v_lshrrev_b32_e32 v43, 3, v27
	v_sub_u32_e32 v45, 29, v46
	v_cmp_gt_u32_e64 s[2:3], 8, v27
	v_lshlrev_b32_e32 v6, 8, v6
	s_nop 0
	v_cndmask_b32_e64 v27, v43, v45, s[2:3]
	v_lshl_add_u32 v27, v27, 10, v36
	v_and_b32_e32 v43, 7, v44
	v_and_b32_e32 v27, 0xfc00, v27
	v_cndmask_b32_e64 v24, v24, v43, s[2:3]
	v_and_or_b32 v6, v6, s35, v27
	v_lshl_or_b32 v24, v24, 7, v6
.LBB247_351:                            ;   in Loop: Header=BB247_211 Depth=1
	s_or_b64 exec, exec, s[24:25]
.LBB247_352:                            ;   in Loop: Header=BB247_211 Depth=1
	s_or_b64 exec, exec, s[22:23]
.LBB247_353:                            ;   in Loop: Header=BB247_211 Depth=1
	s_or_b64 exec, exec, s[14:15]
	v_cmp_lt_u64_e64 s[2:3], s[8:9], v[20:21]
	v_mov_b32_e32 v20, 0
	s_and_saveexec_b64 s[14:15], s[2:3]
	s_cbranch_execz .LBB247_359
; %bb.354:                              ;   in Loop: Header=BB247_211 Depth=1
	v_lshrrev_b32_e32 v6, 24, v21
	v_cmp_ne_u32_e64 s[2:3], s31, v6
	v_bfrev_b32_e32 v20, 1
	s_and_saveexec_b64 s[22:23], s[2:3]
	s_cbranch_execz .LBB247_358
; %bb.355:                              ;   in Loop: Header=BB247_211 Depth=1
	v_and_b32_e32 v21, 0x7f, v6
	v_cmp_ne_u32_e64 s[2:3], s34, v21
	v_mov_b32_e32 v20, 0x7c010000
	s_and_saveexec_b64 s[24:25], s[2:3]
	s_cbranch_execz .LBB247_357
; %bb.356:                              ;   in Loop: Header=BB247_211 Depth=1
	v_and_b32_e32 v20, 7, v6
	v_ffbh_u32_e32 v43, v20
	v_min_u32_e32 v43, 32, v43
	v_lshrrev_b32_e32 v27, 3, v21
	v_subrev_u32_e32 v44, 28, v43
	v_sub_u32_e32 v43, 29, v43
	v_cmp_gt_u32_e64 s[2:3], 8, v21
	v_lshlrev_b64 v[44:45], v44, v[6:7]
	v_lshlrev_b32_e32 v6, 8, v6
	v_cndmask_b32_e64 v21, v27, v43, s[2:3]
	v_lshl_add_u32 v21, v21, 10, v36
	v_and_b32_e32 v27, 7, v44
	v_and_or_b32 v6, v6, s35, v21
	v_cndmask_b32_e64 v20, v20, v27, s[2:3]
	v_lshlrev_b32_e32 v6, 16, v6
	v_lshl_or_b32 v20, v20, 23, v6
.LBB247_357:                            ;   in Loop: Header=BB247_211 Depth=1
	s_or_b64 exec, exec, s[24:25]
.LBB247_358:                            ;   in Loop: Header=BB247_211 Depth=1
	s_or_b64 exec, exec, s[22:23]
.LBB247_359:                            ;   in Loop: Header=BB247_211 Depth=1
	s_or_b64 exec, exec, s[14:15]
	v_cvt_f32_f16_sdwa v45, v1 dst_sel:DWORD dst_unused:UNUSED_PAD src0_sel:WORD_1
	v_cvt_f32_f16_sdwa v44, v23 dst_sel:DWORD dst_unused:UNUSED_PAD src0_sel:WORD_1
	v_or_b32_e32 v1, v1, v19
	v_or_b32_e32 v6, v23, v22
	;; [unrolled: 1-line block ×3, first 2 shown]
	s_waitcnt vmcnt(0)
	v_pk_mul_f32 v[22:23], v[18:19], v[44:45] op_sel_hi:[0,1]
	v_cvt_f32_f16_e32 v44, v6
	v_cvt_f32_f16_e32 v45, v1
	v_cvt_pk_f16_f32 v1, v22, v23
	v_and_b32_e32 v19, 0xffff0000, v1
	v_lshlrev_b32_e32 v6, 16, v1
	v_pk_mul_f32 v[22:23], v[18:19], v[44:45] op_sel_hi:[0,1]
	v_cvt_pk_f16_f32 v1, v22, v23
	v_or_b32_e32 v23, v26, v25
	v_cvt_f32_f16_e32 v24, v24
	v_cvt_f32_f16_e32 v25, v23
	v_cvt_f32_f16_sdwa v27, v26 dst_sel:DWORD dst_unused:UNUSED_PAD src0_sel:WORD_1
	v_cvt_f32_f16_sdwa v26, v20 dst_sel:DWORD dst_unused:UNUSED_PAD src0_sel:WORD_1
	v_lshrrev_b32_e32 v21, 16, v1
	v_pk_mul_f32 v[24:25], v[18:19], v[24:25] op_sel_hi:[0,1]
	v_cvt_pk_f16_f32 v43, v24, v25
	v_pk_mul_f32 v[24:25], v[18:19], v[26:27] op_sel_hi:[0,1]
	v_cvt_pk_f16_f32 v18, v24, v25
	v_and_b32_e32 v22, 0xffff, v1
	v_and_b32_e32 v23, 0xffff0000, v18
	v_lshlrev_b32_e32 v18, 16, v18
	v_lshrrev_b32_e32 v25, 16, v43
	v_and_b32_e32 v24, 0xffff, v43
	v_or_b32_e32 v1, v19, v21
	v_or_b32_e32 v20, v6, v22
	;; [unrolled: 1-line block ×4, first 2 shown]
	s_and_saveexec_b64 s[14:15], s[0:1]
	s_cbranch_execz .LBB247_361
; %bb.360:                              ;   in Loop: Header=BB247_211 Depth=1
	v_add_u32_e32 v26, 2, v34
	v_cmp_gt_i32_e64 s[2:3], s30, v34
	v_or_b32_e32 v1, 1, v34
	v_or_b32_e32 v20, 3, v34
	v_cndmask_b32_e64 v21, 0, v21, s[2:3]
	v_cmp_gt_i32_e64 s[2:3], s33, v26
	s_nop 1
	v_cndmask_b32_e64 v22, 0, v22, s[2:3]
	v_cmp_gt_i32_e64 s[2:3], s30, v1
	s_nop 1
	v_cndmask_b32_e64 v1, 0, v19, s[2:3]
	v_cmp_gt_i32_e64 s[2:3], s33, v20
	v_or_b32_e32 v19, 6, v34
	v_or_b32_e32 v1, v1, v21
	v_cndmask_b32_e64 v6, 0, v6, s[2:3]
	v_or_b32_e32 v20, v6, v22
	v_or_b32_e32 v6, 4, v34
	v_cmp_gt_i32_e64 s[2:3], s30, v6
	v_or_b32_e32 v21, 5, v34
	v_or_b32_e32 v22, 7, v34
	v_cndmask_b32_e64 v6, 0, v25, s[2:3]
	v_cmp_gt_i32_e64 s[2:3], s33, v19
	s_nop 1
	v_cndmask_b32_e64 v19, 0, v24, s[2:3]
	v_cmp_gt_i32_e64 s[2:3], s30, v21
	s_nop 1
	v_cndmask_b32_e64 v21, 0, v23, s[2:3]
	v_cmp_gt_i32_e64 s[2:3], s33, v22
	v_or_b32_e32 v27, v21, v6
	s_nop 0
	v_cndmask_b32_e64 v18, 0, v18, s[2:3]
	v_or_b32_e32 v26, v18, v19
.LBB247_361:                            ;   in Loop: Header=BB247_211 Depth=1
	s_or_b64 exec, exec, s[14:15]
	;;#ASMSTART
	v_pk_mul_f16 v1, v42, v1;

	;;#ASMEND
	;;#ASMSTART
	v_pk_mul_f16 v6, v41, v20;

	;;#ASMEND
	;; [unrolled: 4-line block ×4, first 2 shown]
	s_nop 0
	;;#ASMSTART
	v_pk_add_f16 v1, v1, v6;

	;;#ASMEND
	s_nop 0
	;;#ASMSTART
	v_pk_add_f16 v1, v1, v18;

	;;#ASMEND
	;; [unrolled: 5-line block ×3, first 2 shown]
	s_nop 0
	v_lshrrev_b32_e32 v6, 16, v1
	v_and_b32_e32 v1, 0xffff, v1
	;;#ASMSTART
	v_cvt_f32_f16 v26, v1;
	;;#ASMEND
	;;#ASMSTART
	v_cvt_f32_f16 v27, v6;
	;;#ASMEND
	s_and_saveexec_b64 s[14:15], vcc
	s_cbranch_execz .LBB247_210
; %bb.362:                              ;   in Loop: Header=BB247_211 Depth=1
	v_lshl_add_u64 v[16:17], v[16:17], 0, v[10:11]
	global_load_dwordx2 v[18:19], v[16:17], off
	v_mov_b32_e32 v1, 0
	global_load_dword v16, v1, s[10:11]
	v_mov_b32_e32 v17, 0
	s_waitcnt vmcnt(1)
	v_cmp_ne_u16_sdwa s[2:3], v18, v7 src0_sel:BYTE_0 src1_sel:DWORD
	s_and_saveexec_b64 s[22:23], s[2:3]
	s_cbranch_execz .LBB247_368
; %bb.363:                              ;   in Loop: Header=BB247_211 Depth=1
	v_cmp_ne_u16_sdwa s[2:3], v18, s31 src0_sel:BYTE_0 src1_sel:DWORD
	v_mov_b32_e32 v17, 0x8000
	s_and_saveexec_b64 s[24:25], s[2:3]
	s_cbranch_execz .LBB247_367
; %bb.364:                              ;   in Loop: Header=BB247_211 Depth=1
	v_and_b32_e32 v6, 0x7f, v18
	v_cmp_ne_u32_e64 s[2:3], s34, v6
	v_mov_b32_e32 v17, 0x7c01
	s_and_saveexec_b64 s[26:27], s[2:3]
	s_cbranch_execz .LBB247_366
; %bb.365:                              ;   in Loop: Header=BB247_211 Depth=1
	v_and_b32_e32 v17, 7, v18
	v_ffbh_u32_e32 v20, v17
	v_min_u32_e32 v23, 32, v20
	v_subrev_u32_e32 v20, 28, v23
	v_lshlrev_b64 v[20:21], v20, v[18:19]
	v_lshrrev_b32_e32 v22, 3, v6
	v_sub_u32_e32 v21, 29, v23
	v_cmp_gt_u32_e64 s[2:3], 8, v6
	v_and_b32_e32 v20, 7, v20
	s_nop 0
	v_cndmask_b32_e64 v6, v22, v21, s[2:3]
	v_lshl_add_u32 v6, v6, 10, v36
	v_lshlrev_b32_e32 v21, 8, v18
	v_and_b32_e32 v6, 0xfc00, v6
	v_cndmask_b32_e64 v17, v17, v20, s[2:3]
	v_and_or_b32 v6, v21, s35, v6
	v_lshl_or_b32 v17, v17, 7, v6
.LBB247_366:                            ;   in Loop: Header=BB247_211 Depth=1
	s_or_b64 exec, exec, s[26:27]
.LBB247_367:                            ;   in Loop: Header=BB247_211 Depth=1
	s_or_b64 exec, exec, s[24:25]
.LBB247_368:                            ;   in Loop: Header=BB247_211 Depth=1
	s_or_b64 exec, exec, s[22:23]
	v_lshrrev_b16_e32 v6, 8, v18
	v_cmp_ne_u16_e64 s[2:3], 0, v6
	s_and_saveexec_b64 s[22:23], s[2:3]
	s_cbranch_execz .LBB247_374
; %bb.369:                              ;   in Loop: Header=BB247_211 Depth=1
	v_cmp_ne_u16_e64 s[2:3], s31, v6
	v_bfrev_b32_e32 v1, 1
	s_and_saveexec_b64 s[24:25], s[2:3]
	s_cbranch_execz .LBB247_373
; %bb.370:                              ;   in Loop: Header=BB247_211 Depth=1
	v_and_b32_e32 v20, 0x7f, v6
	v_cmp_ne_u32_e64 s[2:3], s34, v20
	v_mov_b32_e32 v1, 0x7c010000
	s_and_saveexec_b64 s[26:27], s[2:3]
	s_cbranch_execz .LBB247_372
; %bb.371:                              ;   in Loop: Header=BB247_211 Depth=1
	v_and_b32_e32 v1, 7, v6
	v_ffbh_u32_e32 v22, v1
	v_min_u32_e32 v24, 32, v22
	v_subrev_u32_e32 v22, 28, v24
	v_lshlrev_b64 v[22:23], v22, v[6:7]
	v_lshrrev_b32_e32 v21, 3, v20
	v_sub_u32_e32 v23, 29, v24
	v_cmp_gt_u32_e64 s[2:3], 8, v20
	v_lshlrev_b32_e32 v6, 8, v6
	s_nop 0
	v_cndmask_b32_e64 v20, v21, v23, s[2:3]
	v_lshl_add_u32 v20, v20, 10, v36
	v_and_b32_e32 v21, 7, v22
	v_and_or_b32 v6, v6, s35, v20
	v_cndmask_b32_e64 v1, v1, v21, s[2:3]
	v_lshlrev_b32_e32 v6, 16, v6
	v_lshl_or_b32 v1, v1, 23, v6
.LBB247_372:                            ;   in Loop: Header=BB247_211 Depth=1
	s_or_b64 exec, exec, s[26:27]
.LBB247_373:                            ;   in Loop: Header=BB247_211 Depth=1
	s_or_b64 exec, exec, s[24:25]
.LBB247_374:                            ;   in Loop: Header=BB247_211 Depth=1
	s_or_b64 exec, exec, s[22:23]
	v_lshrrev_b32_e32 v6, 16, v18
	v_cmp_ne_u16_sdwa s[2:3], v6, v7 src0_sel:BYTE_0 src1_sel:DWORD
	v_mov_b32_e32 v21, 0
	v_mov_b32_e32 v20, 0
	s_and_saveexec_b64 s[22:23], s[2:3]
	s_cbranch_execz .LBB247_380
; %bb.375:                              ;   in Loop: Header=BB247_211 Depth=1
	v_cmp_ne_u16_sdwa s[2:3], v6, s31 src0_sel:BYTE_0 src1_sel:DWORD
	v_mov_b32_e32 v20, 0x8000
	s_and_saveexec_b64 s[24:25], s[2:3]
	s_cbranch_execz .LBB247_379
; %bb.376:                              ;   in Loop: Header=BB247_211 Depth=1
	v_bfe_u32 v22, v18, 16, 7
	v_cmp_ne_u32_e64 s[2:3], s34, v22
	v_mov_b32_e32 v20, 0x7c01
	s_and_saveexec_b64 s[26:27], s[2:3]
	s_cbranch_execz .LBB247_378
; %bb.377:                              ;   in Loop: Header=BB247_211 Depth=1
	v_and_b32_e32 v20, 7, v6
	v_ffbh_u32_e32 v24, v20
	v_min_u32_e32 v43, 32, v24
	v_subrev_u32_e32 v24, 28, v43
	v_lshlrev_b64 v[24:25], v24, v[6:7]
	v_lshrrev_b32_e32 v23, 3, v22
	v_sub_u32_e32 v25, 29, v43
	v_cmp_gt_u32_e64 s[2:3], 8, v22
	v_lshlrev_b32_e32 v6, 8, v6
	s_nop 0
	v_cndmask_b32_e64 v22, v23, v25, s[2:3]
	v_lshl_add_u32 v22, v22, 10, v36
	v_and_b32_e32 v23, 7, v24
	v_and_b32_e32 v22, 0xfc00, v22
	v_cndmask_b32_e64 v20, v20, v23, s[2:3]
	v_and_or_b32 v6, v6, s35, v22
	v_lshl_or_b32 v20, v20, 7, v6
.LBB247_378:                            ;   in Loop: Header=BB247_211 Depth=1
	s_or_b64 exec, exec, s[26:27]
.LBB247_379:                            ;   in Loop: Header=BB247_211 Depth=1
	s_or_b64 exec, exec, s[24:25]
.LBB247_380:                            ;   in Loop: Header=BB247_211 Depth=1
	s_or_b64 exec, exec, s[22:23]
	v_cmp_lt_u32_e64 s[2:3], s9, v18
	s_and_saveexec_b64 s[22:23], s[2:3]
	s_cbranch_execz .LBB247_386
; %bb.381:                              ;   in Loop: Header=BB247_211 Depth=1
	v_lshrrev_b32_e32 v6, 24, v18
	v_cmp_ne_u32_e64 s[2:3], s31, v6
	v_bfrev_b32_e32 v21, 1
	s_and_saveexec_b64 s[24:25], s[2:3]
	s_cbranch_execz .LBB247_385
; %bb.382:                              ;   in Loop: Header=BB247_211 Depth=1
	v_and_b32_e32 v22, 0x7f, v6
	v_cmp_ne_u32_e64 s[2:3], s34, v22
	v_mov_b32_e32 v21, 0x7c010000
	s_and_saveexec_b64 s[26:27], s[2:3]
	s_cbranch_execz .LBB247_384
; %bb.383:                              ;   in Loop: Header=BB247_211 Depth=1
	v_and_b32_e32 v21, 7, v6
	v_ffbh_u32_e32 v24, v21
	v_min_u32_e32 v43, 32, v24
	v_subrev_u32_e32 v24, 28, v43
	v_lshlrev_b64 v[24:25], v24, v[6:7]
	v_lshrrev_b32_e32 v23, 3, v22
	v_sub_u32_e32 v25, 29, v43
	v_cmp_gt_u32_e64 s[2:3], 8, v22
	v_lshlrev_b32_e32 v6, 8, v6
	s_nop 0
	v_cndmask_b32_e64 v22, v23, v25, s[2:3]
	v_lshl_add_u32 v22, v22, 10, v36
	v_and_b32_e32 v23, 7, v24
	v_and_or_b32 v6, v6, s35, v22
	v_cndmask_b32_e64 v21, v21, v23, s[2:3]
	v_lshlrev_b32_e32 v6, 16, v6
	v_lshl_or_b32 v21, v21, 23, v6
.LBB247_384:                            ;   in Loop: Header=BB247_211 Depth=1
	s_or_b64 exec, exec, s[26:27]
.LBB247_385:                            ;   in Loop: Header=BB247_211 Depth=1
	s_or_b64 exec, exec, s[24:25]
.LBB247_386:                            ;   in Loop: Header=BB247_211 Depth=1
	s_or_b64 exec, exec, s[22:23]
	v_mov_b32_e32 v6, v19
	v_cmp_ne_u16_sdwa s[2:3], v19, v7 src0_sel:BYTE_0 src1_sel:DWORD
	v_mov_b32_e32 v22, 0
	v_mov_b32_e32 v23, 0
	s_and_saveexec_b64 s[22:23], s[2:3]
	s_cbranch_execz .LBB247_392
; %bb.387:                              ;   in Loop: Header=BB247_211 Depth=1
	v_cmp_ne_u16_sdwa s[2:3], v19, s31 src0_sel:BYTE_0 src1_sel:DWORD
	v_mov_b32_e32 v23, 0x8000
	s_and_saveexec_b64 s[24:25], s[2:3]
	s_cbranch_execz .LBB247_391
; %bb.388:                              ;   in Loop: Header=BB247_211 Depth=1
	v_and_b32_e32 v24, 0x7f, v19
	v_cmp_ne_u32_e64 s[2:3], s34, v24
	v_mov_b32_e32 v23, 0x7c01
	s_and_saveexec_b64 s[26:27], s[2:3]
	s_cbranch_execz .LBB247_390
; %bb.389:                              ;   in Loop: Header=BB247_211 Depth=1
	v_and_b32_e32 v23, 7, v19
	v_ffbh_u32_e32 v43, v23
	v_min_u32_e32 v43, 32, v43
	v_lshrrev_b32_e32 v25, 3, v24
	v_subrev_u32_e32 v44, 28, v43
	v_sub_u32_e32 v43, 29, v43
	v_cmp_gt_u32_e64 s[2:3], 8, v24
	v_lshlrev_b64 v[44:45], v44, v[6:7]
	s_nop 0
	v_cndmask_b32_e64 v24, v25, v43, s[2:3]
	v_lshl_add_u32 v24, v24, 10, v36
	v_lshlrev_b32_e32 v25, 8, v19
	v_and_b32_e32 v43, 7, v44
	v_and_b32_e32 v24, 0xfc00, v24
	v_cndmask_b32_e64 v23, v23, v43, s[2:3]
	v_and_or_b32 v24, v25, s35, v24
	v_lshl_or_b32 v23, v23, 7, v24
.LBB247_390:                            ;   in Loop: Header=BB247_211 Depth=1
	s_or_b64 exec, exec, s[26:27]
.LBB247_391:                            ;   in Loop: Header=BB247_211 Depth=1
	s_or_b64 exec, exec, s[24:25]
.LBB247_392:                            ;   in Loop: Header=BB247_211 Depth=1
	s_or_b64 exec, exec, s[22:23]
	v_lshrrev_b16_e32 v6, 8, v6
	v_cmp_ne_u16_e64 s[2:3], 0, v6
	v_mov_b32_e32 v24, 0
	s_and_saveexec_b64 s[22:23], s[2:3]
	s_cbranch_execz .LBB247_398
; %bb.393:                              ;   in Loop: Header=BB247_211 Depth=1
	v_cmp_ne_u16_e64 s[2:3], s31, v6
	v_bfrev_b32_e32 v24, 1
	s_and_saveexec_b64 s[24:25], s[2:3]
	s_cbranch_execz .LBB247_397
; %bb.394:                              ;   in Loop: Header=BB247_211 Depth=1
	v_and_b32_e32 v25, 0x7f, v6
	v_cmp_ne_u32_e64 s[2:3], s34, v25
	v_mov_b32_e32 v24, 0x7c010000
	s_and_saveexec_b64 s[26:27], s[2:3]
	s_cbranch_execz .LBB247_396
; %bb.395:                              ;   in Loop: Header=BB247_211 Depth=1
	v_and_b32_e32 v24, 7, v6
	v_ffbh_u32_e32 v44, v24
	v_min_u32_e32 v46, 32, v44
	v_subrev_u32_e32 v44, 28, v46
	v_lshlrev_b64 v[44:45], v44, v[6:7]
	v_lshrrev_b32_e32 v43, 3, v25
	v_sub_u32_e32 v45, 29, v46
	v_cmp_gt_u32_e64 s[2:3], 8, v25
	v_lshlrev_b32_e32 v6, 8, v6
	s_nop 0
	v_cndmask_b32_e64 v25, v43, v45, s[2:3]
	v_lshl_add_u32 v25, v25, 10, v36
	v_and_b32_e32 v43, 7, v44
	v_and_or_b32 v6, v6, s35, v25
	v_cndmask_b32_e64 v24, v24, v43, s[2:3]
	v_lshlrev_b32_e32 v6, 16, v6
	v_lshl_or_b32 v24, v24, 23, v6
.LBB247_396:                            ;   in Loop: Header=BB247_211 Depth=1
	s_or_b64 exec, exec, s[26:27]
.LBB247_397:                            ;   in Loop: Header=BB247_211 Depth=1
	s_or_b64 exec, exec, s[24:25]
.LBB247_398:                            ;   in Loop: Header=BB247_211 Depth=1
	s_or_b64 exec, exec, s[22:23]
	v_lshrrev_b32_e32 v6, 16, v19
	v_cmp_ne_u16_sdwa s[2:3], v6, v7 src0_sel:BYTE_0 src1_sel:DWORD
	s_and_saveexec_b64 s[22:23], s[2:3]
	s_cbranch_execz .LBB247_404
; %bb.399:                              ;   in Loop: Header=BB247_211 Depth=1
	v_cmp_ne_u16_sdwa s[2:3], v6, s31 src0_sel:BYTE_0 src1_sel:DWORD
	v_mov_b32_e32 v22, 0x8000
	s_and_saveexec_b64 s[24:25], s[2:3]
	s_cbranch_execz .LBB247_403
; %bb.400:                              ;   in Loop: Header=BB247_211 Depth=1
	v_bfe_u32 v25, v19, 16, 7
	v_cmp_ne_u32_e64 s[2:3], s34, v25
	v_mov_b32_e32 v22, 0x7c01
	s_and_saveexec_b64 s[26:27], s[2:3]
	s_cbranch_execz .LBB247_402
; %bb.401:                              ;   in Loop: Header=BB247_211 Depth=1
	v_and_b32_e32 v22, 7, v6
	v_ffbh_u32_e32 v44, v22
	v_min_u32_e32 v46, 32, v44
	v_subrev_u32_e32 v44, 28, v46
	v_lshlrev_b64 v[44:45], v44, v[6:7]
	v_lshrrev_b32_e32 v43, 3, v25
	v_sub_u32_e32 v45, 29, v46
	v_cmp_gt_u32_e64 s[2:3], 8, v25
	v_lshlrev_b32_e32 v6, 8, v6
	s_nop 0
	v_cndmask_b32_e64 v25, v43, v45, s[2:3]
	v_lshl_add_u32 v25, v25, 10, v36
	v_and_b32_e32 v43, 7, v44
	v_and_b32_e32 v25, 0xfc00, v25
	v_cndmask_b32_e64 v22, v22, v43, s[2:3]
	v_and_or_b32 v6, v6, s35, v25
	v_lshl_or_b32 v22, v22, 7, v6
.LBB247_402:                            ;   in Loop: Header=BB247_211 Depth=1
	s_or_b64 exec, exec, s[26:27]
.LBB247_403:                            ;   in Loop: Header=BB247_211 Depth=1
	s_or_b64 exec, exec, s[24:25]
.LBB247_404:                            ;   in Loop: Header=BB247_211 Depth=1
	s_or_b64 exec, exec, s[22:23]
	v_cmp_lt_u64_e64 s[2:3], s[8:9], v[18:19]
	v_mov_b32_e32 v18, 0
	s_and_saveexec_b64 s[22:23], s[2:3]
	s_cbranch_execz .LBB247_410
; %bb.405:                              ;   in Loop: Header=BB247_211 Depth=1
	v_lshrrev_b32_e32 v6, 24, v19
	v_cmp_ne_u32_e64 s[2:3], s31, v6
	v_bfrev_b32_e32 v18, 1
	s_and_saveexec_b64 s[24:25], s[2:3]
	s_cbranch_execz .LBB247_409
; %bb.406:                              ;   in Loop: Header=BB247_211 Depth=1
	v_and_b32_e32 v19, 0x7f, v6
	v_cmp_ne_u32_e64 s[2:3], s34, v19
	v_mov_b32_e32 v18, 0x7c010000
	s_and_saveexec_b64 s[26:27], s[2:3]
	s_cbranch_execz .LBB247_408
; %bb.407:                              ;   in Loop: Header=BB247_211 Depth=1
	v_and_b32_e32 v18, 7, v6
	v_ffbh_u32_e32 v43, v18
	v_min_u32_e32 v43, 32, v43
	v_lshrrev_b32_e32 v25, 3, v19
	v_subrev_u32_e32 v44, 28, v43
	v_sub_u32_e32 v43, 29, v43
	v_cmp_gt_u32_e64 s[2:3], 8, v19
	v_lshlrev_b64 v[44:45], v44, v[6:7]
	v_lshlrev_b32_e32 v6, 8, v6
	v_cndmask_b32_e64 v19, v25, v43, s[2:3]
	v_lshl_add_u32 v19, v19, 10, v36
	v_and_b32_e32 v25, 7, v44
	v_and_or_b32 v6, v6, s35, v19
	v_cndmask_b32_e64 v18, v18, v25, s[2:3]
	v_lshlrev_b32_e32 v6, 16, v6
	v_lshl_or_b32 v18, v18, 23, v6
.LBB247_408:                            ;   in Loop: Header=BB247_211 Depth=1
	s_or_b64 exec, exec, s[26:27]
.LBB247_409:                            ;   in Loop: Header=BB247_211 Depth=1
	s_or_b64 exec, exec, s[24:25]
.LBB247_410:                            ;   in Loop: Header=BB247_211 Depth=1
	s_or_b64 exec, exec, s[22:23]
	v_cvt_f32_f16_sdwa v45, v1 dst_sel:DWORD dst_unused:UNUSED_PAD src0_sel:WORD_1
	v_cvt_f32_f16_sdwa v44, v21 dst_sel:DWORD dst_unused:UNUSED_PAD src0_sel:WORD_1
	v_or_b32_e32 v1, v1, v17
	v_or_b32_e32 v6, v21, v20
	;; [unrolled: 1-line block ×3, first 2 shown]
	s_waitcnt vmcnt(0)
	v_pk_mul_f32 v[20:21], v[16:17], v[44:45] op_sel_hi:[0,1]
	v_cvt_f32_f16_e32 v44, v6
	v_cvt_f32_f16_e32 v45, v1
	v_cvt_pk_f16_f32 v1, v20, v21
	v_and_b32_e32 v17, 0xffff0000, v1
	v_lshlrev_b32_e32 v6, 16, v1
	v_pk_mul_f32 v[20:21], v[16:17], v[44:45] op_sel_hi:[0,1]
	v_cvt_pk_f16_f32 v1, v20, v21
	v_or_b32_e32 v21, v24, v23
	v_cvt_f32_f16_e32 v22, v22
	v_cvt_f32_f16_e32 v23, v21
	v_cvt_f32_f16_sdwa v25, v24 dst_sel:DWORD dst_unused:UNUSED_PAD src0_sel:WORD_1
	v_cvt_f32_f16_sdwa v24, v18 dst_sel:DWORD dst_unused:UNUSED_PAD src0_sel:WORD_1
	v_lshrrev_b32_e32 v19, 16, v1
	v_pk_mul_f32 v[22:23], v[16:17], v[22:23] op_sel_hi:[0,1]
	v_cvt_pk_f16_f32 v43, v22, v23
	v_pk_mul_f32 v[22:23], v[16:17], v[24:25] op_sel_hi:[0,1]
	v_cvt_pk_f16_f32 v16, v22, v23
	v_and_b32_e32 v20, 0xffff, v1
	v_and_b32_e32 v21, 0xffff0000, v16
	v_lshlrev_b32_e32 v16, 16, v16
	v_lshrrev_b32_e32 v23, 16, v43
	v_and_b32_e32 v22, 0xffff, v43
	v_or_b32_e32 v1, v17, v19
	v_or_b32_e32 v18, v6, v20
	;; [unrolled: 1-line block ×4, first 2 shown]
	s_and_saveexec_b64 s[2:3], s[0:1]
	s_cbranch_execz .LBB247_209
; %bb.411:                              ;   in Loop: Header=BB247_211 Depth=1
	v_add_u32_e32 v24, 2, v34
	v_cmp_gt_i32_e64 s[0:1], s30, v34
	v_or_b32_e32 v1, 1, v34
	v_or_b32_e32 v18, 3, v34
	v_cndmask_b32_e64 v19, 0, v19, s[0:1]
	v_cmp_gt_i32_e64 s[0:1], s33, v24
	s_nop 1
	v_cndmask_b32_e64 v20, 0, v20, s[0:1]
	v_cmp_gt_i32_e64 s[0:1], s30, v1
	s_nop 1
	v_cndmask_b32_e64 v1, 0, v17, s[0:1]
	v_cmp_gt_i32_e64 s[0:1], s33, v18
	v_or_b32_e32 v17, 6, v34
	v_or_b32_e32 v1, v1, v19
	v_cndmask_b32_e64 v6, 0, v6, s[0:1]
	v_or_b32_e32 v18, v6, v20
	v_or_b32_e32 v6, 4, v34
	v_cmp_gt_i32_e64 s[0:1], s30, v6
	v_or_b32_e32 v19, 5, v34
	v_or_b32_e32 v20, 7, v34
	v_cndmask_b32_e64 v6, 0, v23, s[0:1]
	v_cmp_gt_i32_e64 s[0:1], s33, v17
	s_nop 1
	v_cndmask_b32_e64 v17, 0, v22, s[0:1]
	v_cmp_gt_i32_e64 s[0:1], s30, v19
	s_nop 1
	v_cndmask_b32_e64 v19, 0, v21, s[0:1]
	v_cmp_gt_i32_e64 s[0:1], s33, v20
	v_or_b32_e32 v25, v19, v6
	s_nop 0
	v_cndmask_b32_e64 v16, 0, v16, s[0:1]
	v_or_b32_e32 v24, v16, v17
	s_branch .LBB247_209
.LBB247_412:
	s_or_b64 exec, exec, s[12:13]
.LBB247_413:
	s_or_b64 exec, exec, s[6:7]
	ds_bpermute_b32 v4, v31, v8
	ds_bpermute_b32 v5, v31, v9
	;; [unrolled: 1-line block ×4, first 2 shown]
	v_and_b32_e32 v1, 0x3c0, v0
	v_cmp_eq_u32_e64 s[0:1], 64, v1
	s_waitcnt lgkmcnt(2)
	v_pk_add_f32 v[4:5], v[8:9], v[4:5]
	v_cmp_eq_u32_e32 vcc, 0, v33
	s_waitcnt lgkmcnt(0)
	v_pk_add_f32 v[2:3], v[2:3], v[6:7]
	s_barrier
	s_and_saveexec_b64 s[2:3], s[0:1]
	s_cbranch_execz .LBB247_418
; %bb.414:
	s_and_saveexec_b64 s[0:1], vcc
	s_cbranch_execz .LBB247_416
; %bb.415:
	v_mov_b32_e32 v1, 0xf0
	v_lshl_add_u32 v1, v32, 2, v1
	ds_write2_b32 v1, v4, v5 offset1:32
	ds_write_b32 v1, v2 offset:256
.LBB247_416:
	s_or_b64 exec, exec, s[0:1]
	v_or_b32_e32 v1, 0x60, v32
	s_movk_i32 s0, 0x70
	v_cmp_gt_u32_e64 s[0:1], s0, v1
	s_and_b64 s[0:1], vcc, s[0:1]
	s_and_b64 exec, exec, s[0:1]
; %bb.417:
	v_mov_b32_e32 v1, 0xf0
	v_lshl_add_u32 v1, v32, 2, v1
	ds_write_b32 v1, v3 offset:384
.LBB247_418:
	s_or_b64 exec, exec, s[2:3]
	v_cmp_gt_u32_e64 s[0:1], 64, v0
	v_lshrrev_b32_e32 v0, 1, v0
	s_waitcnt lgkmcnt(0)
	s_barrier
	s_and_saveexec_b64 s[6:7], s[0:1]
	s_cbranch_execz .LBB247_428
; %bb.419:
	s_and_saveexec_b64 s[2:3], vcc
	s_cbranch_execz .LBB247_421
; %bb.420:
	v_mov_b32_e32 v1, 0xf0
	v_lshl_add_u32 v1, v0, 2, v1
	ds_read_b32 v1, v1
	s_waitcnt lgkmcnt(0)
	v_add_f32_e32 v4, v4, v1
.LBB247_421:
	s_or_b64 exec, exec, s[2:3]
	v_or_b32_e32 v1, 32, v0
	s_movk_i32 s8, 0x70
	v_cmp_gt_u32_e64 s[2:3], s8, v1
	s_and_b64 s[10:11], vcc, s[2:3]
	s_and_saveexec_b64 s[2:3], s[10:11]
	s_cbranch_execz .LBB247_423
; %bb.422:
	v_mov_b32_e32 v1, 0xf0
	v_lshl_add_u32 v1, v0, 2, v1
	ds_read_b32 v1, v1 offset:128
	s_waitcnt lgkmcnt(0)
	v_add_f32_e32 v5, v5, v1
.LBB247_423:
	s_or_b64 exec, exec, s[2:3]
	v_or_b32_e32 v1, 64, v0
	v_cmp_gt_u32_e64 s[2:3], s8, v1
	s_and_b64 s[8:9], vcc, s[2:3]
	s_and_saveexec_b64 s[2:3], s[8:9]
	s_cbranch_execz .LBB247_425
; %bb.424:
	v_mov_b32_e32 v1, 0xf0
	v_lshl_add_u32 v1, v0, 2, v1
	ds_read_b32 v1, v1 offset:256
	s_waitcnt lgkmcnt(0)
	v_add_f32_e32 v2, v2, v1
.LBB247_425:
	s_or_b64 exec, exec, s[2:3]
	v_or_b32_e32 v1, 0x60, v0
	s_movk_i32 s2, 0x70
	v_cmp_gt_u32_e64 s[2:3], s2, v1
	s_and_b64 s[8:9], vcc, s[2:3]
	s_and_saveexec_b64 s[2:3], s[8:9]
	s_cbranch_execz .LBB247_427
; %bb.426:
	v_mov_b32_e32 v1, 0xf0
	v_lshl_add_u32 v1, v0, 2, v1
	ds_read_b32 v1, v1 offset:384
	s_waitcnt lgkmcnt(0)
	v_add_f32_e32 v3, v3, v1
.LBB247_427:
	s_or_b64 exec, exec, s[2:3]
.LBB247_428:
	s_or_b64 exec, exec, s[6:7]
	s_barrier
	s_and_saveexec_b64 s[2:3], s[0:1]
	s_cbranch_execz .LBB247_437
; %bb.429:
	s_mul_i32 s0, s16, s17
	s_mul_i32 s0, s0, s5
	s_mulk_i32 s0, 0x70
	s_ashr_i32 s1, s0, 31
	s_lshl_b64 s[0:1], s[0:1], 1
	s_add_u32 s2, s20, s0
	s_mul_i32 s0, s17, s18
	s_addc_u32 s3, s21, s1
	s_ashr_i32 s1, s0, 31
	s_lshl_b64 s[0:1], s[0:1], 1
	s_add_u32 s2, s2, s0
	s_mul_i32 s0, s4, 0x70
	s_addc_u32 s3, s3, s1
	s_ashr_i32 s1, s0, 31
	s_lshl_b64 s[0:1], s[0:1], 1
	s_add_u32 s2, s2, s0
	s_movk_i32 s5, 0x70
	s_addc_u32 s3, s3, s1
	v_lshlrev_b32_e32 v1, 1, v0
	s_and_saveexec_b64 s[0:1], vcc
	s_cbranch_execz .LBB247_431
; %bb.430:
	;;#ASMSTART
	v_cvt_f16_f32 v4, v4;

	;;#ASMEND
	global_store_short v1, v4, s[2:3]
.LBB247_431:
	s_or_b64 exec, exec, s[0:1]
	v_or_b32_e32 v4, 32, v0
	v_cmp_gt_u32_e64 s[0:1], s5, v4
	s_and_b64 s[4:5], vcc, s[0:1]
	s_and_saveexec_b64 s[0:1], s[4:5]
	s_cbranch_execz .LBB247_433
; %bb.432:
	;;#ASMSTART
	v_cvt_f16_f32 v4, v5;

	;;#ASMEND
	global_store_short v1, v4, s[2:3] offset:64
.LBB247_433:
	s_or_b64 exec, exec, s[0:1]
	v_or_b32_e32 v4, 64, v0
	s_movk_i32 s4, 0x70
	v_cmp_gt_u32_e64 s[0:1], s4, v4
	s_and_b64 s[6:7], vcc, s[0:1]
	s_and_saveexec_b64 s[0:1], s[6:7]
	s_cbranch_execz .LBB247_435
; %bb.434:
	;;#ASMSTART
	v_cvt_f16_f32 v2, v2;

	;;#ASMEND
	global_store_short v1, v2, s[2:3] offset:128
.LBB247_435:
	s_or_b64 exec, exec, s[0:1]
	v_or_b32_e32 v0, 0x60, v0
	v_cmp_gt_u32_e64 s[0:1], s4, v0
	s_and_b64 s[0:1], vcc, s[0:1]
	s_and_b64 exec, exec, s[0:1]
	s_cbranch_execz .LBB247_437
; %bb.436:
	;;#ASMSTART
	v_cvt_f16_f32 v0, v3;

	;;#ASMEND
	global_store_short v1, v0, s[2:3] offset:192
.LBB247_437:
	s_endpgm
	.section	.rodata,"a",@progbits
	.p2align	6, 0x0
	.amdhsa_kernel _ZN4vllm25paged_attention_v1_kernelIthLi112ELi16ELi128ELNS_18Fp8KVCacheDataTypeE1ELb0EEEvPT_PKS2_PKT0_S8_ifPKiSA_iPKfiiiSC_SC_iiiii
		.amdhsa_group_segment_fixed_size 240
		.amdhsa_private_segment_fixed_size 0
		.amdhsa_kernarg_size 384
		.amdhsa_user_sgpr_count 2
		.amdhsa_user_sgpr_dispatch_ptr 0
		.amdhsa_user_sgpr_queue_ptr 0
		.amdhsa_user_sgpr_kernarg_segment_ptr 1
		.amdhsa_user_sgpr_dispatch_id 0
		.amdhsa_user_sgpr_kernarg_preload_length 0
		.amdhsa_user_sgpr_kernarg_preload_offset 0
		.amdhsa_user_sgpr_private_segment_size 0
		.amdhsa_uses_dynamic_stack 0
		.amdhsa_enable_private_segment 0
		.amdhsa_system_sgpr_workgroup_id_x 1
		.amdhsa_system_sgpr_workgroup_id_y 1
		.amdhsa_system_sgpr_workgroup_id_z 1
		.amdhsa_system_sgpr_workgroup_info 0
		.amdhsa_system_vgpr_workitem_id 0
		.amdhsa_next_free_vgpr 59
		.amdhsa_next_free_sgpr 45
		.amdhsa_accum_offset 60
		.amdhsa_reserve_vcc 1
		.amdhsa_float_round_mode_32 0
		.amdhsa_float_round_mode_16_64 0
		.amdhsa_float_denorm_mode_32 3
		.amdhsa_float_denorm_mode_16_64 3
		.amdhsa_dx10_clamp 1
		.amdhsa_ieee_mode 1
		.amdhsa_fp16_overflow 0
		.amdhsa_tg_split 0
		.amdhsa_exception_fp_ieee_invalid_op 0
		.amdhsa_exception_fp_denorm_src 0
		.amdhsa_exception_fp_ieee_div_zero 0
		.amdhsa_exception_fp_ieee_overflow 0
		.amdhsa_exception_fp_ieee_underflow 0
		.amdhsa_exception_fp_ieee_inexact 0
		.amdhsa_exception_int_div_zero 0
	.end_amdhsa_kernel
	.section	.text._ZN4vllm25paged_attention_v1_kernelIthLi112ELi16ELi128ELNS_18Fp8KVCacheDataTypeE1ELb0EEEvPT_PKS2_PKT0_S8_ifPKiSA_iPKfiiiSC_SC_iiiii,"axG",@progbits,_ZN4vllm25paged_attention_v1_kernelIthLi112ELi16ELi128ELNS_18Fp8KVCacheDataTypeE1ELb0EEEvPT_PKS2_PKT0_S8_ifPKiSA_iPKfiiiSC_SC_iiiii,comdat
.Lfunc_end247:
	.size	_ZN4vllm25paged_attention_v1_kernelIthLi112ELi16ELi128ELNS_18Fp8KVCacheDataTypeE1ELb0EEEvPT_PKS2_PKT0_S8_ifPKiSA_iPKfiiiSC_SC_iiiii, .Lfunc_end247-_ZN4vllm25paged_attention_v1_kernelIthLi112ELi16ELi128ELNS_18Fp8KVCacheDataTypeE1ELb0EEEvPT_PKS2_PKT0_S8_ifPKiSA_iPKfiiiSC_SC_iiiii
                                        ; -- End function
	.set _ZN4vllm25paged_attention_v1_kernelIthLi112ELi16ELi128ELNS_18Fp8KVCacheDataTypeE1ELb0EEEvPT_PKS2_PKT0_S8_ifPKiSA_iPKfiiiSC_SC_iiiii.num_vgpr, 59
	.set _ZN4vllm25paged_attention_v1_kernelIthLi112ELi16ELi128ELNS_18Fp8KVCacheDataTypeE1ELb0EEEvPT_PKS2_PKT0_S8_ifPKiSA_iPKfiiiSC_SC_iiiii.num_agpr, 0
	.set _ZN4vllm25paged_attention_v1_kernelIthLi112ELi16ELi128ELNS_18Fp8KVCacheDataTypeE1ELb0EEEvPT_PKS2_PKT0_S8_ifPKiSA_iPKfiiiSC_SC_iiiii.numbered_sgpr, 45
	.set _ZN4vllm25paged_attention_v1_kernelIthLi112ELi16ELi128ELNS_18Fp8KVCacheDataTypeE1ELb0EEEvPT_PKS2_PKT0_S8_ifPKiSA_iPKfiiiSC_SC_iiiii.num_named_barrier, 0
	.set _ZN4vllm25paged_attention_v1_kernelIthLi112ELi16ELi128ELNS_18Fp8KVCacheDataTypeE1ELb0EEEvPT_PKS2_PKT0_S8_ifPKiSA_iPKfiiiSC_SC_iiiii.private_seg_size, 0
	.set _ZN4vllm25paged_attention_v1_kernelIthLi112ELi16ELi128ELNS_18Fp8KVCacheDataTypeE1ELb0EEEvPT_PKS2_PKT0_S8_ifPKiSA_iPKfiiiSC_SC_iiiii.uses_vcc, 1
	.set _ZN4vllm25paged_attention_v1_kernelIthLi112ELi16ELi128ELNS_18Fp8KVCacheDataTypeE1ELb0EEEvPT_PKS2_PKT0_S8_ifPKiSA_iPKfiiiSC_SC_iiiii.uses_flat_scratch, 0
	.set _ZN4vllm25paged_attention_v1_kernelIthLi112ELi16ELi128ELNS_18Fp8KVCacheDataTypeE1ELb0EEEvPT_PKS2_PKT0_S8_ifPKiSA_iPKfiiiSC_SC_iiiii.has_dyn_sized_stack, 0
	.set _ZN4vllm25paged_attention_v1_kernelIthLi112ELi16ELi128ELNS_18Fp8KVCacheDataTypeE1ELb0EEEvPT_PKS2_PKT0_S8_ifPKiSA_iPKfiiiSC_SC_iiiii.has_recursion, 0
	.set _ZN4vllm25paged_attention_v1_kernelIthLi112ELi16ELi128ELNS_18Fp8KVCacheDataTypeE1ELb0EEEvPT_PKS2_PKT0_S8_ifPKiSA_iPKfiiiSC_SC_iiiii.has_indirect_call, 0
	.section	.AMDGPU.csdata,"",@progbits
; Kernel info:
; codeLenInByte = 19388
; TotalNumSgprs: 51
; NumVgprs: 59
; NumAgprs: 0
; TotalNumVgprs: 59
; ScratchSize: 0
; MemoryBound: 0
; FloatMode: 240
; IeeeMode: 1
; LDSByteSize: 240 bytes/workgroup (compile time only)
; SGPRBlocks: 6
; VGPRBlocks: 7
; NumSGPRsForWavesPerEU: 51
; NumVGPRsForWavesPerEU: 59
; AccumOffset: 60
; Occupancy: 8
; WaveLimiterHint : 1
; COMPUTE_PGM_RSRC2:SCRATCH_EN: 0
; COMPUTE_PGM_RSRC2:USER_SGPR: 2
; COMPUTE_PGM_RSRC2:TRAP_HANDLER: 0
; COMPUTE_PGM_RSRC2:TGID_X_EN: 1
; COMPUTE_PGM_RSRC2:TGID_Y_EN: 1
; COMPUTE_PGM_RSRC2:TGID_Z_EN: 1
; COMPUTE_PGM_RSRC2:TIDIG_COMP_CNT: 0
; COMPUTE_PGM_RSRC3_GFX90A:ACCUM_OFFSET: 14
; COMPUTE_PGM_RSRC3_GFX90A:TG_SPLIT: 0
	.section	.text._ZN4vllm25paged_attention_v1_kernelIthLi120ELi16ELi128ELNS_18Fp8KVCacheDataTypeE1ELb0EEEvPT_PKS2_PKT0_S8_ifPKiSA_iPKfiiiSC_SC_iiiii,"axG",@progbits,_ZN4vllm25paged_attention_v1_kernelIthLi120ELi16ELi128ELNS_18Fp8KVCacheDataTypeE1ELb0EEEvPT_PKS2_PKT0_S8_ifPKiSA_iPKfiiiSC_SC_iiiii,comdat
	.protected	_ZN4vllm25paged_attention_v1_kernelIthLi120ELi16ELi128ELNS_18Fp8KVCacheDataTypeE1ELb0EEEvPT_PKS2_PKT0_S8_ifPKiSA_iPKfiiiSC_SC_iiiii ; -- Begin function _ZN4vllm25paged_attention_v1_kernelIthLi120ELi16ELi128ELNS_18Fp8KVCacheDataTypeE1ELb0EEEvPT_PKS2_PKT0_S8_ifPKiSA_iPKfiiiSC_SC_iiiii
	.globl	_ZN4vllm25paged_attention_v1_kernelIthLi120ELi16ELi128ELNS_18Fp8KVCacheDataTypeE1ELb0EEEvPT_PKS2_PKT0_S8_ifPKiSA_iPKfiiiSC_SC_iiiii
	.p2align	8
	.type	_ZN4vllm25paged_attention_v1_kernelIthLi120ELi16ELi128ELNS_18Fp8KVCacheDataTypeE1ELb0EEEvPT_PKS2_PKT0_S8_ifPKiSA_iPKfiiiSC_SC_iiiii,@function
_ZN4vllm25paged_attention_v1_kernelIthLi120ELi16ELi128ELNS_18Fp8KVCacheDataTypeE1ELb0EEEvPT_PKS2_PKT0_S8_ifPKiSA_iPKfiiiSC_SC_iiiii: ; @_ZN4vllm25paged_attention_v1_kernelIthLi120ELi16ELi128ELNS_18Fp8KVCacheDataTypeE1ELb0EEEvPT_PKS2_PKT0_S8_ifPKiSA_iPKfiiiSC_SC_iiiii
; %bb.0:
	s_load_dword s5, s[0:1], 0x80
	s_load_dwordx2 s[6:7], s[0:1], 0x30
	s_load_dwordx2 s[28:29], s[0:1], 0x20
	s_mov_b32 s16, s3
	s_ashr_i32 s17, s3, 31
	s_lshl_b64 s[8:9], s[16:17], 2
	s_waitcnt lgkmcnt(0)
	s_add_u32 s6, s6, s8
	s_addc_u32 s7, s7, s9
	s_abs_i32 s3, s28
	v_cvt_f32_u32_e32 v1, s3
	s_sub_i32 s10, 0, s3
	s_abs_i32 s9, s5
	s_xor_b32 s8, s5, s28
	v_rcp_iflag_f32_e32 v1, v1
	s_ashr_i32 s8, s8, 31
	s_mov_b32 s28, 0
	v_mul_f32_e32 v1, 0x4f7ffffe, v1
	v_cvt_u32_f32_e32 v1, v1
	s_nop 0
	v_readfirstlane_b32 s11, v1
	s_mul_i32 s10, s10, s11
	s_mul_hi_u32 s10, s11, s10
	s_add_i32 s11, s11, s10
	s_mul_hi_u32 s10, s9, s11
	s_mul_i32 s11, s10, s3
	s_sub_i32 s9, s9, s11
	s_add_i32 s11, s10, 1
	s_sub_i32 s12, s9, s3
	s_cmp_ge_u32 s9, s3
	s_cselect_b32 s10, s11, s10
	s_cselect_b32 s9, s12, s9
	s_add_i32 s11, s10, 1
	s_cmp_ge_u32 s9, s3
	s_cselect_b32 s3, s11, s10
	s_xor_b32 s3, s3, s8
	s_sub_i32 s18, s3, s8
	s_abs_i32 s10, s18
	v_cvt_f32_u32_e32 v1, s10
	s_load_dwordx2 s[8:9], s[0:1], 0x40
	s_sub_i32 s3, 0, s10
	s_abs_i32 s11, s2
	v_rcp_iflag_f32_e32 v1, v1
	s_nop 0
	v_mul_f32_e32 v1, 0x4f7ffffe, v1
	v_cvt_u32_f32_e32 v1, v1
	s_nop 0
	v_readfirstlane_b32 s12, v1
	s_mul_i32 s3, s3, s12
	s_mul_hi_u32 s3, s12, s3
	s_add_i32 s12, s12, s3
	s_waitcnt lgkmcnt(0)
	s_cmp_eq_u64 s[8:9], 0
	s_mul_hi_u32 s17, s11, s12
	s_cbranch_scc1 .LBB248_2
; %bb.1:
	s_ashr_i32 s3, s2, 31
	s_lshl_b64 s[12:13], s[2:3], 2
	s_add_u32 s8, s8, s12
	s_addc_u32 s9, s9, s13
	s_load_dword s28, s[8:9], 0x0
.LBB248_2:
	s_load_dword s33, s[6:7], 0x0
	s_load_dwordx4 s[12:15], s[0:1], 0x48
	s_ashr_i32 s6, s2, 31
	s_ashr_i32 s7, s18, 31
	v_and_b32_e32 v4, 3, v0
	s_mul_i32 s18, s2, 0x78
	v_cmp_gt_u32_e32 vcc, 60, v0
	s_and_saveexec_b64 s[2:3], vcc
	s_cbranch_execz .LBB248_4
; %bb.3:
	s_load_dwordx2 s[8:9], s[0:1], 0x8
	s_waitcnt lgkmcnt(0)
	s_mul_i32 s20, s12, s16
	s_ashr_i32 s21, s20, 31
	s_lshl_b64 s[20:21], s[20:21], 1
	v_lshlrev_b32_e32 v1, 2, v0
	s_add_u32 s12, s8, s20
	s_addc_u32 s15, s9, s21
	s_ashr_i32 s19, s18, 31
	s_lshl_b64 s[8:9], s[18:19], 1
	s_add_u32 s8, s12, s8
	s_addc_u32 s9, s15, s9
	global_load_dword v1, v1, s[8:9]
	v_and_b32_e32 v2, 0x3fc, v0
	v_mad_u32_u24 v2, v4, 60, v2
	s_waitcnt vmcnt(0)
	ds_write_b32 v2, v1
.LBB248_4:
	s_or_b64 exec, exec, s[2:3]
	s_waitcnt lgkmcnt(0)
	s_add_i32 s3, s33, 15
	s_ashr_i32 s8, s3, 31
	s_lshr_b32 s8, s8, 28
	s_add_i32 s3, s3, s8
	s_ashr_i32 s19, s3, 4
	s_xor_b32 s3, s6, s7
	s_mul_i32 s6, s17, s10
	s_sub_i32 s6, s11, s6
	s_add_i32 s7, s17, 1
	s_sub_i32 s8, s6, s10
	s_load_dwordx2 s[22:23], s[0:1], 0x28
	s_load_dword s2, s[0:1], 0x38
	s_cmp_ge_u32 s6, s10
	s_cselect_b32 s7, s7, s17
	s_cselect_b32 s6, s8, s6
	s_add_i32 s8, s7, 1
	s_cmp_ge_u32 s6, s10
	s_cselect_b32 s6, s8, s7
	v_lshrrev_b32_e32 v30, 6, v0
	s_xor_b32 s6, s6, s3
	s_waitcnt lgkmcnt(0)
	s_mul_i32 s24, s2, s16
	s_sub_i32 s12, s6, s3
	s_ashr_i32 s25, s24, 31
	v_cmp_le_i32_e64 s[6:7], s19, v30
	v_mbcnt_lo_u32_b32 v9, -1, 0
	s_barrier
                                        ; implicit-def: $vgpr10
                                        ; implicit-def: $vgpr8
                                        ; implicit-def: $vgpr2
	s_and_saveexec_b64 s[2:3], s[6:7]
	s_xor_b64 s[2:3], exec, s[2:3]
; %bb.5:
	v_mbcnt_hi_u32_b32 v10, -1, v9
	v_and_b32_e32 v8, 64, v10
	v_add_u32_e32 v2, 64, v8
                                        ; implicit-def: $vgpr4
                                        ; implicit-def: $vgpr9
; %bb.6:
	s_or_saveexec_b64 s[30:31], s[2:3]
	s_load_dwordx2 s[20:21], s[0:1], 0x0
	s_load_dwordx2 s[26:27], s[0:1], 0x18
	s_load_dword s17, s[0:1], 0x88
	s_load_dwordx4 s[8:11], s[0:1], 0x58
	v_mov_b32_e32 v11, 0xff7fffff
	s_mul_i32 s12, s12, s14
	v_lshrrev_b32_e32 v1, 4, v0
	s_xor_b64 exec, exec, s[30:31]
	s_cbranch_execz .LBB248_192
; %bb.7:
	s_load_dwordx2 s[0:1], s[0:1], 0x10
	s_ashr_i32 s2, s12, 31
	v_bfe_u32 v8, v0, 2, 4
	v_lshlrev_b32_e32 v2, 4, v8
	v_mov_b32_e32 v3, 0
	s_waitcnt lgkmcnt(0)
	s_add_u32 s0, s0, s12
	s_addc_u32 s1, s1, s2
	v_lshl_add_u64 v[6:7], s[0:1], 0, v[2:3]
	v_lshlrev_b32_e32 v2, 1, v4
	v_mul_u32_u24_e32 v12, 60, v4
	v_cmp_eq_u32_e32 vcc, 0, v4
	v_lshl_add_u64 v[4:5], v[6:7], 0, v[2:3]
	s_sub_i32 s41, 1, s33
	v_lshlrev_b32_e32 v2, 2, v8
	s_lshl_b64 s[0:1], s[24:25], 2
	v_lshl_or_b32 v2, v30, 6, v2
	s_add_u32 s0, s22, s0
	v_add_u32_e32 v14, 0x100, v2
	v_and_b32_e32 v2, 60, v1
	s_addc_u32 s1, s23, s1
	s_mov_b32 s40, s13
	v_cmp_neq_f32_e64 s[2:3], s28, 0
	v_lshl_or_b32 v13, v30, 4, v8
	v_lshl_add_u64 v[6:7], s[0:1], 0, v[2:3]
	v_mov_b32_e32 v11, 0xff7fffff
	s_mov_b64 s[14:15], 0
	s_movk_i32 s42, 0x80
	s_movk_i32 s43, 0x7f
	s_mov_b32 s44, 0x8000
	v_mbcnt_hi_u32_b32 v10, -1, v9
	v_mov_b32_e32 v15, 0x2000
	v_mov_b32_e32 v16, v30
	s_branch .LBB248_9
.LBB248_8:                              ;   in Loop: Header=BB248_9 Depth=1
	s_or_b64 exec, exec, s[34:35]
	v_add_u32_e32 v16, 2, v16
	v_cmp_le_i32_e64 s[0:1], s19, v16
	v_add_u32_e32 v13, 32, v13
	v_add_u32_e32 v14, 0x80, v14
	s_or_b64 s[14:15], s[0:1], s[14:15]
	v_lshl_add_u64 v[6:7], v[6:7], 0, 8
	s_andn2_b64 exec, exec, s[14:15]
	s_cbranch_execz .LBB248_191
.LBB248_9:                              ; =>This Inner Loop Header: Depth=1
	global_load_dword v2, v[6:7], off
	s_waitcnt vmcnt(0)
	v_mad_i64_i32 v[8:9], s[0:1], v2, s40, v[4:5]
	global_load_ushort v18, v[8:9], off
	s_waitcnt lgkmcnt(0)
	global_load_dword v17, v3, s[8:9]
	s_waitcnt vmcnt(1)
	v_and_b32_e32 v2, 0xffff, v18
	v_cmp_ne_u16_sdwa s[0:1], v18, v3 src0_sel:BYTE_0 src1_sel:DWORD
	v_mov_b32_e32 v18, 0
	s_and_saveexec_b64 s[34:35], s[0:1]
	s_cbranch_execz .LBB248_15
; %bb.10:                               ;   in Loop: Header=BB248_9 Depth=1
	v_cmp_ne_u16_sdwa s[0:1], v2, s42 src0_sel:BYTE_0 src1_sel:DWORD
	v_mov_b32_e32 v18, 0x8000
	s_and_saveexec_b64 s[36:37], s[0:1]
	s_cbranch_execz .LBB248_14
; %bb.11:                               ;   in Loop: Header=BB248_9 Depth=1
	v_and_b32_e32 v19, 0x7f, v2
	v_cmp_ne_u32_e64 s[0:1], s43, v19
	v_mov_b32_e32 v18, 0x7c01
	s_and_saveexec_b64 s[38:39], s[0:1]
	s_cbranch_execz .LBB248_13
; %bb.12:                               ;   in Loop: Header=BB248_9 Depth=1
	v_and_b32_e32 v18, 7, v2
	v_ffbh_u32_e32 v20, v18
	v_min_u32_e32 v23, 32, v20
	v_subrev_u32_e32 v20, 28, v23
	v_lshlrev_b64 v[20:21], v20, v[2:3]
	v_lshrrev_b32_e32 v22, 3, v19
	v_sub_u32_e32 v21, 29, v23
	v_cmp_gt_u32_e64 s[0:1], 8, v19
	v_and_b32_e32 v20, 7, v20
	s_nop 0
	v_cndmask_b32_e64 v19, v22, v21, s[0:1]
	v_lshl_add_u32 v19, v19, 10, v15
	v_lshlrev_b32_e32 v21, 8, v2
	v_and_b32_e32 v19, 0xfc00, v19
	v_cndmask_b32_e64 v18, v18, v20, s[0:1]
	v_and_or_b32 v19, v21, s44, v19
	v_lshl_or_b32 v18, v18, 7, v19
.LBB248_13:                             ;   in Loop: Header=BB248_9 Depth=1
	s_or_b64 exec, exec, s[38:39]
.LBB248_14:                             ;   in Loop: Header=BB248_9 Depth=1
	s_or_b64 exec, exec, s[36:37]
.LBB248_15:                             ;   in Loop: Header=BB248_9 Depth=1
	s_or_b64 exec, exec, s[34:35]
	v_lshrrev_b16_e32 v2, 8, v2
	v_cmp_ne_u16_e64 s[0:1], 0, v2
	v_mov_b32_e32 v19, 0
	v_mov_b32_e32 v20, 0
	s_and_saveexec_b64 s[34:35], s[0:1]
	s_cbranch_execz .LBB248_21
; %bb.16:                               ;   in Loop: Header=BB248_9 Depth=1
	v_cmp_ne_u16_e64 s[0:1], s42, v2
	v_bfrev_b32_e32 v20, 1
	s_and_saveexec_b64 s[36:37], s[0:1]
	s_cbranch_execz .LBB248_20
; %bb.17:                               ;   in Loop: Header=BB248_9 Depth=1
	v_and_b32_e32 v21, 0x7f, v2
	v_cmp_ne_u32_e64 s[0:1], s43, v21
	v_mov_b32_e32 v20, 0x7c010000
	s_and_saveexec_b64 s[38:39], s[0:1]
	s_cbranch_execz .LBB248_19
; %bb.18:                               ;   in Loop: Header=BB248_9 Depth=1
	v_and_b32_e32 v20, 7, v2
	v_ffbh_u32_e32 v22, v20
	v_min_u32_e32 v25, 32, v22
	v_subrev_u32_e32 v22, 28, v25
	v_lshlrev_b64 v[22:23], v22, v[2:3]
	v_lshrrev_b32_e32 v24, 3, v21
	v_sub_u32_e32 v23, 29, v25
	v_cmp_gt_u32_e64 s[0:1], 8, v21
	v_lshlrev_b32_e32 v2, 8, v2
	v_and_b32_e32 v22, 7, v22
	v_cndmask_b32_e64 v21, v24, v23, s[0:1]
	v_lshl_add_u32 v21, v21, 10, v15
	v_and_or_b32 v2, v2, s44, v21
	v_cndmask_b32_e64 v20, v20, v22, s[0:1]
	v_lshlrev_b32_e32 v2, 16, v2
	v_lshl_or_b32 v20, v20, 23, v2
.LBB248_19:                             ;   in Loop: Header=BB248_9 Depth=1
	s_or_b64 exec, exec, s[38:39]
.LBB248_20:                             ;   in Loop: Header=BB248_9 Depth=1
	s_or_b64 exec, exec, s[36:37]
.LBB248_21:                             ;   in Loop: Header=BB248_9 Depth=1
	s_or_b64 exec, exec, s[34:35]
	global_load_ushort v21, v[8:9], off offset:8
	s_waitcnt vmcnt(0)
	v_and_b32_e32 v2, 0xffff, v21
	v_cmp_ne_u16_sdwa s[0:1], v21, v3 src0_sel:BYTE_0 src1_sel:DWORD
	s_and_saveexec_b64 s[34:35], s[0:1]
	s_cbranch_execz .LBB248_27
; %bb.22:                               ;   in Loop: Header=BB248_9 Depth=1
	v_cmp_ne_u16_sdwa s[0:1], v2, s42 src0_sel:BYTE_0 src1_sel:DWORD
	v_mov_b32_e32 v19, 0x8000
	s_and_saveexec_b64 s[36:37], s[0:1]
	s_cbranch_execz .LBB248_26
; %bb.23:                               ;   in Loop: Header=BB248_9 Depth=1
	v_and_b32_e32 v21, 0x7f, v2
	v_cmp_ne_u32_e64 s[0:1], s43, v21
	v_mov_b32_e32 v19, 0x7c01
	s_and_saveexec_b64 s[38:39], s[0:1]
	s_cbranch_execz .LBB248_25
; %bb.24:                               ;   in Loop: Header=BB248_9 Depth=1
	v_and_b32_e32 v19, 7, v2
	v_ffbh_u32_e32 v22, v19
	v_min_u32_e32 v25, 32, v22
	v_subrev_u32_e32 v22, 28, v25
	v_lshlrev_b64 v[22:23], v22, v[2:3]
	v_lshrrev_b32_e32 v24, 3, v21
	v_sub_u32_e32 v23, 29, v25
	v_cmp_gt_u32_e64 s[0:1], 8, v21
	v_and_b32_e32 v22, 7, v22
	s_nop 0
	v_cndmask_b32_e64 v21, v24, v23, s[0:1]
	v_lshl_add_u32 v21, v21, 10, v15
	v_lshlrev_b32_e32 v23, 8, v2
	v_and_b32_e32 v21, 0xfc00, v21
	v_cndmask_b32_e64 v19, v19, v22, s[0:1]
	v_and_or_b32 v21, v23, s44, v21
	v_lshl_or_b32 v19, v19, 7, v21
.LBB248_25:                             ;   in Loop: Header=BB248_9 Depth=1
	s_or_b64 exec, exec, s[38:39]
.LBB248_26:                             ;   in Loop: Header=BB248_9 Depth=1
	s_or_b64 exec, exec, s[36:37]
.LBB248_27:                             ;   in Loop: Header=BB248_9 Depth=1
	s_or_b64 exec, exec, s[34:35]
	v_lshrrev_b16_e32 v2, 8, v2
	v_cmp_ne_u16_e64 s[0:1], 0, v2
	v_mov_b32_e32 v21, 0
	v_mov_b32_e32 v22, 0
	s_and_saveexec_b64 s[34:35], s[0:1]
	s_cbranch_execz .LBB248_33
; %bb.28:                               ;   in Loop: Header=BB248_9 Depth=1
	v_cmp_ne_u16_e64 s[0:1], s42, v2
	v_bfrev_b32_e32 v22, 1
	s_and_saveexec_b64 s[36:37], s[0:1]
	s_cbranch_execz .LBB248_32
; %bb.29:                               ;   in Loop: Header=BB248_9 Depth=1
	v_and_b32_e32 v23, 0x7f, v2
	v_cmp_ne_u32_e64 s[0:1], s43, v23
	v_mov_b32_e32 v22, 0x7c010000
	s_and_saveexec_b64 s[38:39], s[0:1]
	s_cbranch_execz .LBB248_31
; %bb.30:                               ;   in Loop: Header=BB248_9 Depth=1
	v_and_b32_e32 v22, 7, v2
	v_ffbh_u32_e32 v24, v22
	v_min_u32_e32 v27, 32, v24
	v_subrev_u32_e32 v24, 28, v27
	v_lshlrev_b64 v[24:25], v24, v[2:3]
	v_lshrrev_b32_e32 v26, 3, v23
	v_sub_u32_e32 v25, 29, v27
	v_cmp_gt_u32_e64 s[0:1], 8, v23
	v_lshlrev_b32_e32 v2, 8, v2
	v_and_b32_e32 v24, 7, v24
	v_cndmask_b32_e64 v23, v26, v25, s[0:1]
	v_lshl_add_u32 v23, v23, 10, v15
	v_and_or_b32 v2, v2, s44, v23
	v_cndmask_b32_e64 v22, v22, v24, s[0:1]
	v_lshlrev_b32_e32 v2, 16, v2
	v_lshl_or_b32 v22, v22, 23, v2
.LBB248_31:                             ;   in Loop: Header=BB248_9 Depth=1
	s_or_b64 exec, exec, s[38:39]
.LBB248_32:                             ;   in Loop: Header=BB248_9 Depth=1
	s_or_b64 exec, exec, s[36:37]
.LBB248_33:                             ;   in Loop: Header=BB248_9 Depth=1
	s_or_b64 exec, exec, s[34:35]
	global_load_ushort v23, v[8:9], off offset:256
	s_waitcnt vmcnt(0)
	v_and_b32_e32 v2, 0xffff, v23
	v_cmp_ne_u16_sdwa s[0:1], v23, v3 src0_sel:BYTE_0 src1_sel:DWORD
	s_and_saveexec_b64 s[34:35], s[0:1]
	s_cbranch_execz .LBB248_39
; %bb.34:                               ;   in Loop: Header=BB248_9 Depth=1
	v_cmp_ne_u16_sdwa s[0:1], v2, s42 src0_sel:BYTE_0 src1_sel:DWORD
	v_mov_b32_e32 v21, 0x8000
	s_and_saveexec_b64 s[36:37], s[0:1]
	s_cbranch_execz .LBB248_38
; %bb.35:                               ;   in Loop: Header=BB248_9 Depth=1
	v_and_b32_e32 v23, 0x7f, v2
	v_cmp_ne_u32_e64 s[0:1], s43, v23
	v_mov_b32_e32 v21, 0x7c01
	s_and_saveexec_b64 s[38:39], s[0:1]
	s_cbranch_execz .LBB248_37
; %bb.36:                               ;   in Loop: Header=BB248_9 Depth=1
	v_and_b32_e32 v21, 7, v2
	v_ffbh_u32_e32 v24, v21
	v_min_u32_e32 v27, 32, v24
	v_subrev_u32_e32 v24, 28, v27
	v_lshlrev_b64 v[24:25], v24, v[2:3]
	v_lshrrev_b32_e32 v26, 3, v23
	v_sub_u32_e32 v25, 29, v27
	v_cmp_gt_u32_e64 s[0:1], 8, v23
	v_and_b32_e32 v24, 7, v24
	s_nop 0
	v_cndmask_b32_e64 v23, v26, v25, s[0:1]
	v_lshl_add_u32 v23, v23, 10, v15
	v_lshlrev_b32_e32 v25, 8, v2
	v_and_b32_e32 v23, 0xfc00, v23
	v_cndmask_b32_e64 v21, v21, v24, s[0:1]
	v_and_or_b32 v23, v25, s44, v23
	v_lshl_or_b32 v21, v21, 7, v23
.LBB248_37:                             ;   in Loop: Header=BB248_9 Depth=1
	s_or_b64 exec, exec, s[38:39]
.LBB248_38:                             ;   in Loop: Header=BB248_9 Depth=1
	s_or_b64 exec, exec, s[36:37]
.LBB248_39:                             ;   in Loop: Header=BB248_9 Depth=1
	s_or_b64 exec, exec, s[34:35]
	v_lshrrev_b16_e32 v2, 8, v2
	v_cmp_ne_u16_e64 s[0:1], 0, v2
	v_mov_b32_e32 v23, 0
	v_mov_b32_e32 v24, 0
	s_and_saveexec_b64 s[34:35], s[0:1]
	s_cbranch_execz .LBB248_45
; %bb.40:                               ;   in Loop: Header=BB248_9 Depth=1
	v_cmp_ne_u16_e64 s[0:1], s42, v2
	v_bfrev_b32_e32 v24, 1
	s_and_saveexec_b64 s[36:37], s[0:1]
	s_cbranch_execz .LBB248_44
; %bb.41:                               ;   in Loop: Header=BB248_9 Depth=1
	v_and_b32_e32 v25, 0x7f, v2
	v_cmp_ne_u32_e64 s[0:1], s43, v25
	v_mov_b32_e32 v24, 0x7c010000
	s_and_saveexec_b64 s[38:39], s[0:1]
	s_cbranch_execz .LBB248_43
; %bb.42:                               ;   in Loop: Header=BB248_9 Depth=1
	v_and_b32_e32 v24, 7, v2
	v_ffbh_u32_e32 v26, v24
	v_min_u32_e32 v29, 32, v26
	v_subrev_u32_e32 v26, 28, v29
	v_lshlrev_b64 v[26:27], v26, v[2:3]
	v_lshrrev_b32_e32 v28, 3, v25
	v_sub_u32_e32 v27, 29, v29
	v_cmp_gt_u32_e64 s[0:1], 8, v25
	v_lshlrev_b32_e32 v2, 8, v2
	v_and_b32_e32 v26, 7, v26
	v_cndmask_b32_e64 v25, v28, v27, s[0:1]
	v_lshl_add_u32 v25, v25, 10, v15
	v_and_or_b32 v2, v2, s44, v25
	v_cndmask_b32_e64 v24, v24, v26, s[0:1]
	v_lshlrev_b32_e32 v2, 16, v2
	v_lshl_or_b32 v24, v24, 23, v2
.LBB248_43:                             ;   in Loop: Header=BB248_9 Depth=1
	s_or_b64 exec, exec, s[38:39]
.LBB248_44:                             ;   in Loop: Header=BB248_9 Depth=1
	s_or_b64 exec, exec, s[36:37]
.LBB248_45:                             ;   in Loop: Header=BB248_9 Depth=1
	s_or_b64 exec, exec, s[34:35]
	global_load_ushort v25, v[8:9], off offset:264
	s_waitcnt vmcnt(0)
	v_and_b32_e32 v2, 0xffff, v25
	v_cmp_ne_u16_sdwa s[0:1], v25, v3 src0_sel:BYTE_0 src1_sel:DWORD
	s_and_saveexec_b64 s[34:35], s[0:1]
	s_cbranch_execz .LBB248_51
; %bb.46:                               ;   in Loop: Header=BB248_9 Depth=1
	v_cmp_ne_u16_sdwa s[0:1], v2, s42 src0_sel:BYTE_0 src1_sel:DWORD
	v_mov_b32_e32 v23, 0x8000
	s_and_saveexec_b64 s[36:37], s[0:1]
	s_cbranch_execz .LBB248_50
; %bb.47:                               ;   in Loop: Header=BB248_9 Depth=1
	v_and_b32_e32 v25, 0x7f, v2
	v_cmp_ne_u32_e64 s[0:1], s43, v25
	v_mov_b32_e32 v23, 0x7c01
	s_and_saveexec_b64 s[38:39], s[0:1]
	s_cbranch_execz .LBB248_49
; %bb.48:                               ;   in Loop: Header=BB248_9 Depth=1
	v_and_b32_e32 v23, 7, v2
	v_ffbh_u32_e32 v26, v23
	v_min_u32_e32 v29, 32, v26
	v_subrev_u32_e32 v26, 28, v29
	v_lshlrev_b64 v[26:27], v26, v[2:3]
	v_lshrrev_b32_e32 v28, 3, v25
	v_sub_u32_e32 v27, 29, v29
	v_cmp_gt_u32_e64 s[0:1], 8, v25
	v_and_b32_e32 v26, 7, v26
	s_nop 0
	v_cndmask_b32_e64 v25, v28, v27, s[0:1]
	v_lshl_add_u32 v25, v25, 10, v15
	v_lshlrev_b32_e32 v27, 8, v2
	v_and_b32_e32 v25, 0xfc00, v25
	v_cndmask_b32_e64 v23, v23, v26, s[0:1]
	v_and_or_b32 v25, v27, s44, v25
	v_lshl_or_b32 v23, v23, 7, v25
.LBB248_49:                             ;   in Loop: Header=BB248_9 Depth=1
	s_or_b64 exec, exec, s[38:39]
.LBB248_50:                             ;   in Loop: Header=BB248_9 Depth=1
	s_or_b64 exec, exec, s[36:37]
.LBB248_51:                             ;   in Loop: Header=BB248_9 Depth=1
	s_or_b64 exec, exec, s[34:35]
	v_lshrrev_b16_e32 v2, 8, v2
	v_cmp_ne_u16_e64 s[0:1], 0, v2
	v_mov_b32_e32 v25, 0
	v_mov_b32_e32 v26, 0
	s_and_saveexec_b64 s[34:35], s[0:1]
	s_cbranch_execz .LBB248_57
; %bb.52:                               ;   in Loop: Header=BB248_9 Depth=1
	v_cmp_ne_u16_e64 s[0:1], s42, v2
	v_bfrev_b32_e32 v26, 1
	s_and_saveexec_b64 s[36:37], s[0:1]
	s_cbranch_execz .LBB248_56
; %bb.53:                               ;   in Loop: Header=BB248_9 Depth=1
	v_and_b32_e32 v27, 0x7f, v2
	v_cmp_ne_u32_e64 s[0:1], s43, v27
	v_mov_b32_e32 v26, 0x7c010000
	s_and_saveexec_b64 s[38:39], s[0:1]
	s_cbranch_execz .LBB248_55
; %bb.54:                               ;   in Loop: Header=BB248_9 Depth=1
	v_and_b32_e32 v26, 7, v2
	v_ffbh_u32_e32 v28, v26
	v_min_u32_e32 v32, 32, v28
	v_subrev_u32_e32 v28, 28, v32
	v_lshlrev_b64 v[28:29], v28, v[2:3]
	v_lshrrev_b32_e32 v31, 3, v27
	v_sub_u32_e32 v29, 29, v32
	v_cmp_gt_u32_e64 s[0:1], 8, v27
	v_lshlrev_b32_e32 v2, 8, v2
	v_and_b32_e32 v28, 7, v28
	v_cndmask_b32_e64 v27, v31, v29, s[0:1]
	v_lshl_add_u32 v27, v27, 10, v15
	v_and_or_b32 v2, v2, s44, v27
	v_cndmask_b32_e64 v26, v26, v28, s[0:1]
	v_lshlrev_b32_e32 v2, 16, v2
	v_lshl_or_b32 v26, v26, 23, v2
.LBB248_55:                             ;   in Loop: Header=BB248_9 Depth=1
	s_or_b64 exec, exec, s[38:39]
.LBB248_56:                             ;   in Loop: Header=BB248_9 Depth=1
	s_or_b64 exec, exec, s[36:37]
.LBB248_57:                             ;   in Loop: Header=BB248_9 Depth=1
	s_or_b64 exec, exec, s[34:35]
	global_load_ushort v27, v[8:9], off offset:512
	s_waitcnt vmcnt(0)
	v_and_b32_e32 v2, 0xffff, v27
	v_cmp_ne_u16_sdwa s[0:1], v27, v3 src0_sel:BYTE_0 src1_sel:DWORD
	s_and_saveexec_b64 s[34:35], s[0:1]
	s_cbranch_execz .LBB248_63
; %bb.58:                               ;   in Loop: Header=BB248_9 Depth=1
	v_cmp_ne_u16_sdwa s[0:1], v2, s42 src0_sel:BYTE_0 src1_sel:DWORD
	v_mov_b32_e32 v25, 0x8000
	s_and_saveexec_b64 s[36:37], s[0:1]
	s_cbranch_execz .LBB248_62
; %bb.59:                               ;   in Loop: Header=BB248_9 Depth=1
	v_and_b32_e32 v27, 0x7f, v2
	v_cmp_ne_u32_e64 s[0:1], s43, v27
	v_mov_b32_e32 v25, 0x7c01
	s_and_saveexec_b64 s[38:39], s[0:1]
	s_cbranch_execz .LBB248_61
; %bb.60:                               ;   in Loop: Header=BB248_9 Depth=1
	v_and_b32_e32 v25, 7, v2
	v_ffbh_u32_e32 v28, v25
	v_min_u32_e32 v32, 32, v28
	v_subrev_u32_e32 v28, 28, v32
	v_lshlrev_b64 v[28:29], v28, v[2:3]
	v_lshrrev_b32_e32 v31, 3, v27
	v_sub_u32_e32 v29, 29, v32
	v_cmp_gt_u32_e64 s[0:1], 8, v27
	v_and_b32_e32 v28, 7, v28
	s_nop 0
	v_cndmask_b32_e64 v27, v31, v29, s[0:1]
	v_lshl_add_u32 v27, v27, 10, v15
	v_lshlrev_b32_e32 v29, 8, v2
	v_and_b32_e32 v27, 0xfc00, v27
	v_cndmask_b32_e64 v25, v25, v28, s[0:1]
	v_and_or_b32 v27, v29, s44, v27
	v_lshl_or_b32 v25, v25, 7, v27
.LBB248_61:                             ;   in Loop: Header=BB248_9 Depth=1
	s_or_b64 exec, exec, s[38:39]
.LBB248_62:                             ;   in Loop: Header=BB248_9 Depth=1
	s_or_b64 exec, exec, s[36:37]
.LBB248_63:                             ;   in Loop: Header=BB248_9 Depth=1
	s_or_b64 exec, exec, s[34:35]
	v_lshrrev_b16_e32 v2, 8, v2
	v_cmp_ne_u16_e64 s[0:1], 0, v2
	v_mov_b32_e32 v27, 0
	v_mov_b32_e32 v28, 0
	s_and_saveexec_b64 s[34:35], s[0:1]
	s_cbranch_execz .LBB248_69
; %bb.64:                               ;   in Loop: Header=BB248_9 Depth=1
	v_cmp_ne_u16_e64 s[0:1], s42, v2
	v_bfrev_b32_e32 v28, 1
	s_and_saveexec_b64 s[36:37], s[0:1]
	s_cbranch_execz .LBB248_68
; %bb.65:                               ;   in Loop: Header=BB248_9 Depth=1
	v_and_b32_e32 v29, 0x7f, v2
	v_cmp_ne_u32_e64 s[0:1], s43, v29
	v_mov_b32_e32 v28, 0x7c010000
	s_and_saveexec_b64 s[38:39], s[0:1]
	s_cbranch_execz .LBB248_67
; %bb.66:                               ;   in Loop: Header=BB248_9 Depth=1
	v_and_b32_e32 v28, 7, v2
	v_ffbh_u32_e32 v32, v28
	v_min_u32_e32 v34, 32, v32
	v_subrev_u32_e32 v32, 28, v34
	v_lshlrev_b64 v[32:33], v32, v[2:3]
	v_lshrrev_b32_e32 v31, 3, v29
	v_sub_u32_e32 v33, 29, v34
	v_cmp_gt_u32_e64 s[0:1], 8, v29
	v_lshlrev_b32_e32 v2, 8, v2
	s_nop 0
	v_cndmask_b32_e64 v29, v31, v33, s[0:1]
	v_lshl_add_u32 v29, v29, 10, v15
	v_and_b32_e32 v31, 7, v32
	v_and_or_b32 v2, v2, s44, v29
	v_cndmask_b32_e64 v28, v28, v31, s[0:1]
	v_lshlrev_b32_e32 v2, 16, v2
	v_lshl_or_b32 v28, v28, 23, v2
.LBB248_67:                             ;   in Loop: Header=BB248_9 Depth=1
	s_or_b64 exec, exec, s[38:39]
.LBB248_68:                             ;   in Loop: Header=BB248_9 Depth=1
	s_or_b64 exec, exec, s[36:37]
.LBB248_69:                             ;   in Loop: Header=BB248_9 Depth=1
	s_or_b64 exec, exec, s[34:35]
	global_load_ushort v29, v[8:9], off offset:520
	s_waitcnt vmcnt(0)
	v_and_b32_e32 v2, 0xffff, v29
	v_cmp_ne_u16_sdwa s[0:1], v29, v3 src0_sel:BYTE_0 src1_sel:DWORD
	s_and_saveexec_b64 s[34:35], s[0:1]
	s_cbranch_execz .LBB248_75
; %bb.70:                               ;   in Loop: Header=BB248_9 Depth=1
	v_cmp_ne_u16_sdwa s[0:1], v2, s42 src0_sel:BYTE_0 src1_sel:DWORD
	v_mov_b32_e32 v27, 0x8000
	s_and_saveexec_b64 s[36:37], s[0:1]
	s_cbranch_execz .LBB248_74
; %bb.71:                               ;   in Loop: Header=BB248_9 Depth=1
	v_and_b32_e32 v29, 0x7f, v2
	v_cmp_ne_u32_e64 s[0:1], s43, v29
	v_mov_b32_e32 v27, 0x7c01
	s_and_saveexec_b64 s[38:39], s[0:1]
	s_cbranch_execz .LBB248_73
; %bb.72:                               ;   in Loop: Header=BB248_9 Depth=1
	v_and_b32_e32 v27, 7, v2
	v_ffbh_u32_e32 v32, v27
	v_min_u32_e32 v34, 32, v32
	v_subrev_u32_e32 v32, 28, v34
	v_lshlrev_b64 v[32:33], v32, v[2:3]
	v_lshrrev_b32_e32 v31, 3, v29
	v_sub_u32_e32 v33, 29, v34
	v_cmp_gt_u32_e64 s[0:1], 8, v29
	v_and_b32_e32 v32, 7, v32
	s_nop 0
	v_cndmask_b32_e64 v29, v31, v33, s[0:1]
	v_lshl_add_u32 v29, v29, 10, v15
	v_lshlrev_b32_e32 v31, 8, v2
	v_and_b32_e32 v29, 0xfc00, v29
	v_cndmask_b32_e64 v27, v27, v32, s[0:1]
	v_and_or_b32 v29, v31, s44, v29
	v_lshl_or_b32 v27, v27, 7, v29
.LBB248_73:                             ;   in Loop: Header=BB248_9 Depth=1
	s_or_b64 exec, exec, s[38:39]
.LBB248_74:                             ;   in Loop: Header=BB248_9 Depth=1
	s_or_b64 exec, exec, s[36:37]
.LBB248_75:                             ;   in Loop: Header=BB248_9 Depth=1
	s_or_b64 exec, exec, s[34:35]
	v_lshrrev_b16_e32 v2, 8, v2
	v_cmp_ne_u16_e64 s[0:1], 0, v2
	v_mov_b32_e32 v29, 0
	v_mov_b32_e32 v31, 0
	s_and_saveexec_b64 s[34:35], s[0:1]
	s_cbranch_execz .LBB248_81
; %bb.76:                               ;   in Loop: Header=BB248_9 Depth=1
	v_cmp_ne_u16_e64 s[0:1], s42, v2
	v_bfrev_b32_e32 v31, 1
	s_and_saveexec_b64 s[36:37], s[0:1]
	s_cbranch_execz .LBB248_80
; %bb.77:                               ;   in Loop: Header=BB248_9 Depth=1
	v_and_b32_e32 v32, 0x7f, v2
	v_cmp_ne_u32_e64 s[0:1], s43, v32
	v_mov_b32_e32 v31, 0x7c010000
	s_and_saveexec_b64 s[38:39], s[0:1]
	s_cbranch_execz .LBB248_79
; %bb.78:                               ;   in Loop: Header=BB248_9 Depth=1
	v_and_b32_e32 v31, 7, v2
	v_ffbh_u32_e32 v34, v31
	v_min_u32_e32 v36, 32, v34
	v_subrev_u32_e32 v34, 28, v36
	v_lshlrev_b64 v[34:35], v34, v[2:3]
	v_lshrrev_b32_e32 v33, 3, v32
	v_sub_u32_e32 v35, 29, v36
	v_cmp_gt_u32_e64 s[0:1], 8, v32
	v_lshlrev_b32_e32 v2, 8, v2
	s_nop 0
	v_cndmask_b32_e64 v32, v33, v35, s[0:1]
	v_lshl_add_u32 v32, v32, 10, v15
	v_and_b32_e32 v33, 7, v34
	v_and_or_b32 v2, v2, s44, v32
	v_cndmask_b32_e64 v31, v31, v33, s[0:1]
	v_lshlrev_b32_e32 v2, 16, v2
	v_lshl_or_b32 v31, v31, 23, v2
.LBB248_79:                             ;   in Loop: Header=BB248_9 Depth=1
	s_or_b64 exec, exec, s[38:39]
.LBB248_80:                             ;   in Loop: Header=BB248_9 Depth=1
	s_or_b64 exec, exec, s[36:37]
.LBB248_81:                             ;   in Loop: Header=BB248_9 Depth=1
	s_or_b64 exec, exec, s[34:35]
	global_load_ushort v32, v[8:9], off offset:768
	s_waitcnt vmcnt(0)
	v_and_b32_e32 v2, 0xffff, v32
	v_cmp_ne_u16_sdwa s[0:1], v32, v3 src0_sel:BYTE_0 src1_sel:DWORD
	s_and_saveexec_b64 s[34:35], s[0:1]
	s_cbranch_execz .LBB248_87
; %bb.82:                               ;   in Loop: Header=BB248_9 Depth=1
	v_cmp_ne_u16_sdwa s[0:1], v2, s42 src0_sel:BYTE_0 src1_sel:DWORD
	v_mov_b32_e32 v29, 0x8000
	s_and_saveexec_b64 s[36:37], s[0:1]
	s_cbranch_execz .LBB248_86
; %bb.83:                               ;   in Loop: Header=BB248_9 Depth=1
	v_and_b32_e32 v32, 0x7f, v2
	v_cmp_ne_u32_e64 s[0:1], s43, v32
	v_mov_b32_e32 v29, 0x7c01
	s_and_saveexec_b64 s[38:39], s[0:1]
	s_cbranch_execz .LBB248_85
; %bb.84:                               ;   in Loop: Header=BB248_9 Depth=1
	v_and_b32_e32 v29, 7, v2
	v_ffbh_u32_e32 v34, v29
	v_min_u32_e32 v36, 32, v34
	v_subrev_u32_e32 v34, 28, v36
	v_lshlrev_b64 v[34:35], v34, v[2:3]
	v_lshrrev_b32_e32 v33, 3, v32
	v_sub_u32_e32 v35, 29, v36
	v_cmp_gt_u32_e64 s[0:1], 8, v32
	v_and_b32_e32 v34, 7, v34
	s_nop 0
	v_cndmask_b32_e64 v32, v33, v35, s[0:1]
	v_lshl_add_u32 v32, v32, 10, v15
	v_lshlrev_b32_e32 v33, 8, v2
	v_and_b32_e32 v32, 0xfc00, v32
	v_cndmask_b32_e64 v29, v29, v34, s[0:1]
	v_and_or_b32 v32, v33, s44, v32
	v_lshl_or_b32 v29, v29, 7, v32
.LBB248_85:                             ;   in Loop: Header=BB248_9 Depth=1
	s_or_b64 exec, exec, s[38:39]
.LBB248_86:                             ;   in Loop: Header=BB248_9 Depth=1
	s_or_b64 exec, exec, s[36:37]
.LBB248_87:                             ;   in Loop: Header=BB248_9 Depth=1
	s_or_b64 exec, exec, s[34:35]
	v_lshrrev_b16_e32 v2, 8, v2
	v_cmp_ne_u16_e64 s[0:1], 0, v2
	v_mov_b32_e32 v33, 0
	v_mov_b32_e32 v32, 0
	s_and_saveexec_b64 s[34:35], s[0:1]
	s_cbranch_execz .LBB248_93
; %bb.88:                               ;   in Loop: Header=BB248_9 Depth=1
	v_cmp_ne_u16_e64 s[0:1], s42, v2
	v_bfrev_b32_e32 v32, 1
	s_and_saveexec_b64 s[36:37], s[0:1]
	s_cbranch_execz .LBB248_92
; %bb.89:                               ;   in Loop: Header=BB248_9 Depth=1
	v_and_b32_e32 v34, 0x7f, v2
	v_cmp_ne_u32_e64 s[0:1], s43, v34
	v_mov_b32_e32 v32, 0x7c010000
	s_and_saveexec_b64 s[38:39], s[0:1]
	s_cbranch_execz .LBB248_91
; %bb.90:                               ;   in Loop: Header=BB248_9 Depth=1
	v_and_b32_e32 v32, 7, v2
	v_ffbh_u32_e32 v36, v32
	v_min_u32_e32 v38, 32, v36
	v_subrev_u32_e32 v36, 28, v38
	v_lshlrev_b64 v[36:37], v36, v[2:3]
	v_lshrrev_b32_e32 v35, 3, v34
	v_sub_u32_e32 v37, 29, v38
	v_cmp_gt_u32_e64 s[0:1], 8, v34
	v_lshlrev_b32_e32 v2, 8, v2
	s_nop 0
	v_cndmask_b32_e64 v34, v35, v37, s[0:1]
	v_lshl_add_u32 v34, v34, 10, v15
	v_and_b32_e32 v35, 7, v36
	v_and_or_b32 v2, v2, s44, v34
	v_cndmask_b32_e64 v32, v32, v35, s[0:1]
	v_lshlrev_b32_e32 v2, 16, v2
	v_lshl_or_b32 v32, v32, 23, v2
.LBB248_91:                             ;   in Loop: Header=BB248_9 Depth=1
	s_or_b64 exec, exec, s[38:39]
.LBB248_92:                             ;   in Loop: Header=BB248_9 Depth=1
	s_or_b64 exec, exec, s[36:37]
.LBB248_93:                             ;   in Loop: Header=BB248_9 Depth=1
	s_or_b64 exec, exec, s[34:35]
	global_load_ushort v34, v[8:9], off offset:776
	s_waitcnt vmcnt(0)
	v_and_b32_e32 v2, 0xffff, v34
	v_cmp_ne_u16_sdwa s[0:1], v34, v3 src0_sel:BYTE_0 src1_sel:DWORD
	s_and_saveexec_b64 s[34:35], s[0:1]
	s_cbranch_execz .LBB248_99
; %bb.94:                               ;   in Loop: Header=BB248_9 Depth=1
	v_cmp_ne_u16_sdwa s[0:1], v2, s42 src0_sel:BYTE_0 src1_sel:DWORD
	v_mov_b32_e32 v33, 0x8000
	s_and_saveexec_b64 s[36:37], s[0:1]
	s_cbranch_execz .LBB248_98
; %bb.95:                               ;   in Loop: Header=BB248_9 Depth=1
	v_and_b32_e32 v34, 0x7f, v2
	v_cmp_ne_u32_e64 s[0:1], s43, v34
	v_mov_b32_e32 v33, 0x7c01
	s_and_saveexec_b64 s[38:39], s[0:1]
	s_cbranch_execz .LBB248_97
; %bb.96:                               ;   in Loop: Header=BB248_9 Depth=1
	v_and_b32_e32 v33, 7, v2
	v_ffbh_u32_e32 v36, v33
	v_min_u32_e32 v38, 32, v36
	v_subrev_u32_e32 v36, 28, v38
	v_lshlrev_b64 v[36:37], v36, v[2:3]
	v_lshrrev_b32_e32 v35, 3, v34
	v_sub_u32_e32 v37, 29, v38
	v_cmp_gt_u32_e64 s[0:1], 8, v34
	v_and_b32_e32 v36, 7, v36
	s_nop 0
	v_cndmask_b32_e64 v34, v35, v37, s[0:1]
	v_lshl_add_u32 v34, v34, 10, v15
	v_lshlrev_b32_e32 v35, 8, v2
	v_and_b32_e32 v34, 0xfc00, v34
	v_cndmask_b32_e64 v33, v33, v36, s[0:1]
	v_and_or_b32 v34, v35, s44, v34
	v_lshl_or_b32 v33, v33, 7, v34
.LBB248_97:                             ;   in Loop: Header=BB248_9 Depth=1
	s_or_b64 exec, exec, s[38:39]
.LBB248_98:                             ;   in Loop: Header=BB248_9 Depth=1
	s_or_b64 exec, exec, s[36:37]
.LBB248_99:                             ;   in Loop: Header=BB248_9 Depth=1
	s_or_b64 exec, exec, s[34:35]
	v_lshrrev_b16_e32 v2, 8, v2
	v_cmp_ne_u16_e64 s[0:1], 0, v2
	v_mov_b32_e32 v35, 0
	v_mov_b32_e32 v34, 0
	s_and_saveexec_b64 s[34:35], s[0:1]
	s_cbranch_execz .LBB248_105
; %bb.100:                              ;   in Loop: Header=BB248_9 Depth=1
	v_cmp_ne_u16_e64 s[0:1], s42, v2
	v_bfrev_b32_e32 v34, 1
	s_and_saveexec_b64 s[36:37], s[0:1]
	s_cbranch_execz .LBB248_104
; %bb.101:                              ;   in Loop: Header=BB248_9 Depth=1
	v_and_b32_e32 v36, 0x7f, v2
	v_cmp_ne_u32_e64 s[0:1], s43, v36
	v_mov_b32_e32 v34, 0x7c010000
	s_and_saveexec_b64 s[38:39], s[0:1]
	s_cbranch_execz .LBB248_103
; %bb.102:                              ;   in Loop: Header=BB248_9 Depth=1
	v_and_b32_e32 v34, 7, v2
	v_ffbh_u32_e32 v38, v34
	v_min_u32_e32 v40, 32, v38
	v_subrev_u32_e32 v38, 28, v40
	v_lshlrev_b64 v[38:39], v38, v[2:3]
	v_lshrrev_b32_e32 v37, 3, v36
	v_sub_u32_e32 v39, 29, v40
	v_cmp_gt_u32_e64 s[0:1], 8, v36
	v_lshlrev_b32_e32 v2, 8, v2
	s_nop 0
	v_cndmask_b32_e64 v36, v37, v39, s[0:1]
	v_lshl_add_u32 v36, v36, 10, v15
	v_and_b32_e32 v37, 7, v38
	v_and_or_b32 v2, v2, s44, v36
	v_cndmask_b32_e64 v34, v34, v37, s[0:1]
	v_lshlrev_b32_e32 v2, 16, v2
	v_lshl_or_b32 v34, v34, 23, v2
.LBB248_103:                            ;   in Loop: Header=BB248_9 Depth=1
	s_or_b64 exec, exec, s[38:39]
.LBB248_104:                            ;   in Loop: Header=BB248_9 Depth=1
	s_or_b64 exec, exec, s[36:37]
.LBB248_105:                            ;   in Loop: Header=BB248_9 Depth=1
	s_or_b64 exec, exec, s[34:35]
	global_load_ushort v36, v[8:9], off offset:1024
	s_waitcnt vmcnt(0)
	v_and_b32_e32 v2, 0xffff, v36
	v_cmp_ne_u16_sdwa s[0:1], v36, v3 src0_sel:BYTE_0 src1_sel:DWORD
	s_and_saveexec_b64 s[34:35], s[0:1]
	s_cbranch_execz .LBB248_111
; %bb.106:                              ;   in Loop: Header=BB248_9 Depth=1
	v_cmp_ne_u16_sdwa s[0:1], v2, s42 src0_sel:BYTE_0 src1_sel:DWORD
	v_mov_b32_e32 v35, 0x8000
	s_and_saveexec_b64 s[36:37], s[0:1]
	s_cbranch_execz .LBB248_110
; %bb.107:                              ;   in Loop: Header=BB248_9 Depth=1
	v_and_b32_e32 v36, 0x7f, v2
	v_cmp_ne_u32_e64 s[0:1], s43, v36
	v_mov_b32_e32 v35, 0x7c01
	s_and_saveexec_b64 s[38:39], s[0:1]
	s_cbranch_execz .LBB248_109
; %bb.108:                              ;   in Loop: Header=BB248_9 Depth=1
	v_and_b32_e32 v35, 7, v2
	v_ffbh_u32_e32 v38, v35
	v_min_u32_e32 v40, 32, v38
	v_subrev_u32_e32 v38, 28, v40
	v_lshlrev_b64 v[38:39], v38, v[2:3]
	v_lshrrev_b32_e32 v37, 3, v36
	v_sub_u32_e32 v39, 29, v40
	v_cmp_gt_u32_e64 s[0:1], 8, v36
	v_and_b32_e32 v38, 7, v38
	s_nop 0
	v_cndmask_b32_e64 v36, v37, v39, s[0:1]
	v_lshl_add_u32 v36, v36, 10, v15
	v_lshlrev_b32_e32 v37, 8, v2
	v_and_b32_e32 v36, 0xfc00, v36
	v_cndmask_b32_e64 v35, v35, v38, s[0:1]
	v_and_or_b32 v36, v37, s44, v36
	v_lshl_or_b32 v35, v35, 7, v36
.LBB248_109:                            ;   in Loop: Header=BB248_9 Depth=1
	s_or_b64 exec, exec, s[38:39]
.LBB248_110:                            ;   in Loop: Header=BB248_9 Depth=1
	s_or_b64 exec, exec, s[36:37]
.LBB248_111:                            ;   in Loop: Header=BB248_9 Depth=1
	s_or_b64 exec, exec, s[34:35]
	v_lshrrev_b16_e32 v2, 8, v2
	v_cmp_ne_u16_e64 s[0:1], 0, v2
	v_mov_b32_e32 v37, 0
	v_mov_b32_e32 v36, 0
	s_and_saveexec_b64 s[34:35], s[0:1]
	s_cbranch_execz .LBB248_117
; %bb.112:                              ;   in Loop: Header=BB248_9 Depth=1
	v_cmp_ne_u16_e64 s[0:1], s42, v2
	v_bfrev_b32_e32 v36, 1
	s_and_saveexec_b64 s[36:37], s[0:1]
	s_cbranch_execz .LBB248_116
; %bb.113:                              ;   in Loop: Header=BB248_9 Depth=1
	v_and_b32_e32 v38, 0x7f, v2
	v_cmp_ne_u32_e64 s[0:1], s43, v38
	v_mov_b32_e32 v36, 0x7c010000
	s_and_saveexec_b64 s[38:39], s[0:1]
	s_cbranch_execz .LBB248_115
; %bb.114:                              ;   in Loop: Header=BB248_9 Depth=1
	v_and_b32_e32 v36, 7, v2
	v_ffbh_u32_e32 v40, v36
	v_min_u32_e32 v42, 32, v40
	v_subrev_u32_e32 v40, 28, v42
	v_lshlrev_b64 v[40:41], v40, v[2:3]
	v_lshrrev_b32_e32 v39, 3, v38
	v_sub_u32_e32 v41, 29, v42
	v_cmp_gt_u32_e64 s[0:1], 8, v38
	v_lshlrev_b32_e32 v2, 8, v2
	s_nop 0
	v_cndmask_b32_e64 v38, v39, v41, s[0:1]
	v_lshl_add_u32 v38, v38, 10, v15
	v_and_b32_e32 v39, 7, v40
	v_and_or_b32 v2, v2, s44, v38
	v_cndmask_b32_e64 v36, v36, v39, s[0:1]
	v_lshlrev_b32_e32 v2, 16, v2
	v_lshl_or_b32 v36, v36, 23, v2
.LBB248_115:                            ;   in Loop: Header=BB248_9 Depth=1
	s_or_b64 exec, exec, s[38:39]
.LBB248_116:                            ;   in Loop: Header=BB248_9 Depth=1
	s_or_b64 exec, exec, s[36:37]
.LBB248_117:                            ;   in Loop: Header=BB248_9 Depth=1
	s_or_b64 exec, exec, s[34:35]
	global_load_ushort v38, v[8:9], off offset:1032
	s_waitcnt vmcnt(0)
	v_and_b32_e32 v2, 0xffff, v38
	v_cmp_ne_u16_sdwa s[0:1], v38, v3 src0_sel:BYTE_0 src1_sel:DWORD
	s_and_saveexec_b64 s[34:35], s[0:1]
	s_cbranch_execz .LBB248_123
; %bb.118:                              ;   in Loop: Header=BB248_9 Depth=1
	v_cmp_ne_u16_sdwa s[0:1], v2, s42 src0_sel:BYTE_0 src1_sel:DWORD
	v_mov_b32_e32 v37, 0x8000
	s_and_saveexec_b64 s[36:37], s[0:1]
	s_cbranch_execz .LBB248_122
; %bb.119:                              ;   in Loop: Header=BB248_9 Depth=1
	v_and_b32_e32 v38, 0x7f, v2
	v_cmp_ne_u32_e64 s[0:1], s43, v38
	v_mov_b32_e32 v37, 0x7c01
	s_and_saveexec_b64 s[38:39], s[0:1]
	s_cbranch_execz .LBB248_121
; %bb.120:                              ;   in Loop: Header=BB248_9 Depth=1
	v_and_b32_e32 v37, 7, v2
	v_ffbh_u32_e32 v40, v37
	v_min_u32_e32 v42, 32, v40
	v_subrev_u32_e32 v40, 28, v42
	v_lshlrev_b64 v[40:41], v40, v[2:3]
	v_lshrrev_b32_e32 v39, 3, v38
	v_sub_u32_e32 v41, 29, v42
	v_cmp_gt_u32_e64 s[0:1], 8, v38
	v_and_b32_e32 v40, 7, v40
	s_nop 0
	v_cndmask_b32_e64 v38, v39, v41, s[0:1]
	v_lshl_add_u32 v38, v38, 10, v15
	v_lshlrev_b32_e32 v39, 8, v2
	v_and_b32_e32 v38, 0xfc00, v38
	v_cndmask_b32_e64 v37, v37, v40, s[0:1]
	v_and_or_b32 v38, v39, s44, v38
	v_lshl_or_b32 v37, v37, 7, v38
.LBB248_121:                            ;   in Loop: Header=BB248_9 Depth=1
	s_or_b64 exec, exec, s[38:39]
.LBB248_122:                            ;   in Loop: Header=BB248_9 Depth=1
	s_or_b64 exec, exec, s[36:37]
.LBB248_123:                            ;   in Loop: Header=BB248_9 Depth=1
	s_or_b64 exec, exec, s[34:35]
	v_lshrrev_b16_e32 v2, 8, v2
	v_cmp_ne_u16_e64 s[0:1], 0, v2
	v_mov_b32_e32 v39, 0
	v_mov_b32_e32 v38, 0
	s_and_saveexec_b64 s[34:35], s[0:1]
	s_cbranch_execz .LBB248_129
; %bb.124:                              ;   in Loop: Header=BB248_9 Depth=1
	v_cmp_ne_u16_e64 s[0:1], s42, v2
	v_bfrev_b32_e32 v38, 1
	s_and_saveexec_b64 s[36:37], s[0:1]
	s_cbranch_execz .LBB248_128
; %bb.125:                              ;   in Loop: Header=BB248_9 Depth=1
	v_and_b32_e32 v40, 0x7f, v2
	v_cmp_ne_u32_e64 s[0:1], s43, v40
	v_mov_b32_e32 v38, 0x7c010000
	s_and_saveexec_b64 s[38:39], s[0:1]
	s_cbranch_execz .LBB248_127
; %bb.126:                              ;   in Loop: Header=BB248_9 Depth=1
	v_and_b32_e32 v38, 7, v2
	v_ffbh_u32_e32 v42, v38
	v_min_u32_e32 v44, 32, v42
	v_subrev_u32_e32 v42, 28, v44
	v_lshlrev_b64 v[42:43], v42, v[2:3]
	v_lshrrev_b32_e32 v41, 3, v40
	v_sub_u32_e32 v43, 29, v44
	v_cmp_gt_u32_e64 s[0:1], 8, v40
	v_lshlrev_b32_e32 v2, 8, v2
	s_nop 0
	v_cndmask_b32_e64 v40, v41, v43, s[0:1]
	v_lshl_add_u32 v40, v40, 10, v15
	v_and_b32_e32 v41, 7, v42
	v_and_or_b32 v2, v2, s44, v40
	v_cndmask_b32_e64 v38, v38, v41, s[0:1]
	v_lshlrev_b32_e32 v2, 16, v2
	v_lshl_or_b32 v38, v38, 23, v2
.LBB248_127:                            ;   in Loop: Header=BB248_9 Depth=1
	s_or_b64 exec, exec, s[38:39]
.LBB248_128:                            ;   in Loop: Header=BB248_9 Depth=1
	s_or_b64 exec, exec, s[36:37]
.LBB248_129:                            ;   in Loop: Header=BB248_9 Depth=1
	s_or_b64 exec, exec, s[34:35]
	global_load_ushort v40, v[8:9], off offset:1280
	s_waitcnt vmcnt(0)
	v_and_b32_e32 v2, 0xffff, v40
	v_cmp_ne_u16_sdwa s[0:1], v40, v3 src0_sel:BYTE_0 src1_sel:DWORD
	s_and_saveexec_b64 s[34:35], s[0:1]
	s_cbranch_execz .LBB248_135
; %bb.130:                              ;   in Loop: Header=BB248_9 Depth=1
	v_cmp_ne_u16_sdwa s[0:1], v2, s42 src0_sel:BYTE_0 src1_sel:DWORD
	v_mov_b32_e32 v39, 0x8000
	s_and_saveexec_b64 s[36:37], s[0:1]
	s_cbranch_execz .LBB248_134
; %bb.131:                              ;   in Loop: Header=BB248_9 Depth=1
	v_and_b32_e32 v40, 0x7f, v2
	v_cmp_ne_u32_e64 s[0:1], s43, v40
	v_mov_b32_e32 v39, 0x7c01
	s_and_saveexec_b64 s[38:39], s[0:1]
	s_cbranch_execz .LBB248_133
; %bb.132:                              ;   in Loop: Header=BB248_9 Depth=1
	v_and_b32_e32 v39, 7, v2
	v_ffbh_u32_e32 v42, v39
	v_min_u32_e32 v44, 32, v42
	v_subrev_u32_e32 v42, 28, v44
	v_lshlrev_b64 v[42:43], v42, v[2:3]
	v_lshrrev_b32_e32 v41, 3, v40
	v_sub_u32_e32 v43, 29, v44
	v_cmp_gt_u32_e64 s[0:1], 8, v40
	v_and_b32_e32 v42, 7, v42
	s_nop 0
	v_cndmask_b32_e64 v40, v41, v43, s[0:1]
	v_lshl_add_u32 v40, v40, 10, v15
	v_lshlrev_b32_e32 v41, 8, v2
	v_and_b32_e32 v40, 0xfc00, v40
	v_cndmask_b32_e64 v39, v39, v42, s[0:1]
	v_and_or_b32 v40, v41, s44, v40
	v_lshl_or_b32 v39, v39, 7, v40
.LBB248_133:                            ;   in Loop: Header=BB248_9 Depth=1
	s_or_b64 exec, exec, s[38:39]
.LBB248_134:                            ;   in Loop: Header=BB248_9 Depth=1
	s_or_b64 exec, exec, s[36:37]
.LBB248_135:                            ;   in Loop: Header=BB248_9 Depth=1
	s_or_b64 exec, exec, s[34:35]
	v_lshrrev_b16_e32 v2, 8, v2
	v_cmp_ne_u16_e64 s[0:1], 0, v2
	v_mov_b32_e32 v41, 0
	v_mov_b32_e32 v40, 0
	s_and_saveexec_b64 s[34:35], s[0:1]
	s_cbranch_execz .LBB248_141
; %bb.136:                              ;   in Loop: Header=BB248_9 Depth=1
	v_cmp_ne_u16_e64 s[0:1], s42, v2
	v_bfrev_b32_e32 v40, 1
	s_and_saveexec_b64 s[36:37], s[0:1]
	s_cbranch_execz .LBB248_140
; %bb.137:                              ;   in Loop: Header=BB248_9 Depth=1
	v_and_b32_e32 v42, 0x7f, v2
	v_cmp_ne_u32_e64 s[0:1], s43, v42
	v_mov_b32_e32 v40, 0x7c010000
	s_and_saveexec_b64 s[38:39], s[0:1]
	s_cbranch_execz .LBB248_139
; %bb.138:                              ;   in Loop: Header=BB248_9 Depth=1
	v_and_b32_e32 v40, 7, v2
	v_ffbh_u32_e32 v44, v40
	v_min_u32_e32 v46, 32, v44
	v_subrev_u32_e32 v44, 28, v46
	v_lshlrev_b64 v[44:45], v44, v[2:3]
	v_lshrrev_b32_e32 v43, 3, v42
	v_sub_u32_e32 v45, 29, v46
	v_cmp_gt_u32_e64 s[0:1], 8, v42
	v_lshlrev_b32_e32 v2, 8, v2
	s_nop 0
	v_cndmask_b32_e64 v42, v43, v45, s[0:1]
	v_lshl_add_u32 v42, v42, 10, v15
	v_and_b32_e32 v43, 7, v44
	v_and_or_b32 v2, v2, s44, v42
	v_cndmask_b32_e64 v40, v40, v43, s[0:1]
	v_lshlrev_b32_e32 v2, 16, v2
	v_lshl_or_b32 v40, v40, 23, v2
.LBB248_139:                            ;   in Loop: Header=BB248_9 Depth=1
	s_or_b64 exec, exec, s[38:39]
.LBB248_140:                            ;   in Loop: Header=BB248_9 Depth=1
	s_or_b64 exec, exec, s[36:37]
.LBB248_141:                            ;   in Loop: Header=BB248_9 Depth=1
	s_or_b64 exec, exec, s[34:35]
	global_load_ushort v42, v[8:9], off offset:1288
	s_waitcnt vmcnt(0)
	v_and_b32_e32 v2, 0xffff, v42
	v_cmp_ne_u16_sdwa s[0:1], v42, v3 src0_sel:BYTE_0 src1_sel:DWORD
	s_and_saveexec_b64 s[34:35], s[0:1]
	s_cbranch_execz .LBB248_147
; %bb.142:                              ;   in Loop: Header=BB248_9 Depth=1
	v_cmp_ne_u16_sdwa s[0:1], v2, s42 src0_sel:BYTE_0 src1_sel:DWORD
	v_mov_b32_e32 v41, 0x8000
	s_and_saveexec_b64 s[36:37], s[0:1]
	s_cbranch_execz .LBB248_146
; %bb.143:                              ;   in Loop: Header=BB248_9 Depth=1
	v_and_b32_e32 v42, 0x7f, v2
	v_cmp_ne_u32_e64 s[0:1], s43, v42
	v_mov_b32_e32 v41, 0x7c01
	s_and_saveexec_b64 s[38:39], s[0:1]
	s_cbranch_execz .LBB248_145
; %bb.144:                              ;   in Loop: Header=BB248_9 Depth=1
	v_and_b32_e32 v41, 7, v2
	v_ffbh_u32_e32 v44, v41
	v_min_u32_e32 v46, 32, v44
	v_subrev_u32_e32 v44, 28, v46
	v_lshlrev_b64 v[44:45], v44, v[2:3]
	v_lshrrev_b32_e32 v43, 3, v42
	v_sub_u32_e32 v45, 29, v46
	v_cmp_gt_u32_e64 s[0:1], 8, v42
	v_and_b32_e32 v44, 7, v44
	s_nop 0
	v_cndmask_b32_e64 v42, v43, v45, s[0:1]
	v_lshl_add_u32 v42, v42, 10, v15
	v_lshlrev_b32_e32 v43, 8, v2
	v_and_b32_e32 v42, 0xfc00, v42
	v_cndmask_b32_e64 v41, v41, v44, s[0:1]
	v_and_or_b32 v42, v43, s44, v42
	v_lshl_or_b32 v41, v41, 7, v42
.LBB248_145:                            ;   in Loop: Header=BB248_9 Depth=1
	s_or_b64 exec, exec, s[38:39]
.LBB248_146:                            ;   in Loop: Header=BB248_9 Depth=1
	s_or_b64 exec, exec, s[36:37]
.LBB248_147:                            ;   in Loop: Header=BB248_9 Depth=1
	s_or_b64 exec, exec, s[34:35]
	v_lshrrev_b16_e32 v2, 8, v2
	v_cmp_ne_u16_e64 s[0:1], 0, v2
	v_mov_b32_e32 v43, 0
	v_mov_b32_e32 v42, 0
	s_and_saveexec_b64 s[34:35], s[0:1]
	s_cbranch_execz .LBB248_153
; %bb.148:                              ;   in Loop: Header=BB248_9 Depth=1
	v_cmp_ne_u16_e64 s[0:1], s42, v2
	v_bfrev_b32_e32 v42, 1
	s_and_saveexec_b64 s[36:37], s[0:1]
	s_cbranch_execz .LBB248_152
; %bb.149:                              ;   in Loop: Header=BB248_9 Depth=1
	v_and_b32_e32 v44, 0x7f, v2
	v_cmp_ne_u32_e64 s[0:1], s43, v44
	v_mov_b32_e32 v42, 0x7c010000
	s_and_saveexec_b64 s[38:39], s[0:1]
	s_cbranch_execz .LBB248_151
; %bb.150:                              ;   in Loop: Header=BB248_9 Depth=1
	v_and_b32_e32 v42, 7, v2
	v_ffbh_u32_e32 v46, v42
	v_min_u32_e32 v48, 32, v46
	v_subrev_u32_e32 v46, 28, v48
	v_lshlrev_b64 v[46:47], v46, v[2:3]
	v_lshrrev_b32_e32 v45, 3, v44
	v_sub_u32_e32 v47, 29, v48
	v_cmp_gt_u32_e64 s[0:1], 8, v44
	v_lshlrev_b32_e32 v2, 8, v2
	s_nop 0
	v_cndmask_b32_e64 v44, v45, v47, s[0:1]
	v_lshl_add_u32 v44, v44, 10, v15
	v_and_b32_e32 v45, 7, v46
	v_and_or_b32 v2, v2, s44, v44
	v_cndmask_b32_e64 v42, v42, v45, s[0:1]
	v_lshlrev_b32_e32 v2, 16, v2
	v_lshl_or_b32 v42, v42, 23, v2
.LBB248_151:                            ;   in Loop: Header=BB248_9 Depth=1
	s_or_b64 exec, exec, s[38:39]
.LBB248_152:                            ;   in Loop: Header=BB248_9 Depth=1
	s_or_b64 exec, exec, s[36:37]
.LBB248_153:                            ;   in Loop: Header=BB248_9 Depth=1
	s_or_b64 exec, exec, s[34:35]
	global_load_ushort v44, v[8:9], off offset:1536
	s_waitcnt vmcnt(0)
	v_and_b32_e32 v2, 0xffff, v44
	v_cmp_ne_u16_sdwa s[0:1], v44, v3 src0_sel:BYTE_0 src1_sel:DWORD
	s_and_saveexec_b64 s[34:35], s[0:1]
	s_cbranch_execz .LBB248_159
; %bb.154:                              ;   in Loop: Header=BB248_9 Depth=1
	v_cmp_ne_u16_sdwa s[0:1], v2, s42 src0_sel:BYTE_0 src1_sel:DWORD
	v_mov_b32_e32 v43, 0x8000
	s_and_saveexec_b64 s[36:37], s[0:1]
	s_cbranch_execz .LBB248_158
; %bb.155:                              ;   in Loop: Header=BB248_9 Depth=1
	v_and_b32_e32 v44, 0x7f, v2
	v_cmp_ne_u32_e64 s[0:1], s43, v44
	v_mov_b32_e32 v43, 0x7c01
	s_and_saveexec_b64 s[38:39], s[0:1]
	s_cbranch_execz .LBB248_157
; %bb.156:                              ;   in Loop: Header=BB248_9 Depth=1
	v_and_b32_e32 v43, 7, v2
	v_ffbh_u32_e32 v46, v43
	v_min_u32_e32 v48, 32, v46
	v_subrev_u32_e32 v46, 28, v48
	v_lshlrev_b64 v[46:47], v46, v[2:3]
	v_lshrrev_b32_e32 v45, 3, v44
	v_sub_u32_e32 v47, 29, v48
	v_cmp_gt_u32_e64 s[0:1], 8, v44
	v_and_b32_e32 v46, 7, v46
	s_nop 0
	v_cndmask_b32_e64 v44, v45, v47, s[0:1]
	v_lshl_add_u32 v44, v44, 10, v15
	v_lshlrev_b32_e32 v45, 8, v2
	v_and_b32_e32 v44, 0xfc00, v44
	v_cndmask_b32_e64 v43, v43, v46, s[0:1]
	v_and_or_b32 v44, v45, s44, v44
	v_lshl_or_b32 v43, v43, 7, v44
.LBB248_157:                            ;   in Loop: Header=BB248_9 Depth=1
	s_or_b64 exec, exec, s[38:39]
.LBB248_158:                            ;   in Loop: Header=BB248_9 Depth=1
	s_or_b64 exec, exec, s[36:37]
.LBB248_159:                            ;   in Loop: Header=BB248_9 Depth=1
	s_or_b64 exec, exec, s[34:35]
	v_lshrrev_b16_e32 v2, 8, v2
	v_cmp_ne_u16_e64 s[0:1], 0, v2
	v_mov_b32_e32 v46, 0
	v_mov_b32_e32 v45, 0
	s_and_saveexec_b64 s[34:35], s[0:1]
	s_cbranch_execz .LBB248_165
; %bb.160:                              ;   in Loop: Header=BB248_9 Depth=1
	v_cmp_ne_u16_e64 s[0:1], s42, v2
	v_bfrev_b32_e32 v45, 1
	s_and_saveexec_b64 s[36:37], s[0:1]
	s_cbranch_execz .LBB248_164
; %bb.161:                              ;   in Loop: Header=BB248_9 Depth=1
	v_and_b32_e32 v44, 0x7f, v2
	v_cmp_ne_u32_e64 s[0:1], s43, v44
	v_mov_b32_e32 v45, 0x7c010000
	s_and_saveexec_b64 s[38:39], s[0:1]
	s_cbranch_execz .LBB248_163
; %bb.162:                              ;   in Loop: Header=BB248_9 Depth=1
	v_and_b32_e32 v45, 7, v2
	v_ffbh_u32_e32 v48, v45
	v_min_u32_e32 v50, 32, v48
	v_subrev_u32_e32 v48, 28, v50
	v_lshlrev_b64 v[48:49], v48, v[2:3]
	v_lshrrev_b32_e32 v47, 3, v44
	v_sub_u32_e32 v49, 29, v50
	v_cmp_gt_u32_e64 s[0:1], 8, v44
	v_lshlrev_b32_e32 v2, 8, v2
	s_nop 0
	v_cndmask_b32_e64 v44, v47, v49, s[0:1]
	v_lshl_add_u32 v44, v44, 10, v15
	v_and_b32_e32 v47, 7, v48
	v_and_or_b32 v2, v2, s44, v44
	v_cndmask_b32_e64 v45, v45, v47, s[0:1]
	v_lshlrev_b32_e32 v2, 16, v2
	v_lshl_or_b32 v45, v45, 23, v2
.LBB248_163:                            ;   in Loop: Header=BB248_9 Depth=1
	s_or_b64 exec, exec, s[38:39]
.LBB248_164:                            ;   in Loop: Header=BB248_9 Depth=1
	s_or_b64 exec, exec, s[36:37]
.LBB248_165:                            ;   in Loop: Header=BB248_9 Depth=1
	s_or_b64 exec, exec, s[34:35]
	global_load_ushort v44, v[8:9], off offset:1544
	s_waitcnt vmcnt(0)
	v_and_b32_e32 v2, 0xffff, v44
	v_cmp_ne_u16_sdwa s[0:1], v44, v3 src0_sel:BYTE_0 src1_sel:DWORD
	s_and_saveexec_b64 s[34:35], s[0:1]
	s_cbranch_execz .LBB248_171
; %bb.166:                              ;   in Loop: Header=BB248_9 Depth=1
	v_cmp_ne_u16_sdwa s[0:1], v2, s42 src0_sel:BYTE_0 src1_sel:DWORD
	v_mov_b32_e32 v46, 0x8000
	s_and_saveexec_b64 s[36:37], s[0:1]
	s_cbranch_execz .LBB248_170
; %bb.167:                              ;   in Loop: Header=BB248_9 Depth=1
	v_and_b32_e32 v44, 0x7f, v2
	v_cmp_ne_u32_e64 s[0:1], s43, v44
	v_mov_b32_e32 v46, 0x7c01
	s_and_saveexec_b64 s[38:39], s[0:1]
	s_cbranch_execz .LBB248_169
; %bb.168:                              ;   in Loop: Header=BB248_9 Depth=1
	v_and_b32_e32 v48, 7, v2
	v_ffbh_u32_e32 v46, v48
	v_min_u32_e32 v50, 32, v46
	v_subrev_u32_e32 v46, 28, v50
	v_lshlrev_b64 v[46:47], v46, v[2:3]
	v_lshrrev_b32_e32 v49, 3, v44
	v_sub_u32_e32 v47, 29, v50
	v_cmp_gt_u32_e64 s[0:1], 8, v44
	v_and_b32_e32 v46, 7, v46
	s_nop 0
	v_cndmask_b32_e64 v44, v49, v47, s[0:1]
	v_lshl_add_u32 v44, v44, 10, v15
	v_lshlrev_b32_e32 v47, 8, v2
	v_and_b32_e32 v44, 0xfc00, v44
	v_cndmask_b32_e64 v46, v48, v46, s[0:1]
	v_and_or_b32 v44, v47, s44, v44
	v_lshl_or_b32 v46, v46, 7, v44
.LBB248_169:                            ;   in Loop: Header=BB248_9 Depth=1
	s_or_b64 exec, exec, s[38:39]
.LBB248_170:                            ;   in Loop: Header=BB248_9 Depth=1
	s_or_b64 exec, exec, s[36:37]
.LBB248_171:                            ;   in Loop: Header=BB248_9 Depth=1
	s_or_b64 exec, exec, s[34:35]
	v_lshrrev_b16_e32 v2, 8, v2
	v_cmp_ne_u16_e64 s[0:1], 0, v2
	v_mov_b32_e32 v44, 0
	v_mov_b32_e32 v48, 0
	s_and_saveexec_b64 s[34:35], s[0:1]
	s_cbranch_execz .LBB248_177
; %bb.172:                              ;   in Loop: Header=BB248_9 Depth=1
	v_cmp_ne_u16_e64 s[0:1], s42, v2
	v_bfrev_b32_e32 v48, 1
	s_and_saveexec_b64 s[36:37], s[0:1]
	s_cbranch_execz .LBB248_176
; %bb.173:                              ;   in Loop: Header=BB248_9 Depth=1
	v_and_b32_e32 v47, 0x7f, v2
	v_cmp_ne_u32_e64 s[0:1], s43, v47
	v_mov_b32_e32 v48, 0x7c010000
	s_and_saveexec_b64 s[38:39], s[0:1]
	s_cbranch_execz .LBB248_175
; %bb.174:                              ;   in Loop: Header=BB248_9 Depth=1
	v_and_b32_e32 v50, 7, v2
	v_ffbh_u32_e32 v48, v50
	v_min_u32_e32 v52, 32, v48
	v_subrev_u32_e32 v48, 28, v52
	v_lshlrev_b64 v[48:49], v48, v[2:3]
	v_lshrrev_b32_e32 v51, 3, v47
	v_sub_u32_e32 v49, 29, v52
	v_cmp_gt_u32_e64 s[0:1], 8, v47
	v_lshlrev_b32_e32 v2, 8, v2
	v_and_b32_e32 v48, 7, v48
	v_cndmask_b32_e64 v47, v51, v49, s[0:1]
	v_lshl_add_u32 v47, v47, 10, v15
	v_and_or_b32 v2, v2, s44, v47
	v_cndmask_b32_e64 v48, v50, v48, s[0:1]
	v_lshlrev_b32_e32 v2, 16, v2
	v_lshl_or_b32 v48, v48, 23, v2
.LBB248_175:                            ;   in Loop: Header=BB248_9 Depth=1
	s_or_b64 exec, exec, s[38:39]
.LBB248_176:                            ;   in Loop: Header=BB248_9 Depth=1
	s_or_b64 exec, exec, s[36:37]
.LBB248_177:                            ;   in Loop: Header=BB248_9 Depth=1
	s_or_b64 exec, exec, s[34:35]
	global_load_ushort v8, v[8:9], off offset:1792
	s_waitcnt vmcnt(0)
	v_and_b32_e32 v2, 0xffff, v8
	v_cmp_ne_u16_sdwa s[0:1], v8, v3 src0_sel:BYTE_0 src1_sel:DWORD
	s_and_saveexec_b64 s[34:35], s[0:1]
	s_cbranch_execz .LBB248_183
; %bb.178:                              ;   in Loop: Header=BB248_9 Depth=1
	v_cmp_ne_u16_sdwa s[0:1], v2, s42 src0_sel:BYTE_0 src1_sel:DWORD
	v_mov_b32_e32 v44, 0x8000
	s_and_saveexec_b64 s[36:37], s[0:1]
	s_cbranch_execz .LBB248_182
; %bb.179:                              ;   in Loop: Header=BB248_9 Depth=1
	v_and_b32_e32 v8, 0x7f, v2
	v_cmp_ne_u32_e64 s[0:1], s43, v8
	v_mov_b32_e32 v44, 0x7c01
	s_and_saveexec_b64 s[38:39], s[0:1]
	s_cbranch_execz .LBB248_181
; %bb.180:                              ;   in Loop: Header=BB248_9 Depth=1
	v_and_b32_e32 v9, 7, v2
	v_ffbh_u32_e32 v47, v9
	v_min_u32_e32 v47, 32, v47
	v_lshrrev_b32_e32 v44, 3, v8
	v_subrev_u32_e32 v49, 28, v47
	v_sub_u32_e32 v47, 29, v47
	v_cmp_gt_u32_e64 s[0:1], 8, v8
	v_lshlrev_b64 v[50:51], v49, v[2:3]
	s_nop 0
	v_cndmask_b32_e64 v8, v44, v47, s[0:1]
	v_lshl_add_u32 v8, v8, 10, v15
	v_lshlrev_b32_e32 v44, 8, v2
	v_and_b32_e32 v47, 7, v50
	v_and_b32_e32 v8, 0xfc00, v8
	v_cndmask_b32_e64 v9, v9, v47, s[0:1]
	v_and_or_b32 v8, v44, s44, v8
	v_lshl_or_b32 v44, v9, 7, v8
.LBB248_181:                            ;   in Loop: Header=BB248_9 Depth=1
	s_or_b64 exec, exec, s[38:39]
.LBB248_182:                            ;   in Loop: Header=BB248_9 Depth=1
	s_or_b64 exec, exec, s[36:37]
.LBB248_183:                            ;   in Loop: Header=BB248_9 Depth=1
	s_or_b64 exec, exec, s[34:35]
	v_lshrrev_b16_e32 v2, 8, v2
	v_cmp_ne_u16_e64 s[0:1], 0, v2
	v_mov_b32_e32 v47, 0
	s_and_saveexec_b64 s[34:35], s[0:1]
	s_cbranch_execz .LBB248_189
; %bb.184:                              ;   in Loop: Header=BB248_9 Depth=1
	v_cmp_ne_u16_e64 s[0:1], s42, v2
	v_bfrev_b32_e32 v47, 1
	s_and_saveexec_b64 s[36:37], s[0:1]
	s_cbranch_execz .LBB248_188
; %bb.185:                              ;   in Loop: Header=BB248_9 Depth=1
	v_and_b32_e32 v8, 0x7f, v2
	v_cmp_ne_u32_e64 s[0:1], s43, v8
	v_mov_b32_e32 v47, 0x7c010000
	s_and_saveexec_b64 s[38:39], s[0:1]
	s_cbranch_execz .LBB248_187
; %bb.186:                              ;   in Loop: Header=BB248_9 Depth=1
	v_and_b32_e32 v9, 7, v2
	v_ffbh_u32_e32 v49, v9
	v_min_u32_e32 v49, 32, v49
	v_lshrrev_b32_e32 v47, 3, v8
	v_subrev_u32_e32 v50, 28, v49
	v_sub_u32_e32 v49, 29, v49
	v_cmp_gt_u32_e64 s[0:1], 8, v8
	v_lshlrev_b64 v[50:51], v50, v[2:3]
	v_lshlrev_b32_e32 v2, 8, v2
	v_cndmask_b32_e64 v8, v47, v49, s[0:1]
	v_lshl_add_u32 v8, v8, 10, v15
	v_and_b32_e32 v47, 7, v50
	v_and_or_b32 v2, v2, s44, v8
	v_cndmask_b32_e64 v9, v9, v47, s[0:1]
	v_lshlrev_b32_e32 v2, 16, v2
	v_lshl_or_b32 v47, v9, 23, v2
.LBB248_187:                            ;   in Loop: Header=BB248_9 Depth=1
	s_or_b64 exec, exec, s[38:39]
.LBB248_188:                            ;   in Loop: Header=BB248_9 Depth=1
	s_or_b64 exec, exec, s[36:37]
.LBB248_189:                            ;   in Loop: Header=BB248_9 Depth=1
	s_or_b64 exec, exec, s[34:35]
	v_or_b32_e32 v9, v45, v43
	v_or_b32_e32 v41, v42, v41
	v_fma_mixlo_f16 v43, v17, v9, 0 op_sel_hi:[0,1,0]
	v_fma_mixlo_f16 v9, v17, v45, 0 op_sel:[0,1,0] op_sel_hi:[0,1,0]
	v_fma_mixlo_f16 v45, v17, v41, 0 op_sel_hi:[0,1,0]
	v_fma_mixlo_f16 v41, v17, v42, 0 op_sel:[0,1,0] op_sel_hi:[0,1,0]
	ds_read_b32 v42, v12
	v_or_b32_e32 v18, v20, v18
	v_fma_mixlo_f16 v18, v17, v18, 0 op_sel_hi:[0,1,0]
	v_fma_mixlo_f16 v20, v17, v20, 0 op_sel:[0,1,0] op_sel_hi:[0,1,0]
	v_or_b32_e32 v2, v48, v46
	s_waitcnt lgkmcnt(0)
	v_lshrrev_b32_e32 v46, 16, v42
	v_and_b32_e32 v42, 0xffff, v42
	v_and_b32_e32 v18, 0xffff, v18
	;; [unrolled: 1-line block ×3, first 2 shown]
	v_fma_mixlo_f16 v8, v17, v2, 0 op_sel_hi:[0,1,0]
	v_fma_mixlo_f16 v2, v17, v48, 0 op_sel:[0,1,0] op_sel_hi:[0,1,0]
	;;#ASMSTART
	v_cvt_f32_f16 v42, v42;
	;;#ASMEND
	;;#ASMSTART
	v_cvt_f32_f16 v46, v46;
	;;#ASMEND
	;;#ASMSTART
	v_cvt_f32_f16 v18, v18;
	;;#ASMEND
	;;#ASMSTART
	v_cvt_f32_f16 v20, v20;
	;;#ASMEND
	ds_read_b32 v48, v12 offset:4
	v_or_b32_e32 v19, v22, v19
	v_fma_mixlo_f16 v19, v17, v19, 0 op_sel_hi:[0,1,0]
	v_fma_mixlo_f16 v22, v17, v22, 0 op_sel:[0,1,0] op_sel_hi:[0,1,0]
	v_and_b32_e32 v19, 0xffff, v19
	s_waitcnt lgkmcnt(0)
	v_lshrrev_b32_e32 v49, 16, v48
	v_and_b32_e32 v48, 0xffff, v48
	v_and_b32_e32 v22, 0xffff, v22
	;;#ASMSTART
	v_cvt_f32_f16 v48, v48;
	;;#ASMEND
	;;#ASMSTART
	v_cvt_f32_f16 v49, v49;
	;;#ASMEND
	;;#ASMSTART
	v_cvt_f32_f16 v19, v19;
	;;#ASMEND
	;;#ASMSTART
	v_cvt_f32_f16 v22, v22;
	;;#ASMEND
	ds_read_b32 v50, v12 offset:8
	v_or_b32_e32 v21, v24, v21
	v_fma_mixlo_f16 v21, v17, v21, 0 op_sel_hi:[0,1,0]
	v_fma_mixlo_f16 v24, v17, v24, 0 op_sel:[0,1,0] op_sel_hi:[0,1,0]
	v_and_b32_e32 v21, 0xffff, v21
	s_waitcnt lgkmcnt(0)
	v_lshrrev_b32_e32 v51, 16, v50
	v_and_b32_e32 v50, 0xffff, v50
	v_and_b32_e32 v24, 0xffff, v24
	;; [unrolled: 21-line block ×6, first 2 shown]
	;;#ASMSTART
	v_cvt_f32_f16 v58, v58;
	;;#ASMEND
	;;#ASMSTART
	v_cvt_f32_f16 v59, v59;
	;;#ASMEND
	;; [unrolled: 3-line block ×4, first 2 shown]
	ds_read_b32 v60, v12 offset:28
	v_or_b32_e32 v33, v34, v33
	v_or_b32_e32 v39, v40, v39
	;; [unrolled: 1-line block ×4, first 2 shown]
	v_fma_mixlo_f16 v33, v17, v33, 0 op_sel_hi:[0,1,0]
	v_fma_mixlo_f16 v34, v17, v34, 0 op_sel:[0,1,0] op_sel_hi:[0,1,0]
	v_or_b32_e32 v44, v47, v44
	v_fma_mixlo_f16 v39, v17, v39, 0 op_sel_hi:[0,1,0]
	v_fma_mixlo_f16 v40, v17, v40, 0 op_sel:[0,1,0] op_sel_hi:[0,1,0]
	v_fma_mixlo_f16 v37, v17, v37, 0 op_sel_hi:[0,1,0]
	v_fma_mixlo_f16 v38, v17, v38, 0 op_sel:[0,1,0] op_sel_hi:[0,1,0]
	;; [unrolled: 2-line block ×4, first 2 shown]
	s_waitcnt lgkmcnt(0)
	v_lshrrev_b32_e32 v61, 16, v60
	v_and_b32_e32 v47, 0xffff, v60
	v_and_b32_e32 v33, 0xffff, v33
	;; [unrolled: 1-line block ×3, first 2 shown]
	;;#ASMSTART
	v_cvt_f32_f16 v47, v47;
	;;#ASMEND
	;;#ASMSTART
	v_cvt_f32_f16 v60, v61;
	;;#ASMEND
	;; [unrolled: 3-line block ×4, first 2 shown]
	ds_read_b32 v61, v12 offset:32
	v_mul_f32_e32 v19, v48, v19
	v_fmac_f32_e32 v19, v42, v18
	v_mul_f32_e32 v18, v49, v22
	v_fmac_f32_e32 v18, v46, v20
	s_waitcnt lgkmcnt(0)
	v_lshrrev_b32_e32 v22, 16, v61
	v_and_b32_e32 v20, 0xffff, v61
	v_and_b32_e32 v35, 0xffff, v35
	v_and_b32_e32 v36, 0xffff, v36
	;;#ASMSTART
	v_cvt_f32_f16 v20, v20;
	;;#ASMEND
	;;#ASMSTART
	v_cvt_f32_f16 v22, v22;
	;;#ASMEND
	;;#ASMSTART
	v_cvt_f32_f16 v35, v35;
	;;#ASMEND
	;;#ASMSTART
	v_cvt_f32_f16 v36, v36;
	;;#ASMEND
	ds_read_b32 v42, v12 offset:36
	v_fmac_f32_e32 v19, v50, v21
	v_fmac_f32_e32 v18, v51, v24
	v_fmac_f32_e32 v19, v52, v23
	v_fmac_f32_e32 v18, v53, v26
	s_waitcnt lgkmcnt(0)
	v_lshrrev_b32_e32 v23, 16, v42
	v_and_b32_e32 v21, 0xffff, v42
	v_and_b32_e32 v24, 0xffff, v37
	v_and_b32_e32 v26, 0xffff, v38
	;;#ASMSTART
	v_cvt_f32_f16 v21, v21;
	;;#ASMEND
	;;#ASMSTART
	v_cvt_f32_f16 v23, v23;
	;;#ASMEND
	;;#ASMSTART
	v_cvt_f32_f16 v24, v24;
	;;#ASMEND
	;;#ASMSTART
	v_cvt_f32_f16 v26, v26;
	;;#ASMEND
	ds_read_b32 v37, v12 offset:40
	v_fmac_f32_e32 v19, v54, v25
	v_fmac_f32_e32 v18, v55, v28
	v_fmac_f32_e32 v19, v56, v27
	;; [unrolled: 22-line block ×4, first 2 shown]
	v_and_b32_e32 v22, 0xffff, v43
	s_waitcnt lgkmcnt(0)
	v_lshrrev_b32_e32 v21, 16, v37
	v_and_b32_e32 v20, 0xffff, v37
	v_and_b32_e32 v9, 0xffff, v9
	v_fmac_f32_e32 v18, v23, v26
	;;#ASMSTART
	v_cvt_f32_f16 v20, v20;
	;;#ASMEND
	;;#ASMSTART
	v_cvt_f32_f16 v21, v21;
	;;#ASMEND
	;; [unrolled: 3-line block ×4, first 2 shown]
	ds_read_b32 v23, v12 offset:52
	v_and_b32_e32 v8, 0xffff, v8
	v_and_b32_e32 v2, 0xffff, v2
	v_fmac_f32_e32 v19, v25, v28
	v_fmac_f32_e32 v18, v27, v31
	s_waitcnt lgkmcnt(0)
	v_lshrrev_b32_e32 v24, 16, v23
	v_and_b32_e32 v23, 0xffff, v23
	;;#ASMSTART
	v_cvt_f32_f16 v23, v23;
	;;#ASMEND
	;;#ASMSTART
	v_cvt_f32_f16 v24, v24;
	;;#ASMEND
	;; [unrolled: 3-line block ×4, first 2 shown]
	ds_read_b32 v25, v12 offset:56
	v_fmac_f32_e32 v19, v29, v33
	v_fmac_f32_e32 v18, v32, v34
	;; [unrolled: 1-line block ×6, first 2 shown]
	s_waitcnt lgkmcnt(0)
	v_lshrrev_b32_e32 v8, 16, v25
	v_and_b32_e32 v2, 0xffff, v25
	;;#ASMSTART
	v_cvt_f32_f16 v2, v2;
	;;#ASMEND
	;;#ASMSTART
	v_cvt_f32_f16 v8, v8;
	;;#ASMEND
	v_and_b32_e32 v9, 0xffff, v44
	v_and_b32_e32 v17, 0xffff, v17
	;;#ASMSTART
	v_cvt_f32_f16 v9, v9;
	;;#ASMEND
	;;#ASMSTART
	v_cvt_f32_f16 v17, v17;
	;;#ASMEND
	s_nop 0
	v_fmac_f32_e32 v18, v8, v17
	v_and_b32_e32 v8, 64, v10
	v_fmac_f32_e32 v19, v2, v9
	v_add_u32_e32 v2, 64, v8
	v_xor_b32_e32 v17, 2, v10
	v_cmp_lt_i32_e64 s[0:1], v17, v2
	v_add_f32_e32 v9, v19, v18
	s_nop 0
	v_cndmask_b32_e64 v17, v10, v17, s[0:1]
	v_lshlrev_b32_e32 v17, 2, v17
	ds_bpermute_b32 v17, v17, v9
	s_waitcnt lgkmcnt(0)
	v_add_f32_e32 v9, v9, v17
	v_xor_b32_e32 v17, 1, v10
	v_cmp_lt_i32_e64 s[0:1], v17, v2
	s_nop 1
	v_cndmask_b32_e64 v17, v10, v17, s[0:1]
	v_lshlrev_b32_e32 v17, 2, v17
	ds_bpermute_b32 v17, v17, v9
	s_and_saveexec_b64 s[34:35], vcc
	s_cbranch_execz .LBB248_8
; %bb.190:                              ;   in Loop: Header=BB248_9 Depth=1
	v_add_u32_e32 v18, s41, v13
	v_cvt_f32_i32_e32 v18, v18
	s_waitcnt lgkmcnt(0)
	v_add_f32_e32 v9, v9, v17
	v_cmp_gt_i32_e64 s[0:1], s33, v13
	v_max_f32_e32 v17, v11, v11
	v_mul_f32_e32 v18, s28, v18
	v_cndmask_b32_e64 v18, 0, v18, s[2:3]
	v_fmac_f32_e32 v18, s29, v9
	v_cndmask_b32_e64 v9, 0, v18, s[0:1]
	ds_write_b32 v14, v9
	v_max_f32_e32 v9, v17, v18
	v_cndmask_b32_e64 v11, v11, v9, s[0:1]
	s_branch .LBB248_8
.LBB248_191:
	s_or_b64 exec, exec, s[14:15]
.LBB248_192:
	s_or_b64 exec, exec, s[30:31]
	v_xor_b32_e32 v3, 32, v10
	v_cmp_lt_i32_e32 vcc, v3, v2
	v_xor_b32_e32 v6, 16, v10
	v_max_f32_e32 v5, v11, v11
	v_cndmask_b32_e32 v3, v10, v3, vcc
	v_lshlrev_b32_e32 v3, 2, v3
	ds_bpermute_b32 v4, v3, v11
	v_cmp_lt_i32_e32 vcc, v6, v2
	v_xor_b32_e32 v7, 8, v10
	v_xor_b32_e32 v11, 4, v10
	s_waitcnt lgkmcnt(0)
	v_max_f32_e32 v4, v4, v4
	v_max_f32_e32 v4, v5, v4
	v_cndmask_b32_e32 v5, v10, v6, vcc
	v_lshlrev_b32_e32 v5, 2, v5
	ds_bpermute_b32 v6, v5, v4
	v_cmp_lt_i32_e32 vcc, v7, v2
	s_waitcnt lgkmcnt(0)
	v_max_f32_e32 v6, v6, v6
	v_max_f32_e32 v4, v4, v6
	v_cndmask_b32_e32 v6, v10, v7, vcc
	v_lshlrev_b32_e32 v9, 2, v6
	ds_bpermute_b32 v6, v9, v4
	v_cmp_lt_i32_e32 vcc, v11, v2
	s_waitcnt lgkmcnt(0)
	v_max_f32_e32 v6, v6, v6
	v_max_f32_e32 v7, v4, v6
	v_cndmask_b32_e32 v4, v10, v11, vcc
	v_lshlrev_b32_e32 v11, 2, v4
	ds_bpermute_b32 v12, v11, v7
	v_and_b32_e32 v4, 63, v0
	v_cmp_eq_u32_e32 vcc, 0, v4
	v_lshlrev_b32_e32 v6, 2, v30
	s_and_saveexec_b64 s[0:1], vcc
	s_cbranch_execz .LBB248_194
; %bb.193:
	s_waitcnt lgkmcnt(0)
	v_max_f32_e32 v12, v12, v12
	v_max_f32_e32 v7, v7, v7
	;; [unrolled: 1-line block ×3, first 2 shown]
	ds_write_b32 v6, v7 offset:240
.LBB248_194:
	s_or_b64 exec, exec, s[0:1]
	v_cmp_gt_u32_e64 s[0:1], 2, v4
	s_waitcnt lgkmcnt(0)
	v_mov_b32_e32 v12, 0xff7fffff
	v_lshlrev_b32_e32 v7, 2, v4
	s_barrier
	s_and_saveexec_b64 s[2:3], s[0:1]
; %bb.195:
	ds_read_b32 v12, v7 offset:240
; %bb.196:
	s_or_b64 exec, exec, s[2:3]
	v_xor_b32_e32 v13, 1, v10
	v_cmp_lt_i32_e64 s[2:3], v13, v2
	v_lshlrev_b32_e32 v8, 2, v8
	s_nop 0
	v_cndmask_b32_e64 v13, v10, v13, s[2:3]
	v_lshlrev_b32_e32 v31, 2, v13
	s_waitcnt lgkmcnt(0)
	ds_bpermute_b32 v13, v31, v12
	v_max_f32_e32 v12, v12, v12
	s_lshl_b32 s2, s19, 4
	s_min_i32 s30, s2, s33
	v_cmp_gt_i32_e64 s[2:3], s30, v0
	s_waitcnt lgkmcnt(0)
	v_max_f32_e32 v13, v13, v13
	v_max_f32_e32 v12, v12, v13
	ds_bpermute_b32 v12, v8, v12
	v_mov_b32_e32 v8, 0
	s_and_saveexec_b64 s[14:15], s[2:3]
	s_cbranch_execz .LBB248_200
; %bb.197:
	v_mov_b32_e32 v8, 0x100
	v_lshl_add_u32 v13, v0, 2, v8
	v_mov_b32_e32 v8, 0
	s_mov_b64 s[28:29], 0
	v_mov_b32_e32 v14, v0
.LBB248_198:                            ; =>This Inner Loop Header: Depth=1
	ds_read_b32 v15, v13
	v_add_u32_e32 v14, 0x80, v14
	v_cmp_le_i32_e64 s[8:9], s30, v14
	s_or_b64 s[28:29], s[8:9], s[28:29]
	s_waitcnt lgkmcnt(0)
	v_sub_f32_e32 v15, v15, v12
	v_mul_f32_e32 v15, 0x3fb8aa3b, v15
	v_exp_f32_e32 v15, v15
	ds_write_b32 v13, v15
	v_add_f32_e32 v8, v8, v15
	v_add_u32_e32 v13, 0x200, v13
	s_andn2_b64 exec, exec, s[28:29]
	s_cbranch_execnz .LBB248_198
; %bb.199:
	s_or_b64 exec, exec, s[28:29]
.LBB248_200:
	s_or_b64 exec, exec, s[14:15]
	ds_bpermute_b32 v3, v3, v8
	s_waitcnt lgkmcnt(0)
	v_add_f32_e32 v3, v8, v3
	ds_bpermute_b32 v5, v5, v3
	v_xor_b32_e32 v8, 2, v10
	v_cmp_lt_i32_e64 s[8:9], v8, v2
	s_waitcnt lgkmcnt(0)
	v_add_f32_e32 v3, v3, v5
	ds_bpermute_b32 v5, v9, v3
	v_cndmask_b32_e64 v2, v10, v8, s[8:9]
	v_lshlrev_b32_e32 v2, 2, v2
	s_waitcnt lgkmcnt(0)
	v_add_f32_e32 v3, v3, v5
	ds_bpermute_b32 v5, v11, v3
	s_waitcnt lgkmcnt(0)
	v_add_f32_e32 v3, v3, v5
	ds_bpermute_b32 v2, v2, v3
	;; [unrolled: 3-line block ×3, first 2 shown]
	s_waitcnt lgkmcnt(0)
	v_add_f32_e32 v2, v2, v3
	s_and_saveexec_b64 s[8:9], vcc
; %bb.201:
	ds_write_b32 v6, v2 offset:248
; %bb.202:
	s_or_b64 exec, exec, s[8:9]
	s_waitcnt lgkmcnt(0)
	s_barrier
	s_and_saveexec_b64 s[8:9], s[0:1]
; %bb.203:
	ds_read_b32 v2, v7 offset:248
; %bb.204:
	s_or_b64 exec, exec, s[8:9]
	s_waitcnt lgkmcnt(0)
	ds_bpermute_b32 v3, v31, v2
	v_lshlrev_b32_e32 v5, 2, v10
	s_waitcnt lgkmcnt(0)
	v_add_f32_e32 v2, v2, v3
	v_and_b32_e32 v3, 0xffffff00, v5
	ds_bpermute_b32 v2, v3, v2
	s_and_saveexec_b64 s[0:1], s[2:3]
	s_cbranch_execz .LBB248_217
; %bb.205:
	s_waitcnt lgkmcnt(0)
	v_add_f32_e32 v2, 0x358637bd, v2
	v_div_scale_f32 v3, s[2:3], v2, v2, 1.0
	v_rcp_f32_e32 v5, v3
	v_div_scale_f32 v6, vcc, 1.0, v2, 1.0
	s_movk_i32 s2, 0x7f
	v_fma_f32 v7, -v3, v5, 1.0
	v_fmac_f32_e32 v5, v7, v5
	v_mul_f32_e32 v7, v6, v5
	v_fma_f32 v8, -v3, v7, v6
	v_fmac_f32_e32 v7, v8, v5
	v_fma_f32 v3, -v3, v7, v6
	v_div_fmas_f32 v3, v3, v5, v7
	v_xad_u32 v5, v0, -1, s30
	v_div_fixup_f32 v2, v3, v2, 1.0
	v_cmp_lt_u32_e32 vcc, s2, v5
	s_mov_b64 s[8:9], -1
	v_mov_b32_e32 v3, v0
	s_and_saveexec_b64 s[2:3], vcc
	s_cbranch_execz .LBB248_214
; %bb.206:
	v_lshrrev_b32_e32 v5, 7, v5
	v_add_u32_e32 v7, -1, v5
	v_lshrrev_b32_e32 v6, 1, v7
	v_mov_b32_e32 v3, v2
	v_add_u32_e32 v6, 1, v6
	v_cmp_lt_u32_e32 vcc, 13, v7
	v_mov_b32_e32 v9, 0
	s_and_saveexec_b64 s[8:9], vcc
	s_cbranch_execz .LBB248_210
; %bb.207:
	v_mov_b32_e32 v8, 0x100
	v_and_b32_e32 v7, -8, v6
	v_lshl_add_u32 v8, v0, 2, v8
	s_mov_b32 s28, 0
	s_mov_b64 s[14:15], 0
.LBB248_208:                            ; =>This Inner Loop Header: Depth=1
	ds_read2st64_b32 v[10:11], v8 offset1:2
	ds_read2st64_b32 v[12:13], v8 offset0:4 offset1:6
	ds_read2st64_b32 v[14:15], v8 offset0:8 offset1:10
	;; [unrolled: 1-line block ×3, first 2 shown]
	v_add_u32_e32 v7, -8, v7
	s_waitcnt lgkmcnt(3)
	v_pk_mul_f32 v[10:11], v[2:3], v[10:11]
	s_waitcnt lgkmcnt(2)
	v_pk_mul_f32 v[12:13], v[2:3], v[12:13]
	ds_write2st64_b32 v8, v10, v11 offset1:2
	ds_write2st64_b32 v8, v12, v13 offset0:4 offset1:6
	ds_read2st64_b32 v[12:13], v8 offset0:16 offset1:18
	s_waitcnt lgkmcnt(4)
	v_pk_mul_f32 v[10:11], v[2:3], v[14:15]
	ds_write2st64_b32 v8, v10, v11 offset0:8 offset1:10
	s_waitcnt lgkmcnt(4)
	v_pk_mul_f32 v[10:11], v[2:3], v[16:17]
	ds_write2st64_b32 v8, v10, v11 offset0:12 offset1:14
	ds_read2st64_b32 v[10:11], v8 offset0:20 offset1:22
	s_waitcnt lgkmcnt(3)
	v_pk_mul_f32 v[12:13], v[2:3], v[12:13]
	ds_read2st64_b32 v[14:15], v8 offset0:24 offset1:26
	ds_write2st64_b32 v8, v12, v13 offset0:16 offset1:18
	ds_read2st64_b32 v[12:13], v8 offset0:28 offset1:30
	s_waitcnt lgkmcnt(3)
	v_pk_mul_f32 v[10:11], v[2:3], v[10:11]
	ds_write2st64_b32 v8, v10, v11 offset0:20 offset1:22
	s_waitcnt lgkmcnt(3)
	v_pk_mul_f32 v[10:11], v[2:3], v[14:15]
	ds_write2st64_b32 v8, v10, v11 offset0:24 offset1:26
	s_waitcnt lgkmcnt(2)
	v_pk_mul_f32 v[10:11], v[2:3], v[12:13]
	s_add_i32 s28, s28, 16
	v_cmp_eq_u32_e32 vcc, 0, v7
	ds_write2st64_b32 v8, v10, v11 offset0:28 offset1:30
	v_add_u32_e32 v8, 0x2000, v8
	s_or_b64 s[14:15], vcc, s[14:15]
	v_mov_b32_e32 v9, s28
	s_andn2_b64 exec, exec, s[14:15]
	s_cbranch_execnz .LBB248_208
; %bb.209:
	s_or_b64 exec, exec, s[14:15]
.LBB248_210:
	s_or_b64 exec, exec, s[8:9]
	v_and_b32_e32 v6, 7, v6
	v_cmp_ne_u32_e32 vcc, 0, v6
	s_and_saveexec_b64 s[8:9], vcc
	s_cbranch_execz .LBB248_213
; %bb.211:
	v_lshlrev_b32_e32 v7, 9, v9
	v_lshlrev_b32_e32 v8, 2, v0
	s_movk_i32 s14, 0x100
	v_add3_u32 v7, v7, v8, s14
	s_mov_b64 s[14:15], 0
.LBB248_212:                            ; =>This Inner Loop Header: Depth=1
	ds_read2st64_b32 v[8:9], v7 offset1:2
	v_add_u32_e32 v6, -1, v6
	v_cmp_eq_u32_e32 vcc, 0, v6
	s_or_b64 s[14:15], vcc, s[14:15]
	s_waitcnt lgkmcnt(0)
	v_pk_mul_f32 v[8:9], v[2:3], v[8:9]
	ds_write2st64_b32 v7, v8, v9 offset1:2
	v_add_u32_e32 v7, 0x400, v7
	s_andn2_b64 exec, exec, s[14:15]
	s_cbranch_execnz .LBB248_212
.LBB248_213:
	s_or_b64 exec, exec, s[8:9]
	v_add_u32_e32 v5, 1, v5
	v_and_b32_e32 v6, 0x3fffffe, v5
	v_cmp_ne_u32_e32 vcc, v5, v6
	v_lshl_add_u32 v3, v6, 7, v0
	s_orn2_b64 s[8:9], vcc, exec
.LBB248_214:
	s_or_b64 exec, exec, s[2:3]
	s_and_b64 exec, exec, s[8:9]
	s_cbranch_execz .LBB248_217
; %bb.215:
	v_mov_b32_e32 v5, 0x100
	v_lshl_add_u32 v5, v3, 2, v5
	s_mov_b64 s[2:3], 0
.LBB248_216:                            ; =>This Inner Loop Header: Depth=1
	ds_read_b32 v6, v5
	v_add_u32_e32 v3, 0x80, v3
	v_cmp_le_i32_e32 vcc, s30, v3
	s_or_b64 s[2:3], vcc, s[2:3]
	s_waitcnt lgkmcnt(0)
	v_mul_f32_e32 v6, v2, v6
	ds_write_b32 v5, v6
	v_add_u32_e32 v5, 0x200, v5
	s_andn2_b64 exec, exec, s[2:3]
	s_cbranch_execnz .LBB248_216
.LBB248_217:
	s_or_b64 exec, exec, s[0:1]
	v_lshrrev_b32_e32 v32, 1, v4
	s_waitcnt lgkmcnt(0)
	s_barrier
	s_and_saveexec_b64 s[0:1], s[6:7]
	s_xor_b64 s[0:1], exec, s[0:1]
; %bb.218:
	v_lshrrev_b32_e32 v32, 1, v4
                                        ; implicit-def: $vgpr30
                                        ; implicit-def: $vgpr1
; %bb.219:
	s_or_saveexec_b64 s[6:7], s[0:1]
	v_mov_b32_e32 v3, 0
	v_and_b32_e32 v33, 1, v0
	v_mov_b32_e32 v2, 0
	v_mov_b32_e32 v9, 0
	;; [unrolled: 1-line block ×3, first 2 shown]
	s_xor_b64 exec, exec, s[6:7]
	s_cbranch_execz .LBB248_425
; %bb.220:
	s_ashr_i32 s1, s12, 31
	v_lshlrev_b32_e32 v2, 3, v0
	s_add_u32 s0, s26, s12
	v_or_b32_e32 v3, 0x60, v32
	s_movk_i32 s2, 0x78
	v_and_b32_e32 v2, 8, v2
	s_addc_u32 s1, s27, s1
	s_add_i32 s29, s19, -1
	v_cmp_gt_u32_e32 vcc, s2, v3
	s_lshl_b64 s[2:3], s[24:25], 2
	v_lshl_or_b32 v4, v32, 4, v2
	v_lshl_or_b32 v10, v3, 4, v2
	;; [unrolled: 1-line block ×3, first 2 shown]
	v_lshlrev_b32_e32 v2, 5, v33
	s_add_u32 s2, s22, s2
	s_mov_b32 s8, -1
	v_mov_b32_e32 v7, 0
	v_lshl_or_b32 v2, v30, 6, v2
	v_and_b32_e32 v6, 60, v1
	s_addc_u32 s3, s23, s3
	s_mov_b32 s28, s13
	s_mov_b32 s9, 0xffffff
	v_mov_b32_e32 v5, v7
	v_mov_b32_e32 v11, v7
	s_mov_b32 s30, s33
	v_add_u32_e32 v35, 0x100, v2
	v_lshl_add_u64 v[12:13], s[2:3], 0, v[6:7]
	s_mov_b64 s[12:13], 0
	v_mov_b64_e32 v[14:15], s[0:1]
	s_movk_i32 s31, 0x80
	s_movk_i32 s34, 0x7f
	s_mov_b32 s35, 0x8000
	v_mov_b32_e32 v36, 0x2000
	v_mov_b32_e32 v3, 0
	;; [unrolled: 1-line block ×5, first 2 shown]
	s_branch .LBB248_223
.LBB248_221:                            ;   in Loop: Header=BB248_223 Depth=1
	s_or_b64 exec, exec, s[2:3]
	;;#ASMSTART
	v_pk_mul_f16 v1, v42, v1;

	;;#ASMEND
	;;#ASMSTART
	v_pk_mul_f16 v6, v41, v18;

	;;#ASMEND
	;; [unrolled: 4-line block ×4, first 2 shown]
	s_nop 0
	;;#ASMSTART
	v_pk_add_f16 v1, v1, v6;

	;;#ASMEND
	s_nop 0
	;;#ASMSTART
	v_pk_add_f16 v1, v1, v16;

	;;#ASMEND
	;; [unrolled: 5-line block ×3, first 2 shown]
	s_nop 0
	v_lshrrev_b32_e32 v6, 16, v1
	v_and_b32_e32 v1, 0xffff, v1
	;;#ASMSTART
	v_cvt_f32_f16 v1, v1;
	;;#ASMEND
	;;#ASMSTART
	v_cvt_f32_f16 v6, v6;
	;;#ASMEND
	s_nop 0
	v_add_f32_e32 v1, v1, v6
	v_add_f32_e32 v3, v3, v1
.LBB248_222:                            ;   in Loop: Header=BB248_223 Depth=1
	s_or_b64 exec, exec, s[14:15]
	v_add_f32_e32 v1, v26, v27
	v_add_f32_e32 v2, v2, v1
	;; [unrolled: 1-line block ×3, first 2 shown]
	v_add_u32_e32 v30, 2, v30
	v_add_f32_e32 v9, v9, v1
	v_add_f32_e32 v1, v37, v38
	v_cmp_le_i32_e64 s[0:1], s19, v30
	v_add_f32_e32 v8, v8, v1
	v_add_u32_e32 v34, 32, v34
	v_add_u32_e32 v35, 0x80, v35
	s_or_b64 s[12:13], s[0:1], s[12:13]
	v_lshl_add_u64 v[12:13], v[12:13], 0, 8
	s_andn2_b64 exec, exec, s[12:13]
	s_cbranch_execz .LBB248_424
.LBB248_223:                            ; =>This Inner Loop Header: Depth=1
	global_load_dword v1, v[12:13], off
	ds_read2_b64 v[16:19], v35 offset1:1
	ds_read2_b64 v[20:23], v35 offset0:2 offset1:3
	s_waitcnt lgkmcnt(1)
	;;#ASMSTART
	v_cvt_f16_f32 v37, v16;

	;;#ASMEND
	;;#ASMSTART
	v_cvt_f16_f32 v38, v17;

	;;#ASMEND
	;; [unrolled: 4-line block ×4, first 2 shown]
	s_waitcnt lgkmcnt(0)
	;;#ASMSTART
	v_cvt_f16_f32 v43, v20;

	;;#ASMEND
	;;#ASMSTART
	v_cvt_f16_f32 v44, v21;

	;;#ASMEND
	;;#ASMSTART
	v_cvt_f16_f32 v45, v22;

	;;#ASMEND
	;;#ASMSTART
	v_cvt_f16_f32 v46, v23;

	;;#ASMEND
	s_waitcnt vmcnt(0)
	v_mad_i64_i32 v[16:17], s[0:1], v1, s28, v[14:15]
	v_lshl_add_u64 v[18:19], v[16:17], 0, v[4:5]
	global_load_dwordx2 v[22:23], v[18:19], off
	global_load_dword v20, v7, s[10:11]
	v_mov_b32_e32 v1, 0
	s_waitcnt vmcnt(1)
	v_cmp_ne_u16_sdwa s[0:1], v22, v7 src0_sel:BYTE_0 src1_sel:DWORD
	s_and_saveexec_b64 s[2:3], s[0:1]
	s_cbranch_execz .LBB248_229
; %bb.224:                              ;   in Loop: Header=BB248_223 Depth=1
	v_cmp_ne_u16_sdwa s[0:1], v22, s31 src0_sel:BYTE_0 src1_sel:DWORD
	v_mov_b32_e32 v1, 0x8000
	s_and_saveexec_b64 s[14:15], s[0:1]
	s_cbranch_execz .LBB248_228
; %bb.225:                              ;   in Loop: Header=BB248_223 Depth=1
	v_and_b32_e32 v6, 0x7f, v22
	v_cmp_ne_u32_e64 s[0:1], s34, v6
	v_mov_b32_e32 v1, 0x7c01
	s_and_saveexec_b64 s[22:23], s[0:1]
	s_cbranch_execz .LBB248_227
; %bb.226:                              ;   in Loop: Header=BB248_223 Depth=1
	v_and_b32_e32 v1, 7, v22
	v_ffbh_u32_e32 v24, v1
	v_min_u32_e32 v26, 32, v24
	v_subrev_u32_e32 v24, 28, v26
	v_lshlrev_b64 v[24:25], v24, v[22:23]
	v_lshrrev_b32_e32 v21, 3, v6
	v_sub_u32_e32 v25, 29, v26
	v_cmp_gt_u32_e64 s[0:1], 8, v6
	v_and_b32_e32 v24, 7, v24
	s_nop 0
	v_cndmask_b32_e64 v6, v21, v25, s[0:1]
	v_lshl_add_u32 v6, v6, 10, v36
	v_lshlrev_b32_e32 v21, 8, v22
	v_and_b32_e32 v6, 0xfc00, v6
	v_cndmask_b32_e64 v1, v1, v24, s[0:1]
	v_and_or_b32 v6, v21, s35, v6
	v_lshl_or_b32 v1, v1, 7, v6
.LBB248_227:                            ;   in Loop: Header=BB248_223 Depth=1
	s_or_b64 exec, exec, s[22:23]
.LBB248_228:                            ;   in Loop: Header=BB248_223 Depth=1
	s_or_b64 exec, exec, s[14:15]
.LBB248_229:                            ;   in Loop: Header=BB248_223 Depth=1
	s_or_b64 exec, exec, s[2:3]
	v_lshrrev_b16_e32 v6, 8, v22
	v_cmp_ne_u16_e64 s[0:1], 0, v6
	v_mov_b32_e32 v21, 0
	v_mov_b32_e32 v24, 0
	s_and_saveexec_b64 s[2:3], s[0:1]
	s_cbranch_execz .LBB248_235
; %bb.230:                              ;   in Loop: Header=BB248_223 Depth=1
	v_cmp_ne_u16_e64 s[0:1], s31, v6
	v_bfrev_b32_e32 v24, 1
	s_and_saveexec_b64 s[14:15], s[0:1]
	s_cbranch_execz .LBB248_234
; %bb.231:                              ;   in Loop: Header=BB248_223 Depth=1
	v_and_b32_e32 v25, 0x7f, v6
	v_cmp_ne_u32_e64 s[0:1], s34, v25
	v_mov_b32_e32 v24, 0x7c010000
	s_and_saveexec_b64 s[22:23], s[0:1]
	s_cbranch_execz .LBB248_233
; %bb.232:                              ;   in Loop: Header=BB248_223 Depth=1
	v_and_b32_e32 v24, 7, v6
	v_ffbh_u32_e32 v26, v24
	v_min_u32_e32 v29, 32, v26
	v_subrev_u32_e32 v26, 28, v29
	v_lshlrev_b64 v[26:27], v26, v[6:7]
	v_lshrrev_b32_e32 v28, 3, v25
	v_sub_u32_e32 v27, 29, v29
	v_cmp_gt_u32_e64 s[0:1], 8, v25
	v_lshlrev_b32_e32 v6, 8, v6
	v_and_b32_e32 v26, 7, v26
	v_cndmask_b32_e64 v25, v28, v27, s[0:1]
	v_lshl_add_u32 v25, v25, 10, v36
	v_and_or_b32 v6, v6, s35, v25
	v_cndmask_b32_e64 v24, v24, v26, s[0:1]
	v_lshlrev_b32_e32 v6, 16, v6
	v_lshl_or_b32 v24, v24, 23, v6
.LBB248_233:                            ;   in Loop: Header=BB248_223 Depth=1
	s_or_b64 exec, exec, s[22:23]
.LBB248_234:                            ;   in Loop: Header=BB248_223 Depth=1
	s_or_b64 exec, exec, s[14:15]
.LBB248_235:                            ;   in Loop: Header=BB248_223 Depth=1
	s_or_b64 exec, exec, s[2:3]
	v_lshrrev_b32_e32 v6, 16, v22
	v_cmp_ne_u16_sdwa s[0:1], v6, v7 src0_sel:BYTE_0 src1_sel:DWORD
	s_and_saveexec_b64 s[2:3], s[0:1]
	s_cbranch_execz .LBB248_241
; %bb.236:                              ;   in Loop: Header=BB248_223 Depth=1
	v_cmp_ne_u16_sdwa s[0:1], v6, s31 src0_sel:BYTE_0 src1_sel:DWORD
	v_mov_b32_e32 v21, 0x8000
	s_and_saveexec_b64 s[14:15], s[0:1]
	s_cbranch_execz .LBB248_240
; %bb.237:                              ;   in Loop: Header=BB248_223 Depth=1
	v_bfe_u32 v25, v22, 16, 7
	v_cmp_ne_u32_e64 s[0:1], s34, v25
	v_mov_b32_e32 v21, 0x7c01
	s_and_saveexec_b64 s[22:23], s[0:1]
	s_cbranch_execz .LBB248_239
; %bb.238:                              ;   in Loop: Header=BB248_223 Depth=1
	v_and_b32_e32 v21, 7, v6
	v_ffbh_u32_e32 v26, v21
	v_min_u32_e32 v29, 32, v26
	v_subrev_u32_e32 v26, 28, v29
	v_lshlrev_b64 v[26:27], v26, v[6:7]
	v_lshrrev_b32_e32 v28, 3, v25
	v_sub_u32_e32 v27, 29, v29
	v_cmp_gt_u32_e64 s[0:1], 8, v25
	v_lshlrev_b32_e32 v6, 8, v6
	v_and_b32_e32 v26, 7, v26
	v_cndmask_b32_e64 v25, v28, v27, s[0:1]
	v_lshl_add_u32 v25, v25, 10, v36
	v_and_b32_e32 v25, 0xfc00, v25
	v_cndmask_b32_e64 v21, v21, v26, s[0:1]
	v_and_or_b32 v6, v6, s35, v25
	v_lshl_or_b32 v21, v21, 7, v6
.LBB248_239:                            ;   in Loop: Header=BB248_223 Depth=1
	s_or_b64 exec, exec, s[22:23]
.LBB248_240:                            ;   in Loop: Header=BB248_223 Depth=1
	s_or_b64 exec, exec, s[14:15]
.LBB248_241:                            ;   in Loop: Header=BB248_223 Depth=1
	s_or_b64 exec, exec, s[2:3]
	v_cmp_lt_u32_e64 s[0:1], s9, v22
	v_mov_b32_e32 v25, 0
	v_mov_b32_e32 v26, 0
	s_and_saveexec_b64 s[2:3], s[0:1]
	s_cbranch_execz .LBB248_247
; %bb.242:                              ;   in Loop: Header=BB248_223 Depth=1
	v_lshrrev_b32_e32 v6, 24, v22
	v_cmp_ne_u32_e64 s[0:1], s31, v6
	v_bfrev_b32_e32 v26, 1
	s_and_saveexec_b64 s[14:15], s[0:1]
	s_cbranch_execz .LBB248_246
; %bb.243:                              ;   in Loop: Header=BB248_223 Depth=1
	v_and_b32_e32 v27, 0x7f, v6
	v_cmp_ne_u32_e64 s[0:1], s34, v27
	v_mov_b32_e32 v26, 0x7c010000
	s_and_saveexec_b64 s[22:23], s[0:1]
	s_cbranch_execz .LBB248_245
; %bb.244:                              ;   in Loop: Header=BB248_223 Depth=1
	v_and_b32_e32 v26, 7, v6
	v_ffbh_u32_e32 v28, v26
	v_min_u32_e32 v42, 32, v28
	v_subrev_u32_e32 v28, 28, v42
	v_lshlrev_b64 v[28:29], v28, v[6:7]
	v_lshrrev_b32_e32 v41, 3, v27
	v_sub_u32_e32 v29, 29, v42
	v_cmp_gt_u32_e64 s[0:1], 8, v27
	v_lshlrev_b32_e32 v6, 8, v6
	v_and_b32_e32 v28, 7, v28
	v_cndmask_b32_e64 v27, v41, v29, s[0:1]
	v_lshl_add_u32 v27, v27, 10, v36
	v_and_or_b32 v6, v6, s35, v27
	v_cndmask_b32_e64 v26, v26, v28, s[0:1]
	v_lshlrev_b32_e32 v6, 16, v6
	v_lshl_or_b32 v26, v26, 23, v6
.LBB248_245:                            ;   in Loop: Header=BB248_223 Depth=1
	s_or_b64 exec, exec, s[22:23]
.LBB248_246:                            ;   in Loop: Header=BB248_223 Depth=1
	s_or_b64 exec, exec, s[14:15]
.LBB248_247:                            ;   in Loop: Header=BB248_223 Depth=1
	s_or_b64 exec, exec, s[2:3]
	v_mov_b32_e32 v6, v23
	v_cmp_ne_u16_sdwa s[0:1], v23, v7 src0_sel:BYTE_0 src1_sel:DWORD
	s_and_saveexec_b64 s[2:3], s[0:1]
	s_cbranch_execz .LBB248_253
; %bb.248:                              ;   in Loop: Header=BB248_223 Depth=1
	v_cmp_ne_u16_sdwa s[0:1], v23, s31 src0_sel:BYTE_0 src1_sel:DWORD
	v_mov_b32_e32 v25, 0x8000
	s_and_saveexec_b64 s[14:15], s[0:1]
	s_cbranch_execz .LBB248_252
; %bb.249:                              ;   in Loop: Header=BB248_223 Depth=1
	v_and_b32_e32 v27, 0x7f, v23
	v_cmp_ne_u32_e64 s[0:1], s34, v27
	v_mov_b32_e32 v25, 0x7c01
	s_and_saveexec_b64 s[22:23], s[0:1]
	s_cbranch_execz .LBB248_251
; %bb.250:                              ;   in Loop: Header=BB248_223 Depth=1
	v_and_b32_e32 v25, 7, v23
	v_ffbh_u32_e32 v28, v25
	v_min_u32_e32 v42, 32, v28
	v_subrev_u32_e32 v28, 28, v42
	v_lshlrev_b64 v[28:29], v28, v[6:7]
	v_lshrrev_b32_e32 v41, 3, v27
	v_sub_u32_e32 v29, 29, v42
	v_cmp_gt_u32_e64 s[0:1], 8, v27
	v_and_b32_e32 v28, 7, v28
	s_nop 0
	v_cndmask_b32_e64 v27, v41, v29, s[0:1]
	v_lshl_add_u32 v27, v27, 10, v36
	v_lshlrev_b32_e32 v29, 8, v23
	v_and_b32_e32 v27, 0xfc00, v27
	v_cndmask_b32_e64 v25, v25, v28, s[0:1]
	v_and_or_b32 v27, v29, s35, v27
	v_lshl_or_b32 v25, v25, 7, v27
.LBB248_251:                            ;   in Loop: Header=BB248_223 Depth=1
	s_or_b64 exec, exec, s[22:23]
.LBB248_252:                            ;   in Loop: Header=BB248_223 Depth=1
	s_or_b64 exec, exec, s[14:15]
.LBB248_253:                            ;   in Loop: Header=BB248_223 Depth=1
	s_or_b64 exec, exec, s[2:3]
	v_lshrrev_b16_e32 v6, 8, v6
	v_cmp_ne_u16_e64 s[0:1], 0, v6
	v_mov_b32_e32 v28, 0
	v_mov_b32_e32 v27, 0
	s_and_saveexec_b64 s[2:3], s[0:1]
	s_cbranch_execz .LBB248_259
; %bb.254:                              ;   in Loop: Header=BB248_223 Depth=1
	v_cmp_ne_u16_e64 s[0:1], s31, v6
	v_bfrev_b32_e32 v27, 1
	s_and_saveexec_b64 s[14:15], s[0:1]
	s_cbranch_execz .LBB248_258
; %bb.255:                              ;   in Loop: Header=BB248_223 Depth=1
	v_and_b32_e32 v29, 0x7f, v6
	v_cmp_ne_u32_e64 s[0:1], s34, v29
	v_mov_b32_e32 v27, 0x7c010000
	s_and_saveexec_b64 s[22:23], s[0:1]
	s_cbranch_execz .LBB248_257
; %bb.256:                              ;   in Loop: Header=BB248_223 Depth=1
	v_and_b32_e32 v27, 7, v6
	v_ffbh_u32_e32 v42, v27
	v_min_u32_e32 v42, 32, v42
	v_lshrrev_b32_e32 v41, 3, v29
	v_subrev_u32_e32 v47, 28, v42
	v_sub_u32_e32 v42, 29, v42
	v_cmp_gt_u32_e64 s[0:1], 8, v29
	v_lshlrev_b64 v[48:49], v47, v[6:7]
	v_lshlrev_b32_e32 v6, 8, v6
	v_cndmask_b32_e64 v29, v41, v42, s[0:1]
	v_lshl_add_u32 v29, v29, 10, v36
	v_and_b32_e32 v41, 7, v48
	v_and_or_b32 v6, v6, s35, v29
	v_cndmask_b32_e64 v27, v27, v41, s[0:1]
	v_lshlrev_b32_e32 v6, 16, v6
	v_lshl_or_b32 v27, v27, 23, v6
.LBB248_257:                            ;   in Loop: Header=BB248_223 Depth=1
	s_or_b64 exec, exec, s[22:23]
.LBB248_258:                            ;   in Loop: Header=BB248_223 Depth=1
	s_or_b64 exec, exec, s[14:15]
.LBB248_259:                            ;   in Loop: Header=BB248_223 Depth=1
	s_or_b64 exec, exec, s[2:3]
	v_lshrrev_b32_e32 v6, 16, v23
	v_cmp_ne_u16_sdwa s[0:1], v6, v7 src0_sel:BYTE_0 src1_sel:DWORD
	s_and_saveexec_b64 s[2:3], s[0:1]
	s_cbranch_execz .LBB248_265
; %bb.260:                              ;   in Loop: Header=BB248_223 Depth=1
	v_cmp_ne_u16_sdwa s[0:1], v6, s31 src0_sel:BYTE_0 src1_sel:DWORD
	v_mov_b32_e32 v28, 0x8000
	s_and_saveexec_b64 s[14:15], s[0:1]
	s_cbranch_execz .LBB248_264
; %bb.261:                              ;   in Loop: Header=BB248_223 Depth=1
	v_bfe_u32 v29, v23, 16, 7
	v_cmp_ne_u32_e64 s[0:1], s34, v29
	v_mov_b32_e32 v28, 0x7c01
	s_and_saveexec_b64 s[22:23], s[0:1]
	s_cbranch_execz .LBB248_263
; %bb.262:                              ;   in Loop: Header=BB248_223 Depth=1
	v_and_b32_e32 v28, 7, v6
	v_ffbh_u32_e32 v42, v28
	v_min_u32_e32 v42, 32, v42
	v_lshrrev_b32_e32 v41, 3, v29
	v_subrev_u32_e32 v47, 28, v42
	v_sub_u32_e32 v42, 29, v42
	v_cmp_gt_u32_e64 s[0:1], 8, v29
	v_lshlrev_b64 v[48:49], v47, v[6:7]
	v_lshlrev_b32_e32 v6, 8, v6
	v_cndmask_b32_e64 v29, v41, v42, s[0:1]
	v_lshl_add_u32 v29, v29, 10, v36
	v_and_b32_e32 v41, 7, v48
	v_and_b32_e32 v29, 0xfc00, v29
	v_cndmask_b32_e64 v28, v28, v41, s[0:1]
	v_and_or_b32 v6, v6, s35, v29
	v_lshl_or_b32 v28, v28, 7, v6
.LBB248_263:                            ;   in Loop: Header=BB248_223 Depth=1
	s_or_b64 exec, exec, s[22:23]
.LBB248_264:                            ;   in Loop: Header=BB248_223 Depth=1
	s_or_b64 exec, exec, s[14:15]
.LBB248_265:                            ;   in Loop: Header=BB248_223 Depth=1
	s_or_b64 exec, exec, s[2:3]
	v_cmp_lt_u64_e64 s[0:1], s[8:9], v[22:23]
	v_mov_b32_e32 v29, 0
	s_and_saveexec_b64 s[2:3], s[0:1]
	s_cbranch_execz .LBB248_271
; %bb.266:                              ;   in Loop: Header=BB248_223 Depth=1
	v_lshrrev_b32_e32 v6, 24, v23
	v_cmp_ne_u32_e64 s[0:1], s31, v6
	v_bfrev_b32_e32 v29, 1
	s_and_saveexec_b64 s[14:15], s[0:1]
	s_cbranch_execz .LBB248_270
; %bb.267:                              ;   in Loop: Header=BB248_223 Depth=1
	v_and_b32_e32 v22, 0x7f, v6
	v_cmp_ne_u32_e64 s[0:1], s34, v22
	v_mov_b32_e32 v29, 0x7c010000
	s_and_saveexec_b64 s[22:23], s[0:1]
	s_cbranch_execz .LBB248_269
; %bb.268:                              ;   in Loop: Header=BB248_223 Depth=1
	v_and_b32_e32 v23, 7, v6
	v_ffbh_u32_e32 v41, v23
	v_min_u32_e32 v41, 32, v41
	v_lshrrev_b32_e32 v29, 3, v22
	v_subrev_u32_e32 v42, 28, v41
	v_sub_u32_e32 v41, 29, v41
	v_cmp_gt_u32_e64 s[0:1], 8, v22
	v_lshlrev_b64 v[48:49], v42, v[6:7]
	v_lshlrev_b32_e32 v6, 8, v6
	v_cndmask_b32_e64 v22, v29, v41, s[0:1]
	v_lshl_add_u32 v22, v22, 10, v36
	v_and_b32_e32 v29, 7, v48
	v_and_or_b32 v6, v6, s35, v22
	v_cndmask_b32_e64 v23, v23, v29, s[0:1]
	v_lshlrev_b32_e32 v6, 16, v6
	v_lshl_or_b32 v29, v23, 23, v6
.LBB248_269:                            ;   in Loop: Header=BB248_223 Depth=1
	s_or_b64 exec, exec, s[22:23]
.LBB248_270:                            ;   in Loop: Header=BB248_223 Depth=1
	s_or_b64 exec, exec, s[14:15]
.LBB248_271:                            ;   in Loop: Header=BB248_223 Depth=1
	s_or_b64 exec, exec, s[2:3]
	v_cvt_f32_f16_sdwa v23, v24 dst_sel:DWORD dst_unused:UNUSED_PAD src0_sel:WORD_1
	v_cvt_f32_f16_sdwa v22, v26 dst_sel:DWORD dst_unused:UNUSED_PAD src0_sel:WORD_1
	v_or_b32_e32 v1, v24, v1
	v_or_b32_e32 v6, v26, v21
	v_cvt_f32_f16_e32 v48, v6
	v_cvt_f32_f16_e32 v49, v1
	s_waitcnt vmcnt(0)
	v_pk_mul_f32 v[22:23], v[20:21], v[22:23] op_sel_hi:[0,1]
	v_cvt_pk_f16_f32 v1, v22, v23
	v_and_b32_e32 v21, 0xffff0000, v1
	v_pk_mul_f32 v[48:49], v[20:21], v[48:49] op_sel_hi:[0,1]
	v_or_b32_e32 v6, v27, v25
	v_or_b32_e32 v25, v29, v28
	v_lshlrev_b32_e32 v22, 16, v1
	v_cvt_pk_f16_f32 v1, v48, v49
	v_cvt_f32_f16_e32 v48, v25
	v_cvt_f32_f16_e32 v49, v6
	v_cvt_f32_f16_sdwa v27, v27 dst_sel:DWORD dst_unused:UNUSED_PAD src0_sel:WORD_1
	v_cvt_f32_f16_sdwa v26, v29 dst_sel:DWORD dst_unused:UNUSED_PAD src0_sel:WORD_1
	v_lshrrev_b32_e32 v23, 16, v1
	v_pk_mul_f32 v[28:29], v[20:21], v[48:49] op_sel_hi:[0,1]
	v_cvt_pk_f16_f32 v28, v28, v29
	v_pk_mul_f32 v[26:27], v[20:21], v[26:27] op_sel_hi:[0,1]
	v_cvt_pk_f16_f32 v20, v26, v27
	v_and_b32_e32 v24, 0xffff, v1
	v_and_b32_e32 v25, 0xffff0000, v20
	v_lshlrev_b32_e32 v20, 16, v20
	v_lshrrev_b32_e32 v27, 16, v28
	v_and_b32_e32 v26, 0xffff, v28
	v_cmp_eq_u32_e64 s[0:1], s29, v30
	v_or_b32_e32 v1, v21, v23
	v_or_b32_e32 v6, v22, v24
	;; [unrolled: 1-line block ×4, first 2 shown]
	s_and_saveexec_b64 s[14:15], s[0:1]
	s_cbranch_execz .LBB248_273
; %bb.272:                              ;   in Loop: Header=BB248_223 Depth=1
	v_add_u32_e32 v28, 2, v34
	v_cmp_gt_i32_e64 s[2:3], s30, v34
	v_or_b32_e32 v1, 1, v34
	v_or_b32_e32 v6, 3, v34
	v_cndmask_b32_e64 v23, 0, v23, s[2:3]
	v_cmp_gt_i32_e64 s[2:3], s33, v28
	s_nop 1
	v_cndmask_b32_e64 v24, 0, v24, s[2:3]
	v_cmp_gt_i32_e64 s[2:3], s30, v1
	s_nop 1
	v_cndmask_b32_e64 v1, 0, v21, s[2:3]
	v_cmp_gt_i32_e64 s[2:3], s33, v6
	v_or_b32_e32 v21, 4, v34
	v_or_b32_e32 v1, v1, v23
	v_cndmask_b32_e64 v6, 0, v22, s[2:3]
	v_or_b32_e32 v22, 6, v34
	v_cmp_gt_i32_e64 s[2:3], s30, v21
	v_or_b32_e32 v23, 5, v34
	v_or_b32_e32 v6, v6, v24
	v_cndmask_b32_e64 v21, 0, v27, s[2:3]
	v_cmp_gt_i32_e64 s[2:3], s33, v22
	v_or_b32_e32 v24, 7, v34
	s_nop 0
	v_cndmask_b32_e64 v22, 0, v26, s[2:3]
	v_cmp_gt_i32_e64 s[2:3], s30, v23
	s_nop 1
	v_cndmask_b32_e64 v23, 0, v25, s[2:3]
	v_cmp_gt_i32_e64 s[2:3], s33, v24
	v_or_b32_e32 v29, v23, v21
	s_nop 0
	v_cndmask_b32_e64 v20, 0, v20, s[2:3]
	v_or_b32_e32 v28, v20, v22
.LBB248_273:                            ;   in Loop: Header=BB248_223 Depth=1
	s_or_b64 exec, exec, s[14:15]
	v_and_b32_e32 v20, 0xffff, v37
	v_lshl_or_b32 v42, v38, 16, v20
	v_and_b32_e32 v20, 0xffff, v39
	v_lshl_or_b32 v41, v40, 16, v20
	;; [unrolled: 2-line block ×3, first 2 shown]
	v_and_b32_e32 v20, 0xffff, v45
	;;#ASMSTART
	v_pk_mul_f16 v1, v42, v1;

	;;#ASMEND
	v_lshl_or_b32 v39, v46, 16, v20
	;;#ASMSTART
	v_pk_mul_f16 v6, v41, v6;

	;;#ASMEND
	;;#ASMSTART
	v_pk_mul_f16 v20, v40, v29;

	;;#ASMEND
	;; [unrolled: 4-line block ×3, first 2 shown]
	s_nop 0
	;;#ASMSTART
	v_pk_add_f16 v1, v1, v6;

	;;#ASMEND
	s_nop 0
	;;#ASMSTART
	v_pk_add_f16 v1, v1, v20;

	;;#ASMEND
	;; [unrolled: 5-line block ×3, first 2 shown]
	v_mov_b32_e32 v21, 0
	v_lshrrev_b32_e32 v6, 16, v1
	v_and_b32_e32 v1, 0xffff, v1
	;;#ASMSTART
	v_cvt_f32_f16 v37, v1;
	;;#ASMEND
	;;#ASMSTART
	v_cvt_f32_f16 v38, v6;
	;;#ASMEND
	global_load_dwordx2 v[22:23], v[18:19], off offset:512
	v_mov_b32_e32 v1, 0
	global_load_dword v20, v1, s[10:11]
	s_waitcnt vmcnt(1)
	v_cmp_ne_u16_sdwa s[2:3], v22, v7 src0_sel:BYTE_0 src1_sel:DWORD
	s_and_saveexec_b64 s[14:15], s[2:3]
	s_cbranch_execz .LBB248_279
; %bb.274:                              ;   in Loop: Header=BB248_223 Depth=1
	v_cmp_ne_u16_sdwa s[2:3], v22, s31 src0_sel:BYTE_0 src1_sel:DWORD
	v_mov_b32_e32 v21, 0x8000
	s_and_saveexec_b64 s[22:23], s[2:3]
	s_cbranch_execz .LBB248_278
; %bb.275:                              ;   in Loop: Header=BB248_223 Depth=1
	v_and_b32_e32 v6, 0x7f, v22
	v_cmp_ne_u32_e64 s[2:3], s34, v6
	v_mov_b32_e32 v21, 0x7c01
	s_and_saveexec_b64 s[24:25], s[2:3]
	s_cbranch_execz .LBB248_277
; %bb.276:                              ;   in Loop: Header=BB248_223 Depth=1
	v_and_b32_e32 v21, 7, v22
	v_ffbh_u32_e32 v24, v21
	v_min_u32_e32 v27, 32, v24
	v_subrev_u32_e32 v24, 28, v27
	v_lshlrev_b64 v[24:25], v24, v[22:23]
	v_lshrrev_b32_e32 v26, 3, v6
	v_sub_u32_e32 v25, 29, v27
	v_cmp_gt_u32_e64 s[2:3], 8, v6
	v_and_b32_e32 v24, 7, v24
	s_nop 0
	v_cndmask_b32_e64 v6, v26, v25, s[2:3]
	v_lshl_add_u32 v6, v6, 10, v36
	v_lshlrev_b32_e32 v25, 8, v22
	v_and_b32_e32 v6, 0xfc00, v6
	v_cndmask_b32_e64 v21, v21, v24, s[2:3]
	v_and_or_b32 v6, v25, s35, v6
	v_lshl_or_b32 v21, v21, 7, v6
.LBB248_277:                            ;   in Loop: Header=BB248_223 Depth=1
	s_or_b64 exec, exec, s[24:25]
.LBB248_278:                            ;   in Loop: Header=BB248_223 Depth=1
	s_or_b64 exec, exec, s[22:23]
.LBB248_279:                            ;   in Loop: Header=BB248_223 Depth=1
	s_or_b64 exec, exec, s[14:15]
	v_lshrrev_b16_e32 v6, 8, v22
	v_cmp_ne_u16_e64 s[2:3], 0, v6
	s_and_saveexec_b64 s[14:15], s[2:3]
	s_cbranch_execz .LBB248_285
; %bb.280:                              ;   in Loop: Header=BB248_223 Depth=1
	v_cmp_ne_u16_e64 s[2:3], s31, v6
	v_bfrev_b32_e32 v1, 1
	s_and_saveexec_b64 s[22:23], s[2:3]
	s_cbranch_execz .LBB248_284
; %bb.281:                              ;   in Loop: Header=BB248_223 Depth=1
	v_and_b32_e32 v24, 0x7f, v6
	v_cmp_ne_u32_e64 s[2:3], s34, v24
	v_mov_b32_e32 v1, 0x7c010000
	s_and_saveexec_b64 s[24:25], s[2:3]
	s_cbranch_execz .LBB248_283
; %bb.282:                              ;   in Loop: Header=BB248_223 Depth=1
	v_and_b32_e32 v1, 7, v6
	v_ffbh_u32_e32 v26, v1
	v_min_u32_e32 v28, 32, v26
	v_subrev_u32_e32 v26, 28, v28
	v_lshlrev_b64 v[26:27], v26, v[6:7]
	v_lshrrev_b32_e32 v25, 3, v24
	v_sub_u32_e32 v27, 29, v28
	v_cmp_gt_u32_e64 s[2:3], 8, v24
	v_lshlrev_b32_e32 v6, 8, v6
	s_nop 0
	v_cndmask_b32_e64 v24, v25, v27, s[2:3]
	v_lshl_add_u32 v24, v24, 10, v36
	v_and_b32_e32 v25, 7, v26
	v_and_or_b32 v6, v6, s35, v24
	v_cndmask_b32_e64 v1, v1, v25, s[2:3]
	v_lshlrev_b32_e32 v6, 16, v6
	v_lshl_or_b32 v1, v1, 23, v6
.LBB248_283:                            ;   in Loop: Header=BB248_223 Depth=1
	s_or_b64 exec, exec, s[24:25]
.LBB248_284:                            ;   in Loop: Header=BB248_223 Depth=1
	s_or_b64 exec, exec, s[22:23]
.LBB248_285:                            ;   in Loop: Header=BB248_223 Depth=1
	s_or_b64 exec, exec, s[14:15]
	v_lshrrev_b32_e32 v6, 16, v22
	v_cmp_ne_u16_sdwa s[2:3], v6, v7 src0_sel:BYTE_0 src1_sel:DWORD
	v_mov_b32_e32 v25, 0
	v_mov_b32_e32 v24, 0
	s_and_saveexec_b64 s[14:15], s[2:3]
	s_cbranch_execz .LBB248_291
; %bb.286:                              ;   in Loop: Header=BB248_223 Depth=1
	v_cmp_ne_u16_sdwa s[2:3], v6, s31 src0_sel:BYTE_0 src1_sel:DWORD
	v_mov_b32_e32 v24, 0x8000
	s_and_saveexec_b64 s[22:23], s[2:3]
	s_cbranch_execz .LBB248_290
; %bb.287:                              ;   in Loop: Header=BB248_223 Depth=1
	v_bfe_u32 v26, v22, 16, 7
	v_cmp_ne_u32_e64 s[2:3], s34, v26
	v_mov_b32_e32 v24, 0x7c01
	s_and_saveexec_b64 s[24:25], s[2:3]
	s_cbranch_execz .LBB248_289
; %bb.288:                              ;   in Loop: Header=BB248_223 Depth=1
	v_and_b32_e32 v24, 7, v6
	v_ffbh_u32_e32 v28, v24
	v_min_u32_e32 v43, 32, v28
	v_subrev_u32_e32 v28, 28, v43
	v_lshlrev_b64 v[28:29], v28, v[6:7]
	v_lshrrev_b32_e32 v27, 3, v26
	v_sub_u32_e32 v29, 29, v43
	v_cmp_gt_u32_e64 s[2:3], 8, v26
	v_lshlrev_b32_e32 v6, 8, v6
	s_nop 0
	v_cndmask_b32_e64 v26, v27, v29, s[2:3]
	v_lshl_add_u32 v26, v26, 10, v36
	v_and_b32_e32 v27, 7, v28
	v_and_b32_e32 v26, 0xfc00, v26
	v_cndmask_b32_e64 v24, v24, v27, s[2:3]
	v_and_or_b32 v6, v6, s35, v26
	v_lshl_or_b32 v24, v24, 7, v6
.LBB248_289:                            ;   in Loop: Header=BB248_223 Depth=1
	s_or_b64 exec, exec, s[24:25]
.LBB248_290:                            ;   in Loop: Header=BB248_223 Depth=1
	s_or_b64 exec, exec, s[22:23]
.LBB248_291:                            ;   in Loop: Header=BB248_223 Depth=1
	s_or_b64 exec, exec, s[14:15]
	v_cmp_lt_u32_e64 s[2:3], s9, v22
	s_and_saveexec_b64 s[14:15], s[2:3]
	s_cbranch_execz .LBB248_297
; %bb.292:                              ;   in Loop: Header=BB248_223 Depth=1
	v_lshrrev_b32_e32 v6, 24, v22
	v_cmp_ne_u32_e64 s[2:3], s31, v6
	v_bfrev_b32_e32 v25, 1
	s_and_saveexec_b64 s[22:23], s[2:3]
	s_cbranch_execz .LBB248_296
; %bb.293:                              ;   in Loop: Header=BB248_223 Depth=1
	v_and_b32_e32 v26, 0x7f, v6
	v_cmp_ne_u32_e64 s[2:3], s34, v26
	v_mov_b32_e32 v25, 0x7c010000
	s_and_saveexec_b64 s[24:25], s[2:3]
	s_cbranch_execz .LBB248_295
; %bb.294:                              ;   in Loop: Header=BB248_223 Depth=1
	v_and_b32_e32 v25, 7, v6
	v_ffbh_u32_e32 v28, v25
	v_min_u32_e32 v43, 32, v28
	v_subrev_u32_e32 v28, 28, v43
	v_lshlrev_b64 v[28:29], v28, v[6:7]
	v_lshrrev_b32_e32 v27, 3, v26
	v_sub_u32_e32 v29, 29, v43
	v_cmp_gt_u32_e64 s[2:3], 8, v26
	v_lshlrev_b32_e32 v6, 8, v6
	s_nop 0
	v_cndmask_b32_e64 v26, v27, v29, s[2:3]
	v_lshl_add_u32 v26, v26, 10, v36
	v_and_b32_e32 v27, 7, v28
	v_and_or_b32 v6, v6, s35, v26
	v_cndmask_b32_e64 v25, v25, v27, s[2:3]
	v_lshlrev_b32_e32 v6, 16, v6
	v_lshl_or_b32 v25, v25, 23, v6
.LBB248_295:                            ;   in Loop: Header=BB248_223 Depth=1
	s_or_b64 exec, exec, s[24:25]
.LBB248_296:                            ;   in Loop: Header=BB248_223 Depth=1
	s_or_b64 exec, exec, s[22:23]
.LBB248_297:                            ;   in Loop: Header=BB248_223 Depth=1
	s_or_b64 exec, exec, s[14:15]
	v_mov_b32_e32 v6, v23
	v_cmp_ne_u16_sdwa s[2:3], v23, v7 src0_sel:BYTE_0 src1_sel:DWORD
	v_mov_b32_e32 v26, 0
	v_mov_b32_e32 v27, 0
	s_and_saveexec_b64 s[14:15], s[2:3]
	s_cbranch_execz .LBB248_303
; %bb.298:                              ;   in Loop: Header=BB248_223 Depth=1
	v_cmp_ne_u16_sdwa s[2:3], v23, s31 src0_sel:BYTE_0 src1_sel:DWORD
	v_mov_b32_e32 v27, 0x8000
	s_and_saveexec_b64 s[22:23], s[2:3]
	s_cbranch_execz .LBB248_302
; %bb.299:                              ;   in Loop: Header=BB248_223 Depth=1
	v_and_b32_e32 v28, 0x7f, v23
	v_cmp_ne_u32_e64 s[2:3], s34, v28
	v_mov_b32_e32 v27, 0x7c01
	s_and_saveexec_b64 s[24:25], s[2:3]
	s_cbranch_execz .LBB248_301
; %bb.300:                              ;   in Loop: Header=BB248_223 Depth=1
	v_and_b32_e32 v27, 7, v23
	v_ffbh_u32_e32 v43, v27
	v_min_u32_e32 v43, 32, v43
	v_lshrrev_b32_e32 v29, 3, v28
	v_subrev_u32_e32 v44, 28, v43
	v_sub_u32_e32 v43, 29, v43
	v_cmp_gt_u32_e64 s[2:3], 8, v28
	v_lshlrev_b64 v[44:45], v44, v[6:7]
	s_nop 0
	v_cndmask_b32_e64 v28, v29, v43, s[2:3]
	v_lshl_add_u32 v28, v28, 10, v36
	v_lshlrev_b32_e32 v29, 8, v23
	v_and_b32_e32 v43, 7, v44
	v_and_b32_e32 v28, 0xfc00, v28
	v_cndmask_b32_e64 v27, v27, v43, s[2:3]
	v_and_or_b32 v28, v29, s35, v28
	v_lshl_or_b32 v27, v27, 7, v28
.LBB248_301:                            ;   in Loop: Header=BB248_223 Depth=1
	s_or_b64 exec, exec, s[24:25]
.LBB248_302:                            ;   in Loop: Header=BB248_223 Depth=1
	s_or_b64 exec, exec, s[22:23]
.LBB248_303:                            ;   in Loop: Header=BB248_223 Depth=1
	s_or_b64 exec, exec, s[14:15]
	v_lshrrev_b16_e32 v6, 8, v6
	v_cmp_ne_u16_e64 s[2:3], 0, v6
	v_mov_b32_e32 v28, 0
	s_and_saveexec_b64 s[14:15], s[2:3]
	s_cbranch_execz .LBB248_309
; %bb.304:                              ;   in Loop: Header=BB248_223 Depth=1
	v_cmp_ne_u16_e64 s[2:3], s31, v6
	v_bfrev_b32_e32 v28, 1
	s_and_saveexec_b64 s[22:23], s[2:3]
	s_cbranch_execz .LBB248_308
; %bb.305:                              ;   in Loop: Header=BB248_223 Depth=1
	v_and_b32_e32 v29, 0x7f, v6
	v_cmp_ne_u32_e64 s[2:3], s34, v29
	v_mov_b32_e32 v28, 0x7c010000
	s_and_saveexec_b64 s[24:25], s[2:3]
	s_cbranch_execz .LBB248_307
; %bb.306:                              ;   in Loop: Header=BB248_223 Depth=1
	v_and_b32_e32 v28, 7, v6
	v_ffbh_u32_e32 v44, v28
	v_min_u32_e32 v46, 32, v44
	v_subrev_u32_e32 v44, 28, v46
	v_lshlrev_b64 v[44:45], v44, v[6:7]
	v_lshrrev_b32_e32 v43, 3, v29
	v_sub_u32_e32 v45, 29, v46
	v_cmp_gt_u32_e64 s[2:3], 8, v29
	v_lshlrev_b32_e32 v6, 8, v6
	s_nop 0
	v_cndmask_b32_e64 v29, v43, v45, s[2:3]
	v_lshl_add_u32 v29, v29, 10, v36
	v_and_b32_e32 v43, 7, v44
	v_and_or_b32 v6, v6, s35, v29
	v_cndmask_b32_e64 v28, v28, v43, s[2:3]
	v_lshlrev_b32_e32 v6, 16, v6
	v_lshl_or_b32 v28, v28, 23, v6
.LBB248_307:                            ;   in Loop: Header=BB248_223 Depth=1
	s_or_b64 exec, exec, s[24:25]
.LBB248_308:                            ;   in Loop: Header=BB248_223 Depth=1
	s_or_b64 exec, exec, s[22:23]
.LBB248_309:                            ;   in Loop: Header=BB248_223 Depth=1
	s_or_b64 exec, exec, s[14:15]
	v_lshrrev_b32_e32 v6, 16, v23
	v_cmp_ne_u16_sdwa s[2:3], v6, v7 src0_sel:BYTE_0 src1_sel:DWORD
	s_and_saveexec_b64 s[14:15], s[2:3]
	s_cbranch_execz .LBB248_315
; %bb.310:                              ;   in Loop: Header=BB248_223 Depth=1
	v_cmp_ne_u16_sdwa s[2:3], v6, s31 src0_sel:BYTE_0 src1_sel:DWORD
	v_mov_b32_e32 v26, 0x8000
	s_and_saveexec_b64 s[22:23], s[2:3]
	s_cbranch_execz .LBB248_314
; %bb.311:                              ;   in Loop: Header=BB248_223 Depth=1
	v_bfe_u32 v29, v23, 16, 7
	v_cmp_ne_u32_e64 s[2:3], s34, v29
	v_mov_b32_e32 v26, 0x7c01
	s_and_saveexec_b64 s[24:25], s[2:3]
	s_cbranch_execz .LBB248_313
; %bb.312:                              ;   in Loop: Header=BB248_223 Depth=1
	v_and_b32_e32 v26, 7, v6
	v_ffbh_u32_e32 v44, v26
	v_min_u32_e32 v46, 32, v44
	v_subrev_u32_e32 v44, 28, v46
	v_lshlrev_b64 v[44:45], v44, v[6:7]
	v_lshrrev_b32_e32 v43, 3, v29
	v_sub_u32_e32 v45, 29, v46
	v_cmp_gt_u32_e64 s[2:3], 8, v29
	v_lshlrev_b32_e32 v6, 8, v6
	s_nop 0
	v_cndmask_b32_e64 v29, v43, v45, s[2:3]
	v_lshl_add_u32 v29, v29, 10, v36
	v_and_b32_e32 v43, 7, v44
	v_and_b32_e32 v29, 0xfc00, v29
	v_cndmask_b32_e64 v26, v26, v43, s[2:3]
	v_and_or_b32 v6, v6, s35, v29
	v_lshl_or_b32 v26, v26, 7, v6
.LBB248_313:                            ;   in Loop: Header=BB248_223 Depth=1
	s_or_b64 exec, exec, s[24:25]
.LBB248_314:                            ;   in Loop: Header=BB248_223 Depth=1
	s_or_b64 exec, exec, s[22:23]
.LBB248_315:                            ;   in Loop: Header=BB248_223 Depth=1
	s_or_b64 exec, exec, s[14:15]
	v_cmp_lt_u64_e64 s[2:3], s[8:9], v[22:23]
	v_mov_b32_e32 v22, 0
	s_and_saveexec_b64 s[14:15], s[2:3]
	s_cbranch_execz .LBB248_321
; %bb.316:                              ;   in Loop: Header=BB248_223 Depth=1
	v_lshrrev_b32_e32 v6, 24, v23
	v_cmp_ne_u32_e64 s[2:3], s31, v6
	v_bfrev_b32_e32 v22, 1
	s_and_saveexec_b64 s[22:23], s[2:3]
	s_cbranch_execz .LBB248_320
; %bb.317:                              ;   in Loop: Header=BB248_223 Depth=1
	v_and_b32_e32 v23, 0x7f, v6
	v_cmp_ne_u32_e64 s[2:3], s34, v23
	v_mov_b32_e32 v22, 0x7c010000
	s_and_saveexec_b64 s[24:25], s[2:3]
	s_cbranch_execz .LBB248_319
; %bb.318:                              ;   in Loop: Header=BB248_223 Depth=1
	v_and_b32_e32 v22, 7, v6
	v_ffbh_u32_e32 v43, v22
	v_min_u32_e32 v43, 32, v43
	v_lshrrev_b32_e32 v29, 3, v23
	v_subrev_u32_e32 v44, 28, v43
	v_sub_u32_e32 v43, 29, v43
	v_cmp_gt_u32_e64 s[2:3], 8, v23
	v_lshlrev_b64 v[44:45], v44, v[6:7]
	v_lshlrev_b32_e32 v6, 8, v6
	v_cndmask_b32_e64 v23, v29, v43, s[2:3]
	v_lshl_add_u32 v23, v23, 10, v36
	v_and_b32_e32 v29, 7, v44
	v_and_or_b32 v6, v6, s35, v23
	v_cndmask_b32_e64 v22, v22, v29, s[2:3]
	v_lshlrev_b32_e32 v6, 16, v6
	v_lshl_or_b32 v22, v22, 23, v6
.LBB248_319:                            ;   in Loop: Header=BB248_223 Depth=1
	s_or_b64 exec, exec, s[24:25]
.LBB248_320:                            ;   in Loop: Header=BB248_223 Depth=1
	s_or_b64 exec, exec, s[22:23]
.LBB248_321:                            ;   in Loop: Header=BB248_223 Depth=1
	s_or_b64 exec, exec, s[14:15]
	v_cvt_f32_f16_sdwa v45, v1 dst_sel:DWORD dst_unused:UNUSED_PAD src0_sel:WORD_1
	v_cvt_f32_f16_sdwa v44, v25 dst_sel:DWORD dst_unused:UNUSED_PAD src0_sel:WORD_1
	v_or_b32_e32 v1, v1, v21
	v_or_b32_e32 v6, v25, v24
	;; [unrolled: 1-line block ×3, first 2 shown]
	s_waitcnt vmcnt(0)
	v_pk_mul_f32 v[24:25], v[20:21], v[44:45] op_sel_hi:[0,1]
	v_cvt_f32_f16_e32 v44, v6
	v_cvt_f32_f16_e32 v45, v1
	v_cvt_pk_f16_f32 v1, v24, v25
	v_and_b32_e32 v21, 0xffff0000, v1
	v_lshlrev_b32_e32 v6, 16, v1
	v_pk_mul_f32 v[24:25], v[20:21], v[44:45] op_sel_hi:[0,1]
	v_cvt_pk_f16_f32 v1, v24, v25
	v_or_b32_e32 v25, v28, v27
	v_cvt_f32_f16_e32 v26, v26
	v_cvt_f32_f16_e32 v27, v25
	v_cvt_f32_f16_sdwa v29, v28 dst_sel:DWORD dst_unused:UNUSED_PAD src0_sel:WORD_1
	v_cvt_f32_f16_sdwa v28, v22 dst_sel:DWORD dst_unused:UNUSED_PAD src0_sel:WORD_1
	v_lshrrev_b32_e32 v23, 16, v1
	v_pk_mul_f32 v[26:27], v[20:21], v[26:27] op_sel_hi:[0,1]
	v_cvt_pk_f16_f32 v43, v26, v27
	v_pk_mul_f32 v[26:27], v[20:21], v[28:29] op_sel_hi:[0,1]
	v_cvt_pk_f16_f32 v20, v26, v27
	v_and_b32_e32 v24, 0xffff, v1
	v_and_b32_e32 v25, 0xffff0000, v20
	v_lshlrev_b32_e32 v20, 16, v20
	v_lshrrev_b32_e32 v27, 16, v43
	v_and_b32_e32 v26, 0xffff, v43
	v_or_b32_e32 v1, v21, v23
	v_or_b32_e32 v22, v6, v24
	v_or_b32_e32 v29, v25, v27
	v_or_b32_e32 v28, v20, v26
	s_and_saveexec_b64 s[14:15], s[0:1]
	s_cbranch_execz .LBB248_323
; %bb.322:                              ;   in Loop: Header=BB248_223 Depth=1
	v_add_u32_e32 v28, 2, v34
	v_cmp_gt_i32_e64 s[2:3], s30, v34
	v_or_b32_e32 v1, 1, v34
	v_or_b32_e32 v22, 3, v34
	v_cndmask_b32_e64 v23, 0, v23, s[2:3]
	v_cmp_gt_i32_e64 s[2:3], s33, v28
	s_nop 1
	v_cndmask_b32_e64 v24, 0, v24, s[2:3]
	v_cmp_gt_i32_e64 s[2:3], s30, v1
	s_nop 1
	v_cndmask_b32_e64 v1, 0, v21, s[2:3]
	v_cmp_gt_i32_e64 s[2:3], s33, v22
	v_or_b32_e32 v21, 6, v34
	v_or_b32_e32 v1, v1, v23
	v_cndmask_b32_e64 v6, 0, v6, s[2:3]
	v_or_b32_e32 v22, v6, v24
	v_or_b32_e32 v6, 4, v34
	v_cmp_gt_i32_e64 s[2:3], s30, v6
	v_or_b32_e32 v23, 5, v34
	v_or_b32_e32 v24, 7, v34
	v_cndmask_b32_e64 v6, 0, v27, s[2:3]
	v_cmp_gt_i32_e64 s[2:3], s33, v21
	s_nop 1
	v_cndmask_b32_e64 v21, 0, v26, s[2:3]
	v_cmp_gt_i32_e64 s[2:3], s30, v23
	s_nop 1
	v_cndmask_b32_e64 v23, 0, v25, s[2:3]
	v_cmp_gt_i32_e64 s[2:3], s33, v24
	v_or_b32_e32 v29, v23, v6
	s_nop 0
	v_cndmask_b32_e64 v20, 0, v20, s[2:3]
	v_or_b32_e32 v28, v20, v21
.LBB248_323:                            ;   in Loop: Header=BB248_223 Depth=1
	s_or_b64 exec, exec, s[14:15]
	;;#ASMSTART
	v_pk_mul_f16 v1, v42, v1;

	;;#ASMEND
	;;#ASMSTART
	v_pk_mul_f16 v6, v41, v22;

	;;#ASMEND
	;; [unrolled: 4-line block ×4, first 2 shown]
	s_nop 0
	;;#ASMSTART
	v_pk_add_f16 v1, v1, v6;

	;;#ASMEND
	s_nop 0
	;;#ASMSTART
	v_pk_add_f16 v1, v1, v20;

	;;#ASMEND
	;; [unrolled: 5-line block ×3, first 2 shown]
	s_nop 0
	v_lshrrev_b32_e32 v6, 16, v1
	v_and_b32_e32 v1, 0xffff, v1
	;;#ASMSTART
	v_cvt_f32_f16 v28, v1;
	;;#ASMEND
	;;#ASMSTART
	v_cvt_f32_f16 v29, v6;
	;;#ASMEND
	global_load_dwordx2 v[20:21], v[18:19], off offset:1024
	v_mov_b32_e32 v1, 0
	global_load_dword v18, v1, s[10:11]
	v_mov_b32_e32 v19, 0
	s_waitcnt vmcnt(1)
	v_cmp_ne_u16_sdwa s[2:3], v20, v7 src0_sel:BYTE_0 src1_sel:DWORD
	s_and_saveexec_b64 s[14:15], s[2:3]
	s_cbranch_execz .LBB248_329
; %bb.324:                              ;   in Loop: Header=BB248_223 Depth=1
	v_cmp_ne_u16_sdwa s[2:3], v20, s31 src0_sel:BYTE_0 src1_sel:DWORD
	v_mov_b32_e32 v19, 0x8000
	s_and_saveexec_b64 s[22:23], s[2:3]
	s_cbranch_execz .LBB248_328
; %bb.325:                              ;   in Loop: Header=BB248_223 Depth=1
	v_and_b32_e32 v6, 0x7f, v20
	v_cmp_ne_u32_e64 s[2:3], s34, v6
	v_mov_b32_e32 v19, 0x7c01
	s_and_saveexec_b64 s[24:25], s[2:3]
	s_cbranch_execz .LBB248_327
; %bb.326:                              ;   in Loop: Header=BB248_223 Depth=1
	v_and_b32_e32 v19, 7, v20
	v_ffbh_u32_e32 v22, v19
	v_min_u32_e32 v25, 32, v22
	v_subrev_u32_e32 v22, 28, v25
	v_lshlrev_b64 v[22:23], v22, v[20:21]
	v_lshrrev_b32_e32 v24, 3, v6
	v_sub_u32_e32 v23, 29, v25
	v_cmp_gt_u32_e64 s[2:3], 8, v6
	v_and_b32_e32 v22, 7, v22
	s_nop 0
	v_cndmask_b32_e64 v6, v24, v23, s[2:3]
	v_lshl_add_u32 v6, v6, 10, v36
	v_lshlrev_b32_e32 v23, 8, v20
	v_and_b32_e32 v6, 0xfc00, v6
	v_cndmask_b32_e64 v19, v19, v22, s[2:3]
	v_and_or_b32 v6, v23, s35, v6
	v_lshl_or_b32 v19, v19, 7, v6
.LBB248_327:                            ;   in Loop: Header=BB248_223 Depth=1
	s_or_b64 exec, exec, s[24:25]
.LBB248_328:                            ;   in Loop: Header=BB248_223 Depth=1
	s_or_b64 exec, exec, s[22:23]
.LBB248_329:                            ;   in Loop: Header=BB248_223 Depth=1
	s_or_b64 exec, exec, s[14:15]
	v_lshrrev_b16_e32 v6, 8, v20
	v_cmp_ne_u16_e64 s[2:3], 0, v6
	s_and_saveexec_b64 s[14:15], s[2:3]
	s_cbranch_execz .LBB248_335
; %bb.330:                              ;   in Loop: Header=BB248_223 Depth=1
	v_cmp_ne_u16_e64 s[2:3], s31, v6
	v_bfrev_b32_e32 v1, 1
	s_and_saveexec_b64 s[22:23], s[2:3]
	s_cbranch_execz .LBB248_334
; %bb.331:                              ;   in Loop: Header=BB248_223 Depth=1
	v_and_b32_e32 v22, 0x7f, v6
	v_cmp_ne_u32_e64 s[2:3], s34, v22
	v_mov_b32_e32 v1, 0x7c010000
	s_and_saveexec_b64 s[24:25], s[2:3]
	s_cbranch_execz .LBB248_333
; %bb.332:                              ;   in Loop: Header=BB248_223 Depth=1
	v_and_b32_e32 v1, 7, v6
	v_ffbh_u32_e32 v24, v1
	v_min_u32_e32 v26, 32, v24
	v_subrev_u32_e32 v24, 28, v26
	v_lshlrev_b64 v[24:25], v24, v[6:7]
	v_lshrrev_b32_e32 v23, 3, v22
	v_sub_u32_e32 v25, 29, v26
	v_cmp_gt_u32_e64 s[2:3], 8, v22
	v_lshlrev_b32_e32 v6, 8, v6
	s_nop 0
	v_cndmask_b32_e64 v22, v23, v25, s[2:3]
	v_lshl_add_u32 v22, v22, 10, v36
	v_and_b32_e32 v23, 7, v24
	v_and_or_b32 v6, v6, s35, v22
	v_cndmask_b32_e64 v1, v1, v23, s[2:3]
	v_lshlrev_b32_e32 v6, 16, v6
	v_lshl_or_b32 v1, v1, 23, v6
.LBB248_333:                            ;   in Loop: Header=BB248_223 Depth=1
	s_or_b64 exec, exec, s[24:25]
.LBB248_334:                            ;   in Loop: Header=BB248_223 Depth=1
	s_or_b64 exec, exec, s[22:23]
.LBB248_335:                            ;   in Loop: Header=BB248_223 Depth=1
	s_or_b64 exec, exec, s[14:15]
	v_lshrrev_b32_e32 v6, 16, v20
	v_cmp_ne_u16_sdwa s[2:3], v6, v7 src0_sel:BYTE_0 src1_sel:DWORD
	v_mov_b32_e32 v23, 0
	v_mov_b32_e32 v22, 0
	s_and_saveexec_b64 s[14:15], s[2:3]
	s_cbranch_execz .LBB248_341
; %bb.336:                              ;   in Loop: Header=BB248_223 Depth=1
	v_cmp_ne_u16_sdwa s[2:3], v6, s31 src0_sel:BYTE_0 src1_sel:DWORD
	v_mov_b32_e32 v22, 0x8000
	s_and_saveexec_b64 s[22:23], s[2:3]
	s_cbranch_execz .LBB248_340
; %bb.337:                              ;   in Loop: Header=BB248_223 Depth=1
	v_bfe_u32 v24, v20, 16, 7
	v_cmp_ne_u32_e64 s[2:3], s34, v24
	v_mov_b32_e32 v22, 0x7c01
	s_and_saveexec_b64 s[24:25], s[2:3]
	s_cbranch_execz .LBB248_339
; %bb.338:                              ;   in Loop: Header=BB248_223 Depth=1
	v_and_b32_e32 v22, 7, v6
	v_ffbh_u32_e32 v26, v22
	v_min_u32_e32 v43, 32, v26
	v_subrev_u32_e32 v26, 28, v43
	v_lshlrev_b64 v[26:27], v26, v[6:7]
	v_lshrrev_b32_e32 v25, 3, v24
	v_sub_u32_e32 v27, 29, v43
	v_cmp_gt_u32_e64 s[2:3], 8, v24
	v_lshlrev_b32_e32 v6, 8, v6
	s_nop 0
	v_cndmask_b32_e64 v24, v25, v27, s[2:3]
	v_lshl_add_u32 v24, v24, 10, v36
	v_and_b32_e32 v25, 7, v26
	v_and_b32_e32 v24, 0xfc00, v24
	v_cndmask_b32_e64 v22, v22, v25, s[2:3]
	v_and_or_b32 v6, v6, s35, v24
	v_lshl_or_b32 v22, v22, 7, v6
.LBB248_339:                            ;   in Loop: Header=BB248_223 Depth=1
	s_or_b64 exec, exec, s[24:25]
.LBB248_340:                            ;   in Loop: Header=BB248_223 Depth=1
	s_or_b64 exec, exec, s[22:23]
.LBB248_341:                            ;   in Loop: Header=BB248_223 Depth=1
	s_or_b64 exec, exec, s[14:15]
	v_cmp_lt_u32_e64 s[2:3], s9, v20
	s_and_saveexec_b64 s[14:15], s[2:3]
	s_cbranch_execz .LBB248_347
; %bb.342:                              ;   in Loop: Header=BB248_223 Depth=1
	v_lshrrev_b32_e32 v6, 24, v20
	v_cmp_ne_u32_e64 s[2:3], s31, v6
	v_bfrev_b32_e32 v23, 1
	s_and_saveexec_b64 s[22:23], s[2:3]
	s_cbranch_execz .LBB248_346
; %bb.343:                              ;   in Loop: Header=BB248_223 Depth=1
	v_and_b32_e32 v24, 0x7f, v6
	v_cmp_ne_u32_e64 s[2:3], s34, v24
	v_mov_b32_e32 v23, 0x7c010000
	s_and_saveexec_b64 s[24:25], s[2:3]
	s_cbranch_execz .LBB248_345
; %bb.344:                              ;   in Loop: Header=BB248_223 Depth=1
	v_and_b32_e32 v23, 7, v6
	v_ffbh_u32_e32 v26, v23
	v_min_u32_e32 v43, 32, v26
	v_subrev_u32_e32 v26, 28, v43
	v_lshlrev_b64 v[26:27], v26, v[6:7]
	v_lshrrev_b32_e32 v25, 3, v24
	v_sub_u32_e32 v27, 29, v43
	v_cmp_gt_u32_e64 s[2:3], 8, v24
	v_lshlrev_b32_e32 v6, 8, v6
	s_nop 0
	v_cndmask_b32_e64 v24, v25, v27, s[2:3]
	v_lshl_add_u32 v24, v24, 10, v36
	v_and_b32_e32 v25, 7, v26
	v_and_or_b32 v6, v6, s35, v24
	v_cndmask_b32_e64 v23, v23, v25, s[2:3]
	v_lshlrev_b32_e32 v6, 16, v6
	v_lshl_or_b32 v23, v23, 23, v6
.LBB248_345:                            ;   in Loop: Header=BB248_223 Depth=1
	s_or_b64 exec, exec, s[24:25]
.LBB248_346:                            ;   in Loop: Header=BB248_223 Depth=1
	s_or_b64 exec, exec, s[22:23]
.LBB248_347:                            ;   in Loop: Header=BB248_223 Depth=1
	s_or_b64 exec, exec, s[14:15]
	v_mov_b32_e32 v6, v21
	v_cmp_ne_u16_sdwa s[2:3], v21, v7 src0_sel:BYTE_0 src1_sel:DWORD
	v_mov_b32_e32 v24, 0
	v_mov_b32_e32 v25, 0
	s_and_saveexec_b64 s[14:15], s[2:3]
	s_cbranch_execz .LBB248_353
; %bb.348:                              ;   in Loop: Header=BB248_223 Depth=1
	v_cmp_ne_u16_sdwa s[2:3], v21, s31 src0_sel:BYTE_0 src1_sel:DWORD
	v_mov_b32_e32 v25, 0x8000
	s_and_saveexec_b64 s[22:23], s[2:3]
	s_cbranch_execz .LBB248_352
; %bb.349:                              ;   in Loop: Header=BB248_223 Depth=1
	v_and_b32_e32 v26, 0x7f, v21
	v_cmp_ne_u32_e64 s[2:3], s34, v26
	v_mov_b32_e32 v25, 0x7c01
	s_and_saveexec_b64 s[24:25], s[2:3]
	s_cbranch_execz .LBB248_351
; %bb.350:                              ;   in Loop: Header=BB248_223 Depth=1
	v_and_b32_e32 v25, 7, v21
	v_ffbh_u32_e32 v43, v25
	v_min_u32_e32 v43, 32, v43
	v_lshrrev_b32_e32 v27, 3, v26
	v_subrev_u32_e32 v44, 28, v43
	v_sub_u32_e32 v43, 29, v43
	v_cmp_gt_u32_e64 s[2:3], 8, v26
	v_lshlrev_b64 v[44:45], v44, v[6:7]
	s_nop 0
	v_cndmask_b32_e64 v26, v27, v43, s[2:3]
	v_lshl_add_u32 v26, v26, 10, v36
	v_lshlrev_b32_e32 v27, 8, v21
	v_and_b32_e32 v43, 7, v44
	v_and_b32_e32 v26, 0xfc00, v26
	v_cndmask_b32_e64 v25, v25, v43, s[2:3]
	v_and_or_b32 v26, v27, s35, v26
	v_lshl_or_b32 v25, v25, 7, v26
.LBB248_351:                            ;   in Loop: Header=BB248_223 Depth=1
	s_or_b64 exec, exec, s[24:25]
.LBB248_352:                            ;   in Loop: Header=BB248_223 Depth=1
	s_or_b64 exec, exec, s[22:23]
.LBB248_353:                            ;   in Loop: Header=BB248_223 Depth=1
	s_or_b64 exec, exec, s[14:15]
	v_lshrrev_b16_e32 v6, 8, v6
	v_cmp_ne_u16_e64 s[2:3], 0, v6
	v_mov_b32_e32 v26, 0
	s_and_saveexec_b64 s[14:15], s[2:3]
	s_cbranch_execz .LBB248_359
; %bb.354:                              ;   in Loop: Header=BB248_223 Depth=1
	v_cmp_ne_u16_e64 s[2:3], s31, v6
	v_bfrev_b32_e32 v26, 1
	s_and_saveexec_b64 s[22:23], s[2:3]
	s_cbranch_execz .LBB248_358
; %bb.355:                              ;   in Loop: Header=BB248_223 Depth=1
	v_and_b32_e32 v27, 0x7f, v6
	v_cmp_ne_u32_e64 s[2:3], s34, v27
	v_mov_b32_e32 v26, 0x7c010000
	s_and_saveexec_b64 s[24:25], s[2:3]
	s_cbranch_execz .LBB248_357
; %bb.356:                              ;   in Loop: Header=BB248_223 Depth=1
	v_and_b32_e32 v26, 7, v6
	v_ffbh_u32_e32 v44, v26
	v_min_u32_e32 v46, 32, v44
	v_subrev_u32_e32 v44, 28, v46
	v_lshlrev_b64 v[44:45], v44, v[6:7]
	v_lshrrev_b32_e32 v43, 3, v27
	v_sub_u32_e32 v45, 29, v46
	v_cmp_gt_u32_e64 s[2:3], 8, v27
	v_lshlrev_b32_e32 v6, 8, v6
	s_nop 0
	v_cndmask_b32_e64 v27, v43, v45, s[2:3]
	v_lshl_add_u32 v27, v27, 10, v36
	v_and_b32_e32 v43, 7, v44
	v_and_or_b32 v6, v6, s35, v27
	v_cndmask_b32_e64 v26, v26, v43, s[2:3]
	v_lshlrev_b32_e32 v6, 16, v6
	v_lshl_or_b32 v26, v26, 23, v6
.LBB248_357:                            ;   in Loop: Header=BB248_223 Depth=1
	s_or_b64 exec, exec, s[24:25]
.LBB248_358:                            ;   in Loop: Header=BB248_223 Depth=1
	s_or_b64 exec, exec, s[22:23]
.LBB248_359:                            ;   in Loop: Header=BB248_223 Depth=1
	s_or_b64 exec, exec, s[14:15]
	v_lshrrev_b32_e32 v6, 16, v21
	v_cmp_ne_u16_sdwa s[2:3], v6, v7 src0_sel:BYTE_0 src1_sel:DWORD
	s_and_saveexec_b64 s[14:15], s[2:3]
	s_cbranch_execz .LBB248_365
; %bb.360:                              ;   in Loop: Header=BB248_223 Depth=1
	v_cmp_ne_u16_sdwa s[2:3], v6, s31 src0_sel:BYTE_0 src1_sel:DWORD
	v_mov_b32_e32 v24, 0x8000
	s_and_saveexec_b64 s[22:23], s[2:3]
	s_cbranch_execz .LBB248_364
; %bb.361:                              ;   in Loop: Header=BB248_223 Depth=1
	v_bfe_u32 v27, v21, 16, 7
	v_cmp_ne_u32_e64 s[2:3], s34, v27
	v_mov_b32_e32 v24, 0x7c01
	s_and_saveexec_b64 s[24:25], s[2:3]
	s_cbranch_execz .LBB248_363
; %bb.362:                              ;   in Loop: Header=BB248_223 Depth=1
	v_and_b32_e32 v24, 7, v6
	v_ffbh_u32_e32 v44, v24
	v_min_u32_e32 v46, 32, v44
	v_subrev_u32_e32 v44, 28, v46
	v_lshlrev_b64 v[44:45], v44, v[6:7]
	v_lshrrev_b32_e32 v43, 3, v27
	v_sub_u32_e32 v45, 29, v46
	v_cmp_gt_u32_e64 s[2:3], 8, v27
	v_lshlrev_b32_e32 v6, 8, v6
	s_nop 0
	v_cndmask_b32_e64 v27, v43, v45, s[2:3]
	v_lshl_add_u32 v27, v27, 10, v36
	v_and_b32_e32 v43, 7, v44
	v_and_b32_e32 v27, 0xfc00, v27
	v_cndmask_b32_e64 v24, v24, v43, s[2:3]
	v_and_or_b32 v6, v6, s35, v27
	v_lshl_or_b32 v24, v24, 7, v6
.LBB248_363:                            ;   in Loop: Header=BB248_223 Depth=1
	s_or_b64 exec, exec, s[24:25]
.LBB248_364:                            ;   in Loop: Header=BB248_223 Depth=1
	s_or_b64 exec, exec, s[22:23]
.LBB248_365:                            ;   in Loop: Header=BB248_223 Depth=1
	s_or_b64 exec, exec, s[14:15]
	v_cmp_lt_u64_e64 s[2:3], s[8:9], v[20:21]
	v_mov_b32_e32 v20, 0
	s_and_saveexec_b64 s[14:15], s[2:3]
	s_cbranch_execz .LBB248_371
; %bb.366:                              ;   in Loop: Header=BB248_223 Depth=1
	v_lshrrev_b32_e32 v6, 24, v21
	v_cmp_ne_u32_e64 s[2:3], s31, v6
	v_bfrev_b32_e32 v20, 1
	s_and_saveexec_b64 s[22:23], s[2:3]
	s_cbranch_execz .LBB248_370
; %bb.367:                              ;   in Loop: Header=BB248_223 Depth=1
	v_and_b32_e32 v21, 0x7f, v6
	v_cmp_ne_u32_e64 s[2:3], s34, v21
	v_mov_b32_e32 v20, 0x7c010000
	s_and_saveexec_b64 s[24:25], s[2:3]
	s_cbranch_execz .LBB248_369
; %bb.368:                              ;   in Loop: Header=BB248_223 Depth=1
	v_and_b32_e32 v20, 7, v6
	v_ffbh_u32_e32 v43, v20
	v_min_u32_e32 v43, 32, v43
	v_lshrrev_b32_e32 v27, 3, v21
	v_subrev_u32_e32 v44, 28, v43
	v_sub_u32_e32 v43, 29, v43
	v_cmp_gt_u32_e64 s[2:3], 8, v21
	v_lshlrev_b64 v[44:45], v44, v[6:7]
	v_lshlrev_b32_e32 v6, 8, v6
	v_cndmask_b32_e64 v21, v27, v43, s[2:3]
	v_lshl_add_u32 v21, v21, 10, v36
	v_and_b32_e32 v27, 7, v44
	v_and_or_b32 v6, v6, s35, v21
	v_cndmask_b32_e64 v20, v20, v27, s[2:3]
	v_lshlrev_b32_e32 v6, 16, v6
	v_lshl_or_b32 v20, v20, 23, v6
.LBB248_369:                            ;   in Loop: Header=BB248_223 Depth=1
	s_or_b64 exec, exec, s[24:25]
.LBB248_370:                            ;   in Loop: Header=BB248_223 Depth=1
	s_or_b64 exec, exec, s[22:23]
.LBB248_371:                            ;   in Loop: Header=BB248_223 Depth=1
	s_or_b64 exec, exec, s[14:15]
	v_cvt_f32_f16_sdwa v45, v1 dst_sel:DWORD dst_unused:UNUSED_PAD src0_sel:WORD_1
	v_cvt_f32_f16_sdwa v44, v23 dst_sel:DWORD dst_unused:UNUSED_PAD src0_sel:WORD_1
	v_or_b32_e32 v1, v1, v19
	v_or_b32_e32 v6, v23, v22
	;; [unrolled: 1-line block ×3, first 2 shown]
	s_waitcnt vmcnt(0)
	v_pk_mul_f32 v[22:23], v[18:19], v[44:45] op_sel_hi:[0,1]
	v_cvt_f32_f16_e32 v44, v6
	v_cvt_f32_f16_e32 v45, v1
	v_cvt_pk_f16_f32 v1, v22, v23
	v_and_b32_e32 v19, 0xffff0000, v1
	v_lshlrev_b32_e32 v6, 16, v1
	v_pk_mul_f32 v[22:23], v[18:19], v[44:45] op_sel_hi:[0,1]
	v_cvt_pk_f16_f32 v1, v22, v23
	v_or_b32_e32 v23, v26, v25
	v_cvt_f32_f16_e32 v24, v24
	v_cvt_f32_f16_e32 v25, v23
	v_cvt_f32_f16_sdwa v27, v26 dst_sel:DWORD dst_unused:UNUSED_PAD src0_sel:WORD_1
	v_cvt_f32_f16_sdwa v26, v20 dst_sel:DWORD dst_unused:UNUSED_PAD src0_sel:WORD_1
	v_lshrrev_b32_e32 v21, 16, v1
	v_pk_mul_f32 v[24:25], v[18:19], v[24:25] op_sel_hi:[0,1]
	v_cvt_pk_f16_f32 v43, v24, v25
	v_pk_mul_f32 v[24:25], v[18:19], v[26:27] op_sel_hi:[0,1]
	v_cvt_pk_f16_f32 v18, v24, v25
	v_and_b32_e32 v22, 0xffff, v1
	v_and_b32_e32 v23, 0xffff0000, v18
	v_lshlrev_b32_e32 v18, 16, v18
	v_lshrrev_b32_e32 v25, 16, v43
	v_and_b32_e32 v24, 0xffff, v43
	v_or_b32_e32 v1, v19, v21
	v_or_b32_e32 v20, v6, v22
	;; [unrolled: 1-line block ×4, first 2 shown]
	s_and_saveexec_b64 s[14:15], s[0:1]
	s_cbranch_execz .LBB248_373
; %bb.372:                              ;   in Loop: Header=BB248_223 Depth=1
	v_add_u32_e32 v26, 2, v34
	v_cmp_gt_i32_e64 s[2:3], s30, v34
	v_or_b32_e32 v1, 1, v34
	v_or_b32_e32 v20, 3, v34
	v_cndmask_b32_e64 v21, 0, v21, s[2:3]
	v_cmp_gt_i32_e64 s[2:3], s33, v26
	s_nop 1
	v_cndmask_b32_e64 v22, 0, v22, s[2:3]
	v_cmp_gt_i32_e64 s[2:3], s30, v1
	s_nop 1
	v_cndmask_b32_e64 v1, 0, v19, s[2:3]
	v_cmp_gt_i32_e64 s[2:3], s33, v20
	v_or_b32_e32 v19, 6, v34
	v_or_b32_e32 v1, v1, v21
	v_cndmask_b32_e64 v6, 0, v6, s[2:3]
	v_or_b32_e32 v20, v6, v22
	v_or_b32_e32 v6, 4, v34
	v_cmp_gt_i32_e64 s[2:3], s30, v6
	v_or_b32_e32 v21, 5, v34
	v_or_b32_e32 v22, 7, v34
	v_cndmask_b32_e64 v6, 0, v25, s[2:3]
	v_cmp_gt_i32_e64 s[2:3], s33, v19
	s_nop 1
	v_cndmask_b32_e64 v19, 0, v24, s[2:3]
	v_cmp_gt_i32_e64 s[2:3], s30, v21
	s_nop 1
	v_cndmask_b32_e64 v21, 0, v23, s[2:3]
	v_cmp_gt_i32_e64 s[2:3], s33, v22
	v_or_b32_e32 v27, v21, v6
	s_nop 0
	v_cndmask_b32_e64 v18, 0, v18, s[2:3]
	v_or_b32_e32 v26, v18, v19
.LBB248_373:                            ;   in Loop: Header=BB248_223 Depth=1
	s_or_b64 exec, exec, s[14:15]
	;;#ASMSTART
	v_pk_mul_f16 v1, v42, v1;

	;;#ASMEND
	;;#ASMSTART
	v_pk_mul_f16 v6, v41, v20;

	;;#ASMEND
	;; [unrolled: 4-line block ×4, first 2 shown]
	s_nop 0
	;;#ASMSTART
	v_pk_add_f16 v1, v1, v6;

	;;#ASMEND
	s_nop 0
	;;#ASMSTART
	v_pk_add_f16 v1, v1, v18;

	;;#ASMEND
	;; [unrolled: 5-line block ×3, first 2 shown]
	s_nop 0
	v_lshrrev_b32_e32 v6, 16, v1
	v_and_b32_e32 v1, 0xffff, v1
	;;#ASMSTART
	v_cvt_f32_f16 v26, v1;
	;;#ASMEND
	;;#ASMSTART
	v_cvt_f32_f16 v27, v6;
	;;#ASMEND
	s_and_saveexec_b64 s[14:15], vcc
	s_cbranch_execz .LBB248_222
; %bb.374:                              ;   in Loop: Header=BB248_223 Depth=1
	v_lshl_add_u64 v[16:17], v[16:17], 0, v[10:11]
	global_load_dwordx2 v[18:19], v[16:17], off
	v_mov_b32_e32 v1, 0
	global_load_dword v16, v1, s[10:11]
	v_mov_b32_e32 v17, 0
	s_waitcnt vmcnt(1)
	v_cmp_ne_u16_sdwa s[2:3], v18, v7 src0_sel:BYTE_0 src1_sel:DWORD
	s_and_saveexec_b64 s[22:23], s[2:3]
	s_cbranch_execz .LBB248_380
; %bb.375:                              ;   in Loop: Header=BB248_223 Depth=1
	v_cmp_ne_u16_sdwa s[2:3], v18, s31 src0_sel:BYTE_0 src1_sel:DWORD
	v_mov_b32_e32 v17, 0x8000
	s_and_saveexec_b64 s[24:25], s[2:3]
	s_cbranch_execz .LBB248_379
; %bb.376:                              ;   in Loop: Header=BB248_223 Depth=1
	v_and_b32_e32 v6, 0x7f, v18
	v_cmp_ne_u32_e64 s[2:3], s34, v6
	v_mov_b32_e32 v17, 0x7c01
	s_and_saveexec_b64 s[26:27], s[2:3]
	s_cbranch_execz .LBB248_378
; %bb.377:                              ;   in Loop: Header=BB248_223 Depth=1
	v_and_b32_e32 v17, 7, v18
	v_ffbh_u32_e32 v20, v17
	v_min_u32_e32 v23, 32, v20
	v_subrev_u32_e32 v20, 28, v23
	v_lshlrev_b64 v[20:21], v20, v[18:19]
	v_lshrrev_b32_e32 v22, 3, v6
	v_sub_u32_e32 v21, 29, v23
	v_cmp_gt_u32_e64 s[2:3], 8, v6
	v_and_b32_e32 v20, 7, v20
	s_nop 0
	v_cndmask_b32_e64 v6, v22, v21, s[2:3]
	v_lshl_add_u32 v6, v6, 10, v36
	v_lshlrev_b32_e32 v21, 8, v18
	v_and_b32_e32 v6, 0xfc00, v6
	v_cndmask_b32_e64 v17, v17, v20, s[2:3]
	v_and_or_b32 v6, v21, s35, v6
	v_lshl_or_b32 v17, v17, 7, v6
.LBB248_378:                            ;   in Loop: Header=BB248_223 Depth=1
	s_or_b64 exec, exec, s[26:27]
.LBB248_379:                            ;   in Loop: Header=BB248_223 Depth=1
	s_or_b64 exec, exec, s[24:25]
.LBB248_380:                            ;   in Loop: Header=BB248_223 Depth=1
	s_or_b64 exec, exec, s[22:23]
	v_lshrrev_b16_e32 v6, 8, v18
	v_cmp_ne_u16_e64 s[2:3], 0, v6
	s_and_saveexec_b64 s[22:23], s[2:3]
	s_cbranch_execz .LBB248_386
; %bb.381:                              ;   in Loop: Header=BB248_223 Depth=1
	v_cmp_ne_u16_e64 s[2:3], s31, v6
	v_bfrev_b32_e32 v1, 1
	s_and_saveexec_b64 s[24:25], s[2:3]
	s_cbranch_execz .LBB248_385
; %bb.382:                              ;   in Loop: Header=BB248_223 Depth=1
	v_and_b32_e32 v20, 0x7f, v6
	v_cmp_ne_u32_e64 s[2:3], s34, v20
	v_mov_b32_e32 v1, 0x7c010000
	s_and_saveexec_b64 s[26:27], s[2:3]
	s_cbranch_execz .LBB248_384
; %bb.383:                              ;   in Loop: Header=BB248_223 Depth=1
	v_and_b32_e32 v1, 7, v6
	v_ffbh_u32_e32 v22, v1
	v_min_u32_e32 v24, 32, v22
	v_subrev_u32_e32 v22, 28, v24
	v_lshlrev_b64 v[22:23], v22, v[6:7]
	v_lshrrev_b32_e32 v21, 3, v20
	v_sub_u32_e32 v23, 29, v24
	v_cmp_gt_u32_e64 s[2:3], 8, v20
	v_lshlrev_b32_e32 v6, 8, v6
	s_nop 0
	v_cndmask_b32_e64 v20, v21, v23, s[2:3]
	v_lshl_add_u32 v20, v20, 10, v36
	v_and_b32_e32 v21, 7, v22
	v_and_or_b32 v6, v6, s35, v20
	v_cndmask_b32_e64 v1, v1, v21, s[2:3]
	v_lshlrev_b32_e32 v6, 16, v6
	v_lshl_or_b32 v1, v1, 23, v6
.LBB248_384:                            ;   in Loop: Header=BB248_223 Depth=1
	s_or_b64 exec, exec, s[26:27]
.LBB248_385:                            ;   in Loop: Header=BB248_223 Depth=1
	s_or_b64 exec, exec, s[24:25]
.LBB248_386:                            ;   in Loop: Header=BB248_223 Depth=1
	s_or_b64 exec, exec, s[22:23]
	v_lshrrev_b32_e32 v6, 16, v18
	v_cmp_ne_u16_sdwa s[2:3], v6, v7 src0_sel:BYTE_0 src1_sel:DWORD
	v_mov_b32_e32 v21, 0
	v_mov_b32_e32 v20, 0
	s_and_saveexec_b64 s[22:23], s[2:3]
	s_cbranch_execz .LBB248_392
; %bb.387:                              ;   in Loop: Header=BB248_223 Depth=1
	v_cmp_ne_u16_sdwa s[2:3], v6, s31 src0_sel:BYTE_0 src1_sel:DWORD
	v_mov_b32_e32 v20, 0x8000
	s_and_saveexec_b64 s[24:25], s[2:3]
	s_cbranch_execz .LBB248_391
; %bb.388:                              ;   in Loop: Header=BB248_223 Depth=1
	v_bfe_u32 v22, v18, 16, 7
	v_cmp_ne_u32_e64 s[2:3], s34, v22
	v_mov_b32_e32 v20, 0x7c01
	s_and_saveexec_b64 s[26:27], s[2:3]
	s_cbranch_execz .LBB248_390
; %bb.389:                              ;   in Loop: Header=BB248_223 Depth=1
	v_and_b32_e32 v20, 7, v6
	v_ffbh_u32_e32 v24, v20
	v_min_u32_e32 v43, 32, v24
	v_subrev_u32_e32 v24, 28, v43
	v_lshlrev_b64 v[24:25], v24, v[6:7]
	v_lshrrev_b32_e32 v23, 3, v22
	v_sub_u32_e32 v25, 29, v43
	v_cmp_gt_u32_e64 s[2:3], 8, v22
	v_lshlrev_b32_e32 v6, 8, v6
	s_nop 0
	v_cndmask_b32_e64 v22, v23, v25, s[2:3]
	v_lshl_add_u32 v22, v22, 10, v36
	v_and_b32_e32 v23, 7, v24
	v_and_b32_e32 v22, 0xfc00, v22
	v_cndmask_b32_e64 v20, v20, v23, s[2:3]
	v_and_or_b32 v6, v6, s35, v22
	v_lshl_or_b32 v20, v20, 7, v6
.LBB248_390:                            ;   in Loop: Header=BB248_223 Depth=1
	s_or_b64 exec, exec, s[26:27]
.LBB248_391:                            ;   in Loop: Header=BB248_223 Depth=1
	s_or_b64 exec, exec, s[24:25]
.LBB248_392:                            ;   in Loop: Header=BB248_223 Depth=1
	s_or_b64 exec, exec, s[22:23]
	v_cmp_lt_u32_e64 s[2:3], s9, v18
	s_and_saveexec_b64 s[22:23], s[2:3]
	s_cbranch_execz .LBB248_398
; %bb.393:                              ;   in Loop: Header=BB248_223 Depth=1
	v_lshrrev_b32_e32 v6, 24, v18
	v_cmp_ne_u32_e64 s[2:3], s31, v6
	v_bfrev_b32_e32 v21, 1
	s_and_saveexec_b64 s[24:25], s[2:3]
	s_cbranch_execz .LBB248_397
; %bb.394:                              ;   in Loop: Header=BB248_223 Depth=1
	v_and_b32_e32 v22, 0x7f, v6
	v_cmp_ne_u32_e64 s[2:3], s34, v22
	v_mov_b32_e32 v21, 0x7c010000
	s_and_saveexec_b64 s[26:27], s[2:3]
	s_cbranch_execz .LBB248_396
; %bb.395:                              ;   in Loop: Header=BB248_223 Depth=1
	v_and_b32_e32 v21, 7, v6
	v_ffbh_u32_e32 v24, v21
	v_min_u32_e32 v43, 32, v24
	v_subrev_u32_e32 v24, 28, v43
	v_lshlrev_b64 v[24:25], v24, v[6:7]
	v_lshrrev_b32_e32 v23, 3, v22
	v_sub_u32_e32 v25, 29, v43
	v_cmp_gt_u32_e64 s[2:3], 8, v22
	v_lshlrev_b32_e32 v6, 8, v6
	s_nop 0
	v_cndmask_b32_e64 v22, v23, v25, s[2:3]
	v_lshl_add_u32 v22, v22, 10, v36
	v_and_b32_e32 v23, 7, v24
	v_and_or_b32 v6, v6, s35, v22
	v_cndmask_b32_e64 v21, v21, v23, s[2:3]
	v_lshlrev_b32_e32 v6, 16, v6
	v_lshl_or_b32 v21, v21, 23, v6
.LBB248_396:                            ;   in Loop: Header=BB248_223 Depth=1
	s_or_b64 exec, exec, s[26:27]
.LBB248_397:                            ;   in Loop: Header=BB248_223 Depth=1
	s_or_b64 exec, exec, s[24:25]
.LBB248_398:                            ;   in Loop: Header=BB248_223 Depth=1
	s_or_b64 exec, exec, s[22:23]
	v_mov_b32_e32 v6, v19
	v_cmp_ne_u16_sdwa s[2:3], v19, v7 src0_sel:BYTE_0 src1_sel:DWORD
	v_mov_b32_e32 v22, 0
	v_mov_b32_e32 v23, 0
	s_and_saveexec_b64 s[22:23], s[2:3]
	s_cbranch_execz .LBB248_404
; %bb.399:                              ;   in Loop: Header=BB248_223 Depth=1
	v_cmp_ne_u16_sdwa s[2:3], v19, s31 src0_sel:BYTE_0 src1_sel:DWORD
	v_mov_b32_e32 v23, 0x8000
	s_and_saveexec_b64 s[24:25], s[2:3]
	s_cbranch_execz .LBB248_403
; %bb.400:                              ;   in Loop: Header=BB248_223 Depth=1
	v_and_b32_e32 v24, 0x7f, v19
	v_cmp_ne_u32_e64 s[2:3], s34, v24
	v_mov_b32_e32 v23, 0x7c01
	s_and_saveexec_b64 s[26:27], s[2:3]
	s_cbranch_execz .LBB248_402
; %bb.401:                              ;   in Loop: Header=BB248_223 Depth=1
	v_and_b32_e32 v23, 7, v19
	v_ffbh_u32_e32 v43, v23
	v_min_u32_e32 v43, 32, v43
	v_lshrrev_b32_e32 v25, 3, v24
	v_subrev_u32_e32 v44, 28, v43
	v_sub_u32_e32 v43, 29, v43
	v_cmp_gt_u32_e64 s[2:3], 8, v24
	v_lshlrev_b64 v[44:45], v44, v[6:7]
	s_nop 0
	v_cndmask_b32_e64 v24, v25, v43, s[2:3]
	v_lshl_add_u32 v24, v24, 10, v36
	v_lshlrev_b32_e32 v25, 8, v19
	v_and_b32_e32 v43, 7, v44
	v_and_b32_e32 v24, 0xfc00, v24
	v_cndmask_b32_e64 v23, v23, v43, s[2:3]
	v_and_or_b32 v24, v25, s35, v24
	v_lshl_or_b32 v23, v23, 7, v24
.LBB248_402:                            ;   in Loop: Header=BB248_223 Depth=1
	s_or_b64 exec, exec, s[26:27]
.LBB248_403:                            ;   in Loop: Header=BB248_223 Depth=1
	s_or_b64 exec, exec, s[24:25]
.LBB248_404:                            ;   in Loop: Header=BB248_223 Depth=1
	s_or_b64 exec, exec, s[22:23]
	v_lshrrev_b16_e32 v6, 8, v6
	v_cmp_ne_u16_e64 s[2:3], 0, v6
	v_mov_b32_e32 v24, 0
	s_and_saveexec_b64 s[22:23], s[2:3]
	s_cbranch_execz .LBB248_410
; %bb.405:                              ;   in Loop: Header=BB248_223 Depth=1
	v_cmp_ne_u16_e64 s[2:3], s31, v6
	v_bfrev_b32_e32 v24, 1
	s_and_saveexec_b64 s[24:25], s[2:3]
	s_cbranch_execz .LBB248_409
; %bb.406:                              ;   in Loop: Header=BB248_223 Depth=1
	v_and_b32_e32 v25, 0x7f, v6
	v_cmp_ne_u32_e64 s[2:3], s34, v25
	v_mov_b32_e32 v24, 0x7c010000
	s_and_saveexec_b64 s[26:27], s[2:3]
	s_cbranch_execz .LBB248_408
; %bb.407:                              ;   in Loop: Header=BB248_223 Depth=1
	v_and_b32_e32 v24, 7, v6
	v_ffbh_u32_e32 v44, v24
	v_min_u32_e32 v46, 32, v44
	v_subrev_u32_e32 v44, 28, v46
	v_lshlrev_b64 v[44:45], v44, v[6:7]
	v_lshrrev_b32_e32 v43, 3, v25
	v_sub_u32_e32 v45, 29, v46
	v_cmp_gt_u32_e64 s[2:3], 8, v25
	v_lshlrev_b32_e32 v6, 8, v6
	s_nop 0
	v_cndmask_b32_e64 v25, v43, v45, s[2:3]
	v_lshl_add_u32 v25, v25, 10, v36
	v_and_b32_e32 v43, 7, v44
	v_and_or_b32 v6, v6, s35, v25
	v_cndmask_b32_e64 v24, v24, v43, s[2:3]
	v_lshlrev_b32_e32 v6, 16, v6
	v_lshl_or_b32 v24, v24, 23, v6
.LBB248_408:                            ;   in Loop: Header=BB248_223 Depth=1
	s_or_b64 exec, exec, s[26:27]
.LBB248_409:                            ;   in Loop: Header=BB248_223 Depth=1
	s_or_b64 exec, exec, s[24:25]
.LBB248_410:                            ;   in Loop: Header=BB248_223 Depth=1
	s_or_b64 exec, exec, s[22:23]
	v_lshrrev_b32_e32 v6, 16, v19
	v_cmp_ne_u16_sdwa s[2:3], v6, v7 src0_sel:BYTE_0 src1_sel:DWORD
	s_and_saveexec_b64 s[22:23], s[2:3]
	s_cbranch_execz .LBB248_416
; %bb.411:                              ;   in Loop: Header=BB248_223 Depth=1
	v_cmp_ne_u16_sdwa s[2:3], v6, s31 src0_sel:BYTE_0 src1_sel:DWORD
	v_mov_b32_e32 v22, 0x8000
	s_and_saveexec_b64 s[24:25], s[2:3]
	s_cbranch_execz .LBB248_415
; %bb.412:                              ;   in Loop: Header=BB248_223 Depth=1
	v_bfe_u32 v25, v19, 16, 7
	v_cmp_ne_u32_e64 s[2:3], s34, v25
	v_mov_b32_e32 v22, 0x7c01
	s_and_saveexec_b64 s[26:27], s[2:3]
	s_cbranch_execz .LBB248_414
; %bb.413:                              ;   in Loop: Header=BB248_223 Depth=1
	v_and_b32_e32 v22, 7, v6
	v_ffbh_u32_e32 v44, v22
	v_min_u32_e32 v46, 32, v44
	v_subrev_u32_e32 v44, 28, v46
	v_lshlrev_b64 v[44:45], v44, v[6:7]
	v_lshrrev_b32_e32 v43, 3, v25
	v_sub_u32_e32 v45, 29, v46
	v_cmp_gt_u32_e64 s[2:3], 8, v25
	v_lshlrev_b32_e32 v6, 8, v6
	s_nop 0
	v_cndmask_b32_e64 v25, v43, v45, s[2:3]
	v_lshl_add_u32 v25, v25, 10, v36
	v_and_b32_e32 v43, 7, v44
	v_and_b32_e32 v25, 0xfc00, v25
	v_cndmask_b32_e64 v22, v22, v43, s[2:3]
	v_and_or_b32 v6, v6, s35, v25
	v_lshl_or_b32 v22, v22, 7, v6
.LBB248_414:                            ;   in Loop: Header=BB248_223 Depth=1
	s_or_b64 exec, exec, s[26:27]
.LBB248_415:                            ;   in Loop: Header=BB248_223 Depth=1
	s_or_b64 exec, exec, s[24:25]
.LBB248_416:                            ;   in Loop: Header=BB248_223 Depth=1
	s_or_b64 exec, exec, s[22:23]
	v_cmp_lt_u64_e64 s[2:3], s[8:9], v[18:19]
	v_mov_b32_e32 v18, 0
	s_and_saveexec_b64 s[22:23], s[2:3]
	s_cbranch_execz .LBB248_422
; %bb.417:                              ;   in Loop: Header=BB248_223 Depth=1
	v_lshrrev_b32_e32 v6, 24, v19
	v_cmp_ne_u32_e64 s[2:3], s31, v6
	v_bfrev_b32_e32 v18, 1
	s_and_saveexec_b64 s[24:25], s[2:3]
	s_cbranch_execz .LBB248_421
; %bb.418:                              ;   in Loop: Header=BB248_223 Depth=1
	v_and_b32_e32 v19, 0x7f, v6
	v_cmp_ne_u32_e64 s[2:3], s34, v19
	v_mov_b32_e32 v18, 0x7c010000
	s_and_saveexec_b64 s[26:27], s[2:3]
	s_cbranch_execz .LBB248_420
; %bb.419:                              ;   in Loop: Header=BB248_223 Depth=1
	v_and_b32_e32 v18, 7, v6
	v_ffbh_u32_e32 v43, v18
	v_min_u32_e32 v43, 32, v43
	v_lshrrev_b32_e32 v25, 3, v19
	v_subrev_u32_e32 v44, 28, v43
	v_sub_u32_e32 v43, 29, v43
	v_cmp_gt_u32_e64 s[2:3], 8, v19
	v_lshlrev_b64 v[44:45], v44, v[6:7]
	v_lshlrev_b32_e32 v6, 8, v6
	v_cndmask_b32_e64 v19, v25, v43, s[2:3]
	v_lshl_add_u32 v19, v19, 10, v36
	v_and_b32_e32 v25, 7, v44
	v_and_or_b32 v6, v6, s35, v19
	v_cndmask_b32_e64 v18, v18, v25, s[2:3]
	v_lshlrev_b32_e32 v6, 16, v6
	v_lshl_or_b32 v18, v18, 23, v6
.LBB248_420:                            ;   in Loop: Header=BB248_223 Depth=1
	s_or_b64 exec, exec, s[26:27]
.LBB248_421:                            ;   in Loop: Header=BB248_223 Depth=1
	s_or_b64 exec, exec, s[24:25]
.LBB248_422:                            ;   in Loop: Header=BB248_223 Depth=1
	s_or_b64 exec, exec, s[22:23]
	v_cvt_f32_f16_sdwa v45, v1 dst_sel:DWORD dst_unused:UNUSED_PAD src0_sel:WORD_1
	v_cvt_f32_f16_sdwa v44, v21 dst_sel:DWORD dst_unused:UNUSED_PAD src0_sel:WORD_1
	v_or_b32_e32 v1, v1, v17
	v_or_b32_e32 v6, v21, v20
	;; [unrolled: 1-line block ×3, first 2 shown]
	s_waitcnt vmcnt(0)
	v_pk_mul_f32 v[20:21], v[16:17], v[44:45] op_sel_hi:[0,1]
	v_cvt_f32_f16_e32 v44, v6
	v_cvt_f32_f16_e32 v45, v1
	v_cvt_pk_f16_f32 v1, v20, v21
	v_and_b32_e32 v17, 0xffff0000, v1
	v_lshlrev_b32_e32 v6, 16, v1
	v_pk_mul_f32 v[20:21], v[16:17], v[44:45] op_sel_hi:[0,1]
	v_cvt_pk_f16_f32 v1, v20, v21
	v_or_b32_e32 v21, v24, v23
	v_cvt_f32_f16_e32 v22, v22
	v_cvt_f32_f16_e32 v23, v21
	v_cvt_f32_f16_sdwa v25, v24 dst_sel:DWORD dst_unused:UNUSED_PAD src0_sel:WORD_1
	v_cvt_f32_f16_sdwa v24, v18 dst_sel:DWORD dst_unused:UNUSED_PAD src0_sel:WORD_1
	v_lshrrev_b32_e32 v19, 16, v1
	v_pk_mul_f32 v[22:23], v[16:17], v[22:23] op_sel_hi:[0,1]
	v_cvt_pk_f16_f32 v43, v22, v23
	v_pk_mul_f32 v[22:23], v[16:17], v[24:25] op_sel_hi:[0,1]
	v_cvt_pk_f16_f32 v16, v22, v23
	v_and_b32_e32 v20, 0xffff, v1
	v_and_b32_e32 v21, 0xffff0000, v16
	v_lshlrev_b32_e32 v16, 16, v16
	v_lshrrev_b32_e32 v23, 16, v43
	v_and_b32_e32 v22, 0xffff, v43
	v_or_b32_e32 v1, v17, v19
	v_or_b32_e32 v18, v6, v20
	;; [unrolled: 1-line block ×4, first 2 shown]
	s_and_saveexec_b64 s[2:3], s[0:1]
	s_cbranch_execz .LBB248_221
; %bb.423:                              ;   in Loop: Header=BB248_223 Depth=1
	v_add_u32_e32 v24, 2, v34
	v_cmp_gt_i32_e64 s[0:1], s30, v34
	v_or_b32_e32 v1, 1, v34
	v_or_b32_e32 v18, 3, v34
	v_cndmask_b32_e64 v19, 0, v19, s[0:1]
	v_cmp_gt_i32_e64 s[0:1], s33, v24
	s_nop 1
	v_cndmask_b32_e64 v20, 0, v20, s[0:1]
	v_cmp_gt_i32_e64 s[0:1], s30, v1
	s_nop 1
	v_cndmask_b32_e64 v1, 0, v17, s[0:1]
	v_cmp_gt_i32_e64 s[0:1], s33, v18
	v_or_b32_e32 v17, 6, v34
	v_or_b32_e32 v1, v1, v19
	v_cndmask_b32_e64 v6, 0, v6, s[0:1]
	v_or_b32_e32 v18, v6, v20
	v_or_b32_e32 v6, 4, v34
	v_cmp_gt_i32_e64 s[0:1], s30, v6
	v_or_b32_e32 v19, 5, v34
	v_or_b32_e32 v20, 7, v34
	v_cndmask_b32_e64 v6, 0, v23, s[0:1]
	v_cmp_gt_i32_e64 s[0:1], s33, v17
	s_nop 1
	v_cndmask_b32_e64 v17, 0, v22, s[0:1]
	v_cmp_gt_i32_e64 s[0:1], s30, v19
	s_nop 1
	v_cndmask_b32_e64 v19, 0, v21, s[0:1]
	v_cmp_gt_i32_e64 s[0:1], s33, v20
	v_or_b32_e32 v25, v19, v6
	s_nop 0
	v_cndmask_b32_e64 v16, 0, v16, s[0:1]
	v_or_b32_e32 v24, v16, v17
	s_branch .LBB248_221
.LBB248_424:
	s_or_b64 exec, exec, s[12:13]
.LBB248_425:
	s_or_b64 exec, exec, s[6:7]
	ds_bpermute_b32 v4, v31, v8
	ds_bpermute_b32 v5, v31, v9
	;; [unrolled: 1-line block ×4, first 2 shown]
	v_and_b32_e32 v1, 0x3c0, v0
	v_cmp_eq_u32_e64 s[0:1], 64, v1
	s_waitcnt lgkmcnt(2)
	v_pk_add_f32 v[4:5], v[8:9], v[4:5]
	v_cmp_eq_u32_e32 vcc, 0, v33
	s_waitcnt lgkmcnt(0)
	v_pk_add_f32 v[2:3], v[2:3], v[6:7]
	s_barrier
	s_and_saveexec_b64 s[2:3], s[0:1]
	s_cbranch_execz .LBB248_430
; %bb.426:
	s_and_saveexec_b64 s[0:1], vcc
	s_cbranch_execz .LBB248_428
; %bb.427:
	v_mov_b32_e32 v1, 0x100
	v_lshl_add_u32 v1, v32, 2, v1
	ds_write2_b32 v1, v4, v5 offset1:32
	ds_write_b32 v1, v2 offset:256
.LBB248_428:
	s_or_b64 exec, exec, s[0:1]
	v_or_b32_e32 v1, 0x60, v32
	s_movk_i32 s0, 0x78
	v_cmp_gt_u32_e64 s[0:1], s0, v1
	s_and_b64 s[0:1], vcc, s[0:1]
	s_and_b64 exec, exec, s[0:1]
; %bb.429:
	v_mov_b32_e32 v1, 0x100
	v_lshl_add_u32 v1, v32, 2, v1
	ds_write_b32 v1, v3 offset:384
.LBB248_430:
	s_or_b64 exec, exec, s[2:3]
	v_cmp_gt_u32_e64 s[0:1], 64, v0
	v_lshrrev_b32_e32 v0, 1, v0
	s_waitcnt lgkmcnt(0)
	s_barrier
	s_and_saveexec_b64 s[6:7], s[0:1]
	s_cbranch_execz .LBB248_440
; %bb.431:
	s_and_saveexec_b64 s[2:3], vcc
	s_cbranch_execz .LBB248_433
; %bb.432:
	v_mov_b32_e32 v1, 0x100
	v_lshl_add_u32 v1, v0, 2, v1
	ds_read_b32 v1, v1
	s_waitcnt lgkmcnt(0)
	v_add_f32_e32 v4, v4, v1
.LBB248_433:
	s_or_b64 exec, exec, s[2:3]
	v_or_b32_e32 v1, 32, v0
	s_movk_i32 s8, 0x78
	v_cmp_gt_u32_e64 s[2:3], s8, v1
	s_and_b64 s[10:11], vcc, s[2:3]
	s_and_saveexec_b64 s[2:3], s[10:11]
	s_cbranch_execz .LBB248_435
; %bb.434:
	v_mov_b32_e32 v1, 0x100
	v_lshl_add_u32 v1, v0, 2, v1
	ds_read_b32 v1, v1 offset:128
	s_waitcnt lgkmcnt(0)
	v_add_f32_e32 v5, v5, v1
.LBB248_435:
	s_or_b64 exec, exec, s[2:3]
	v_or_b32_e32 v1, 64, v0
	v_cmp_gt_u32_e64 s[2:3], s8, v1
	s_and_b64 s[8:9], vcc, s[2:3]
	s_and_saveexec_b64 s[2:3], s[8:9]
	s_cbranch_execz .LBB248_437
; %bb.436:
	v_mov_b32_e32 v1, 0x100
	v_lshl_add_u32 v1, v0, 2, v1
	ds_read_b32 v1, v1 offset:256
	s_waitcnt lgkmcnt(0)
	v_add_f32_e32 v2, v2, v1
.LBB248_437:
	s_or_b64 exec, exec, s[2:3]
	v_or_b32_e32 v1, 0x60, v0
	s_movk_i32 s2, 0x78
	v_cmp_gt_u32_e64 s[2:3], s2, v1
	s_and_b64 s[8:9], vcc, s[2:3]
	s_and_saveexec_b64 s[2:3], s[8:9]
	s_cbranch_execz .LBB248_439
; %bb.438:
	v_mov_b32_e32 v1, 0x100
	v_lshl_add_u32 v1, v0, 2, v1
	ds_read_b32 v1, v1 offset:384
	s_waitcnt lgkmcnt(0)
	v_add_f32_e32 v3, v3, v1
.LBB248_439:
	s_or_b64 exec, exec, s[2:3]
.LBB248_440:
	s_or_b64 exec, exec, s[6:7]
	s_barrier
	s_and_saveexec_b64 s[2:3], s[0:1]
	s_cbranch_execz .LBB248_449
; %bb.441:
	s_mul_i32 s0, s16, s17
	s_mul_i32 s0, s0, s5
	s_mulk_i32 s0, 0x78
	s_ashr_i32 s1, s0, 31
	s_lshl_b64 s[0:1], s[0:1], 1
	s_add_u32 s2, s20, s0
	s_mul_i32 s0, s17, s18
	s_addc_u32 s3, s21, s1
	s_ashr_i32 s1, s0, 31
	s_lshl_b64 s[0:1], s[0:1], 1
	s_add_u32 s2, s2, s0
	s_mul_i32 s0, s4, 0x78
	s_addc_u32 s3, s3, s1
	s_ashr_i32 s1, s0, 31
	s_lshl_b64 s[0:1], s[0:1], 1
	s_add_u32 s2, s2, s0
	s_movk_i32 s5, 0x78
	s_addc_u32 s3, s3, s1
	v_lshlrev_b32_e32 v1, 1, v0
	s_and_saveexec_b64 s[0:1], vcc
	s_cbranch_execz .LBB248_443
; %bb.442:
	;;#ASMSTART
	v_cvt_f16_f32 v4, v4;

	;;#ASMEND
	global_store_short v1, v4, s[2:3]
.LBB248_443:
	s_or_b64 exec, exec, s[0:1]
	v_or_b32_e32 v4, 32, v0
	v_cmp_gt_u32_e64 s[0:1], s5, v4
	s_and_b64 s[4:5], vcc, s[0:1]
	s_and_saveexec_b64 s[0:1], s[4:5]
	s_cbranch_execz .LBB248_445
; %bb.444:
	;;#ASMSTART
	v_cvt_f16_f32 v4, v5;

	;;#ASMEND
	global_store_short v1, v4, s[2:3] offset:64
.LBB248_445:
	s_or_b64 exec, exec, s[0:1]
	v_or_b32_e32 v4, 64, v0
	s_movk_i32 s4, 0x78
	v_cmp_gt_u32_e64 s[0:1], s4, v4
	s_and_b64 s[6:7], vcc, s[0:1]
	s_and_saveexec_b64 s[0:1], s[6:7]
	s_cbranch_execz .LBB248_447
; %bb.446:
	;;#ASMSTART
	v_cvt_f16_f32 v2, v2;

	;;#ASMEND
	global_store_short v1, v2, s[2:3] offset:128
.LBB248_447:
	s_or_b64 exec, exec, s[0:1]
	v_or_b32_e32 v0, 0x60, v0
	v_cmp_gt_u32_e64 s[0:1], s4, v0
	s_and_b64 s[0:1], vcc, s[0:1]
	s_and_b64 exec, exec, s[0:1]
	s_cbranch_execz .LBB248_449
; %bb.448:
	;;#ASMSTART
	v_cvt_f16_f32 v0, v3;

	;;#ASMEND
	global_store_short v1, v0, s[2:3] offset:192
.LBB248_449:
	s_endpgm
	.section	.rodata,"a",@progbits
	.p2align	6, 0x0
	.amdhsa_kernel _ZN4vllm25paged_attention_v1_kernelIthLi120ELi16ELi128ELNS_18Fp8KVCacheDataTypeE1ELb0EEEvPT_PKS2_PKT0_S8_ifPKiSA_iPKfiiiSC_SC_iiiii
		.amdhsa_group_segment_fixed_size 256
		.amdhsa_private_segment_fixed_size 0
		.amdhsa_kernarg_size 384
		.amdhsa_user_sgpr_count 2
		.amdhsa_user_sgpr_dispatch_ptr 0
		.amdhsa_user_sgpr_queue_ptr 0
		.amdhsa_user_sgpr_kernarg_segment_ptr 1
		.amdhsa_user_sgpr_dispatch_id 0
		.amdhsa_user_sgpr_kernarg_preload_length 0
		.amdhsa_user_sgpr_kernarg_preload_offset 0
		.amdhsa_user_sgpr_private_segment_size 0
		.amdhsa_uses_dynamic_stack 0
		.amdhsa_enable_private_segment 0
		.amdhsa_system_sgpr_workgroup_id_x 1
		.amdhsa_system_sgpr_workgroup_id_y 1
		.amdhsa_system_sgpr_workgroup_id_z 1
		.amdhsa_system_sgpr_workgroup_info 0
		.amdhsa_system_vgpr_workitem_id 0
		.amdhsa_next_free_vgpr 62
		.amdhsa_next_free_sgpr 45
		.amdhsa_accum_offset 64
		.amdhsa_reserve_vcc 1
		.amdhsa_float_round_mode_32 0
		.amdhsa_float_round_mode_16_64 0
		.amdhsa_float_denorm_mode_32 3
		.amdhsa_float_denorm_mode_16_64 3
		.amdhsa_dx10_clamp 1
		.amdhsa_ieee_mode 1
		.amdhsa_fp16_overflow 0
		.amdhsa_tg_split 0
		.amdhsa_exception_fp_ieee_invalid_op 0
		.amdhsa_exception_fp_denorm_src 0
		.amdhsa_exception_fp_ieee_div_zero 0
		.amdhsa_exception_fp_ieee_overflow 0
		.amdhsa_exception_fp_ieee_underflow 0
		.amdhsa_exception_fp_ieee_inexact 0
		.amdhsa_exception_int_div_zero 0
	.end_amdhsa_kernel
	.section	.text._ZN4vllm25paged_attention_v1_kernelIthLi120ELi16ELi128ELNS_18Fp8KVCacheDataTypeE1ELb0EEEvPT_PKS2_PKT0_S8_ifPKiSA_iPKfiiiSC_SC_iiiii,"axG",@progbits,_ZN4vllm25paged_attention_v1_kernelIthLi120ELi16ELi128ELNS_18Fp8KVCacheDataTypeE1ELb0EEEvPT_PKS2_PKT0_S8_ifPKiSA_iPKfiiiSC_SC_iiiii,comdat
.Lfunc_end248:
	.size	_ZN4vllm25paged_attention_v1_kernelIthLi120ELi16ELi128ELNS_18Fp8KVCacheDataTypeE1ELb0EEEvPT_PKS2_PKT0_S8_ifPKiSA_iPKfiiiSC_SC_iiiii, .Lfunc_end248-_ZN4vllm25paged_attention_v1_kernelIthLi120ELi16ELi128ELNS_18Fp8KVCacheDataTypeE1ELb0EEEvPT_PKS2_PKT0_S8_ifPKiSA_iPKfiiiSC_SC_iiiii
                                        ; -- End function
	.set _ZN4vllm25paged_attention_v1_kernelIthLi120ELi16ELi128ELNS_18Fp8KVCacheDataTypeE1ELb0EEEvPT_PKS2_PKT0_S8_ifPKiSA_iPKfiiiSC_SC_iiiii.num_vgpr, 62
	.set _ZN4vllm25paged_attention_v1_kernelIthLi120ELi16ELi128ELNS_18Fp8KVCacheDataTypeE1ELb0EEEvPT_PKS2_PKT0_S8_ifPKiSA_iPKfiiiSC_SC_iiiii.num_agpr, 0
	.set _ZN4vllm25paged_attention_v1_kernelIthLi120ELi16ELi128ELNS_18Fp8KVCacheDataTypeE1ELb0EEEvPT_PKS2_PKT0_S8_ifPKiSA_iPKfiiiSC_SC_iiiii.numbered_sgpr, 45
	.set _ZN4vllm25paged_attention_v1_kernelIthLi120ELi16ELi128ELNS_18Fp8KVCacheDataTypeE1ELb0EEEvPT_PKS2_PKT0_S8_ifPKiSA_iPKfiiiSC_SC_iiiii.num_named_barrier, 0
	.set _ZN4vllm25paged_attention_v1_kernelIthLi120ELi16ELi128ELNS_18Fp8KVCacheDataTypeE1ELb0EEEvPT_PKS2_PKT0_S8_ifPKiSA_iPKfiiiSC_SC_iiiii.private_seg_size, 0
	.set _ZN4vllm25paged_attention_v1_kernelIthLi120ELi16ELi128ELNS_18Fp8KVCacheDataTypeE1ELb0EEEvPT_PKS2_PKT0_S8_ifPKiSA_iPKfiiiSC_SC_iiiii.uses_vcc, 1
	.set _ZN4vllm25paged_attention_v1_kernelIthLi120ELi16ELi128ELNS_18Fp8KVCacheDataTypeE1ELb0EEEvPT_PKS2_PKT0_S8_ifPKiSA_iPKfiiiSC_SC_iiiii.uses_flat_scratch, 0
	.set _ZN4vllm25paged_attention_v1_kernelIthLi120ELi16ELi128ELNS_18Fp8KVCacheDataTypeE1ELb0EEEvPT_PKS2_PKT0_S8_ifPKiSA_iPKfiiiSC_SC_iiiii.has_dyn_sized_stack, 0
	.set _ZN4vllm25paged_attention_v1_kernelIthLi120ELi16ELi128ELNS_18Fp8KVCacheDataTypeE1ELb0EEEvPT_PKS2_PKT0_S8_ifPKiSA_iPKfiiiSC_SC_iiiii.has_recursion, 0
	.set _ZN4vllm25paged_attention_v1_kernelIthLi120ELi16ELi128ELNS_18Fp8KVCacheDataTypeE1ELb0EEEvPT_PKS2_PKT0_S8_ifPKiSA_iPKfiiiSC_SC_iiiii.has_indirect_call, 0
	.section	.AMDGPU.csdata,"",@progbits
; Kernel info:
; codeLenInByte = 19912
; TotalNumSgprs: 51
; NumVgprs: 62
; NumAgprs: 0
; TotalNumVgprs: 62
; ScratchSize: 0
; MemoryBound: 0
; FloatMode: 240
; IeeeMode: 1
; LDSByteSize: 256 bytes/workgroup (compile time only)
; SGPRBlocks: 6
; VGPRBlocks: 7
; NumSGPRsForWavesPerEU: 51
; NumVGPRsForWavesPerEU: 62
; AccumOffset: 64
; Occupancy: 8
; WaveLimiterHint : 1
; COMPUTE_PGM_RSRC2:SCRATCH_EN: 0
; COMPUTE_PGM_RSRC2:USER_SGPR: 2
; COMPUTE_PGM_RSRC2:TRAP_HANDLER: 0
; COMPUTE_PGM_RSRC2:TGID_X_EN: 1
; COMPUTE_PGM_RSRC2:TGID_Y_EN: 1
; COMPUTE_PGM_RSRC2:TGID_Z_EN: 1
; COMPUTE_PGM_RSRC2:TIDIG_COMP_CNT: 0
; COMPUTE_PGM_RSRC3_GFX90A:ACCUM_OFFSET: 15
; COMPUTE_PGM_RSRC3_GFX90A:TG_SPLIT: 0
	.section	.text._ZN4vllm25paged_attention_v1_kernelIthLi128ELi16ELi128ELNS_18Fp8KVCacheDataTypeE1ELb0EEEvPT_PKS2_PKT0_S8_ifPKiSA_iPKfiiiSC_SC_iiiii,"axG",@progbits,_ZN4vllm25paged_attention_v1_kernelIthLi128ELi16ELi128ELNS_18Fp8KVCacheDataTypeE1ELb0EEEvPT_PKS2_PKT0_S8_ifPKiSA_iPKfiiiSC_SC_iiiii,comdat
	.protected	_ZN4vllm25paged_attention_v1_kernelIthLi128ELi16ELi128ELNS_18Fp8KVCacheDataTypeE1ELb0EEEvPT_PKS2_PKT0_S8_ifPKiSA_iPKfiiiSC_SC_iiiii ; -- Begin function _ZN4vllm25paged_attention_v1_kernelIthLi128ELi16ELi128ELNS_18Fp8KVCacheDataTypeE1ELb0EEEvPT_PKS2_PKT0_S8_ifPKiSA_iPKfiiiSC_SC_iiiii
	.globl	_ZN4vllm25paged_attention_v1_kernelIthLi128ELi16ELi128ELNS_18Fp8KVCacheDataTypeE1ELb0EEEvPT_PKS2_PKT0_S8_ifPKiSA_iPKfiiiSC_SC_iiiii
	.p2align	8
	.type	_ZN4vllm25paged_attention_v1_kernelIthLi128ELi16ELi128ELNS_18Fp8KVCacheDataTypeE1ELb0EEEvPT_PKS2_PKT0_S8_ifPKiSA_iPKfiiiSC_SC_iiiii,@function
_ZN4vllm25paged_attention_v1_kernelIthLi128ELi16ELi128ELNS_18Fp8KVCacheDataTypeE1ELb0EEEvPT_PKS2_PKT0_S8_ifPKiSA_iPKfiiiSC_SC_iiiii: ; @_ZN4vllm25paged_attention_v1_kernelIthLi128ELi16ELi128ELNS_18Fp8KVCacheDataTypeE1ELb0EEEvPT_PKS2_PKT0_S8_ifPKiSA_iPKfiiiSC_SC_iiiii
; %bb.0:
	s_load_dword s5, s[0:1], 0x80
	s_load_dwordx2 s[6:7], s[0:1], 0x30
	s_load_dwordx2 s[10:11], s[0:1], 0x20
	s_mov_b32 s20, s3
	s_ashr_i32 s21, s3, 31
	s_lshl_b64 s[8:9], s[20:21], 2
	s_waitcnt lgkmcnt(0)
	s_add_u32 s6, s6, s8
	s_addc_u32 s7, s7, s9
	s_abs_i32 s3, s10
	v_cvt_f32_u32_e32 v1, s3
	s_xor_b32 s8, s5, s10
	s_sub_i32 s10, 0, s3
	s_abs_i32 s9, s5
	v_rcp_iflag_f32_e32 v1, v1
	s_ashr_i32 s8, s8, 31
	v_mul_f32_e32 v1, 0x4f7ffffe, v1
	v_cvt_u32_f32_e32 v1, v1
	s_nop 0
	v_readfirstlane_b32 s12, v1
	s_mul_i32 s10, s10, s12
	s_mul_hi_u32 s10, s12, s10
	s_add_i32 s12, s12, s10
	s_mul_hi_u32 s10, s9, s12
	s_mul_i32 s12, s10, s3
	s_sub_i32 s9, s9, s12
	s_add_i32 s12, s10, 1
	s_sub_i32 s13, s9, s3
	s_cmp_ge_u32 s9, s3
	s_cselect_b32 s10, s12, s10
	s_cselect_b32 s9, s13, s9
	s_add_i32 s12, s10, 1
	s_cmp_ge_u32 s9, s3
	s_cselect_b32 s3, s12, s10
	s_xor_b32 s3, s3, s8
	s_sub_i32 s15, s3, s8
	s_abs_i32 s12, s15
	v_cvt_f32_u32_e32 v1, s12
	s_load_dwordx2 s[8:9], s[0:1], 0x40
	s_sub_i32 s3, 0, s12
	s_abs_i32 s13, s2
	v_rcp_iflag_f32_e32 v1, v1
	s_mov_b32 s10, 0
	v_mul_f32_e32 v1, 0x4f7ffffe, v1
	v_cvt_u32_f32_e32 v1, v1
	s_nop 0
	v_readfirstlane_b32 s14, v1
	s_mul_i32 s3, s3, s14
	s_mul_hi_u32 s3, s14, s3
	s_add_i32 s14, s14, s3
	s_waitcnt lgkmcnt(0)
	s_cmp_eq_u64 s[8:9], 0
	s_mul_hi_u32 s14, s13, s14
	s_cbranch_scc1 .LBB249_2
; %bb.1:
	s_ashr_i32 s3, s2, 31
	s_lshl_b64 s[16:17], s[2:3], 2
	s_add_u32 s8, s8, s16
	s_addc_u32 s9, s9, s17
	s_load_dword s10, s[8:9], 0x0
.LBB249_2:
	s_load_dword s33, s[6:7], 0x0
	s_load_dwordx4 s[16:19], s[0:1], 0x48
	s_ashr_i32 s8, s2, 31
	s_ashr_i32 s9, s15, 31
	v_and_b32_e32 v4, 3, v0
	s_lshl_b32 s22, s2, 7
	v_cmp_gt_u32_e64 s[6:7], 64, v0
	s_and_saveexec_b64 s[2:3], s[6:7]
	s_cbranch_execz .LBB249_4
; %bb.3:
	s_load_dwordx2 s[24:25], s[0:1], 0x8
	s_waitcnt lgkmcnt(0)
	s_mul_i32 s26, s16, s20
	s_ashr_i32 s27, s26, 31
	s_lshl_b64 s[26:27], s[26:27], 1
	v_lshlrev_b32_e32 v1, 2, v0
	s_add_u32 s15, s24, s26
	s_addc_u32 s16, s25, s27
	s_ashr_i32 s23, s22, 31
	s_lshl_b64 s[24:25], s[22:23], 1
	s_add_u32 s24, s15, s24
	s_addc_u32 s25, s16, s25
	global_load_dword v1, v1, s[24:25]
	v_and_b32_e32 v2, 0x3fc, v0
	v_lshl_add_u32 v2, v4, 6, v2
	s_waitcnt vmcnt(0)
	ds_write_b32 v2, v1
.LBB249_4:
	s_or_b64 exec, exec, s[2:3]
	s_waitcnt lgkmcnt(0)
	s_add_i32 s3, s33, 15
	s_ashr_i32 s15, s3, 31
	s_lshr_b32 s15, s15, 28
	s_add_i32 s3, s3, s15
	s_ashr_i32 s23, s3, 4
	s_xor_b32 s3, s8, s9
	s_mul_i32 s8, s14, s12
	s_sub_i32 s8, s13, s8
	s_add_i32 s9, s14, 1
	s_sub_i32 s13, s8, s12
	s_load_dwordx2 s[26:27], s[0:1], 0x28
	s_load_dword s2, s[0:1], 0x38
	s_cmp_ge_u32 s8, s12
	s_cselect_b32 s9, s9, s14
	s_cselect_b32 s8, s13, s8
	s_add_i32 s13, s9, 1
	s_cmp_ge_u32 s8, s12
	s_cselect_b32 s8, s13, s9
	v_lshrrev_b32_e32 v24, 6, v0
	s_xor_b32 s8, s8, s3
	s_waitcnt lgkmcnt(0)
	s_mul_i32 s28, s2, s20
	s_sub_i32 s16, s8, s3
	s_ashr_i32 s29, s28, 31
	v_cmp_gt_i32_e64 s[2:3], s23, v24
	v_cmp_le_i32_e32 vcc, s23, v24
	v_mbcnt_lo_u32_b32 v9, -1, 0
	s_barrier
                                        ; implicit-def: $vgpr10
                                        ; implicit-def: $vgpr8
                                        ; implicit-def: $vgpr2
	s_and_saveexec_b64 s[8:9], vcc
	s_xor_b64 s[8:9], exec, s[8:9]
; %bb.5:
	v_mbcnt_hi_u32_b32 v10, -1, v9
	v_and_b32_e32 v8, 64, v10
	v_add_u32_e32 v2, 64, v8
                                        ; implicit-def: $vgpr4
                                        ; implicit-def: $vgpr9
; %bb.6:
	s_or_saveexec_b64 s[34:35], s[8:9]
	s_load_dwordx2 s[24:25], s[0:1], 0x0
	s_load_dwordx2 s[30:31], s[0:1], 0x18
	s_load_dword s21, s[0:1], 0x88
	s_load_dwordx4 s[12:15], s[0:1], 0x58
	v_mov_b32_e32 v11, 0xff7fffff
	s_mul_i32 s16, s16, s18
	v_lshrrev_b32_e32 v1, 4, v0
	s_xor_b64 exec, exec, s[34:35]
	s_cbranch_execz .LBB249_204
; %bb.7:
	s_load_dwordx2 s[0:1], s[0:1], 0x10
	s_ashr_i32 s8, s16, 31
	v_bfe_u32 v8, v0, 2, 4
	v_lshlrev_b32_e32 v2, 4, v8
	v_mov_b32_e32 v3, 0
	s_waitcnt lgkmcnt(0)
	s_add_u32 s0, s0, s16
	s_addc_u32 s1, s1, s8
	v_lshl_add_u64 v[6:7], s[0:1], 0, v[2:3]
	v_lshlrev_b32_e32 v2, 1, v4
	v_lshlrev_b32_e32 v12, 6, v4
	v_cmp_eq_u32_e32 vcc, 0, v4
	v_lshl_add_u64 v[4:5], v[6:7], 0, v[2:3]
	s_sub_i32 s43, 1, s33
	v_lshlrev_b32_e32 v2, 2, v8
	s_lshl_b64 s[8:9], s[28:29], 2
	v_lshl_or_b32 v2, v24, 6, v2
	s_add_u32 s8, s26, s8
	v_add_u32_e32 v14, 0x110, v2
	v_and_b32_e32 v2, 60, v1
	s_addc_u32 s9, s27, s9
	s_mov_b32 s42, s17
	v_cmp_neq_f32_e64 s[0:1], s10, 0
	v_lshl_or_b32 v13, v24, 4, v8
	v_lshl_add_u64 v[6:7], s[8:9], 0, v[2:3]
	v_mov_b32_e32 v11, 0xff7fffff
	s_mov_b64 s[18:19], 0
	s_movk_i32 s44, 0x80
	s_movk_i32 s45, 0x7f
	s_mov_b32 s46, 0x8000
	v_mbcnt_hi_u32_b32 v10, -1, v9
	v_mov_b32_e32 v15, 0x2000
	v_mov_b32_e32 v16, v24
	s_branch .LBB249_9
.LBB249_8:                              ;   in Loop: Header=BB249_9 Depth=1
	s_or_b64 exec, exec, s[36:37]
	v_add_u32_e32 v16, 2, v16
	v_cmp_le_i32_e64 s[8:9], s23, v16
	v_add_u32_e32 v13, 32, v13
	v_add_u32_e32 v14, 0x80, v14
	s_or_b64 s[18:19], s[8:9], s[18:19]
	v_lshl_add_u64 v[6:7], v[6:7], 0, 8
	s_andn2_b64 exec, exec, s[18:19]
	s_cbranch_execz .LBB249_203
.LBB249_9:                              ; =>This Inner Loop Header: Depth=1
	global_load_dword v2, v[6:7], off
	s_waitcnt vmcnt(0)
	v_mad_i64_i32 v[8:9], s[8:9], v2, s42, v[4:5]
	global_load_ushort v18, v[8:9], off
	s_waitcnt lgkmcnt(0)
	global_load_dword v17, v3, s[12:13]
	s_waitcnt vmcnt(1)
	v_and_b32_e32 v2, 0xffff, v18
	v_cmp_ne_u16_sdwa s[8:9], v18, v3 src0_sel:BYTE_0 src1_sel:DWORD
	v_mov_b32_e32 v18, 0
	s_and_saveexec_b64 s[36:37], s[8:9]
	s_cbranch_execz .LBB249_15
; %bb.10:                               ;   in Loop: Header=BB249_9 Depth=1
	v_cmp_ne_u16_sdwa s[8:9], v2, s44 src0_sel:BYTE_0 src1_sel:DWORD
	v_mov_b32_e32 v18, 0x8000
	s_and_saveexec_b64 s[38:39], s[8:9]
	s_cbranch_execz .LBB249_14
; %bb.11:                               ;   in Loop: Header=BB249_9 Depth=1
	v_and_b32_e32 v19, 0x7f, v2
	v_cmp_ne_u32_e64 s[8:9], s45, v19
	v_mov_b32_e32 v18, 0x7c01
	s_and_saveexec_b64 s[40:41], s[8:9]
	s_cbranch_execz .LBB249_13
; %bb.12:                               ;   in Loop: Header=BB249_9 Depth=1
	v_and_b32_e32 v18, 7, v2
	v_ffbh_u32_e32 v20, v18
	v_min_u32_e32 v23, 32, v20
	v_subrev_u32_e32 v20, 28, v23
	v_lshlrev_b64 v[20:21], v20, v[2:3]
	v_lshrrev_b32_e32 v22, 3, v19
	v_sub_u32_e32 v21, 29, v23
	v_cmp_gt_u32_e64 s[8:9], 8, v19
	v_and_b32_e32 v20, 7, v20
	s_nop 0
	v_cndmask_b32_e64 v19, v22, v21, s[8:9]
	v_lshl_add_u32 v19, v19, 10, v15
	v_lshlrev_b32_e32 v21, 8, v2
	v_and_b32_e32 v19, 0xfc00, v19
	v_cndmask_b32_e64 v18, v18, v20, s[8:9]
	v_and_or_b32 v19, v21, s46, v19
	v_lshl_or_b32 v18, v18, 7, v19
.LBB249_13:                             ;   in Loop: Header=BB249_9 Depth=1
	s_or_b64 exec, exec, s[40:41]
.LBB249_14:                             ;   in Loop: Header=BB249_9 Depth=1
	s_or_b64 exec, exec, s[38:39]
.LBB249_15:                             ;   in Loop: Header=BB249_9 Depth=1
	s_or_b64 exec, exec, s[36:37]
	v_lshrrev_b16_e32 v2, 8, v2
	v_cmp_ne_u16_e64 s[8:9], 0, v2
	v_mov_b32_e32 v19, 0
	v_mov_b32_e32 v20, 0
	s_and_saveexec_b64 s[36:37], s[8:9]
	s_cbranch_execz .LBB249_21
; %bb.16:                               ;   in Loop: Header=BB249_9 Depth=1
	v_cmp_ne_u16_e64 s[8:9], s44, v2
	v_bfrev_b32_e32 v20, 1
	s_and_saveexec_b64 s[38:39], s[8:9]
	s_cbranch_execz .LBB249_20
; %bb.17:                               ;   in Loop: Header=BB249_9 Depth=1
	v_and_b32_e32 v21, 0x7f, v2
	v_cmp_ne_u32_e64 s[8:9], s45, v21
	v_mov_b32_e32 v20, 0x7c010000
	s_and_saveexec_b64 s[40:41], s[8:9]
	s_cbranch_execz .LBB249_19
; %bb.18:                               ;   in Loop: Header=BB249_9 Depth=1
	v_and_b32_e32 v20, 7, v2
	v_ffbh_u32_e32 v22, v20
	v_min_u32_e32 v26, 32, v22
	v_subrev_u32_e32 v22, 28, v26
	v_lshlrev_b64 v[22:23], v22, v[2:3]
	v_lshrrev_b32_e32 v25, 3, v21
	v_sub_u32_e32 v23, 29, v26
	v_cmp_gt_u32_e64 s[8:9], 8, v21
	v_lshlrev_b32_e32 v2, 8, v2
	v_and_b32_e32 v22, 7, v22
	v_cndmask_b32_e64 v21, v25, v23, s[8:9]
	v_lshl_add_u32 v21, v21, 10, v15
	v_and_or_b32 v2, v2, s46, v21
	v_cndmask_b32_e64 v20, v20, v22, s[8:9]
	v_lshlrev_b32_e32 v2, 16, v2
	v_lshl_or_b32 v20, v20, 23, v2
.LBB249_19:                             ;   in Loop: Header=BB249_9 Depth=1
	s_or_b64 exec, exec, s[40:41]
.LBB249_20:                             ;   in Loop: Header=BB249_9 Depth=1
	s_or_b64 exec, exec, s[38:39]
.LBB249_21:                             ;   in Loop: Header=BB249_9 Depth=1
	s_or_b64 exec, exec, s[36:37]
	global_load_ushort v21, v[8:9], off offset:8
	s_waitcnt vmcnt(0)
	v_and_b32_e32 v2, 0xffff, v21
	v_cmp_ne_u16_sdwa s[8:9], v21, v3 src0_sel:BYTE_0 src1_sel:DWORD
	s_and_saveexec_b64 s[36:37], s[8:9]
	s_cbranch_execz .LBB249_27
; %bb.22:                               ;   in Loop: Header=BB249_9 Depth=1
	v_cmp_ne_u16_sdwa s[8:9], v2, s44 src0_sel:BYTE_0 src1_sel:DWORD
	v_mov_b32_e32 v19, 0x8000
	s_and_saveexec_b64 s[38:39], s[8:9]
	s_cbranch_execz .LBB249_26
; %bb.23:                               ;   in Loop: Header=BB249_9 Depth=1
	v_and_b32_e32 v21, 0x7f, v2
	v_cmp_ne_u32_e64 s[8:9], s45, v21
	v_mov_b32_e32 v19, 0x7c01
	s_and_saveexec_b64 s[40:41], s[8:9]
	s_cbranch_execz .LBB249_25
; %bb.24:                               ;   in Loop: Header=BB249_9 Depth=1
	v_and_b32_e32 v19, 7, v2
	v_ffbh_u32_e32 v22, v19
	v_min_u32_e32 v26, 32, v22
	v_subrev_u32_e32 v22, 28, v26
	v_lshlrev_b64 v[22:23], v22, v[2:3]
	v_lshrrev_b32_e32 v25, 3, v21
	v_sub_u32_e32 v23, 29, v26
	v_cmp_gt_u32_e64 s[8:9], 8, v21
	v_and_b32_e32 v22, 7, v22
	s_nop 0
	v_cndmask_b32_e64 v21, v25, v23, s[8:9]
	v_lshl_add_u32 v21, v21, 10, v15
	v_lshlrev_b32_e32 v23, 8, v2
	v_and_b32_e32 v21, 0xfc00, v21
	v_cndmask_b32_e64 v19, v19, v22, s[8:9]
	v_and_or_b32 v21, v23, s46, v21
	v_lshl_or_b32 v19, v19, 7, v21
.LBB249_25:                             ;   in Loop: Header=BB249_9 Depth=1
	s_or_b64 exec, exec, s[40:41]
.LBB249_26:                             ;   in Loop: Header=BB249_9 Depth=1
	s_or_b64 exec, exec, s[38:39]
.LBB249_27:                             ;   in Loop: Header=BB249_9 Depth=1
	s_or_b64 exec, exec, s[36:37]
	v_lshrrev_b16_e32 v2, 8, v2
	v_cmp_ne_u16_e64 s[8:9], 0, v2
	v_mov_b32_e32 v21, 0
	v_mov_b32_e32 v22, 0
	s_and_saveexec_b64 s[36:37], s[8:9]
	s_cbranch_execz .LBB249_33
; %bb.28:                               ;   in Loop: Header=BB249_9 Depth=1
	v_cmp_ne_u16_e64 s[8:9], s44, v2
	v_bfrev_b32_e32 v22, 1
	s_and_saveexec_b64 s[38:39], s[8:9]
	s_cbranch_execz .LBB249_32
; %bb.29:                               ;   in Loop: Header=BB249_9 Depth=1
	v_and_b32_e32 v23, 0x7f, v2
	v_cmp_ne_u32_e64 s[8:9], s45, v23
	v_mov_b32_e32 v22, 0x7c010000
	s_and_saveexec_b64 s[40:41], s[8:9]
	s_cbranch_execz .LBB249_31
; %bb.30:                               ;   in Loop: Header=BB249_9 Depth=1
	v_and_b32_e32 v22, 7, v2
	v_ffbh_u32_e32 v26, v22
	v_min_u32_e32 v28, 32, v26
	v_subrev_u32_e32 v26, 28, v28
	v_lshlrev_b64 v[26:27], v26, v[2:3]
	v_lshrrev_b32_e32 v25, 3, v23
	v_sub_u32_e32 v27, 29, v28
	v_cmp_gt_u32_e64 s[8:9], 8, v23
	v_lshlrev_b32_e32 v2, 8, v2
	s_nop 0
	v_cndmask_b32_e64 v23, v25, v27, s[8:9]
	v_lshl_add_u32 v23, v23, 10, v15
	v_and_b32_e32 v25, 7, v26
	v_and_or_b32 v2, v2, s46, v23
	v_cndmask_b32_e64 v22, v22, v25, s[8:9]
	v_lshlrev_b32_e32 v2, 16, v2
	v_lshl_or_b32 v22, v22, 23, v2
.LBB249_31:                             ;   in Loop: Header=BB249_9 Depth=1
	s_or_b64 exec, exec, s[40:41]
.LBB249_32:                             ;   in Loop: Header=BB249_9 Depth=1
	s_or_b64 exec, exec, s[38:39]
.LBB249_33:                             ;   in Loop: Header=BB249_9 Depth=1
	s_or_b64 exec, exec, s[36:37]
	global_load_ushort v23, v[8:9], off offset:256
	s_waitcnt vmcnt(0)
	v_and_b32_e32 v2, 0xffff, v23
	v_cmp_ne_u16_sdwa s[8:9], v23, v3 src0_sel:BYTE_0 src1_sel:DWORD
	s_and_saveexec_b64 s[36:37], s[8:9]
	s_cbranch_execz .LBB249_39
; %bb.34:                               ;   in Loop: Header=BB249_9 Depth=1
	v_cmp_ne_u16_sdwa s[8:9], v2, s44 src0_sel:BYTE_0 src1_sel:DWORD
	v_mov_b32_e32 v21, 0x8000
	s_and_saveexec_b64 s[38:39], s[8:9]
	s_cbranch_execz .LBB249_38
; %bb.35:                               ;   in Loop: Header=BB249_9 Depth=1
	v_and_b32_e32 v23, 0x7f, v2
	v_cmp_ne_u32_e64 s[8:9], s45, v23
	v_mov_b32_e32 v21, 0x7c01
	s_and_saveexec_b64 s[40:41], s[8:9]
	s_cbranch_execz .LBB249_37
; %bb.36:                               ;   in Loop: Header=BB249_9 Depth=1
	v_and_b32_e32 v21, 7, v2
	v_ffbh_u32_e32 v26, v21
	v_min_u32_e32 v28, 32, v26
	v_subrev_u32_e32 v26, 28, v28
	v_lshlrev_b64 v[26:27], v26, v[2:3]
	v_lshrrev_b32_e32 v25, 3, v23
	v_sub_u32_e32 v27, 29, v28
	v_cmp_gt_u32_e64 s[8:9], 8, v23
	v_and_b32_e32 v26, 7, v26
	s_nop 0
	v_cndmask_b32_e64 v23, v25, v27, s[8:9]
	v_lshl_add_u32 v23, v23, 10, v15
	v_lshlrev_b32_e32 v25, 8, v2
	v_and_b32_e32 v23, 0xfc00, v23
	v_cndmask_b32_e64 v21, v21, v26, s[8:9]
	v_and_or_b32 v23, v25, s46, v23
	v_lshl_or_b32 v21, v21, 7, v23
.LBB249_37:                             ;   in Loop: Header=BB249_9 Depth=1
	s_or_b64 exec, exec, s[40:41]
.LBB249_38:                             ;   in Loop: Header=BB249_9 Depth=1
	s_or_b64 exec, exec, s[38:39]
.LBB249_39:                             ;   in Loop: Header=BB249_9 Depth=1
	s_or_b64 exec, exec, s[36:37]
	v_lshrrev_b16_e32 v2, 8, v2
	v_cmp_ne_u16_e64 s[8:9], 0, v2
	v_mov_b32_e32 v23, 0
	v_mov_b32_e32 v25, 0
	s_and_saveexec_b64 s[36:37], s[8:9]
	s_cbranch_execz .LBB249_45
; %bb.40:                               ;   in Loop: Header=BB249_9 Depth=1
	v_cmp_ne_u16_e64 s[8:9], s44, v2
	v_bfrev_b32_e32 v25, 1
	s_and_saveexec_b64 s[38:39], s[8:9]
	s_cbranch_execz .LBB249_44
; %bb.41:                               ;   in Loop: Header=BB249_9 Depth=1
	v_and_b32_e32 v26, 0x7f, v2
	v_cmp_ne_u32_e64 s[8:9], s45, v26
	v_mov_b32_e32 v25, 0x7c010000
	s_and_saveexec_b64 s[40:41], s[8:9]
	s_cbranch_execz .LBB249_43
; %bb.42:                               ;   in Loop: Header=BB249_9 Depth=1
	v_and_b32_e32 v25, 7, v2
	v_ffbh_u32_e32 v28, v25
	v_min_u32_e32 v30, 32, v28
	v_subrev_u32_e32 v28, 28, v30
	v_lshlrev_b64 v[28:29], v28, v[2:3]
	v_lshrrev_b32_e32 v27, 3, v26
	v_sub_u32_e32 v29, 29, v30
	v_cmp_gt_u32_e64 s[8:9], 8, v26
	v_lshlrev_b32_e32 v2, 8, v2
	s_nop 0
	v_cndmask_b32_e64 v26, v27, v29, s[8:9]
	v_lshl_add_u32 v26, v26, 10, v15
	v_and_b32_e32 v27, 7, v28
	v_and_or_b32 v2, v2, s46, v26
	v_cndmask_b32_e64 v25, v25, v27, s[8:9]
	v_lshlrev_b32_e32 v2, 16, v2
	v_lshl_or_b32 v25, v25, 23, v2
.LBB249_43:                             ;   in Loop: Header=BB249_9 Depth=1
	s_or_b64 exec, exec, s[40:41]
.LBB249_44:                             ;   in Loop: Header=BB249_9 Depth=1
	s_or_b64 exec, exec, s[38:39]
.LBB249_45:                             ;   in Loop: Header=BB249_9 Depth=1
	s_or_b64 exec, exec, s[36:37]
	global_load_ushort v26, v[8:9], off offset:264
	s_waitcnt vmcnt(0)
	v_and_b32_e32 v2, 0xffff, v26
	v_cmp_ne_u16_sdwa s[8:9], v26, v3 src0_sel:BYTE_0 src1_sel:DWORD
	s_and_saveexec_b64 s[36:37], s[8:9]
	s_cbranch_execz .LBB249_51
; %bb.46:                               ;   in Loop: Header=BB249_9 Depth=1
	v_cmp_ne_u16_sdwa s[8:9], v2, s44 src0_sel:BYTE_0 src1_sel:DWORD
	v_mov_b32_e32 v23, 0x8000
	s_and_saveexec_b64 s[38:39], s[8:9]
	s_cbranch_execz .LBB249_50
; %bb.47:                               ;   in Loop: Header=BB249_9 Depth=1
	v_and_b32_e32 v26, 0x7f, v2
	v_cmp_ne_u32_e64 s[8:9], s45, v26
	v_mov_b32_e32 v23, 0x7c01
	s_and_saveexec_b64 s[40:41], s[8:9]
	s_cbranch_execz .LBB249_49
; %bb.48:                               ;   in Loop: Header=BB249_9 Depth=1
	v_and_b32_e32 v23, 7, v2
	v_ffbh_u32_e32 v28, v23
	v_min_u32_e32 v30, 32, v28
	v_subrev_u32_e32 v28, 28, v30
	v_lshlrev_b64 v[28:29], v28, v[2:3]
	v_lshrrev_b32_e32 v27, 3, v26
	v_sub_u32_e32 v29, 29, v30
	v_cmp_gt_u32_e64 s[8:9], 8, v26
	v_and_b32_e32 v28, 7, v28
	s_nop 0
	v_cndmask_b32_e64 v26, v27, v29, s[8:9]
	v_lshl_add_u32 v26, v26, 10, v15
	v_lshlrev_b32_e32 v27, 8, v2
	v_and_b32_e32 v26, 0xfc00, v26
	v_cndmask_b32_e64 v23, v23, v28, s[8:9]
	v_and_or_b32 v26, v27, s46, v26
	v_lshl_or_b32 v23, v23, 7, v26
.LBB249_49:                             ;   in Loop: Header=BB249_9 Depth=1
	s_or_b64 exec, exec, s[40:41]
.LBB249_50:                             ;   in Loop: Header=BB249_9 Depth=1
	s_or_b64 exec, exec, s[38:39]
.LBB249_51:                             ;   in Loop: Header=BB249_9 Depth=1
	s_or_b64 exec, exec, s[36:37]
	v_lshrrev_b16_e32 v2, 8, v2
	v_cmp_ne_u16_e64 s[8:9], 0, v2
	v_mov_b32_e32 v26, 0
	v_mov_b32_e32 v27, 0
	s_and_saveexec_b64 s[36:37], s[8:9]
	s_cbranch_execz .LBB249_57
; %bb.52:                               ;   in Loop: Header=BB249_9 Depth=1
	v_cmp_ne_u16_e64 s[8:9], s44, v2
	v_bfrev_b32_e32 v27, 1
	s_and_saveexec_b64 s[38:39], s[8:9]
	s_cbranch_execz .LBB249_56
; %bb.53:                               ;   in Loop: Header=BB249_9 Depth=1
	v_and_b32_e32 v28, 0x7f, v2
	v_cmp_ne_u32_e64 s[8:9], s45, v28
	v_mov_b32_e32 v27, 0x7c010000
	s_and_saveexec_b64 s[40:41], s[8:9]
	s_cbranch_execz .LBB249_55
; %bb.54:                               ;   in Loop: Header=BB249_9 Depth=1
	v_and_b32_e32 v27, 7, v2
	v_ffbh_u32_e32 v30, v27
	v_min_u32_e32 v32, 32, v30
	v_subrev_u32_e32 v30, 28, v32
	v_lshlrev_b64 v[30:31], v30, v[2:3]
	v_lshrrev_b32_e32 v29, 3, v28
	v_sub_u32_e32 v31, 29, v32
	v_cmp_gt_u32_e64 s[8:9], 8, v28
	v_lshlrev_b32_e32 v2, 8, v2
	s_nop 0
	v_cndmask_b32_e64 v28, v29, v31, s[8:9]
	v_lshl_add_u32 v28, v28, 10, v15
	v_and_b32_e32 v29, 7, v30
	v_and_or_b32 v2, v2, s46, v28
	v_cndmask_b32_e64 v27, v27, v29, s[8:9]
	v_lshlrev_b32_e32 v2, 16, v2
	v_lshl_or_b32 v27, v27, 23, v2
.LBB249_55:                             ;   in Loop: Header=BB249_9 Depth=1
	s_or_b64 exec, exec, s[40:41]
.LBB249_56:                             ;   in Loop: Header=BB249_9 Depth=1
	s_or_b64 exec, exec, s[38:39]
.LBB249_57:                             ;   in Loop: Header=BB249_9 Depth=1
	s_or_b64 exec, exec, s[36:37]
	global_load_ushort v28, v[8:9], off offset:512
	s_waitcnt vmcnt(0)
	v_and_b32_e32 v2, 0xffff, v28
	v_cmp_ne_u16_sdwa s[8:9], v28, v3 src0_sel:BYTE_0 src1_sel:DWORD
	s_and_saveexec_b64 s[36:37], s[8:9]
	s_cbranch_execz .LBB249_63
; %bb.58:                               ;   in Loop: Header=BB249_9 Depth=1
	v_cmp_ne_u16_sdwa s[8:9], v2, s44 src0_sel:BYTE_0 src1_sel:DWORD
	v_mov_b32_e32 v26, 0x8000
	s_and_saveexec_b64 s[38:39], s[8:9]
	s_cbranch_execz .LBB249_62
; %bb.59:                               ;   in Loop: Header=BB249_9 Depth=1
	v_and_b32_e32 v28, 0x7f, v2
	v_cmp_ne_u32_e64 s[8:9], s45, v28
	v_mov_b32_e32 v26, 0x7c01
	s_and_saveexec_b64 s[40:41], s[8:9]
	s_cbranch_execz .LBB249_61
; %bb.60:                               ;   in Loop: Header=BB249_9 Depth=1
	v_and_b32_e32 v26, 7, v2
	v_ffbh_u32_e32 v30, v26
	v_min_u32_e32 v32, 32, v30
	v_subrev_u32_e32 v30, 28, v32
	v_lshlrev_b64 v[30:31], v30, v[2:3]
	v_lshrrev_b32_e32 v29, 3, v28
	v_sub_u32_e32 v31, 29, v32
	v_cmp_gt_u32_e64 s[8:9], 8, v28
	v_and_b32_e32 v30, 7, v30
	s_nop 0
	v_cndmask_b32_e64 v28, v29, v31, s[8:9]
	v_lshl_add_u32 v28, v28, 10, v15
	v_lshlrev_b32_e32 v29, 8, v2
	v_and_b32_e32 v28, 0xfc00, v28
	v_cndmask_b32_e64 v26, v26, v30, s[8:9]
	v_and_or_b32 v28, v29, s46, v28
	v_lshl_or_b32 v26, v26, 7, v28
.LBB249_61:                             ;   in Loop: Header=BB249_9 Depth=1
	s_or_b64 exec, exec, s[40:41]
.LBB249_62:                             ;   in Loop: Header=BB249_9 Depth=1
	s_or_b64 exec, exec, s[38:39]
.LBB249_63:                             ;   in Loop: Header=BB249_9 Depth=1
	s_or_b64 exec, exec, s[36:37]
	v_lshrrev_b16_e32 v2, 8, v2
	v_cmp_ne_u16_e64 s[8:9], 0, v2
	v_mov_b32_e32 v28, 0
	v_mov_b32_e32 v29, 0
	s_and_saveexec_b64 s[36:37], s[8:9]
	s_cbranch_execz .LBB249_69
; %bb.64:                               ;   in Loop: Header=BB249_9 Depth=1
	v_cmp_ne_u16_e64 s[8:9], s44, v2
	v_bfrev_b32_e32 v29, 1
	s_and_saveexec_b64 s[38:39], s[8:9]
	s_cbranch_execz .LBB249_68
; %bb.65:                               ;   in Loop: Header=BB249_9 Depth=1
	v_and_b32_e32 v30, 0x7f, v2
	v_cmp_ne_u32_e64 s[8:9], s45, v30
	v_mov_b32_e32 v29, 0x7c010000
	s_and_saveexec_b64 s[40:41], s[8:9]
	s_cbranch_execz .LBB249_67
; %bb.66:                               ;   in Loop: Header=BB249_9 Depth=1
	v_and_b32_e32 v29, 7, v2
	v_ffbh_u32_e32 v32, v29
	v_min_u32_e32 v34, 32, v32
	v_subrev_u32_e32 v32, 28, v34
	v_lshlrev_b64 v[32:33], v32, v[2:3]
	v_lshrrev_b32_e32 v31, 3, v30
	v_sub_u32_e32 v33, 29, v34
	v_cmp_gt_u32_e64 s[8:9], 8, v30
	v_lshlrev_b32_e32 v2, 8, v2
	s_nop 0
	v_cndmask_b32_e64 v30, v31, v33, s[8:9]
	v_lshl_add_u32 v30, v30, 10, v15
	v_and_b32_e32 v31, 7, v32
	v_and_or_b32 v2, v2, s46, v30
	v_cndmask_b32_e64 v29, v29, v31, s[8:9]
	v_lshlrev_b32_e32 v2, 16, v2
	v_lshl_or_b32 v29, v29, 23, v2
.LBB249_67:                             ;   in Loop: Header=BB249_9 Depth=1
	s_or_b64 exec, exec, s[40:41]
.LBB249_68:                             ;   in Loop: Header=BB249_9 Depth=1
	s_or_b64 exec, exec, s[38:39]
.LBB249_69:                             ;   in Loop: Header=BB249_9 Depth=1
	s_or_b64 exec, exec, s[36:37]
	global_load_ushort v30, v[8:9], off offset:520
	s_waitcnt vmcnt(0)
	v_and_b32_e32 v2, 0xffff, v30
	v_cmp_ne_u16_sdwa s[8:9], v30, v3 src0_sel:BYTE_0 src1_sel:DWORD
	s_and_saveexec_b64 s[36:37], s[8:9]
	s_cbranch_execz .LBB249_75
; %bb.70:                               ;   in Loop: Header=BB249_9 Depth=1
	v_cmp_ne_u16_sdwa s[8:9], v2, s44 src0_sel:BYTE_0 src1_sel:DWORD
	v_mov_b32_e32 v28, 0x8000
	s_and_saveexec_b64 s[38:39], s[8:9]
	s_cbranch_execz .LBB249_74
; %bb.71:                               ;   in Loop: Header=BB249_9 Depth=1
	v_and_b32_e32 v30, 0x7f, v2
	v_cmp_ne_u32_e64 s[8:9], s45, v30
	v_mov_b32_e32 v28, 0x7c01
	s_and_saveexec_b64 s[40:41], s[8:9]
	s_cbranch_execz .LBB249_73
; %bb.72:                               ;   in Loop: Header=BB249_9 Depth=1
	v_and_b32_e32 v28, 7, v2
	v_ffbh_u32_e32 v32, v28
	v_min_u32_e32 v34, 32, v32
	v_subrev_u32_e32 v32, 28, v34
	v_lshlrev_b64 v[32:33], v32, v[2:3]
	v_lshrrev_b32_e32 v31, 3, v30
	v_sub_u32_e32 v33, 29, v34
	v_cmp_gt_u32_e64 s[8:9], 8, v30
	v_and_b32_e32 v32, 7, v32
	s_nop 0
	v_cndmask_b32_e64 v30, v31, v33, s[8:9]
	v_lshl_add_u32 v30, v30, 10, v15
	v_lshlrev_b32_e32 v31, 8, v2
	v_and_b32_e32 v30, 0xfc00, v30
	v_cndmask_b32_e64 v28, v28, v32, s[8:9]
	v_and_or_b32 v30, v31, s46, v30
	v_lshl_or_b32 v28, v28, 7, v30
.LBB249_73:                             ;   in Loop: Header=BB249_9 Depth=1
	s_or_b64 exec, exec, s[40:41]
.LBB249_74:                             ;   in Loop: Header=BB249_9 Depth=1
	s_or_b64 exec, exec, s[38:39]
.LBB249_75:                             ;   in Loop: Header=BB249_9 Depth=1
	s_or_b64 exec, exec, s[36:37]
	v_lshrrev_b16_e32 v2, 8, v2
	v_cmp_ne_u16_e64 s[8:9], 0, v2
	v_mov_b32_e32 v30, 0
	v_mov_b32_e32 v31, 0
	s_and_saveexec_b64 s[36:37], s[8:9]
	s_cbranch_execz .LBB249_81
; %bb.76:                               ;   in Loop: Header=BB249_9 Depth=1
	v_cmp_ne_u16_e64 s[8:9], s44, v2
	v_bfrev_b32_e32 v31, 1
	s_and_saveexec_b64 s[38:39], s[8:9]
	s_cbranch_execz .LBB249_80
; %bb.77:                               ;   in Loop: Header=BB249_9 Depth=1
	v_and_b32_e32 v32, 0x7f, v2
	v_cmp_ne_u32_e64 s[8:9], s45, v32
	v_mov_b32_e32 v31, 0x7c010000
	s_and_saveexec_b64 s[40:41], s[8:9]
	s_cbranch_execz .LBB249_79
; %bb.78:                               ;   in Loop: Header=BB249_9 Depth=1
	v_and_b32_e32 v31, 7, v2
	v_ffbh_u32_e32 v34, v31
	v_min_u32_e32 v36, 32, v34
	v_subrev_u32_e32 v34, 28, v36
	v_lshlrev_b64 v[34:35], v34, v[2:3]
	v_lshrrev_b32_e32 v33, 3, v32
	v_sub_u32_e32 v35, 29, v36
	v_cmp_gt_u32_e64 s[8:9], 8, v32
	v_lshlrev_b32_e32 v2, 8, v2
	s_nop 0
	v_cndmask_b32_e64 v32, v33, v35, s[8:9]
	v_lshl_add_u32 v32, v32, 10, v15
	v_and_b32_e32 v33, 7, v34
	v_and_or_b32 v2, v2, s46, v32
	v_cndmask_b32_e64 v31, v31, v33, s[8:9]
	v_lshlrev_b32_e32 v2, 16, v2
	v_lshl_or_b32 v31, v31, 23, v2
.LBB249_79:                             ;   in Loop: Header=BB249_9 Depth=1
	s_or_b64 exec, exec, s[40:41]
.LBB249_80:                             ;   in Loop: Header=BB249_9 Depth=1
	s_or_b64 exec, exec, s[38:39]
.LBB249_81:                             ;   in Loop: Header=BB249_9 Depth=1
	s_or_b64 exec, exec, s[36:37]
	global_load_ushort v32, v[8:9], off offset:768
	s_waitcnt vmcnt(0)
	v_and_b32_e32 v2, 0xffff, v32
	v_cmp_ne_u16_sdwa s[8:9], v32, v3 src0_sel:BYTE_0 src1_sel:DWORD
	s_and_saveexec_b64 s[36:37], s[8:9]
	s_cbranch_execz .LBB249_87
; %bb.82:                               ;   in Loop: Header=BB249_9 Depth=1
	v_cmp_ne_u16_sdwa s[8:9], v2, s44 src0_sel:BYTE_0 src1_sel:DWORD
	v_mov_b32_e32 v30, 0x8000
	s_and_saveexec_b64 s[38:39], s[8:9]
	s_cbranch_execz .LBB249_86
; %bb.83:                               ;   in Loop: Header=BB249_9 Depth=1
	v_and_b32_e32 v32, 0x7f, v2
	v_cmp_ne_u32_e64 s[8:9], s45, v32
	v_mov_b32_e32 v30, 0x7c01
	s_and_saveexec_b64 s[40:41], s[8:9]
	s_cbranch_execz .LBB249_85
; %bb.84:                               ;   in Loop: Header=BB249_9 Depth=1
	v_and_b32_e32 v30, 7, v2
	v_ffbh_u32_e32 v34, v30
	v_min_u32_e32 v36, 32, v34
	v_subrev_u32_e32 v34, 28, v36
	v_lshlrev_b64 v[34:35], v34, v[2:3]
	v_lshrrev_b32_e32 v33, 3, v32
	v_sub_u32_e32 v35, 29, v36
	v_cmp_gt_u32_e64 s[8:9], 8, v32
	v_and_b32_e32 v34, 7, v34
	s_nop 0
	v_cndmask_b32_e64 v32, v33, v35, s[8:9]
	v_lshl_add_u32 v32, v32, 10, v15
	v_lshlrev_b32_e32 v33, 8, v2
	v_and_b32_e32 v32, 0xfc00, v32
	v_cndmask_b32_e64 v30, v30, v34, s[8:9]
	v_and_or_b32 v32, v33, s46, v32
	v_lshl_or_b32 v30, v30, 7, v32
.LBB249_85:                             ;   in Loop: Header=BB249_9 Depth=1
	s_or_b64 exec, exec, s[40:41]
.LBB249_86:                             ;   in Loop: Header=BB249_9 Depth=1
	s_or_b64 exec, exec, s[38:39]
.LBB249_87:                             ;   in Loop: Header=BB249_9 Depth=1
	s_or_b64 exec, exec, s[36:37]
	v_lshrrev_b16_e32 v2, 8, v2
	v_cmp_ne_u16_e64 s[8:9], 0, v2
	v_mov_b32_e32 v32, 0
	v_mov_b32_e32 v33, 0
	s_and_saveexec_b64 s[36:37], s[8:9]
	s_cbranch_execz .LBB249_93
; %bb.88:                               ;   in Loop: Header=BB249_9 Depth=1
	v_cmp_ne_u16_e64 s[8:9], s44, v2
	v_bfrev_b32_e32 v33, 1
	s_and_saveexec_b64 s[38:39], s[8:9]
	s_cbranch_execz .LBB249_92
; %bb.89:                               ;   in Loop: Header=BB249_9 Depth=1
	v_and_b32_e32 v34, 0x7f, v2
	v_cmp_ne_u32_e64 s[8:9], s45, v34
	v_mov_b32_e32 v33, 0x7c010000
	s_and_saveexec_b64 s[40:41], s[8:9]
	s_cbranch_execz .LBB249_91
; %bb.90:                               ;   in Loop: Header=BB249_9 Depth=1
	v_and_b32_e32 v33, 7, v2
	v_ffbh_u32_e32 v36, v33
	v_min_u32_e32 v38, 32, v36
	v_subrev_u32_e32 v36, 28, v38
	v_lshlrev_b64 v[36:37], v36, v[2:3]
	v_lshrrev_b32_e32 v35, 3, v34
	v_sub_u32_e32 v37, 29, v38
	v_cmp_gt_u32_e64 s[8:9], 8, v34
	v_lshlrev_b32_e32 v2, 8, v2
	s_nop 0
	v_cndmask_b32_e64 v34, v35, v37, s[8:9]
	v_lshl_add_u32 v34, v34, 10, v15
	v_and_b32_e32 v35, 7, v36
	v_and_or_b32 v2, v2, s46, v34
	v_cndmask_b32_e64 v33, v33, v35, s[8:9]
	v_lshlrev_b32_e32 v2, 16, v2
	v_lshl_or_b32 v33, v33, 23, v2
.LBB249_91:                             ;   in Loop: Header=BB249_9 Depth=1
	s_or_b64 exec, exec, s[40:41]
.LBB249_92:                             ;   in Loop: Header=BB249_9 Depth=1
	s_or_b64 exec, exec, s[38:39]
.LBB249_93:                             ;   in Loop: Header=BB249_9 Depth=1
	s_or_b64 exec, exec, s[36:37]
	global_load_ushort v34, v[8:9], off offset:776
	s_waitcnt vmcnt(0)
	v_and_b32_e32 v2, 0xffff, v34
	v_cmp_ne_u16_sdwa s[8:9], v34, v3 src0_sel:BYTE_0 src1_sel:DWORD
	s_and_saveexec_b64 s[36:37], s[8:9]
	s_cbranch_execz .LBB249_99
; %bb.94:                               ;   in Loop: Header=BB249_9 Depth=1
	v_cmp_ne_u16_sdwa s[8:9], v2, s44 src0_sel:BYTE_0 src1_sel:DWORD
	v_mov_b32_e32 v32, 0x8000
	s_and_saveexec_b64 s[38:39], s[8:9]
	s_cbranch_execz .LBB249_98
; %bb.95:                               ;   in Loop: Header=BB249_9 Depth=1
	v_and_b32_e32 v34, 0x7f, v2
	v_cmp_ne_u32_e64 s[8:9], s45, v34
	v_mov_b32_e32 v32, 0x7c01
	s_and_saveexec_b64 s[40:41], s[8:9]
	s_cbranch_execz .LBB249_97
; %bb.96:                               ;   in Loop: Header=BB249_9 Depth=1
	v_and_b32_e32 v32, 7, v2
	v_ffbh_u32_e32 v36, v32
	v_min_u32_e32 v38, 32, v36
	v_subrev_u32_e32 v36, 28, v38
	v_lshlrev_b64 v[36:37], v36, v[2:3]
	v_lshrrev_b32_e32 v35, 3, v34
	v_sub_u32_e32 v37, 29, v38
	v_cmp_gt_u32_e64 s[8:9], 8, v34
	v_and_b32_e32 v36, 7, v36
	s_nop 0
	v_cndmask_b32_e64 v34, v35, v37, s[8:9]
	v_lshl_add_u32 v34, v34, 10, v15
	v_lshlrev_b32_e32 v35, 8, v2
	v_and_b32_e32 v34, 0xfc00, v34
	v_cndmask_b32_e64 v32, v32, v36, s[8:9]
	v_and_or_b32 v34, v35, s46, v34
	v_lshl_or_b32 v32, v32, 7, v34
.LBB249_97:                             ;   in Loop: Header=BB249_9 Depth=1
	s_or_b64 exec, exec, s[40:41]
.LBB249_98:                             ;   in Loop: Header=BB249_9 Depth=1
	s_or_b64 exec, exec, s[38:39]
.LBB249_99:                             ;   in Loop: Header=BB249_9 Depth=1
	s_or_b64 exec, exec, s[36:37]
	v_lshrrev_b16_e32 v2, 8, v2
	v_cmp_ne_u16_e64 s[8:9], 0, v2
	v_mov_b32_e32 v35, 0
	v_mov_b32_e32 v34, 0
	s_and_saveexec_b64 s[36:37], s[8:9]
	s_cbranch_execz .LBB249_105
; %bb.100:                              ;   in Loop: Header=BB249_9 Depth=1
	v_cmp_ne_u16_e64 s[8:9], s44, v2
	v_bfrev_b32_e32 v34, 1
	s_and_saveexec_b64 s[38:39], s[8:9]
	s_cbranch_execz .LBB249_104
; %bb.101:                              ;   in Loop: Header=BB249_9 Depth=1
	v_and_b32_e32 v36, 0x7f, v2
	v_cmp_ne_u32_e64 s[8:9], s45, v36
	v_mov_b32_e32 v34, 0x7c010000
	s_and_saveexec_b64 s[40:41], s[8:9]
	s_cbranch_execz .LBB249_103
; %bb.102:                              ;   in Loop: Header=BB249_9 Depth=1
	v_and_b32_e32 v34, 7, v2
	v_ffbh_u32_e32 v38, v34
	v_min_u32_e32 v40, 32, v38
	v_subrev_u32_e32 v38, 28, v40
	v_lshlrev_b64 v[38:39], v38, v[2:3]
	v_lshrrev_b32_e32 v37, 3, v36
	v_sub_u32_e32 v39, 29, v40
	v_cmp_gt_u32_e64 s[8:9], 8, v36
	v_lshlrev_b32_e32 v2, 8, v2
	s_nop 0
	v_cndmask_b32_e64 v36, v37, v39, s[8:9]
	v_lshl_add_u32 v36, v36, 10, v15
	v_and_b32_e32 v37, 7, v38
	v_and_or_b32 v2, v2, s46, v36
	v_cndmask_b32_e64 v34, v34, v37, s[8:9]
	v_lshlrev_b32_e32 v2, 16, v2
	v_lshl_or_b32 v34, v34, 23, v2
.LBB249_103:                            ;   in Loop: Header=BB249_9 Depth=1
	s_or_b64 exec, exec, s[40:41]
.LBB249_104:                            ;   in Loop: Header=BB249_9 Depth=1
	s_or_b64 exec, exec, s[38:39]
.LBB249_105:                            ;   in Loop: Header=BB249_9 Depth=1
	s_or_b64 exec, exec, s[36:37]
	global_load_ushort v36, v[8:9], off offset:1024
	s_waitcnt vmcnt(0)
	v_and_b32_e32 v2, 0xffff, v36
	v_cmp_ne_u16_sdwa s[8:9], v36, v3 src0_sel:BYTE_0 src1_sel:DWORD
	s_and_saveexec_b64 s[36:37], s[8:9]
	s_cbranch_execz .LBB249_111
; %bb.106:                              ;   in Loop: Header=BB249_9 Depth=1
	v_cmp_ne_u16_sdwa s[8:9], v2, s44 src0_sel:BYTE_0 src1_sel:DWORD
	v_mov_b32_e32 v35, 0x8000
	s_and_saveexec_b64 s[38:39], s[8:9]
	s_cbranch_execz .LBB249_110
; %bb.107:                              ;   in Loop: Header=BB249_9 Depth=1
	v_and_b32_e32 v36, 0x7f, v2
	v_cmp_ne_u32_e64 s[8:9], s45, v36
	v_mov_b32_e32 v35, 0x7c01
	s_and_saveexec_b64 s[40:41], s[8:9]
	s_cbranch_execz .LBB249_109
; %bb.108:                              ;   in Loop: Header=BB249_9 Depth=1
	v_and_b32_e32 v35, 7, v2
	v_ffbh_u32_e32 v38, v35
	v_min_u32_e32 v40, 32, v38
	v_subrev_u32_e32 v38, 28, v40
	v_lshlrev_b64 v[38:39], v38, v[2:3]
	v_lshrrev_b32_e32 v37, 3, v36
	v_sub_u32_e32 v39, 29, v40
	v_cmp_gt_u32_e64 s[8:9], 8, v36
	v_and_b32_e32 v38, 7, v38
	s_nop 0
	v_cndmask_b32_e64 v36, v37, v39, s[8:9]
	v_lshl_add_u32 v36, v36, 10, v15
	v_lshlrev_b32_e32 v37, 8, v2
	v_and_b32_e32 v36, 0xfc00, v36
	v_cndmask_b32_e64 v35, v35, v38, s[8:9]
	v_and_or_b32 v36, v37, s46, v36
	v_lshl_or_b32 v35, v35, 7, v36
.LBB249_109:                            ;   in Loop: Header=BB249_9 Depth=1
	s_or_b64 exec, exec, s[40:41]
.LBB249_110:                            ;   in Loop: Header=BB249_9 Depth=1
	s_or_b64 exec, exec, s[38:39]
.LBB249_111:                            ;   in Loop: Header=BB249_9 Depth=1
	s_or_b64 exec, exec, s[36:37]
	v_lshrrev_b16_e32 v2, 8, v2
	v_cmp_ne_u16_e64 s[8:9], 0, v2
	v_mov_b32_e32 v37, 0
	v_mov_b32_e32 v36, 0
	s_and_saveexec_b64 s[36:37], s[8:9]
	s_cbranch_execz .LBB249_117
; %bb.112:                              ;   in Loop: Header=BB249_9 Depth=1
	v_cmp_ne_u16_e64 s[8:9], s44, v2
	v_bfrev_b32_e32 v36, 1
	s_and_saveexec_b64 s[38:39], s[8:9]
	s_cbranch_execz .LBB249_116
; %bb.113:                              ;   in Loop: Header=BB249_9 Depth=1
	v_and_b32_e32 v38, 0x7f, v2
	v_cmp_ne_u32_e64 s[8:9], s45, v38
	v_mov_b32_e32 v36, 0x7c010000
	s_and_saveexec_b64 s[40:41], s[8:9]
	s_cbranch_execz .LBB249_115
; %bb.114:                              ;   in Loop: Header=BB249_9 Depth=1
	v_and_b32_e32 v36, 7, v2
	v_ffbh_u32_e32 v40, v36
	v_min_u32_e32 v42, 32, v40
	v_subrev_u32_e32 v40, 28, v42
	v_lshlrev_b64 v[40:41], v40, v[2:3]
	v_lshrrev_b32_e32 v39, 3, v38
	v_sub_u32_e32 v41, 29, v42
	v_cmp_gt_u32_e64 s[8:9], 8, v38
	v_lshlrev_b32_e32 v2, 8, v2
	s_nop 0
	v_cndmask_b32_e64 v38, v39, v41, s[8:9]
	v_lshl_add_u32 v38, v38, 10, v15
	v_and_b32_e32 v39, 7, v40
	v_and_or_b32 v2, v2, s46, v38
	v_cndmask_b32_e64 v36, v36, v39, s[8:9]
	v_lshlrev_b32_e32 v2, 16, v2
	v_lshl_or_b32 v36, v36, 23, v2
.LBB249_115:                            ;   in Loop: Header=BB249_9 Depth=1
	s_or_b64 exec, exec, s[40:41]
.LBB249_116:                            ;   in Loop: Header=BB249_9 Depth=1
	s_or_b64 exec, exec, s[38:39]
.LBB249_117:                            ;   in Loop: Header=BB249_9 Depth=1
	s_or_b64 exec, exec, s[36:37]
	global_load_ushort v38, v[8:9], off offset:1032
	s_waitcnt vmcnt(0)
	v_and_b32_e32 v2, 0xffff, v38
	v_cmp_ne_u16_sdwa s[8:9], v38, v3 src0_sel:BYTE_0 src1_sel:DWORD
	s_and_saveexec_b64 s[36:37], s[8:9]
	s_cbranch_execz .LBB249_123
; %bb.118:                              ;   in Loop: Header=BB249_9 Depth=1
	v_cmp_ne_u16_sdwa s[8:9], v2, s44 src0_sel:BYTE_0 src1_sel:DWORD
	v_mov_b32_e32 v37, 0x8000
	s_and_saveexec_b64 s[38:39], s[8:9]
	s_cbranch_execz .LBB249_122
; %bb.119:                              ;   in Loop: Header=BB249_9 Depth=1
	v_and_b32_e32 v38, 0x7f, v2
	v_cmp_ne_u32_e64 s[8:9], s45, v38
	v_mov_b32_e32 v37, 0x7c01
	s_and_saveexec_b64 s[40:41], s[8:9]
	s_cbranch_execz .LBB249_121
; %bb.120:                              ;   in Loop: Header=BB249_9 Depth=1
	v_and_b32_e32 v37, 7, v2
	v_ffbh_u32_e32 v40, v37
	v_min_u32_e32 v42, 32, v40
	v_subrev_u32_e32 v40, 28, v42
	v_lshlrev_b64 v[40:41], v40, v[2:3]
	v_lshrrev_b32_e32 v39, 3, v38
	v_sub_u32_e32 v41, 29, v42
	v_cmp_gt_u32_e64 s[8:9], 8, v38
	v_and_b32_e32 v40, 7, v40
	s_nop 0
	v_cndmask_b32_e64 v38, v39, v41, s[8:9]
	v_lshl_add_u32 v38, v38, 10, v15
	v_lshlrev_b32_e32 v39, 8, v2
	v_and_b32_e32 v38, 0xfc00, v38
	v_cndmask_b32_e64 v37, v37, v40, s[8:9]
	v_and_or_b32 v38, v39, s46, v38
	v_lshl_or_b32 v37, v37, 7, v38
.LBB249_121:                            ;   in Loop: Header=BB249_9 Depth=1
	s_or_b64 exec, exec, s[40:41]
.LBB249_122:                            ;   in Loop: Header=BB249_9 Depth=1
	s_or_b64 exec, exec, s[38:39]
.LBB249_123:                            ;   in Loop: Header=BB249_9 Depth=1
	s_or_b64 exec, exec, s[36:37]
	v_lshrrev_b16_e32 v2, 8, v2
	v_cmp_ne_u16_e64 s[8:9], 0, v2
	v_mov_b32_e32 v39, 0
	v_mov_b32_e32 v38, 0
	s_and_saveexec_b64 s[36:37], s[8:9]
	s_cbranch_execz .LBB249_129
; %bb.124:                              ;   in Loop: Header=BB249_9 Depth=1
	v_cmp_ne_u16_e64 s[8:9], s44, v2
	v_bfrev_b32_e32 v38, 1
	s_and_saveexec_b64 s[38:39], s[8:9]
	s_cbranch_execz .LBB249_128
; %bb.125:                              ;   in Loop: Header=BB249_9 Depth=1
	v_and_b32_e32 v40, 0x7f, v2
	v_cmp_ne_u32_e64 s[8:9], s45, v40
	v_mov_b32_e32 v38, 0x7c010000
	s_and_saveexec_b64 s[40:41], s[8:9]
	s_cbranch_execz .LBB249_127
; %bb.126:                              ;   in Loop: Header=BB249_9 Depth=1
	v_and_b32_e32 v38, 7, v2
	v_ffbh_u32_e32 v42, v38
	v_min_u32_e32 v44, 32, v42
	v_subrev_u32_e32 v42, 28, v44
	v_lshlrev_b64 v[42:43], v42, v[2:3]
	v_lshrrev_b32_e32 v41, 3, v40
	v_sub_u32_e32 v43, 29, v44
	v_cmp_gt_u32_e64 s[8:9], 8, v40
	v_lshlrev_b32_e32 v2, 8, v2
	s_nop 0
	v_cndmask_b32_e64 v40, v41, v43, s[8:9]
	v_lshl_add_u32 v40, v40, 10, v15
	v_and_b32_e32 v41, 7, v42
	v_and_or_b32 v2, v2, s46, v40
	v_cndmask_b32_e64 v38, v38, v41, s[8:9]
	v_lshlrev_b32_e32 v2, 16, v2
	v_lshl_or_b32 v38, v38, 23, v2
.LBB249_127:                            ;   in Loop: Header=BB249_9 Depth=1
	s_or_b64 exec, exec, s[40:41]
.LBB249_128:                            ;   in Loop: Header=BB249_9 Depth=1
	s_or_b64 exec, exec, s[38:39]
.LBB249_129:                            ;   in Loop: Header=BB249_9 Depth=1
	s_or_b64 exec, exec, s[36:37]
	global_load_ushort v40, v[8:9], off offset:1280
	s_waitcnt vmcnt(0)
	v_and_b32_e32 v2, 0xffff, v40
	v_cmp_ne_u16_sdwa s[8:9], v40, v3 src0_sel:BYTE_0 src1_sel:DWORD
	s_and_saveexec_b64 s[36:37], s[8:9]
	s_cbranch_execz .LBB249_135
; %bb.130:                              ;   in Loop: Header=BB249_9 Depth=1
	v_cmp_ne_u16_sdwa s[8:9], v2, s44 src0_sel:BYTE_0 src1_sel:DWORD
	v_mov_b32_e32 v39, 0x8000
	s_and_saveexec_b64 s[38:39], s[8:9]
	s_cbranch_execz .LBB249_134
; %bb.131:                              ;   in Loop: Header=BB249_9 Depth=1
	v_and_b32_e32 v40, 0x7f, v2
	v_cmp_ne_u32_e64 s[8:9], s45, v40
	v_mov_b32_e32 v39, 0x7c01
	s_and_saveexec_b64 s[40:41], s[8:9]
	s_cbranch_execz .LBB249_133
; %bb.132:                              ;   in Loop: Header=BB249_9 Depth=1
	v_and_b32_e32 v39, 7, v2
	v_ffbh_u32_e32 v42, v39
	v_min_u32_e32 v44, 32, v42
	v_subrev_u32_e32 v42, 28, v44
	v_lshlrev_b64 v[42:43], v42, v[2:3]
	v_lshrrev_b32_e32 v41, 3, v40
	v_sub_u32_e32 v43, 29, v44
	v_cmp_gt_u32_e64 s[8:9], 8, v40
	v_and_b32_e32 v42, 7, v42
	s_nop 0
	v_cndmask_b32_e64 v40, v41, v43, s[8:9]
	v_lshl_add_u32 v40, v40, 10, v15
	v_lshlrev_b32_e32 v41, 8, v2
	v_and_b32_e32 v40, 0xfc00, v40
	v_cndmask_b32_e64 v39, v39, v42, s[8:9]
	v_and_or_b32 v40, v41, s46, v40
	v_lshl_or_b32 v39, v39, 7, v40
.LBB249_133:                            ;   in Loop: Header=BB249_9 Depth=1
	s_or_b64 exec, exec, s[40:41]
.LBB249_134:                            ;   in Loop: Header=BB249_9 Depth=1
	s_or_b64 exec, exec, s[38:39]
.LBB249_135:                            ;   in Loop: Header=BB249_9 Depth=1
	s_or_b64 exec, exec, s[36:37]
	v_lshrrev_b16_e32 v2, 8, v2
	v_cmp_ne_u16_e64 s[8:9], 0, v2
	v_mov_b32_e32 v41, 0
	v_mov_b32_e32 v40, 0
	s_and_saveexec_b64 s[36:37], s[8:9]
	s_cbranch_execz .LBB249_141
; %bb.136:                              ;   in Loop: Header=BB249_9 Depth=1
	v_cmp_ne_u16_e64 s[8:9], s44, v2
	v_bfrev_b32_e32 v40, 1
	s_and_saveexec_b64 s[38:39], s[8:9]
	s_cbranch_execz .LBB249_140
; %bb.137:                              ;   in Loop: Header=BB249_9 Depth=1
	v_and_b32_e32 v42, 0x7f, v2
	v_cmp_ne_u32_e64 s[8:9], s45, v42
	v_mov_b32_e32 v40, 0x7c010000
	s_and_saveexec_b64 s[40:41], s[8:9]
	s_cbranch_execz .LBB249_139
; %bb.138:                              ;   in Loop: Header=BB249_9 Depth=1
	v_and_b32_e32 v40, 7, v2
	v_ffbh_u32_e32 v44, v40
	v_min_u32_e32 v46, 32, v44
	v_subrev_u32_e32 v44, 28, v46
	v_lshlrev_b64 v[44:45], v44, v[2:3]
	v_lshrrev_b32_e32 v43, 3, v42
	v_sub_u32_e32 v45, 29, v46
	v_cmp_gt_u32_e64 s[8:9], 8, v42
	v_lshlrev_b32_e32 v2, 8, v2
	s_nop 0
	v_cndmask_b32_e64 v42, v43, v45, s[8:9]
	v_lshl_add_u32 v42, v42, 10, v15
	v_and_b32_e32 v43, 7, v44
	v_and_or_b32 v2, v2, s46, v42
	v_cndmask_b32_e64 v40, v40, v43, s[8:9]
	v_lshlrev_b32_e32 v2, 16, v2
	v_lshl_or_b32 v40, v40, 23, v2
.LBB249_139:                            ;   in Loop: Header=BB249_9 Depth=1
	s_or_b64 exec, exec, s[40:41]
.LBB249_140:                            ;   in Loop: Header=BB249_9 Depth=1
	s_or_b64 exec, exec, s[38:39]
.LBB249_141:                            ;   in Loop: Header=BB249_9 Depth=1
	s_or_b64 exec, exec, s[36:37]
	global_load_ushort v42, v[8:9], off offset:1288
	s_waitcnt vmcnt(0)
	v_and_b32_e32 v2, 0xffff, v42
	v_cmp_ne_u16_sdwa s[8:9], v42, v3 src0_sel:BYTE_0 src1_sel:DWORD
	s_and_saveexec_b64 s[36:37], s[8:9]
	s_cbranch_execz .LBB249_147
; %bb.142:                              ;   in Loop: Header=BB249_9 Depth=1
	v_cmp_ne_u16_sdwa s[8:9], v2, s44 src0_sel:BYTE_0 src1_sel:DWORD
	v_mov_b32_e32 v41, 0x8000
	s_and_saveexec_b64 s[38:39], s[8:9]
	s_cbranch_execz .LBB249_146
; %bb.143:                              ;   in Loop: Header=BB249_9 Depth=1
	v_and_b32_e32 v42, 0x7f, v2
	v_cmp_ne_u32_e64 s[8:9], s45, v42
	v_mov_b32_e32 v41, 0x7c01
	s_and_saveexec_b64 s[40:41], s[8:9]
	s_cbranch_execz .LBB249_145
; %bb.144:                              ;   in Loop: Header=BB249_9 Depth=1
	v_and_b32_e32 v41, 7, v2
	v_ffbh_u32_e32 v44, v41
	v_min_u32_e32 v46, 32, v44
	v_subrev_u32_e32 v44, 28, v46
	v_lshlrev_b64 v[44:45], v44, v[2:3]
	v_lshrrev_b32_e32 v43, 3, v42
	v_sub_u32_e32 v45, 29, v46
	v_cmp_gt_u32_e64 s[8:9], 8, v42
	v_and_b32_e32 v44, 7, v44
	s_nop 0
	v_cndmask_b32_e64 v42, v43, v45, s[8:9]
	v_lshl_add_u32 v42, v42, 10, v15
	v_lshlrev_b32_e32 v43, 8, v2
	v_and_b32_e32 v42, 0xfc00, v42
	v_cndmask_b32_e64 v41, v41, v44, s[8:9]
	v_and_or_b32 v42, v43, s46, v42
	v_lshl_or_b32 v41, v41, 7, v42
.LBB249_145:                            ;   in Loop: Header=BB249_9 Depth=1
	s_or_b64 exec, exec, s[40:41]
.LBB249_146:                            ;   in Loop: Header=BB249_9 Depth=1
	s_or_b64 exec, exec, s[38:39]
.LBB249_147:                            ;   in Loop: Header=BB249_9 Depth=1
	s_or_b64 exec, exec, s[36:37]
	v_lshrrev_b16_e32 v2, 8, v2
	v_cmp_ne_u16_e64 s[8:9], 0, v2
	v_mov_b32_e32 v43, 0
	v_mov_b32_e32 v42, 0
	s_and_saveexec_b64 s[36:37], s[8:9]
	s_cbranch_execz .LBB249_153
; %bb.148:                              ;   in Loop: Header=BB249_9 Depth=1
	v_cmp_ne_u16_e64 s[8:9], s44, v2
	v_bfrev_b32_e32 v42, 1
	s_and_saveexec_b64 s[38:39], s[8:9]
	s_cbranch_execz .LBB249_152
; %bb.149:                              ;   in Loop: Header=BB249_9 Depth=1
	v_and_b32_e32 v44, 0x7f, v2
	v_cmp_ne_u32_e64 s[8:9], s45, v44
	v_mov_b32_e32 v42, 0x7c010000
	s_and_saveexec_b64 s[40:41], s[8:9]
	s_cbranch_execz .LBB249_151
; %bb.150:                              ;   in Loop: Header=BB249_9 Depth=1
	v_and_b32_e32 v42, 7, v2
	v_ffbh_u32_e32 v46, v42
	v_min_u32_e32 v48, 32, v46
	v_subrev_u32_e32 v46, 28, v48
	v_lshlrev_b64 v[46:47], v46, v[2:3]
	v_lshrrev_b32_e32 v45, 3, v44
	v_sub_u32_e32 v47, 29, v48
	v_cmp_gt_u32_e64 s[8:9], 8, v44
	v_lshlrev_b32_e32 v2, 8, v2
	s_nop 0
	v_cndmask_b32_e64 v44, v45, v47, s[8:9]
	v_lshl_add_u32 v44, v44, 10, v15
	v_and_b32_e32 v45, 7, v46
	v_and_or_b32 v2, v2, s46, v44
	v_cndmask_b32_e64 v42, v42, v45, s[8:9]
	v_lshlrev_b32_e32 v2, 16, v2
	v_lshl_or_b32 v42, v42, 23, v2
.LBB249_151:                            ;   in Loop: Header=BB249_9 Depth=1
	s_or_b64 exec, exec, s[40:41]
.LBB249_152:                            ;   in Loop: Header=BB249_9 Depth=1
	s_or_b64 exec, exec, s[38:39]
.LBB249_153:                            ;   in Loop: Header=BB249_9 Depth=1
	s_or_b64 exec, exec, s[36:37]
	global_load_ushort v44, v[8:9], off offset:1536
	s_waitcnt vmcnt(0)
	v_and_b32_e32 v2, 0xffff, v44
	v_cmp_ne_u16_sdwa s[8:9], v44, v3 src0_sel:BYTE_0 src1_sel:DWORD
	s_and_saveexec_b64 s[36:37], s[8:9]
	s_cbranch_execz .LBB249_159
; %bb.154:                              ;   in Loop: Header=BB249_9 Depth=1
	v_cmp_ne_u16_sdwa s[8:9], v2, s44 src0_sel:BYTE_0 src1_sel:DWORD
	v_mov_b32_e32 v43, 0x8000
	s_and_saveexec_b64 s[38:39], s[8:9]
	s_cbranch_execz .LBB249_158
; %bb.155:                              ;   in Loop: Header=BB249_9 Depth=1
	v_and_b32_e32 v44, 0x7f, v2
	v_cmp_ne_u32_e64 s[8:9], s45, v44
	v_mov_b32_e32 v43, 0x7c01
	s_and_saveexec_b64 s[40:41], s[8:9]
	s_cbranch_execz .LBB249_157
; %bb.156:                              ;   in Loop: Header=BB249_9 Depth=1
	v_and_b32_e32 v43, 7, v2
	v_ffbh_u32_e32 v46, v43
	v_min_u32_e32 v48, 32, v46
	v_subrev_u32_e32 v46, 28, v48
	v_lshlrev_b64 v[46:47], v46, v[2:3]
	v_lshrrev_b32_e32 v45, 3, v44
	v_sub_u32_e32 v47, 29, v48
	v_cmp_gt_u32_e64 s[8:9], 8, v44
	v_and_b32_e32 v46, 7, v46
	s_nop 0
	v_cndmask_b32_e64 v44, v45, v47, s[8:9]
	v_lshl_add_u32 v44, v44, 10, v15
	v_lshlrev_b32_e32 v45, 8, v2
	v_and_b32_e32 v44, 0xfc00, v44
	v_cndmask_b32_e64 v43, v43, v46, s[8:9]
	v_and_or_b32 v44, v45, s46, v44
	v_lshl_or_b32 v43, v43, 7, v44
.LBB249_157:                            ;   in Loop: Header=BB249_9 Depth=1
	s_or_b64 exec, exec, s[40:41]
.LBB249_158:                            ;   in Loop: Header=BB249_9 Depth=1
	s_or_b64 exec, exec, s[38:39]
.LBB249_159:                            ;   in Loop: Header=BB249_9 Depth=1
	s_or_b64 exec, exec, s[36:37]
	v_lshrrev_b16_e32 v2, 8, v2
	v_cmp_ne_u16_e64 s[8:9], 0, v2
	v_mov_b32_e32 v45, 0
	v_mov_b32_e32 v44, 0
	s_and_saveexec_b64 s[36:37], s[8:9]
	s_cbranch_execz .LBB249_165
; %bb.160:                              ;   in Loop: Header=BB249_9 Depth=1
	v_cmp_ne_u16_e64 s[8:9], s44, v2
	v_bfrev_b32_e32 v44, 1
	s_and_saveexec_b64 s[38:39], s[8:9]
	s_cbranch_execz .LBB249_164
; %bb.161:                              ;   in Loop: Header=BB249_9 Depth=1
	v_and_b32_e32 v46, 0x7f, v2
	v_cmp_ne_u32_e64 s[8:9], s45, v46
	v_mov_b32_e32 v44, 0x7c010000
	s_and_saveexec_b64 s[40:41], s[8:9]
	s_cbranch_execz .LBB249_163
; %bb.162:                              ;   in Loop: Header=BB249_9 Depth=1
	v_and_b32_e32 v44, 7, v2
	v_ffbh_u32_e32 v48, v44
	v_min_u32_e32 v50, 32, v48
	v_subrev_u32_e32 v48, 28, v50
	v_lshlrev_b64 v[48:49], v48, v[2:3]
	v_lshrrev_b32_e32 v47, 3, v46
	v_sub_u32_e32 v49, 29, v50
	v_cmp_gt_u32_e64 s[8:9], 8, v46
	v_lshlrev_b32_e32 v2, 8, v2
	s_nop 0
	v_cndmask_b32_e64 v46, v47, v49, s[8:9]
	v_lshl_add_u32 v46, v46, 10, v15
	v_and_b32_e32 v47, 7, v48
	v_and_or_b32 v2, v2, s46, v46
	v_cndmask_b32_e64 v44, v44, v47, s[8:9]
	v_lshlrev_b32_e32 v2, 16, v2
	v_lshl_or_b32 v44, v44, 23, v2
.LBB249_163:                            ;   in Loop: Header=BB249_9 Depth=1
	s_or_b64 exec, exec, s[40:41]
.LBB249_164:                            ;   in Loop: Header=BB249_9 Depth=1
	s_or_b64 exec, exec, s[38:39]
.LBB249_165:                            ;   in Loop: Header=BB249_9 Depth=1
	s_or_b64 exec, exec, s[36:37]
	global_load_ushort v46, v[8:9], off offset:1544
	s_waitcnt vmcnt(0)
	v_and_b32_e32 v2, 0xffff, v46
	v_cmp_ne_u16_sdwa s[8:9], v46, v3 src0_sel:BYTE_0 src1_sel:DWORD
	s_and_saveexec_b64 s[36:37], s[8:9]
	s_cbranch_execz .LBB249_171
; %bb.166:                              ;   in Loop: Header=BB249_9 Depth=1
	v_cmp_ne_u16_sdwa s[8:9], v2, s44 src0_sel:BYTE_0 src1_sel:DWORD
	v_mov_b32_e32 v45, 0x8000
	s_and_saveexec_b64 s[38:39], s[8:9]
	s_cbranch_execz .LBB249_170
; %bb.167:                              ;   in Loop: Header=BB249_9 Depth=1
	v_and_b32_e32 v46, 0x7f, v2
	v_cmp_ne_u32_e64 s[8:9], s45, v46
	v_mov_b32_e32 v45, 0x7c01
	s_and_saveexec_b64 s[40:41], s[8:9]
	s_cbranch_execz .LBB249_169
; %bb.168:                              ;   in Loop: Header=BB249_9 Depth=1
	v_and_b32_e32 v45, 7, v2
	v_ffbh_u32_e32 v48, v45
	v_min_u32_e32 v50, 32, v48
	v_subrev_u32_e32 v48, 28, v50
	v_lshlrev_b64 v[48:49], v48, v[2:3]
	v_lshrrev_b32_e32 v47, 3, v46
	v_sub_u32_e32 v49, 29, v50
	v_cmp_gt_u32_e64 s[8:9], 8, v46
	v_and_b32_e32 v48, 7, v48
	s_nop 0
	v_cndmask_b32_e64 v46, v47, v49, s[8:9]
	v_lshl_add_u32 v46, v46, 10, v15
	v_lshlrev_b32_e32 v47, 8, v2
	v_and_b32_e32 v46, 0xfc00, v46
	v_cndmask_b32_e64 v45, v45, v48, s[8:9]
	v_and_or_b32 v46, v47, s46, v46
	v_lshl_or_b32 v45, v45, 7, v46
.LBB249_169:                            ;   in Loop: Header=BB249_9 Depth=1
	s_or_b64 exec, exec, s[40:41]
.LBB249_170:                            ;   in Loop: Header=BB249_9 Depth=1
	s_or_b64 exec, exec, s[38:39]
.LBB249_171:                            ;   in Loop: Header=BB249_9 Depth=1
	s_or_b64 exec, exec, s[36:37]
	v_lshrrev_b16_e32 v2, 8, v2
	v_cmp_ne_u16_e64 s[8:9], 0, v2
	v_mov_b32_e32 v48, 0
	v_mov_b32_e32 v47, 0
	s_and_saveexec_b64 s[36:37], s[8:9]
	s_cbranch_execz .LBB249_177
; %bb.172:                              ;   in Loop: Header=BB249_9 Depth=1
	v_cmp_ne_u16_e64 s[8:9], s44, v2
	v_bfrev_b32_e32 v47, 1
	s_and_saveexec_b64 s[38:39], s[8:9]
	s_cbranch_execz .LBB249_176
; %bb.173:                              ;   in Loop: Header=BB249_9 Depth=1
	v_and_b32_e32 v46, 0x7f, v2
	v_cmp_ne_u32_e64 s[8:9], s45, v46
	v_mov_b32_e32 v47, 0x7c010000
	s_and_saveexec_b64 s[40:41], s[8:9]
	s_cbranch_execz .LBB249_175
; %bb.174:                              ;   in Loop: Header=BB249_9 Depth=1
	v_and_b32_e32 v47, 7, v2
	v_ffbh_u32_e32 v50, v47
	v_min_u32_e32 v52, 32, v50
	v_subrev_u32_e32 v50, 28, v52
	v_lshlrev_b64 v[50:51], v50, v[2:3]
	v_lshrrev_b32_e32 v49, 3, v46
	v_sub_u32_e32 v51, 29, v52
	v_cmp_gt_u32_e64 s[8:9], 8, v46
	v_lshlrev_b32_e32 v2, 8, v2
	s_nop 0
	v_cndmask_b32_e64 v46, v49, v51, s[8:9]
	v_lshl_add_u32 v46, v46, 10, v15
	v_and_b32_e32 v49, 7, v50
	v_and_or_b32 v2, v2, s46, v46
	v_cndmask_b32_e64 v47, v47, v49, s[8:9]
	v_lshlrev_b32_e32 v2, 16, v2
	v_lshl_or_b32 v47, v47, 23, v2
.LBB249_175:                            ;   in Loop: Header=BB249_9 Depth=1
	s_or_b64 exec, exec, s[40:41]
.LBB249_176:                            ;   in Loop: Header=BB249_9 Depth=1
	s_or_b64 exec, exec, s[38:39]
.LBB249_177:                            ;   in Loop: Header=BB249_9 Depth=1
	s_or_b64 exec, exec, s[36:37]
	global_load_ushort v46, v[8:9], off offset:1792
	s_waitcnt vmcnt(0)
	v_and_b32_e32 v2, 0xffff, v46
	v_cmp_ne_u16_sdwa s[8:9], v46, v3 src0_sel:BYTE_0 src1_sel:DWORD
	s_and_saveexec_b64 s[36:37], s[8:9]
	s_cbranch_execz .LBB249_183
; %bb.178:                              ;   in Loop: Header=BB249_9 Depth=1
	v_cmp_ne_u16_sdwa s[8:9], v2, s44 src0_sel:BYTE_0 src1_sel:DWORD
	v_mov_b32_e32 v48, 0x8000
	s_and_saveexec_b64 s[38:39], s[8:9]
	s_cbranch_execz .LBB249_182
; %bb.179:                              ;   in Loop: Header=BB249_9 Depth=1
	v_and_b32_e32 v46, 0x7f, v2
	v_cmp_ne_u32_e64 s[8:9], s45, v46
	v_mov_b32_e32 v48, 0x7c01
	s_and_saveexec_b64 s[40:41], s[8:9]
	s_cbranch_execz .LBB249_181
; %bb.180:                              ;   in Loop: Header=BB249_9 Depth=1
	v_and_b32_e32 v50, 7, v2
	v_ffbh_u32_e32 v48, v50
	v_min_u32_e32 v52, 32, v48
	v_subrev_u32_e32 v48, 28, v52
	v_lshlrev_b64 v[48:49], v48, v[2:3]
	v_lshrrev_b32_e32 v51, 3, v46
	v_sub_u32_e32 v49, 29, v52
	v_cmp_gt_u32_e64 s[8:9], 8, v46
	v_and_b32_e32 v48, 7, v48
	s_nop 0
	v_cndmask_b32_e64 v46, v51, v49, s[8:9]
	v_lshl_add_u32 v46, v46, 10, v15
	v_lshlrev_b32_e32 v49, 8, v2
	v_and_b32_e32 v46, 0xfc00, v46
	v_cndmask_b32_e64 v48, v50, v48, s[8:9]
	v_and_or_b32 v46, v49, s46, v46
	v_lshl_or_b32 v48, v48, 7, v46
.LBB249_181:                            ;   in Loop: Header=BB249_9 Depth=1
	s_or_b64 exec, exec, s[40:41]
.LBB249_182:                            ;   in Loop: Header=BB249_9 Depth=1
	s_or_b64 exec, exec, s[38:39]
.LBB249_183:                            ;   in Loop: Header=BB249_9 Depth=1
	s_or_b64 exec, exec, s[36:37]
	v_lshrrev_b16_e32 v2, 8, v2
	v_cmp_ne_u16_e64 s[8:9], 0, v2
	v_mov_b32_e32 v46, 0
	v_mov_b32_e32 v50, 0
	s_and_saveexec_b64 s[36:37], s[8:9]
	s_cbranch_execz .LBB249_189
; %bb.184:                              ;   in Loop: Header=BB249_9 Depth=1
	v_cmp_ne_u16_e64 s[8:9], s44, v2
	v_bfrev_b32_e32 v50, 1
	s_and_saveexec_b64 s[38:39], s[8:9]
	s_cbranch_execz .LBB249_188
; %bb.185:                              ;   in Loop: Header=BB249_9 Depth=1
	v_and_b32_e32 v49, 0x7f, v2
	v_cmp_ne_u32_e64 s[8:9], s45, v49
	v_mov_b32_e32 v50, 0x7c010000
	s_and_saveexec_b64 s[40:41], s[8:9]
	s_cbranch_execz .LBB249_187
; %bb.186:                              ;   in Loop: Header=BB249_9 Depth=1
	v_and_b32_e32 v52, 7, v2
	v_ffbh_u32_e32 v50, v52
	v_min_u32_e32 v54, 32, v50
	v_subrev_u32_e32 v50, 28, v54
	v_lshlrev_b64 v[50:51], v50, v[2:3]
	v_lshrrev_b32_e32 v53, 3, v49
	v_sub_u32_e32 v51, 29, v54
	v_cmp_gt_u32_e64 s[8:9], 8, v49
	v_lshlrev_b32_e32 v2, 8, v2
	v_and_b32_e32 v50, 7, v50
	v_cndmask_b32_e64 v49, v53, v51, s[8:9]
	v_lshl_add_u32 v49, v49, 10, v15
	v_and_or_b32 v2, v2, s46, v49
	v_cndmask_b32_e64 v50, v52, v50, s[8:9]
	v_lshlrev_b32_e32 v2, 16, v2
	v_lshl_or_b32 v50, v50, 23, v2
.LBB249_187:                            ;   in Loop: Header=BB249_9 Depth=1
	s_or_b64 exec, exec, s[40:41]
.LBB249_188:                            ;   in Loop: Header=BB249_9 Depth=1
	s_or_b64 exec, exec, s[38:39]
.LBB249_189:                            ;   in Loop: Header=BB249_9 Depth=1
	s_or_b64 exec, exec, s[36:37]
	global_load_ushort v8, v[8:9], off offset:1800
	s_waitcnt vmcnt(0)
	v_and_b32_e32 v2, 0xffff, v8
	v_cmp_ne_u16_sdwa s[8:9], v8, v3 src0_sel:BYTE_0 src1_sel:DWORD
	s_and_saveexec_b64 s[36:37], s[8:9]
	s_cbranch_execz .LBB249_195
; %bb.190:                              ;   in Loop: Header=BB249_9 Depth=1
	v_cmp_ne_u16_sdwa s[8:9], v2, s44 src0_sel:BYTE_0 src1_sel:DWORD
	v_mov_b32_e32 v46, 0x8000
	s_and_saveexec_b64 s[38:39], s[8:9]
	s_cbranch_execz .LBB249_194
; %bb.191:                              ;   in Loop: Header=BB249_9 Depth=1
	v_and_b32_e32 v8, 0x7f, v2
	v_cmp_ne_u32_e64 s[8:9], s45, v8
	v_mov_b32_e32 v46, 0x7c01
	s_and_saveexec_b64 s[40:41], s[8:9]
	s_cbranch_execz .LBB249_193
; %bb.192:                              ;   in Loop: Header=BB249_9 Depth=1
	v_and_b32_e32 v9, 7, v2
	v_ffbh_u32_e32 v49, v9
	v_min_u32_e32 v49, 32, v49
	v_lshrrev_b32_e32 v46, 3, v8
	v_subrev_u32_e32 v51, 28, v49
	v_sub_u32_e32 v49, 29, v49
	v_cmp_gt_u32_e64 s[8:9], 8, v8
	v_lshlrev_b64 v[52:53], v51, v[2:3]
	s_nop 0
	v_cndmask_b32_e64 v8, v46, v49, s[8:9]
	v_lshl_add_u32 v8, v8, 10, v15
	v_lshlrev_b32_e32 v46, 8, v2
	v_and_b32_e32 v49, 7, v52
	v_and_b32_e32 v8, 0xfc00, v8
	v_cndmask_b32_e64 v9, v9, v49, s[8:9]
	v_and_or_b32 v8, v46, s46, v8
	v_lshl_or_b32 v46, v9, 7, v8
.LBB249_193:                            ;   in Loop: Header=BB249_9 Depth=1
	s_or_b64 exec, exec, s[40:41]
.LBB249_194:                            ;   in Loop: Header=BB249_9 Depth=1
	s_or_b64 exec, exec, s[38:39]
.LBB249_195:                            ;   in Loop: Header=BB249_9 Depth=1
	s_or_b64 exec, exec, s[36:37]
	v_lshrrev_b16_e32 v2, 8, v2
	v_cmp_ne_u16_e64 s[8:9], 0, v2
	v_mov_b32_e32 v49, 0
	s_and_saveexec_b64 s[36:37], s[8:9]
	s_cbranch_execz .LBB249_201
; %bb.196:                              ;   in Loop: Header=BB249_9 Depth=1
	v_cmp_ne_u16_e64 s[8:9], s44, v2
	v_bfrev_b32_e32 v49, 1
	s_and_saveexec_b64 s[38:39], s[8:9]
	s_cbranch_execz .LBB249_200
; %bb.197:                              ;   in Loop: Header=BB249_9 Depth=1
	v_and_b32_e32 v8, 0x7f, v2
	v_cmp_ne_u32_e64 s[8:9], s45, v8
	v_mov_b32_e32 v49, 0x7c010000
	s_and_saveexec_b64 s[40:41], s[8:9]
	s_cbranch_execz .LBB249_199
; %bb.198:                              ;   in Loop: Header=BB249_9 Depth=1
	v_and_b32_e32 v9, 7, v2
	v_ffbh_u32_e32 v51, v9
	v_min_u32_e32 v51, 32, v51
	v_lshrrev_b32_e32 v49, 3, v8
	v_subrev_u32_e32 v52, 28, v51
	v_sub_u32_e32 v51, 29, v51
	v_cmp_gt_u32_e64 s[8:9], 8, v8
	v_lshlrev_b64 v[52:53], v52, v[2:3]
	v_lshlrev_b32_e32 v2, 8, v2
	v_cndmask_b32_e64 v8, v49, v51, s[8:9]
	v_lshl_add_u32 v8, v8, 10, v15
	v_and_b32_e32 v49, 7, v52
	v_and_or_b32 v2, v2, s46, v8
	v_cndmask_b32_e64 v9, v9, v49, s[8:9]
	v_lshlrev_b32_e32 v2, 16, v2
	v_lshl_or_b32 v49, v9, 23, v2
.LBB249_199:                            ;   in Loop: Header=BB249_9 Depth=1
	s_or_b64 exec, exec, s[40:41]
.LBB249_200:                            ;   in Loop: Header=BB249_9 Depth=1
	s_or_b64 exec, exec, s[38:39]
.LBB249_201:                            ;   in Loop: Header=BB249_9 Depth=1
	s_or_b64 exec, exec, s[36:37]
	v_or_b32_e32 v9, v47, v45
	v_or_b32_e32 v43, v44, v43
	;; [unrolled: 1-line block ×3, first 2 shown]
	v_fma_mixlo_f16 v45, v17, v9, 0 op_sel_hi:[0,1,0]
	v_fma_mixlo_f16 v9, v17, v47, 0 op_sel:[0,1,0] op_sel_hi:[0,1,0]
	v_fma_mixlo_f16 v47, v17, v43, 0 op_sel_hi:[0,1,0]
	v_fma_mixlo_f16 v43, v17, v44, 0 op_sel:[0,1,0] op_sel_hi:[0,1,0]
	v_fma_mixlo_f16 v44, v17, v41, 0 op_sel_hi:[0,1,0]
	v_fma_mixlo_f16 v41, v17, v42, 0 op_sel:[0,1,0] op_sel_hi:[0,1,0]
	ds_read_b32 v42, v12
	v_or_b32_e32 v18, v20, v18
	v_fma_mixlo_f16 v18, v17, v18, 0 op_sel_hi:[0,1,0]
	v_fma_mixlo_f16 v20, v17, v20, 0 op_sel:[0,1,0] op_sel_hi:[0,1,0]
	v_or_b32_e32 v2, v50, v48
	s_waitcnt lgkmcnt(0)
	v_lshrrev_b32_e32 v48, 16, v42
	v_and_b32_e32 v42, 0xffff, v42
	v_and_b32_e32 v18, 0xffff, v18
	v_and_b32_e32 v20, 0xffff, v20
	v_fma_mixlo_f16 v8, v17, v2, 0 op_sel_hi:[0,1,0]
	v_fma_mixlo_f16 v2, v17, v50, 0 op_sel:[0,1,0] op_sel_hi:[0,1,0]
	;;#ASMSTART
	v_cvt_f32_f16 v42, v42;
	;;#ASMEND
	;;#ASMSTART
	v_cvt_f32_f16 v48, v48;
	;;#ASMEND
	;;#ASMSTART
	v_cvt_f32_f16 v18, v18;
	;;#ASMEND
	;;#ASMSTART
	v_cvt_f32_f16 v20, v20;
	;;#ASMEND
	ds_read_b32 v50, v12 offset:4
	v_or_b32_e32 v19, v22, v19
	v_fma_mixlo_f16 v19, v17, v19, 0 op_sel_hi:[0,1,0]
	v_fma_mixlo_f16 v22, v17, v22, 0 op_sel:[0,1,0] op_sel_hi:[0,1,0]
	v_and_b32_e32 v19, 0xffff, v19
	s_waitcnt lgkmcnt(0)
	v_lshrrev_b32_e32 v51, 16, v50
	v_and_b32_e32 v50, 0xffff, v50
	v_and_b32_e32 v22, 0xffff, v22
	;;#ASMSTART
	v_cvt_f32_f16 v50, v50;
	;;#ASMEND
	;;#ASMSTART
	v_cvt_f32_f16 v51, v51;
	;;#ASMEND
	;;#ASMSTART
	v_cvt_f32_f16 v19, v19;
	;;#ASMEND
	;;#ASMSTART
	v_cvt_f32_f16 v22, v22;
	;;#ASMEND
	ds_read_b32 v52, v12 offset:8
	v_or_b32_e32 v21, v25, v21
	v_fma_mixlo_f16 v21, v17, v21, 0 op_sel_hi:[0,1,0]
	v_fma_mixlo_f16 v25, v17, v25, 0 op_sel:[0,1,0] op_sel_hi:[0,1,0]
	v_and_b32_e32 v21, 0xffff, v21
	s_waitcnt lgkmcnt(0)
	v_lshrrev_b32_e32 v53, 16, v52
	v_and_b32_e32 v52, 0xffff, v52
	v_and_b32_e32 v25, 0xffff, v25
	;; [unrolled: 21-line block ×7, first 2 shown]
	;;#ASMSTART
	v_cvt_f32_f16 v62, v62;
	;;#ASMEND
	;;#ASMSTART
	v_cvt_f32_f16 v63, v63;
	;;#ASMEND
	;;#ASMSTART
	v_cvt_f32_f16 v32, v32;
	;;#ASMEND
	;;#ASMSTART
	v_cvt_f32_f16 v34, v34;
	;;#ASMEND
	ds_read_b32 v64, v12 offset:32
	v_or_b32_e32 v35, v36, v35
	v_fma_mixlo_f16 v35, v17, v35, 0 op_sel_hi:[0,1,0]
	v_fma_mixlo_f16 v36, v17, v36, 0 op_sel:[0,1,0] op_sel_hi:[0,1,0]
	v_mul_f32_e32 v19, v50, v19
	v_or_b32_e32 v39, v40, v39
	v_or_b32_e32 v37, v38, v37
	;; [unrolled: 1-line block ×3, first 2 shown]
	v_fmac_f32_e32 v19, v42, v18
	s_waitcnt lgkmcnt(0)
	v_lshrrev_b32_e32 v42, 16, v64
	v_and_b32_e32 v18, 0xffff, v64
	v_and_b32_e32 v35, 0xffff, v35
	v_and_b32_e32 v36, 0xffff, v36
	v_fma_mixlo_f16 v39, v17, v39, 0 op_sel_hi:[0,1,0]
	v_fma_mixlo_f16 v40, v17, v40, 0 op_sel:[0,1,0] op_sel_hi:[0,1,0]
	v_fma_mixlo_f16 v37, v17, v37, 0 op_sel_hi:[0,1,0]
	v_fma_mixlo_f16 v38, v17, v38, 0 op_sel:[0,1,0] op_sel_hi:[0,1,0]
	;; [unrolled: 2-line block ×3, first 2 shown]
	;;#ASMSTART
	v_cvt_f32_f16 v18, v18;
	;;#ASMEND
	;;#ASMSTART
	v_cvt_f32_f16 v42, v42;
	;;#ASMEND
	;; [unrolled: 3-line block ×4, first 2 shown]
	ds_read_b32 v49, v12 offset:36
	v_mul_f32_e32 v22, v51, v22
	v_fmac_f32_e32 v22, v48, v20
	v_fmac_f32_e32 v19, v52, v21
	v_fmac_f32_e32 v22, v53, v25
	s_waitcnt lgkmcnt(0)
	v_lshrrev_b32_e32 v21, 16, v49
	v_and_b32_e32 v20, 0xffff, v49
	v_and_b32_e32 v25, 0xffff, v37
	v_and_b32_e32 v37, 0xffff, v38
	;;#ASMSTART
	v_cvt_f32_f16 v20, v20;
	;;#ASMEND
	;;#ASMSTART
	v_cvt_f32_f16 v21, v21;
	;;#ASMEND
	;;#ASMSTART
	v_cvt_f32_f16 v25, v25;
	;;#ASMEND
	;;#ASMSTART
	v_cvt_f32_f16 v37, v37;
	;;#ASMEND
	ds_read_b32 v38, v12 offset:40
	v_fmac_f32_e32 v19, v54, v23
	v_fmac_f32_e32 v22, v55, v27
	v_fmac_f32_e32 v19, v56, v26
	v_fmac_f32_e32 v22, v57, v29
	s_waitcnt lgkmcnt(0)
	v_lshrrev_b32_e32 v26, 16, v38
	v_and_b32_e32 v23, 0xffff, v38
	v_and_b32_e32 v27, 0xffff, v39
	v_and_b32_e32 v29, 0xffff, v40
	;;#ASMSTART
	v_cvt_f32_f16 v23, v23;
	;;#ASMEND
	;;#ASMSTART
	v_cvt_f32_f16 v26, v26;
	;;#ASMEND
	;;#ASMSTART
	v_cvt_f32_f16 v27, v27;
	;;#ASMEND
	;;#ASMSTART
	v_cvt_f32_f16 v29, v29;
	;;#ASMEND
	ds_read_b32 v38, v12 offset:44
	v_fmac_f32_e32 v19, v58, v28
	;; [unrolled: 22-line block ×3, first 2 shown]
	v_fmac_f32_e32 v22, v63, v34
	v_fmac_f32_e32 v19, v18, v35
	v_and_b32_e32 v34, 0xffff, v47
	s_waitcnt lgkmcnt(0)
	v_lshrrev_b32_e32 v32, 16, v38
	v_and_b32_e32 v18, 0xffff, v38
	v_and_b32_e32 v35, 0xffff, v43
	v_fmac_f32_e32 v22, v42, v36
	;;#ASMSTART
	v_cvt_f32_f16 v18, v18;
	;;#ASMEND
	;;#ASMSTART
	v_cvt_f32_f16 v32, v32;
	;;#ASMEND
	;; [unrolled: 3-line block ×4, first 2 shown]
	ds_read_b32 v36, v12 offset:52
	v_fmac_f32_e32 v19, v20, v25
	v_fmac_f32_e32 v22, v21, v37
	;; [unrolled: 1-line block ×3, first 2 shown]
	v_and_b32_e32 v23, 0xffff, v45
	s_waitcnt lgkmcnt(0)
	v_lshrrev_b32_e32 v21, 16, v36
	v_and_b32_e32 v20, 0xffff, v36
	v_and_b32_e32 v9, 0xffff, v9
	;;#ASMSTART
	v_cvt_f32_f16 v20, v20;
	;;#ASMEND
	;;#ASMSTART
	v_cvt_f32_f16 v21, v21;
	;;#ASMEND
	;; [unrolled: 3-line block ×4, first 2 shown]
	ds_read_b32 v25, v12 offset:56
	v_fmac_f32_e32 v19, v28, v31
	v_fmac_f32_e32 v22, v26, v29
	;; [unrolled: 1-line block ×3, first 2 shown]
	v_and_b32_e32 v8, 0xffff, v8
	s_waitcnt lgkmcnt(0)
	v_lshrrev_b32_e32 v26, 16, v25
	v_and_b32_e32 v18, 0xffff, v25
	v_and_b32_e32 v2, 0xffff, v2
	;;#ASMSTART
	v_cvt_f32_f16 v18, v18;
	;;#ASMEND
	;;#ASMSTART
	v_cvt_f32_f16 v25, v26;
	;;#ASMEND
	;; [unrolled: 3-line block ×4, first 2 shown]
	ds_read_b32 v26, v12 offset:60
	v_fmac_f32_e32 v22, v30, v33
	v_fmac_f32_e32 v22, v32, v35
	;; [unrolled: 1-line block ×6, first 2 shown]
	s_waitcnt lgkmcnt(0)
	v_lshrrev_b32_e32 v8, 16, v26
	v_and_b32_e32 v2, 0xffff, v26
	;;#ASMSTART
	v_cvt_f32_f16 v2, v2;
	;;#ASMEND
	;;#ASMSTART
	v_cvt_f32_f16 v8, v8;
	;;#ASMEND
	v_and_b32_e32 v9, 0xffff, v46
	v_and_b32_e32 v17, 0xffff, v17
	;;#ASMSTART
	v_cvt_f32_f16 v9, v9;
	;;#ASMEND
	;;#ASMSTART
	v_cvt_f32_f16 v17, v17;
	;;#ASMEND
	s_nop 0
	v_fmac_f32_e32 v22, v8, v17
	v_and_b32_e32 v8, 64, v10
	v_fmac_f32_e32 v19, v2, v9
	v_add_u32_e32 v2, 64, v8
	v_xor_b32_e32 v17, 2, v10
	v_cmp_lt_i32_e64 s[8:9], v17, v2
	v_add_f32_e32 v9, v19, v22
	s_nop 0
	v_cndmask_b32_e64 v17, v10, v17, s[8:9]
	v_lshlrev_b32_e32 v17, 2, v17
	ds_bpermute_b32 v17, v17, v9
	s_waitcnt lgkmcnt(0)
	v_add_f32_e32 v9, v9, v17
	v_xor_b32_e32 v17, 1, v10
	v_cmp_lt_i32_e64 s[8:9], v17, v2
	s_nop 1
	v_cndmask_b32_e64 v17, v10, v17, s[8:9]
	v_lshlrev_b32_e32 v17, 2, v17
	ds_bpermute_b32 v17, v17, v9
	s_and_saveexec_b64 s[36:37], vcc
	s_cbranch_execz .LBB249_8
; %bb.202:                              ;   in Loop: Header=BB249_9 Depth=1
	v_add_u32_e32 v18, s43, v13
	v_cvt_f32_i32_e32 v18, v18
	s_waitcnt lgkmcnt(0)
	v_add_f32_e32 v9, v9, v17
	v_cmp_gt_i32_e64 s[8:9], s33, v13
	v_max_f32_e32 v17, v11, v11
	v_mul_f32_e32 v18, s10, v18
	v_cndmask_b32_e64 v18, 0, v18, s[0:1]
	v_fmac_f32_e32 v18, s11, v9
	v_cndmask_b32_e64 v9, 0, v18, s[8:9]
	ds_write_b32 v14, v9
	v_max_f32_e32 v9, v17, v18
	v_cndmask_b32_e64 v11, v11, v9, s[8:9]
	s_branch .LBB249_8
.LBB249_203:
	s_or_b64 exec, exec, s[18:19]
.LBB249_204:
	s_or_b64 exec, exec, s[34:35]
	v_xor_b32_e32 v3, 32, v10
	v_cmp_lt_i32_e32 vcc, v3, v2
	v_xor_b32_e32 v6, 16, v10
	v_max_f32_e32 v5, v11, v11
	v_cndmask_b32_e32 v3, v10, v3, vcc
	v_lshlrev_b32_e32 v3, 2, v3
	ds_bpermute_b32 v4, v3, v11
	v_cmp_lt_i32_e32 vcc, v6, v2
	v_xor_b32_e32 v7, 8, v10
	v_xor_b32_e32 v9, 4, v10
	v_and_b32_e32 v25, 63, v0
	s_waitcnt lgkmcnt(0)
	v_max_f32_e32 v4, v4, v4
	v_max_f32_e32 v5, v5, v4
	v_cndmask_b32_e32 v4, v10, v6, vcc
	v_lshlrev_b32_e32 v4, 2, v4
	ds_bpermute_b32 v6, v4, v5
	v_cmp_lt_i32_e32 vcc, v7, v2
	s_waitcnt lgkmcnt(0)
	v_max_f32_e32 v6, v6, v6
	v_max_f32_e32 v5, v5, v6
	v_cndmask_b32_e32 v6, v10, v7, vcc
	v_lshlrev_b32_e32 v7, 2, v6
	ds_bpermute_b32 v6, v7, v5
	v_cmp_lt_i32_e32 vcc, v9, v2
	s_waitcnt lgkmcnt(0)
	v_max_f32_e32 v6, v6, v6
	v_max_f32_e32 v6, v5, v6
	v_cndmask_b32_e32 v5, v10, v9, vcc
	v_lshlrev_b32_e32 v9, 2, v5
	ds_bpermute_b32 v11, v9, v6
	v_cmp_eq_u32_e32 vcc, 0, v25
	v_lshlrev_b32_e32 v5, 2, v24
	s_and_saveexec_b64 s[0:1], vcc
	s_cbranch_execz .LBB249_206
; %bb.205:
	s_waitcnt lgkmcnt(0)
	v_max_f32_e32 v11, v11, v11
	v_max_f32_e32 v6, v6, v6
	;; [unrolled: 1-line block ×3, first 2 shown]
	ds_write_b32 v5, v6 offset:256
.LBB249_206:
	s_or_b64 exec, exec, s[0:1]
	v_cmp_gt_u32_e64 s[0:1], 2, v25
	s_waitcnt lgkmcnt(0)
	v_mov_b32_e32 v11, 0xff7fffff
	v_lshlrev_b32_e32 v6, 2, v25
	s_barrier
	s_and_saveexec_b64 s[8:9], s[0:1]
; %bb.207:
	ds_read_b32 v11, v6 offset:256
; %bb.208:
	s_or_b64 exec, exec, s[8:9]
	v_xor_b32_e32 v12, 1, v10
	v_cmp_lt_i32_e64 s[8:9], v12, v2
	v_lshlrev_b32_e32 v8, 2, v8
	s_nop 0
	v_cndmask_b32_e64 v12, v10, v12, s[8:9]
	v_lshlrev_b32_e32 v26, 2, v12
	s_waitcnt lgkmcnt(0)
	ds_bpermute_b32 v12, v26, v11
	v_max_f32_e32 v11, v11, v11
	s_lshl_b32 s8, s23, 4
	s_min_i32 s34, s8, s33
	v_cmp_gt_i32_e64 s[8:9], s34, v0
	s_waitcnt lgkmcnt(0)
	v_max_f32_e32 v12, v12, v12
	v_max_f32_e32 v11, v11, v12
	ds_bpermute_b32 v11, v8, v11
	v_mov_b32_e32 v8, 0
	s_and_saveexec_b64 s[12:13], s[8:9]
	s_cbranch_execz .LBB249_212
; %bb.209:
	v_mov_b32_e32 v8, 0x110
	v_lshl_add_u32 v12, v0, 2, v8
	v_mov_b32_e32 v8, 0
	s_mov_b64 s[18:19], 0
	v_mov_b32_e32 v13, v0
.LBB249_210:                            ; =>This Inner Loop Header: Depth=1
	ds_read_b32 v14, v12
	v_add_u32_e32 v13, 0x80, v13
	v_cmp_le_i32_e64 s[10:11], s34, v13
	s_or_b64 s[18:19], s[10:11], s[18:19]
	s_waitcnt lgkmcnt(0)
	v_sub_f32_e32 v14, v14, v11
	v_mul_f32_e32 v14, 0x3fb8aa3b, v14
	v_exp_f32_e32 v14, v14
	ds_write_b32 v12, v14
	v_add_f32_e32 v8, v8, v14
	v_add_u32_e32 v12, 0x200, v12
	s_andn2_b64 exec, exec, s[18:19]
	s_cbranch_execnz .LBB249_210
; %bb.211:
	s_or_b64 exec, exec, s[18:19]
.LBB249_212:
	s_or_b64 exec, exec, s[12:13]
	ds_bpermute_b32 v3, v3, v8
	s_waitcnt lgkmcnt(0)
	v_add_f32_e32 v3, v8, v3
	ds_bpermute_b32 v4, v4, v3
	s_waitcnt lgkmcnt(0)
	v_add_f32_e32 v3, v3, v4
	ds_bpermute_b32 v4, v7, v3
	v_xor_b32_e32 v7, 2, v10
	v_cmp_lt_i32_e64 s[10:11], v7, v2
	s_waitcnt lgkmcnt(0)
	v_add_f32_e32 v3, v3, v4
	ds_bpermute_b32 v4, v9, v3
	v_cndmask_b32_e64 v2, v10, v7, s[10:11]
	v_lshlrev_b32_e32 v2, 2, v2
	s_waitcnt lgkmcnt(0)
	v_add_f32_e32 v3, v3, v4
	ds_bpermute_b32 v2, v2, v3
	s_waitcnt lgkmcnt(0)
	v_add_f32_e32 v2, v3, v2
	ds_bpermute_b32 v3, v26, v2
	s_waitcnt lgkmcnt(0)
	v_add_f32_e32 v2, v2, v3
	s_and_saveexec_b64 s[10:11], vcc
; %bb.213:
	ds_write_b32 v5, v2 offset:264
; %bb.214:
	s_or_b64 exec, exec, s[10:11]
	s_waitcnt lgkmcnt(0)
	s_barrier
	s_and_saveexec_b64 s[10:11], s[0:1]
; %bb.215:
	ds_read_b32 v2, v6 offset:264
; %bb.216:
	s_or_b64 exec, exec, s[10:11]
	s_waitcnt lgkmcnt(0)
	ds_bpermute_b32 v3, v26, v2
	v_lshlrev_b32_e32 v4, 2, v10
	s_waitcnt lgkmcnt(0)
	v_add_f32_e32 v2, v2, v3
	v_and_b32_e32 v3, 0xffffff00, v4
	ds_bpermute_b32 v2, v3, v2
	s_and_saveexec_b64 s[0:1], s[8:9]
	s_cbranch_execz .LBB249_229
; %bb.217:
	s_waitcnt lgkmcnt(0)
	v_add_f32_e32 v2, 0x358637bd, v2
	v_div_scale_f32 v3, s[8:9], v2, v2, 1.0
	v_rcp_f32_e32 v4, v3
	v_div_scale_f32 v5, vcc, 1.0, v2, 1.0
	s_movk_i32 s8, 0x7f
	v_fma_f32 v6, -v3, v4, 1.0
	v_fmac_f32_e32 v4, v6, v4
	v_mul_f32_e32 v6, v5, v4
	v_fma_f32 v7, -v3, v6, v5
	v_fmac_f32_e32 v6, v7, v4
	v_fma_f32 v3, -v3, v6, v5
	v_div_fmas_f32 v3, v3, v4, v6
	v_xad_u32 v4, v0, -1, s34
	v_div_fixup_f32 v2, v3, v2, 1.0
	v_cmp_lt_u32_e32 vcc, s8, v4
	s_mov_b64 s[10:11], -1
	v_mov_b32_e32 v3, v0
	s_and_saveexec_b64 s[8:9], vcc
	s_cbranch_execz .LBB249_226
; %bb.218:
	v_lshrrev_b32_e32 v4, 7, v4
	v_add_u32_e32 v6, -1, v4
	v_lshrrev_b32_e32 v5, 1, v6
	v_mov_b32_e32 v3, v2
	v_add_u32_e32 v5, 1, v5
	v_cmp_lt_u32_e32 vcc, 13, v6
	v_mov_b32_e32 v8, 0
	s_and_saveexec_b64 s[10:11], vcc
	s_cbranch_execz .LBB249_222
; %bb.219:
	v_mov_b32_e32 v7, 0x110
	v_and_b32_e32 v6, -8, v5
	v_lshl_add_u32 v7, v0, 2, v7
	s_mov_b32 s18, 0
	s_mov_b64 s[12:13], 0
.LBB249_220:                            ; =>This Inner Loop Header: Depth=1
	ds_read2st64_b32 v[8:9], v7 offset1:2
	ds_read2st64_b32 v[10:11], v7 offset0:4 offset1:6
	ds_read2st64_b32 v[12:13], v7 offset0:8 offset1:10
	;; [unrolled: 1-line block ×3, first 2 shown]
	v_add_u32_e32 v6, -8, v6
	s_waitcnt lgkmcnt(3)
	v_pk_mul_f32 v[8:9], v[2:3], v[8:9]
	s_waitcnt lgkmcnt(2)
	v_pk_mul_f32 v[10:11], v[2:3], v[10:11]
	ds_write2st64_b32 v7, v8, v9 offset1:2
	ds_write2st64_b32 v7, v10, v11 offset0:4 offset1:6
	ds_read2st64_b32 v[10:11], v7 offset0:16 offset1:18
	s_waitcnt lgkmcnt(4)
	v_pk_mul_f32 v[8:9], v[2:3], v[12:13]
	ds_write2st64_b32 v7, v8, v9 offset0:8 offset1:10
	s_waitcnt lgkmcnt(4)
	v_pk_mul_f32 v[8:9], v[2:3], v[14:15]
	ds_write2st64_b32 v7, v8, v9 offset0:12 offset1:14
	ds_read2st64_b32 v[8:9], v7 offset0:20 offset1:22
	s_waitcnt lgkmcnt(3)
	v_pk_mul_f32 v[10:11], v[2:3], v[10:11]
	ds_read2st64_b32 v[12:13], v7 offset0:24 offset1:26
	ds_write2st64_b32 v7, v10, v11 offset0:16 offset1:18
	ds_read2st64_b32 v[10:11], v7 offset0:28 offset1:30
	s_waitcnt lgkmcnt(3)
	v_pk_mul_f32 v[8:9], v[2:3], v[8:9]
	ds_write2st64_b32 v7, v8, v9 offset0:20 offset1:22
	s_waitcnt lgkmcnt(3)
	v_pk_mul_f32 v[8:9], v[2:3], v[12:13]
	ds_write2st64_b32 v7, v8, v9 offset0:24 offset1:26
	s_waitcnt lgkmcnt(2)
	v_pk_mul_f32 v[8:9], v[2:3], v[10:11]
	s_add_i32 s18, s18, 16
	v_cmp_eq_u32_e32 vcc, 0, v6
	ds_write2st64_b32 v7, v8, v9 offset0:28 offset1:30
	v_add_u32_e32 v7, 0x2000, v7
	s_or_b64 s[12:13], vcc, s[12:13]
	v_mov_b32_e32 v8, s18
	s_andn2_b64 exec, exec, s[12:13]
	s_cbranch_execnz .LBB249_220
; %bb.221:
	s_or_b64 exec, exec, s[12:13]
.LBB249_222:
	s_or_b64 exec, exec, s[10:11]
	v_and_b32_e32 v5, 7, v5
	v_cmp_ne_u32_e32 vcc, 0, v5
	s_and_saveexec_b64 s[10:11], vcc
	s_cbranch_execz .LBB249_225
; %bb.223:
	v_lshlrev_b32_e32 v6, 9, v8
	v_lshlrev_b32_e32 v7, 2, v0
	s_movk_i32 s12, 0x110
	v_add3_u32 v6, v6, v7, s12
	s_mov_b64 s[12:13], 0
.LBB249_224:                            ; =>This Inner Loop Header: Depth=1
	ds_read2st64_b32 v[8:9], v6 offset1:2
	v_add_u32_e32 v5, -1, v5
	v_cmp_eq_u32_e32 vcc, 0, v5
	s_or_b64 s[12:13], vcc, s[12:13]
	s_waitcnt lgkmcnt(0)
	v_pk_mul_f32 v[8:9], v[2:3], v[8:9]
	ds_write2st64_b32 v6, v8, v9 offset1:2
	v_add_u32_e32 v6, 0x400, v6
	s_andn2_b64 exec, exec, s[12:13]
	s_cbranch_execnz .LBB249_224
.LBB249_225:
	s_or_b64 exec, exec, s[10:11]
	v_add_u32_e32 v4, 1, v4
	v_and_b32_e32 v5, 0x3fffffe, v4
	v_cmp_ne_u32_e32 vcc, v4, v5
	v_lshl_add_u32 v3, v5, 7, v0
	s_orn2_b64 s[10:11], vcc, exec
.LBB249_226:
	s_or_b64 exec, exec, s[8:9]
	s_and_b64 exec, exec, s[10:11]
	s_cbranch_execz .LBB249_229
; %bb.227:
	v_mov_b32_e32 v4, 0x110
	v_lshl_add_u32 v4, v3, 2, v4
	s_mov_b64 s[8:9], 0
.LBB249_228:                            ; =>This Inner Loop Header: Depth=1
	ds_read_b32 v5, v4
	v_add_u32_e32 v3, 0x80, v3
	v_cmp_le_i32_e32 vcc, s34, v3
	s_or_b64 s[8:9], vcc, s[8:9]
	s_waitcnt lgkmcnt(0)
	v_mul_f32_e32 v5, v2, v5
	ds_write_b32 v4, v5
	v_add_u32_e32 v4, 0x200, v4
	s_andn2_b64 exec, exec, s[8:9]
	s_cbranch_execnz .LBB249_228
.LBB249_229:
	s_or_b64 exec, exec, s[0:1]
	v_mov_b32_e32 v3, 0
	v_and_b32_e32 v27, 1, v0
	s_waitcnt lgkmcnt(0)
	v_mov_b32_e32 v2, v3
	v_mov_b32_e32 v7, v3
	;; [unrolled: 1-line block ×3, first 2 shown]
	s_barrier
	s_and_saveexec_b64 s[8:9], s[2:3]
	s_cbranch_execz .LBB249_433
; %bb.230:
	s_ashr_i32 s1, s16, 31
	v_lshlrev_b32_e32 v2, 3, v0
	s_add_u32 s0, s30, s16
	s_addc_u32 s1, s31, s1
	v_and_b32_e32 v4, 0x1f8, v2
	v_mov_b32_e32 v5, 0
	s_add_i32 s30, s23, -1
	v_lshl_add_u64 v[8:9], s[0:1], 0, v[4:5]
	s_lshl_b64 s[0:1], s[28:29], 2
	v_and_b32_e32 v3, 8, v2
	v_lshlrev_b32_e32 v2, 5, v27
	s_add_u32 s0, s26, s0
	s_mov_b32 s2, -1
	v_lshl_or_b32 v2, v24, 6, v2
	v_and_b32_e32 v4, 60, v1
	s_addc_u32 s1, s27, s1
	s_mov_b32 s34, s17
	s_mov_b32 s3, 0xffffff
	;; [unrolled: 1-line block ×3, first 2 shown]
	v_lshl_or_b32 v28, v24, 4, v3
	v_add_u32_e32 v29, 0x110, v2
	v_lshl_add_u64 v[10:11], s[0:1], 0, v[4:5]
	s_mov_b64 s[10:11], 0
	s_movk_i32 s26, 0x80
	s_movk_i32 s27, 0x7f
	s_mov_b32 s28, 0x8000
	v_mov_b32_e32 v30, 0x2000
	v_mov_b32_e32 v3, 0
	;; [unrolled: 1-line block ×5, first 2 shown]
	s_branch .LBB249_232
.LBB249_231:                            ;   in Loop: Header=BB249_232 Depth=1
	s_or_b64 exec, exec, s[0:1]
	v_add_f32_e32 v12, v22, v23
	v_add_f32_e32 v2, v2, v12
	;; [unrolled: 1-line block ×5, first 2 shown]
	;;#ASMSTART
	v_pk_mul_f16 v1, v41, v1;

	;;#ASMEND
	v_add_f32_e32 v6, v6, v12
	;;#ASMSTART
	v_pk_mul_f16 v4, v40, v4;

	;;#ASMEND
	;;#ASMSTART
	v_pk_mul_f16 v12, v39, v19;

	;;#ASMEND
	;; [unrolled: 4-line block ×3, first 2 shown]
	v_add_u32_e32 v24, 2, v24
	;;#ASMSTART
	v_pk_add_f16 v1, v1, v4;

	;;#ASMEND
	v_cmp_le_i32_e32 vcc, s23, v24
	;;#ASMSTART
	v_pk_add_f16 v1, v1, v12;

	;;#ASMEND
	v_add_u32_e32 v28, 32, v28
	;;#ASMSTART
	v_pk_add_f16 v1, v1, v13;

	;;#ASMEND
	v_add_u32_e32 v29, 0x80, v29
	v_lshrrev_b32_e32 v4, 16, v1
	v_and_b32_e32 v1, 0xffff, v1
	;;#ASMSTART
	v_cvt_f32_f16 v1, v1;
	;;#ASMEND
	;;#ASMSTART
	v_cvt_f32_f16 v4, v4;
	;;#ASMEND
	s_or_b64 s[10:11], vcc, s[10:11]
	v_add_f32_e32 v1, v1, v4
	v_add_f32_e32 v3, v3, v1
	v_lshl_add_u64 v[10:11], v[10:11], 0, 8
	s_andn2_b64 exec, exec, s[10:11]
	s_cbranch_execz .LBB249_432
.LBB249_232:                            ; =>This Inner Loop Header: Depth=1
	global_load_dword v1, v[10:11], off
	ds_read2_b64 v[12:15], v29 offset1:1
	ds_read2_b64 v[16:19], v29 offset0:2 offset1:3
	s_waitcnt lgkmcnt(1)
	;;#ASMSTART
	v_cvt_f16_f32 v38, v12;

	;;#ASMEND
	;;#ASMSTART
	v_cvt_f16_f32 v39, v13;

	;;#ASMEND
	;; [unrolled: 4-line block ×4, first 2 shown]
	s_waitcnt lgkmcnt(0)
	;;#ASMSTART
	v_cvt_f16_f32 v43, v16;

	;;#ASMEND
	;;#ASMSTART
	v_cvt_f16_f32 v44, v17;

	;;#ASMEND
	;; [unrolled: 4-line block ×4, first 2 shown]
	s_waitcnt vmcnt(0)
	v_mad_i64_i32 v[12:13], s[0:1], v1, s34, v[8:9]
	global_load_dwordx2 v[16:17], v[12:13], off
	global_load_dword v14, v5, s[14:15]
	v_mov_b32_e32 v1, 0
	s_waitcnt vmcnt(1)
	v_cmp_ne_u16_sdwa s[12:13], v16, v5 src0_sel:BYTE_0 src1_sel:DWORD
	s_and_saveexec_b64 s[0:1], s[12:13]
	s_cbranch_execz .LBB249_238
; %bb.233:                              ;   in Loop: Header=BB249_232 Depth=1
	v_cmp_ne_u16_sdwa s[16:17], v16, s26 src0_sel:BYTE_0 src1_sel:DWORD
	v_mov_b32_e32 v1, 0x8000
	s_and_saveexec_b64 s[12:13], s[16:17]
	s_cbranch_execz .LBB249_237
; %bb.234:                              ;   in Loop: Header=BB249_232 Depth=1
	v_and_b32_e32 v4, 0x7f, v16
	v_cmp_ne_u32_e32 vcc, s27, v4
	v_mov_b32_e32 v1, 0x7c01
	s_and_saveexec_b64 s[16:17], vcc
	s_cbranch_execz .LBB249_236
; %bb.235:                              ;   in Loop: Header=BB249_232 Depth=1
	v_and_b32_e32 v1, 7, v16
	v_ffbh_u32_e32 v18, v1
	v_min_u32_e32 v20, 32, v18
	v_subrev_u32_e32 v18, 28, v20
	v_lshlrev_b64 v[18:19], v18, v[16:17]
	v_lshrrev_b32_e32 v15, 3, v4
	v_sub_u32_e32 v19, 29, v20
	v_cmp_gt_u32_e32 vcc, 8, v4
	v_and_b32_e32 v18, 7, v18
	s_nop 0
	v_cndmask_b32_e32 v4, v15, v19, vcc
	v_lshl_add_u32 v4, v4, 10, v30
	v_lshlrev_b32_e32 v15, 8, v16
	v_and_b32_e32 v4, 0xfc00, v4
	v_cndmask_b32_e32 v1, v1, v18, vcc
	v_and_or_b32 v4, v15, s28, v4
	v_lshl_or_b32 v1, v1, 7, v4
.LBB249_236:                            ;   in Loop: Header=BB249_232 Depth=1
	s_or_b64 exec, exec, s[16:17]
.LBB249_237:                            ;   in Loop: Header=BB249_232 Depth=1
	s_or_b64 exec, exec, s[12:13]
.LBB249_238:                            ;   in Loop: Header=BB249_232 Depth=1
	s_or_b64 exec, exec, s[0:1]
	v_lshrrev_b16_e32 v4, 8, v16
	v_cmp_ne_u16_e32 vcc, 0, v4
	v_mov_b32_e32 v15, 0
	v_mov_b32_e32 v18, 0
	s_and_saveexec_b64 s[0:1], vcc
	s_cbranch_execz .LBB249_244
; %bb.239:                              ;   in Loop: Header=BB249_232 Depth=1
	v_cmp_ne_u16_e32 vcc, s26, v4
	v_bfrev_b32_e32 v18, 1
	s_and_saveexec_b64 s[12:13], vcc
	s_cbranch_execz .LBB249_243
; %bb.240:                              ;   in Loop: Header=BB249_232 Depth=1
	v_and_b32_e32 v19, 0x7f, v4
	v_cmp_ne_u32_e32 vcc, s27, v19
	v_mov_b32_e32 v18, 0x7c010000
	s_and_saveexec_b64 s[16:17], vcc
	s_cbranch_execz .LBB249_242
; %bb.241:                              ;   in Loop: Header=BB249_232 Depth=1
	v_and_b32_e32 v18, 7, v4
	v_ffbh_u32_e32 v20, v18
	v_min_u32_e32 v23, 32, v20
	v_subrev_u32_e32 v20, 28, v23
	v_lshlrev_b64 v[20:21], v20, v[4:5]
	v_lshrrev_b32_e32 v22, 3, v19
	v_sub_u32_e32 v21, 29, v23
	v_cmp_gt_u32_e32 vcc, 8, v19
	v_lshlrev_b32_e32 v4, 8, v4
	v_and_b32_e32 v20, 7, v20
	v_cndmask_b32_e32 v19, v22, v21, vcc
	v_lshl_add_u32 v19, v19, 10, v30
	v_and_or_b32 v4, v4, s28, v19
	v_cndmask_b32_e32 v18, v18, v20, vcc
	v_lshlrev_b32_e32 v4, 16, v4
	v_lshl_or_b32 v18, v18, 23, v4
.LBB249_242:                            ;   in Loop: Header=BB249_232 Depth=1
	s_or_b64 exec, exec, s[16:17]
.LBB249_243:                            ;   in Loop: Header=BB249_232 Depth=1
	s_or_b64 exec, exec, s[12:13]
.LBB249_244:                            ;   in Loop: Header=BB249_232 Depth=1
	s_or_b64 exec, exec, s[0:1]
	v_lshrrev_b32_e32 v4, 16, v16
	v_cmp_ne_u16_sdwa s[12:13], v4, v5 src0_sel:BYTE_0 src1_sel:DWORD
	s_and_saveexec_b64 s[0:1], s[12:13]
	s_cbranch_execz .LBB249_250
; %bb.245:                              ;   in Loop: Header=BB249_232 Depth=1
	v_cmp_ne_u16_sdwa s[16:17], v4, s26 src0_sel:BYTE_0 src1_sel:DWORD
	v_mov_b32_e32 v15, 0x8000
	s_and_saveexec_b64 s[12:13], s[16:17]
	s_cbranch_execz .LBB249_249
; %bb.246:                              ;   in Loop: Header=BB249_232 Depth=1
	v_bfe_u32 v19, v16, 16, 7
	v_cmp_ne_u32_e32 vcc, s27, v19
	v_mov_b32_e32 v15, 0x7c01
	s_and_saveexec_b64 s[16:17], vcc
	s_cbranch_execz .LBB249_248
; %bb.247:                              ;   in Loop: Header=BB249_232 Depth=1
	v_and_b32_e32 v15, 7, v4
	v_ffbh_u32_e32 v20, v15
	v_min_u32_e32 v23, 32, v20
	v_subrev_u32_e32 v20, 28, v23
	v_lshlrev_b64 v[20:21], v20, v[4:5]
	v_lshrrev_b32_e32 v22, 3, v19
	v_sub_u32_e32 v21, 29, v23
	v_cmp_gt_u32_e32 vcc, 8, v19
	v_lshlrev_b32_e32 v4, 8, v4
	v_and_b32_e32 v20, 7, v20
	v_cndmask_b32_e32 v19, v22, v21, vcc
	v_lshl_add_u32 v19, v19, 10, v30
	v_and_b32_e32 v19, 0xfc00, v19
	v_cndmask_b32_e32 v15, v15, v20, vcc
	v_and_or_b32 v4, v4, s28, v19
	v_lshl_or_b32 v15, v15, 7, v4
.LBB249_248:                            ;   in Loop: Header=BB249_232 Depth=1
	s_or_b64 exec, exec, s[16:17]
.LBB249_249:                            ;   in Loop: Header=BB249_232 Depth=1
	s_or_b64 exec, exec, s[12:13]
.LBB249_250:                            ;   in Loop: Header=BB249_232 Depth=1
	s_or_b64 exec, exec, s[0:1]
	v_cmp_lt_u32_e32 vcc, s3, v16
	v_mov_b32_e32 v19, 0
	v_mov_b32_e32 v20, 0
	s_and_saveexec_b64 s[0:1], vcc
	s_cbranch_execz .LBB249_256
; %bb.251:                              ;   in Loop: Header=BB249_232 Depth=1
	v_lshrrev_b32_e32 v4, 24, v16
	v_cmp_ne_u32_e32 vcc, s26, v4
	v_bfrev_b32_e32 v20, 1
	s_and_saveexec_b64 s[12:13], vcc
	s_cbranch_execz .LBB249_255
; %bb.252:                              ;   in Loop: Header=BB249_232 Depth=1
	v_and_b32_e32 v21, 0x7f, v4
	v_cmp_ne_u32_e32 vcc, s27, v21
	v_mov_b32_e32 v20, 0x7c010000
	s_and_saveexec_b64 s[16:17], vcc
	s_cbranch_execz .LBB249_254
; %bb.253:                              ;   in Loop: Header=BB249_232 Depth=1
	v_and_b32_e32 v20, 7, v4
	v_ffbh_u32_e32 v22, v20
	v_min_u32_e32 v32, 32, v22
	v_subrev_u32_e32 v22, 28, v32
	v_lshlrev_b64 v[22:23], v22, v[4:5]
	v_lshrrev_b32_e32 v31, 3, v21
	v_sub_u32_e32 v23, 29, v32
	v_cmp_gt_u32_e32 vcc, 8, v21
	v_lshlrev_b32_e32 v4, 8, v4
	v_and_b32_e32 v22, 7, v22
	v_cndmask_b32_e32 v21, v31, v23, vcc
	v_lshl_add_u32 v21, v21, 10, v30
	v_and_or_b32 v4, v4, s28, v21
	v_cndmask_b32_e32 v20, v20, v22, vcc
	v_lshlrev_b32_e32 v4, 16, v4
	v_lshl_or_b32 v20, v20, 23, v4
.LBB249_254:                            ;   in Loop: Header=BB249_232 Depth=1
	s_or_b64 exec, exec, s[16:17]
.LBB249_255:                            ;   in Loop: Header=BB249_232 Depth=1
	s_or_b64 exec, exec, s[12:13]
.LBB249_256:                            ;   in Loop: Header=BB249_232 Depth=1
	s_or_b64 exec, exec, s[0:1]
	v_mov_b32_e32 v4, v17
	v_cmp_ne_u16_sdwa s[12:13], v17, v5 src0_sel:BYTE_0 src1_sel:DWORD
	s_and_saveexec_b64 s[0:1], s[12:13]
	s_cbranch_execz .LBB249_262
; %bb.257:                              ;   in Loop: Header=BB249_232 Depth=1
	v_cmp_ne_u16_sdwa s[16:17], v17, s26 src0_sel:BYTE_0 src1_sel:DWORD
	v_mov_b32_e32 v19, 0x8000
	s_and_saveexec_b64 s[12:13], s[16:17]
	s_cbranch_execz .LBB249_261
; %bb.258:                              ;   in Loop: Header=BB249_232 Depth=1
	v_and_b32_e32 v21, 0x7f, v17
	v_cmp_ne_u32_e32 vcc, s27, v21
	v_mov_b32_e32 v19, 0x7c01
	s_and_saveexec_b64 s[16:17], vcc
	s_cbranch_execz .LBB249_260
; %bb.259:                              ;   in Loop: Header=BB249_232 Depth=1
	v_and_b32_e32 v19, 7, v17
	v_ffbh_u32_e32 v22, v19
	v_min_u32_e32 v32, 32, v22
	v_subrev_u32_e32 v22, 28, v32
	v_lshlrev_b64 v[22:23], v22, v[4:5]
	v_lshrrev_b32_e32 v31, 3, v21
	v_sub_u32_e32 v23, 29, v32
	v_cmp_gt_u32_e32 vcc, 8, v21
	v_and_b32_e32 v22, 7, v22
	s_nop 0
	v_cndmask_b32_e32 v21, v31, v23, vcc
	v_lshl_add_u32 v21, v21, 10, v30
	v_lshlrev_b32_e32 v23, 8, v17
	v_and_b32_e32 v21, 0xfc00, v21
	v_cndmask_b32_e32 v19, v19, v22, vcc
	v_and_or_b32 v21, v23, s28, v21
	v_lshl_or_b32 v19, v19, 7, v21
.LBB249_260:                            ;   in Loop: Header=BB249_232 Depth=1
	s_or_b64 exec, exec, s[16:17]
.LBB249_261:                            ;   in Loop: Header=BB249_232 Depth=1
	s_or_b64 exec, exec, s[12:13]
.LBB249_262:                            ;   in Loop: Header=BB249_232 Depth=1
	s_or_b64 exec, exec, s[0:1]
	v_lshrrev_b16_e32 v4, 8, v4
	v_cmp_ne_u16_e32 vcc, 0, v4
	v_mov_b32_e32 v22, 0
	v_mov_b32_e32 v21, 0
	s_and_saveexec_b64 s[0:1], vcc
	s_cbranch_execz .LBB249_268
; %bb.263:                              ;   in Loop: Header=BB249_232 Depth=1
	v_cmp_ne_u16_e32 vcc, s26, v4
	v_bfrev_b32_e32 v21, 1
	s_and_saveexec_b64 s[12:13], vcc
	s_cbranch_execz .LBB249_267
; %bb.264:                              ;   in Loop: Header=BB249_232 Depth=1
	v_and_b32_e32 v23, 0x7f, v4
	v_cmp_ne_u32_e32 vcc, s27, v23
	v_mov_b32_e32 v21, 0x7c010000
	s_and_saveexec_b64 s[16:17], vcc
	s_cbranch_execz .LBB249_266
; %bb.265:                              ;   in Loop: Header=BB249_232 Depth=1
	v_and_b32_e32 v21, 7, v4
	v_ffbh_u32_e32 v32, v21
	v_min_u32_e32 v34, 32, v32
	v_subrev_u32_e32 v32, 28, v34
	v_lshlrev_b64 v[32:33], v32, v[4:5]
	v_lshrrev_b32_e32 v31, 3, v23
	v_sub_u32_e32 v33, 29, v34
	v_cmp_gt_u32_e32 vcc, 8, v23
	v_lshlrev_b32_e32 v4, 8, v4
	s_nop 0
	v_cndmask_b32_e32 v23, v31, v33, vcc
	v_lshl_add_u32 v23, v23, 10, v30
	v_and_b32_e32 v31, 7, v32
	v_and_or_b32 v4, v4, s28, v23
	v_cndmask_b32_e32 v21, v21, v31, vcc
	v_lshlrev_b32_e32 v4, 16, v4
	v_lshl_or_b32 v21, v21, 23, v4
.LBB249_266:                            ;   in Loop: Header=BB249_232 Depth=1
	s_or_b64 exec, exec, s[16:17]
.LBB249_267:                            ;   in Loop: Header=BB249_232 Depth=1
	s_or_b64 exec, exec, s[12:13]
.LBB249_268:                            ;   in Loop: Header=BB249_232 Depth=1
	s_or_b64 exec, exec, s[0:1]
	v_lshrrev_b32_e32 v4, 16, v17
	v_cmp_ne_u16_sdwa s[12:13], v4, v5 src0_sel:BYTE_0 src1_sel:DWORD
	s_and_saveexec_b64 s[0:1], s[12:13]
	s_cbranch_execz .LBB249_274
; %bb.269:                              ;   in Loop: Header=BB249_232 Depth=1
	v_cmp_ne_u16_sdwa s[16:17], v4, s26 src0_sel:BYTE_0 src1_sel:DWORD
	v_mov_b32_e32 v22, 0x8000
	s_and_saveexec_b64 s[12:13], s[16:17]
	s_cbranch_execz .LBB249_273
; %bb.270:                              ;   in Loop: Header=BB249_232 Depth=1
	v_bfe_u32 v23, v17, 16, 7
	v_cmp_ne_u32_e32 vcc, s27, v23
	v_mov_b32_e32 v22, 0x7c01
	s_and_saveexec_b64 s[16:17], vcc
	s_cbranch_execz .LBB249_272
; %bb.271:                              ;   in Loop: Header=BB249_232 Depth=1
	v_and_b32_e32 v22, 7, v4
	v_ffbh_u32_e32 v32, v22
	v_min_u32_e32 v34, 32, v32
	v_subrev_u32_e32 v32, 28, v34
	v_lshlrev_b64 v[32:33], v32, v[4:5]
	v_lshrrev_b32_e32 v31, 3, v23
	v_sub_u32_e32 v33, 29, v34
	v_cmp_gt_u32_e32 vcc, 8, v23
	v_lshlrev_b32_e32 v4, 8, v4
	s_nop 0
	v_cndmask_b32_e32 v23, v31, v33, vcc
	v_lshl_add_u32 v23, v23, 10, v30
	v_and_b32_e32 v31, 7, v32
	v_and_b32_e32 v23, 0xfc00, v23
	v_cndmask_b32_e32 v22, v22, v31, vcc
	v_and_or_b32 v4, v4, s28, v23
	v_lshl_or_b32 v22, v22, 7, v4
.LBB249_272:                            ;   in Loop: Header=BB249_232 Depth=1
	s_or_b64 exec, exec, s[16:17]
.LBB249_273:                            ;   in Loop: Header=BB249_232 Depth=1
	s_or_b64 exec, exec, s[12:13]
.LBB249_274:                            ;   in Loop: Header=BB249_232 Depth=1
	s_or_b64 exec, exec, s[0:1]
	v_cmp_lt_u64_e32 vcc, s[2:3], v[16:17]
	v_mov_b32_e32 v23, 0
	s_and_saveexec_b64 s[0:1], vcc
	s_cbranch_execz .LBB249_280
; %bb.275:                              ;   in Loop: Header=BB249_232 Depth=1
	v_lshrrev_b32_e32 v4, 24, v17
	v_cmp_ne_u32_e32 vcc, s26, v4
	v_bfrev_b32_e32 v23, 1
	s_and_saveexec_b64 s[12:13], vcc
	s_cbranch_execz .LBB249_279
; %bb.276:                              ;   in Loop: Header=BB249_232 Depth=1
	v_and_b32_e32 v16, 0x7f, v4
	v_cmp_ne_u32_e32 vcc, s27, v16
	v_mov_b32_e32 v23, 0x7c010000
	s_and_saveexec_b64 s[16:17], vcc
	s_cbranch_execz .LBB249_278
; %bb.277:                              ;   in Loop: Header=BB249_232 Depth=1
	v_and_b32_e32 v17, 7, v4
	v_ffbh_u32_e32 v31, v17
	v_min_u32_e32 v31, 32, v31
	v_lshrrev_b32_e32 v23, 3, v16
	v_subrev_u32_e32 v32, 28, v31
	v_sub_u32_e32 v31, 29, v31
	v_cmp_gt_u32_e32 vcc, 8, v16
	v_lshlrev_b64 v[32:33], v32, v[4:5]
	v_lshlrev_b32_e32 v4, 8, v4
	v_cndmask_b32_e32 v16, v23, v31, vcc
	v_lshl_add_u32 v16, v16, 10, v30
	v_and_b32_e32 v23, 7, v32
	v_and_or_b32 v4, v4, s28, v16
	v_cndmask_b32_e32 v17, v17, v23, vcc
	v_lshlrev_b32_e32 v4, 16, v4
	v_lshl_or_b32 v23, v17, 23, v4
.LBB249_278:                            ;   in Loop: Header=BB249_232 Depth=1
	s_or_b64 exec, exec, s[16:17]
.LBB249_279:                            ;   in Loop: Header=BB249_232 Depth=1
	s_or_b64 exec, exec, s[12:13]
.LBB249_280:                            ;   in Loop: Header=BB249_232 Depth=1
	s_or_b64 exec, exec, s[0:1]
	v_cvt_f32_f16_sdwa v17, v18 dst_sel:DWORD dst_unused:UNUSED_PAD src0_sel:WORD_1
	v_cvt_f32_f16_sdwa v16, v20 dst_sel:DWORD dst_unused:UNUSED_PAD src0_sel:WORD_1
	v_or_b32_e32 v1, v18, v1
	v_or_b32_e32 v4, v20, v15
	v_cvt_f32_f16_e32 v32, v4
	v_cvt_f32_f16_e32 v33, v1
	s_waitcnt vmcnt(0)
	v_pk_mul_f32 v[16:17], v[14:15], v[16:17] op_sel_hi:[0,1]
	v_cvt_pk_f16_f32 v1, v16, v17
	v_and_b32_e32 v15, 0xffff0000, v1
	v_pk_mul_f32 v[32:33], v[14:15], v[32:33] op_sel_hi:[0,1]
	v_or_b32_e32 v4, v21, v19
	v_or_b32_e32 v19, v23, v22
	v_lshlrev_b32_e32 v16, 16, v1
	v_cvt_pk_f16_f32 v1, v32, v33
	v_cvt_f32_f16_e32 v32, v19
	v_cvt_f32_f16_e32 v33, v4
	v_cvt_f32_f16_sdwa v21, v21 dst_sel:DWORD dst_unused:UNUSED_PAD src0_sel:WORD_1
	v_cvt_f32_f16_sdwa v20, v23 dst_sel:DWORD dst_unused:UNUSED_PAD src0_sel:WORD_1
	v_lshrrev_b32_e32 v17, 16, v1
	v_pk_mul_f32 v[22:23], v[14:15], v[32:33] op_sel_hi:[0,1]
	v_cvt_pk_f16_f32 v22, v22, v23
	v_pk_mul_f32 v[20:21], v[14:15], v[20:21] op_sel_hi:[0,1]
	v_cvt_pk_f16_f32 v14, v20, v21
	v_and_b32_e32 v18, 0xffff, v1
	v_and_b32_e32 v19, 0xffff0000, v14
	v_lshlrev_b32_e32 v14, 16, v14
	v_lshrrev_b32_e32 v23, 16, v22
	v_and_b32_e32 v22, 0xffff, v22
	v_cmp_eq_u32_e32 vcc, s30, v24
	v_or_b32_e32 v1, v15, v17
	v_or_b32_e32 v4, v16, v18
	;; [unrolled: 1-line block ×4, first 2 shown]
	v_add_u32_e32 v37, 2, v28
	v_or_b32_e32 v36, 1, v28
	v_or_b32_e32 v35, 3, v28
	;; [unrolled: 1-line block ×6, first 2 shown]
	s_and_saveexec_b64 s[12:13], vcc
	s_cbranch_execz .LBB249_282
; %bb.281:                              ;   in Loop: Header=BB249_232 Depth=1
	v_cmp_gt_i32_e64 s[0:1], s31, v28
	s_nop 1
	v_cndmask_b32_e64 v1, 0, v17, s[0:1]
	v_cmp_gt_i32_e64 s[0:1], s33, v37
	s_nop 1
	v_cndmask_b32_e64 v4, 0, v18, s[0:1]
	v_cmp_gt_i32_e64 s[0:1], s31, v36
	s_nop 1
	v_cndmask_b32_e64 v15, 0, v15, s[0:1]
	v_cmp_gt_i32_e64 s[0:1], s33, v35
	v_or_b32_e32 v1, v15, v1
	s_nop 0
	v_cndmask_b32_e64 v16, 0, v16, s[0:1]
	v_cmp_gt_i32_e64 s[0:1], s31, v34
	v_or_b32_e32 v4, v16, v4
	s_nop 0
	v_cndmask_b32_e64 v15, 0, v23, s[0:1]
	v_cmp_gt_i32_e64 s[0:1], s33, v33
	s_nop 1
	v_cndmask_b32_e64 v16, 0, v22, s[0:1]
	v_cmp_gt_i32_e64 s[0:1], s31, v32
	;; [unrolled: 3-line block ×3, first 2 shown]
	v_or_b32_e32 v21, v17, v15
	s_nop 0
	v_cndmask_b32_e64 v14, 0, v14, s[0:1]
	v_or_b32_e32 v20, v14, v16
.LBB249_282:                            ;   in Loop: Header=BB249_232 Depth=1
	s_or_b64 exec, exec, s[12:13]
	v_and_b32_e32 v14, 0xffff, v38
	v_lshl_or_b32 v41, v39, 16, v14
	v_and_b32_e32 v14, 0xffff, v40
	v_lshl_or_b32 v40, v42, 16, v14
	;; [unrolled: 2-line block ×3, first 2 shown]
	v_and_b32_e32 v14, 0xffff, v45
	;;#ASMSTART
	v_pk_mul_f16 v1, v41, v1;

	;;#ASMEND
	v_lshl_or_b32 v38, v46, 16, v14
	;;#ASMSTART
	v_pk_mul_f16 v4, v40, v4;

	;;#ASMEND
	;;#ASMSTART
	v_pk_mul_f16 v14, v39, v21;

	;;#ASMEND
	;; [unrolled: 4-line block ×3, first 2 shown]
	s_nop 0
	;;#ASMSTART
	v_pk_add_f16 v1, v1, v4;

	;;#ASMEND
	s_nop 0
	;;#ASMSTART
	v_pk_add_f16 v1, v1, v14;

	;;#ASMEND
	;; [unrolled: 5-line block ×3, first 2 shown]
	v_mov_b32_e32 v15, 0
	v_lshrrev_b32_e32 v4, 16, v1
	v_and_b32_e32 v1, 0xffff, v1
	;;#ASMSTART
	v_cvt_f32_f16 v42, v1;
	;;#ASMEND
	;;#ASMSTART
	v_cvt_f32_f16 v43, v4;
	;;#ASMEND
	global_load_dwordx2 v[16:17], v[12:13], off offset:512
	v_mov_b32_e32 v1, 0
	global_load_dword v14, v1, s[14:15]
	s_waitcnt vmcnt(1)
	v_cmp_ne_u16_sdwa s[0:1], v16, v5 src0_sel:BYTE_0 src1_sel:DWORD
	s_and_saveexec_b64 s[12:13], s[0:1]
	s_cbranch_execz .LBB249_288
; %bb.283:                              ;   in Loop: Header=BB249_232 Depth=1
	v_cmp_ne_u16_sdwa s[0:1], v16, s26 src0_sel:BYTE_0 src1_sel:DWORD
	v_mov_b32_e32 v15, 0x8000
	s_and_saveexec_b64 s[16:17], s[0:1]
	s_cbranch_execz .LBB249_287
; %bb.284:                              ;   in Loop: Header=BB249_232 Depth=1
	v_and_b32_e32 v4, 0x7f, v16
	v_cmp_ne_u32_e64 s[0:1], s27, v4
	v_mov_b32_e32 v15, 0x7c01
	s_and_saveexec_b64 s[18:19], s[0:1]
	s_cbranch_execz .LBB249_286
; %bb.285:                              ;   in Loop: Header=BB249_232 Depth=1
	v_and_b32_e32 v15, 7, v16
	v_ffbh_u32_e32 v18, v15
	v_min_u32_e32 v21, 32, v18
	v_subrev_u32_e32 v18, 28, v21
	v_lshlrev_b64 v[18:19], v18, v[16:17]
	v_lshrrev_b32_e32 v20, 3, v4
	v_sub_u32_e32 v19, 29, v21
	v_cmp_gt_u32_e64 s[0:1], 8, v4
	v_and_b32_e32 v18, 7, v18
	s_nop 0
	v_cndmask_b32_e64 v4, v20, v19, s[0:1]
	v_lshl_add_u32 v4, v4, 10, v30
	v_lshlrev_b32_e32 v19, 8, v16
	v_and_b32_e32 v4, 0xfc00, v4
	v_cndmask_b32_e64 v15, v15, v18, s[0:1]
	v_and_or_b32 v4, v19, s28, v4
	v_lshl_or_b32 v15, v15, 7, v4
.LBB249_286:                            ;   in Loop: Header=BB249_232 Depth=1
	s_or_b64 exec, exec, s[18:19]
.LBB249_287:                            ;   in Loop: Header=BB249_232 Depth=1
	s_or_b64 exec, exec, s[16:17]
.LBB249_288:                            ;   in Loop: Header=BB249_232 Depth=1
	s_or_b64 exec, exec, s[12:13]
	v_lshrrev_b16_e32 v4, 8, v16
	v_cmp_ne_u16_e64 s[0:1], 0, v4
	s_and_saveexec_b64 s[12:13], s[0:1]
	s_cbranch_execz .LBB249_294
; %bb.289:                              ;   in Loop: Header=BB249_232 Depth=1
	v_cmp_ne_u16_e64 s[0:1], s26, v4
	v_bfrev_b32_e32 v1, 1
	s_and_saveexec_b64 s[16:17], s[0:1]
	s_cbranch_execz .LBB249_293
; %bb.290:                              ;   in Loop: Header=BB249_232 Depth=1
	v_and_b32_e32 v18, 0x7f, v4
	v_cmp_ne_u32_e64 s[0:1], s27, v18
	v_mov_b32_e32 v1, 0x7c010000
	s_and_saveexec_b64 s[18:19], s[0:1]
	s_cbranch_execz .LBB249_292
; %bb.291:                              ;   in Loop: Header=BB249_232 Depth=1
	v_and_b32_e32 v1, 7, v4
	v_ffbh_u32_e32 v20, v1
	v_min_u32_e32 v22, 32, v20
	v_subrev_u32_e32 v20, 28, v22
	v_lshlrev_b64 v[20:21], v20, v[4:5]
	v_lshrrev_b32_e32 v19, 3, v18
	v_sub_u32_e32 v21, 29, v22
	v_cmp_gt_u32_e64 s[0:1], 8, v18
	v_lshlrev_b32_e32 v4, 8, v4
	s_nop 0
	v_cndmask_b32_e64 v18, v19, v21, s[0:1]
	v_lshl_add_u32 v18, v18, 10, v30
	v_and_b32_e32 v19, 7, v20
	v_and_or_b32 v4, v4, s28, v18
	v_cndmask_b32_e64 v1, v1, v19, s[0:1]
	v_lshlrev_b32_e32 v4, 16, v4
	v_lshl_or_b32 v1, v1, 23, v4
.LBB249_292:                            ;   in Loop: Header=BB249_232 Depth=1
	s_or_b64 exec, exec, s[18:19]
.LBB249_293:                            ;   in Loop: Header=BB249_232 Depth=1
	s_or_b64 exec, exec, s[16:17]
.LBB249_294:                            ;   in Loop: Header=BB249_232 Depth=1
	s_or_b64 exec, exec, s[12:13]
	v_lshrrev_b32_e32 v4, 16, v16
	v_cmp_ne_u16_sdwa s[0:1], v4, v5 src0_sel:BYTE_0 src1_sel:DWORD
	v_mov_b32_e32 v19, 0
	v_mov_b32_e32 v18, 0
	s_and_saveexec_b64 s[12:13], s[0:1]
	s_cbranch_execz .LBB249_300
; %bb.295:                              ;   in Loop: Header=BB249_232 Depth=1
	v_cmp_ne_u16_sdwa s[0:1], v4, s26 src0_sel:BYTE_0 src1_sel:DWORD
	v_mov_b32_e32 v18, 0x8000
	s_and_saveexec_b64 s[16:17], s[0:1]
	s_cbranch_execz .LBB249_299
; %bb.296:                              ;   in Loop: Header=BB249_232 Depth=1
	v_bfe_u32 v20, v16, 16, 7
	v_cmp_ne_u32_e64 s[0:1], s27, v20
	v_mov_b32_e32 v18, 0x7c01
	s_and_saveexec_b64 s[18:19], s[0:1]
	s_cbranch_execz .LBB249_298
; %bb.297:                              ;   in Loop: Header=BB249_232 Depth=1
	v_and_b32_e32 v18, 7, v4
	v_ffbh_u32_e32 v22, v18
	v_min_u32_e32 v44, 32, v22
	v_subrev_u32_e32 v22, 28, v44
	v_lshlrev_b64 v[22:23], v22, v[4:5]
	v_lshrrev_b32_e32 v21, 3, v20
	v_sub_u32_e32 v23, 29, v44
	v_cmp_gt_u32_e64 s[0:1], 8, v20
	v_lshlrev_b32_e32 v4, 8, v4
	s_nop 0
	v_cndmask_b32_e64 v20, v21, v23, s[0:1]
	v_lshl_add_u32 v20, v20, 10, v30
	v_and_b32_e32 v21, 7, v22
	v_and_b32_e32 v20, 0xfc00, v20
	v_cndmask_b32_e64 v18, v18, v21, s[0:1]
	v_and_or_b32 v4, v4, s28, v20
	v_lshl_or_b32 v18, v18, 7, v4
.LBB249_298:                            ;   in Loop: Header=BB249_232 Depth=1
	s_or_b64 exec, exec, s[18:19]
.LBB249_299:                            ;   in Loop: Header=BB249_232 Depth=1
	s_or_b64 exec, exec, s[16:17]
.LBB249_300:                            ;   in Loop: Header=BB249_232 Depth=1
	s_or_b64 exec, exec, s[12:13]
	v_cmp_lt_u32_e64 s[0:1], s3, v16
	s_and_saveexec_b64 s[12:13], s[0:1]
	s_cbranch_execz .LBB249_306
; %bb.301:                              ;   in Loop: Header=BB249_232 Depth=1
	v_lshrrev_b32_e32 v4, 24, v16
	v_cmp_ne_u32_e64 s[0:1], s26, v4
	v_bfrev_b32_e32 v19, 1
	s_and_saveexec_b64 s[16:17], s[0:1]
	s_cbranch_execz .LBB249_305
; %bb.302:                              ;   in Loop: Header=BB249_232 Depth=1
	v_and_b32_e32 v20, 0x7f, v4
	v_cmp_ne_u32_e64 s[0:1], s27, v20
	v_mov_b32_e32 v19, 0x7c010000
	s_and_saveexec_b64 s[18:19], s[0:1]
	s_cbranch_execz .LBB249_304
; %bb.303:                              ;   in Loop: Header=BB249_232 Depth=1
	v_and_b32_e32 v19, 7, v4
	v_ffbh_u32_e32 v22, v19
	v_min_u32_e32 v44, 32, v22
	v_subrev_u32_e32 v22, 28, v44
	v_lshlrev_b64 v[22:23], v22, v[4:5]
	v_lshrrev_b32_e32 v21, 3, v20
	v_sub_u32_e32 v23, 29, v44
	v_cmp_gt_u32_e64 s[0:1], 8, v20
	v_lshlrev_b32_e32 v4, 8, v4
	s_nop 0
	v_cndmask_b32_e64 v20, v21, v23, s[0:1]
	v_lshl_add_u32 v20, v20, 10, v30
	v_and_b32_e32 v21, 7, v22
	v_and_or_b32 v4, v4, s28, v20
	v_cndmask_b32_e64 v19, v19, v21, s[0:1]
	v_lshlrev_b32_e32 v4, 16, v4
	v_lshl_or_b32 v19, v19, 23, v4
.LBB249_304:                            ;   in Loop: Header=BB249_232 Depth=1
	s_or_b64 exec, exec, s[18:19]
.LBB249_305:                            ;   in Loop: Header=BB249_232 Depth=1
	s_or_b64 exec, exec, s[16:17]
.LBB249_306:                            ;   in Loop: Header=BB249_232 Depth=1
	s_or_b64 exec, exec, s[12:13]
	v_mov_b32_e32 v4, v17
	v_cmp_ne_u16_sdwa s[0:1], v17, v5 src0_sel:BYTE_0 src1_sel:DWORD
	v_mov_b32_e32 v20, 0
	v_mov_b32_e32 v21, 0
	s_and_saveexec_b64 s[12:13], s[0:1]
	s_cbranch_execz .LBB249_312
; %bb.307:                              ;   in Loop: Header=BB249_232 Depth=1
	v_cmp_ne_u16_sdwa s[0:1], v17, s26 src0_sel:BYTE_0 src1_sel:DWORD
	v_mov_b32_e32 v21, 0x8000
	s_and_saveexec_b64 s[16:17], s[0:1]
	s_cbranch_execz .LBB249_311
; %bb.308:                              ;   in Loop: Header=BB249_232 Depth=1
	v_and_b32_e32 v22, 0x7f, v17
	v_cmp_ne_u32_e64 s[0:1], s27, v22
	v_mov_b32_e32 v21, 0x7c01
	s_and_saveexec_b64 s[18:19], s[0:1]
	s_cbranch_execz .LBB249_310
; %bb.309:                              ;   in Loop: Header=BB249_232 Depth=1
	v_and_b32_e32 v21, 7, v17
	v_ffbh_u32_e32 v44, v21
	v_min_u32_e32 v46, 32, v44
	v_subrev_u32_e32 v44, 28, v46
	v_lshlrev_b64 v[44:45], v44, v[4:5]
	v_lshrrev_b32_e32 v23, 3, v22
	v_sub_u32_e32 v45, 29, v46
	v_cmp_gt_u32_e64 s[0:1], 8, v22
	v_and_b32_e32 v44, 7, v44
	s_nop 0
	v_cndmask_b32_e64 v22, v23, v45, s[0:1]
	v_lshl_add_u32 v22, v22, 10, v30
	v_lshlrev_b32_e32 v23, 8, v17
	v_and_b32_e32 v22, 0xfc00, v22
	v_cndmask_b32_e64 v21, v21, v44, s[0:1]
	v_and_or_b32 v22, v23, s28, v22
	v_lshl_or_b32 v21, v21, 7, v22
.LBB249_310:                            ;   in Loop: Header=BB249_232 Depth=1
	s_or_b64 exec, exec, s[18:19]
.LBB249_311:                            ;   in Loop: Header=BB249_232 Depth=1
	s_or_b64 exec, exec, s[16:17]
.LBB249_312:                            ;   in Loop: Header=BB249_232 Depth=1
	s_or_b64 exec, exec, s[12:13]
	v_lshrrev_b16_e32 v4, 8, v4
	v_cmp_ne_u16_e64 s[0:1], 0, v4
	v_mov_b32_e32 v22, 0
	s_and_saveexec_b64 s[12:13], s[0:1]
	s_cbranch_execz .LBB249_318
; %bb.313:                              ;   in Loop: Header=BB249_232 Depth=1
	v_cmp_ne_u16_e64 s[0:1], s26, v4
	v_bfrev_b32_e32 v22, 1
	s_and_saveexec_b64 s[16:17], s[0:1]
	s_cbranch_execz .LBB249_317
; %bb.314:                              ;   in Loop: Header=BB249_232 Depth=1
	v_and_b32_e32 v23, 0x7f, v4
	v_cmp_ne_u32_e64 s[0:1], s27, v23
	v_mov_b32_e32 v22, 0x7c010000
	s_and_saveexec_b64 s[18:19], s[0:1]
	s_cbranch_execz .LBB249_316
; %bb.315:                              ;   in Loop: Header=BB249_232 Depth=1
	v_and_b32_e32 v22, 7, v4
	v_ffbh_u32_e32 v44, v22
	v_min_u32_e32 v47, 32, v44
	v_subrev_u32_e32 v44, 28, v47
	v_lshlrev_b64 v[44:45], v44, v[4:5]
	v_lshrrev_b32_e32 v46, 3, v23
	v_sub_u32_e32 v45, 29, v47
	v_cmp_gt_u32_e64 s[0:1], 8, v23
	v_lshlrev_b32_e32 v4, 8, v4
	v_and_b32_e32 v44, 7, v44
	v_cndmask_b32_e64 v23, v46, v45, s[0:1]
	v_lshl_add_u32 v23, v23, 10, v30
	v_and_or_b32 v4, v4, s28, v23
	v_cndmask_b32_e64 v22, v22, v44, s[0:1]
	v_lshlrev_b32_e32 v4, 16, v4
	v_lshl_or_b32 v22, v22, 23, v4
.LBB249_316:                            ;   in Loop: Header=BB249_232 Depth=1
	s_or_b64 exec, exec, s[18:19]
.LBB249_317:                            ;   in Loop: Header=BB249_232 Depth=1
	s_or_b64 exec, exec, s[16:17]
.LBB249_318:                            ;   in Loop: Header=BB249_232 Depth=1
	s_or_b64 exec, exec, s[12:13]
	v_lshrrev_b32_e32 v4, 16, v17
	v_cmp_ne_u16_sdwa s[0:1], v4, v5 src0_sel:BYTE_0 src1_sel:DWORD
	s_and_saveexec_b64 s[12:13], s[0:1]
	s_cbranch_execz .LBB249_324
; %bb.319:                              ;   in Loop: Header=BB249_232 Depth=1
	v_cmp_ne_u16_sdwa s[0:1], v4, s26 src0_sel:BYTE_0 src1_sel:DWORD
	v_mov_b32_e32 v20, 0x8000
	s_and_saveexec_b64 s[16:17], s[0:1]
	s_cbranch_execz .LBB249_323
; %bb.320:                              ;   in Loop: Header=BB249_232 Depth=1
	v_bfe_u32 v23, v17, 16, 7
	v_cmp_ne_u32_e64 s[0:1], s27, v23
	v_mov_b32_e32 v20, 0x7c01
	s_and_saveexec_b64 s[18:19], s[0:1]
	s_cbranch_execz .LBB249_322
; %bb.321:                              ;   in Loop: Header=BB249_232 Depth=1
	v_and_b32_e32 v20, 7, v4
	v_ffbh_u32_e32 v44, v20
	v_min_u32_e32 v47, 32, v44
	v_subrev_u32_e32 v44, 28, v47
	v_lshlrev_b64 v[44:45], v44, v[4:5]
	v_lshrrev_b32_e32 v46, 3, v23
	v_sub_u32_e32 v45, 29, v47
	v_cmp_gt_u32_e64 s[0:1], 8, v23
	v_lshlrev_b32_e32 v4, 8, v4
	v_and_b32_e32 v44, 7, v44
	v_cndmask_b32_e64 v23, v46, v45, s[0:1]
	v_lshl_add_u32 v23, v23, 10, v30
	v_and_b32_e32 v23, 0xfc00, v23
	v_cndmask_b32_e64 v20, v20, v44, s[0:1]
	v_and_or_b32 v4, v4, s28, v23
	v_lshl_or_b32 v20, v20, 7, v4
.LBB249_322:                            ;   in Loop: Header=BB249_232 Depth=1
	s_or_b64 exec, exec, s[18:19]
.LBB249_323:                            ;   in Loop: Header=BB249_232 Depth=1
	s_or_b64 exec, exec, s[16:17]
.LBB249_324:                            ;   in Loop: Header=BB249_232 Depth=1
	s_or_b64 exec, exec, s[12:13]
	v_cmp_lt_u64_e64 s[0:1], s[2:3], v[16:17]
	v_mov_b32_e32 v16, 0
	s_and_saveexec_b64 s[12:13], s[0:1]
	s_cbranch_execz .LBB249_330
; %bb.325:                              ;   in Loop: Header=BB249_232 Depth=1
	v_lshrrev_b32_e32 v4, 24, v17
	v_cmp_ne_u32_e64 s[0:1], s26, v4
	v_bfrev_b32_e32 v16, 1
	s_and_saveexec_b64 s[16:17], s[0:1]
	s_cbranch_execz .LBB249_329
; %bb.326:                              ;   in Loop: Header=BB249_232 Depth=1
	v_and_b32_e32 v17, 0x7f, v4
	v_cmp_ne_u32_e64 s[0:1], s27, v17
	v_mov_b32_e32 v16, 0x7c010000
	s_and_saveexec_b64 s[18:19], s[0:1]
	s_cbranch_execz .LBB249_328
; %bb.327:                              ;   in Loop: Header=BB249_232 Depth=1
	v_and_b32_e32 v16, 7, v4
	v_ffbh_u32_e32 v44, v16
	v_min_u32_e32 v46, 32, v44
	v_subrev_u32_e32 v44, 28, v46
	v_lshlrev_b64 v[44:45], v44, v[4:5]
	v_lshrrev_b32_e32 v23, 3, v17
	v_sub_u32_e32 v45, 29, v46
	v_cmp_gt_u32_e64 s[0:1], 8, v17
	v_lshlrev_b32_e32 v4, 8, v4
	s_nop 0
	v_cndmask_b32_e64 v17, v23, v45, s[0:1]
	v_lshl_add_u32 v17, v17, 10, v30
	v_and_b32_e32 v23, 7, v44
	v_and_or_b32 v4, v4, s28, v17
	v_cndmask_b32_e64 v16, v16, v23, s[0:1]
	v_lshlrev_b32_e32 v4, 16, v4
	v_lshl_or_b32 v16, v16, 23, v4
.LBB249_328:                            ;   in Loop: Header=BB249_232 Depth=1
	s_or_b64 exec, exec, s[18:19]
.LBB249_329:                            ;   in Loop: Header=BB249_232 Depth=1
	s_or_b64 exec, exec, s[16:17]
.LBB249_330:                            ;   in Loop: Header=BB249_232 Depth=1
	s_or_b64 exec, exec, s[12:13]
	v_cvt_f32_f16_sdwa v45, v1 dst_sel:DWORD dst_unused:UNUSED_PAD src0_sel:WORD_1
	v_cvt_f32_f16_sdwa v44, v19 dst_sel:DWORD dst_unused:UNUSED_PAD src0_sel:WORD_1
	v_or_b32_e32 v1, v1, v15
	v_or_b32_e32 v4, v19, v18
	;; [unrolled: 1-line block ×3, first 2 shown]
	s_waitcnt vmcnt(0)
	v_pk_mul_f32 v[18:19], v[14:15], v[44:45] op_sel_hi:[0,1]
	v_cvt_f32_f16_e32 v44, v4
	v_cvt_f32_f16_e32 v45, v1
	v_cvt_pk_f16_f32 v1, v18, v19
	v_and_b32_e32 v15, 0xffff0000, v1
	v_lshlrev_b32_e32 v4, 16, v1
	v_pk_mul_f32 v[18:19], v[14:15], v[44:45] op_sel_hi:[0,1]
	v_cvt_pk_f16_f32 v1, v18, v19
	v_or_b32_e32 v19, v22, v21
	v_cvt_f32_f16_e32 v20, v20
	v_cvt_f32_f16_e32 v21, v19
	v_cvt_f32_f16_sdwa v23, v22 dst_sel:DWORD dst_unused:UNUSED_PAD src0_sel:WORD_1
	v_cvt_f32_f16_sdwa v22, v16 dst_sel:DWORD dst_unused:UNUSED_PAD src0_sel:WORD_1
	v_lshrrev_b32_e32 v17, 16, v1
	v_pk_mul_f32 v[20:21], v[14:15], v[20:21] op_sel_hi:[0,1]
	v_cvt_pk_f16_f32 v44, v20, v21
	v_pk_mul_f32 v[20:21], v[14:15], v[22:23] op_sel_hi:[0,1]
	v_cvt_pk_f16_f32 v14, v20, v21
	v_and_b32_e32 v18, 0xffff, v1
	v_and_b32_e32 v19, 0xffff0000, v14
	v_lshlrev_b32_e32 v14, 16, v14
	v_lshrrev_b32_e32 v21, 16, v44
	v_and_b32_e32 v20, 0xffff, v44
	v_or_b32_e32 v1, v15, v17
	v_or_b32_e32 v16, v4, v18
	;; [unrolled: 1-line block ×4, first 2 shown]
	s_and_saveexec_b64 s[12:13], vcc
	s_cbranch_execz .LBB249_332
; %bb.331:                              ;   in Loop: Header=BB249_232 Depth=1
	v_cmp_gt_i32_e64 s[0:1], s31, v28
	s_nop 1
	v_cndmask_b32_e64 v1, 0, v17, s[0:1]
	v_cmp_gt_i32_e64 s[0:1], s33, v37
	s_nop 1
	v_cndmask_b32_e64 v16, 0, v18, s[0:1]
	v_cmp_gt_i32_e64 s[0:1], s31, v36
	s_nop 1
	v_cndmask_b32_e64 v15, 0, v15, s[0:1]
	v_cmp_gt_i32_e64 s[0:1], s33, v35
	v_or_b32_e32 v1, v15, v1
	s_nop 0
	v_cndmask_b32_e64 v4, 0, v4, s[0:1]
	v_cmp_gt_i32_e64 s[0:1], s31, v34
	v_or_b32_e32 v16, v4, v16
	s_nop 0
	v_cndmask_b32_e64 v4, 0, v21, s[0:1]
	v_cmp_gt_i32_e64 s[0:1], s33, v33
	s_nop 1
	v_cndmask_b32_e64 v15, 0, v20, s[0:1]
	v_cmp_gt_i32_e64 s[0:1], s31, v32
	;; [unrolled: 3-line block ×3, first 2 shown]
	v_or_b32_e32 v23, v17, v4
	s_nop 0
	v_cndmask_b32_e64 v14, 0, v14, s[0:1]
	v_or_b32_e32 v22, v14, v15
.LBB249_332:                            ;   in Loop: Header=BB249_232 Depth=1
	s_or_b64 exec, exec, s[12:13]
	;;#ASMSTART
	v_pk_mul_f16 v1, v41, v1;

	;;#ASMEND
	;;#ASMSTART
	v_pk_mul_f16 v4, v40, v16;

	;;#ASMEND
	;; [unrolled: 4-line block ×4, first 2 shown]
	s_nop 0
	;;#ASMSTART
	v_pk_add_f16 v1, v1, v4;

	;;#ASMEND
	s_nop 0
	;;#ASMSTART
	v_pk_add_f16 v1, v1, v14;

	;;#ASMEND
	;; [unrolled: 5-line block ×3, first 2 shown]
	v_mov_b32_e32 v15, 0
	v_lshrrev_b32_e32 v4, 16, v1
	v_and_b32_e32 v1, 0xffff, v1
	;;#ASMSTART
	v_cvt_f32_f16 v44, v1;
	;;#ASMEND
	;;#ASMSTART
	v_cvt_f32_f16 v45, v4;
	;;#ASMEND
	global_load_dwordx2 v[16:17], v[12:13], off offset:1024
	v_mov_b32_e32 v1, 0
	global_load_dword v14, v1, s[14:15]
	s_waitcnt vmcnt(1)
	v_cmp_ne_u16_sdwa s[0:1], v16, v5 src0_sel:BYTE_0 src1_sel:DWORD
	s_and_saveexec_b64 s[12:13], s[0:1]
	s_cbranch_execz .LBB249_338
; %bb.333:                              ;   in Loop: Header=BB249_232 Depth=1
	v_cmp_ne_u16_sdwa s[0:1], v16, s26 src0_sel:BYTE_0 src1_sel:DWORD
	v_mov_b32_e32 v15, 0x8000
	s_and_saveexec_b64 s[16:17], s[0:1]
	s_cbranch_execz .LBB249_337
; %bb.334:                              ;   in Loop: Header=BB249_232 Depth=1
	v_and_b32_e32 v4, 0x7f, v16
	v_cmp_ne_u32_e64 s[0:1], s27, v4
	v_mov_b32_e32 v15, 0x7c01
	s_and_saveexec_b64 s[18:19], s[0:1]
	s_cbranch_execz .LBB249_336
; %bb.335:                              ;   in Loop: Header=BB249_232 Depth=1
	v_and_b32_e32 v15, 7, v16
	v_ffbh_u32_e32 v18, v15
	v_min_u32_e32 v21, 32, v18
	v_subrev_u32_e32 v18, 28, v21
	v_lshlrev_b64 v[18:19], v18, v[16:17]
	v_lshrrev_b32_e32 v20, 3, v4
	v_sub_u32_e32 v19, 29, v21
	v_cmp_gt_u32_e64 s[0:1], 8, v4
	v_and_b32_e32 v18, 7, v18
	s_nop 0
	v_cndmask_b32_e64 v4, v20, v19, s[0:1]
	v_lshl_add_u32 v4, v4, 10, v30
	v_lshlrev_b32_e32 v19, 8, v16
	v_and_b32_e32 v4, 0xfc00, v4
	v_cndmask_b32_e64 v15, v15, v18, s[0:1]
	v_and_or_b32 v4, v19, s28, v4
	v_lshl_or_b32 v15, v15, 7, v4
.LBB249_336:                            ;   in Loop: Header=BB249_232 Depth=1
	s_or_b64 exec, exec, s[18:19]
.LBB249_337:                            ;   in Loop: Header=BB249_232 Depth=1
	s_or_b64 exec, exec, s[16:17]
.LBB249_338:                            ;   in Loop: Header=BB249_232 Depth=1
	s_or_b64 exec, exec, s[12:13]
	v_lshrrev_b16_e32 v4, 8, v16
	v_cmp_ne_u16_e64 s[0:1], 0, v4
	s_and_saveexec_b64 s[12:13], s[0:1]
	s_cbranch_execz .LBB249_344
; %bb.339:                              ;   in Loop: Header=BB249_232 Depth=1
	v_cmp_ne_u16_e64 s[0:1], s26, v4
	v_bfrev_b32_e32 v1, 1
	s_and_saveexec_b64 s[16:17], s[0:1]
	s_cbranch_execz .LBB249_343
; %bb.340:                              ;   in Loop: Header=BB249_232 Depth=1
	v_and_b32_e32 v18, 0x7f, v4
	v_cmp_ne_u32_e64 s[0:1], s27, v18
	v_mov_b32_e32 v1, 0x7c010000
	s_and_saveexec_b64 s[18:19], s[0:1]
	s_cbranch_execz .LBB249_342
; %bb.341:                              ;   in Loop: Header=BB249_232 Depth=1
	v_and_b32_e32 v1, 7, v4
	v_ffbh_u32_e32 v20, v1
	v_min_u32_e32 v22, 32, v20
	v_subrev_u32_e32 v20, 28, v22
	v_lshlrev_b64 v[20:21], v20, v[4:5]
	v_lshrrev_b32_e32 v19, 3, v18
	v_sub_u32_e32 v21, 29, v22
	v_cmp_gt_u32_e64 s[0:1], 8, v18
	v_lshlrev_b32_e32 v4, 8, v4
	s_nop 0
	v_cndmask_b32_e64 v18, v19, v21, s[0:1]
	v_lshl_add_u32 v18, v18, 10, v30
	v_and_b32_e32 v19, 7, v20
	v_and_or_b32 v4, v4, s28, v18
	v_cndmask_b32_e64 v1, v1, v19, s[0:1]
	v_lshlrev_b32_e32 v4, 16, v4
	v_lshl_or_b32 v1, v1, 23, v4
.LBB249_342:                            ;   in Loop: Header=BB249_232 Depth=1
	s_or_b64 exec, exec, s[18:19]
.LBB249_343:                            ;   in Loop: Header=BB249_232 Depth=1
	s_or_b64 exec, exec, s[16:17]
.LBB249_344:                            ;   in Loop: Header=BB249_232 Depth=1
	s_or_b64 exec, exec, s[12:13]
	v_lshrrev_b32_e32 v4, 16, v16
	v_cmp_ne_u16_sdwa s[0:1], v4, v5 src0_sel:BYTE_0 src1_sel:DWORD
	v_mov_b32_e32 v19, 0
	v_mov_b32_e32 v18, 0
	s_and_saveexec_b64 s[12:13], s[0:1]
	s_cbranch_execz .LBB249_350
; %bb.345:                              ;   in Loop: Header=BB249_232 Depth=1
	v_cmp_ne_u16_sdwa s[0:1], v4, s26 src0_sel:BYTE_0 src1_sel:DWORD
	v_mov_b32_e32 v18, 0x8000
	s_and_saveexec_b64 s[16:17], s[0:1]
	s_cbranch_execz .LBB249_349
; %bb.346:                              ;   in Loop: Header=BB249_232 Depth=1
	v_bfe_u32 v20, v16, 16, 7
	v_cmp_ne_u32_e64 s[0:1], s27, v20
	v_mov_b32_e32 v18, 0x7c01
	s_and_saveexec_b64 s[18:19], s[0:1]
	s_cbranch_execz .LBB249_348
; %bb.347:                              ;   in Loop: Header=BB249_232 Depth=1
	v_and_b32_e32 v18, 7, v4
	v_ffbh_u32_e32 v22, v18
	v_min_u32_e32 v46, 32, v22
	v_subrev_u32_e32 v22, 28, v46
	v_lshlrev_b64 v[22:23], v22, v[4:5]
	v_lshrrev_b32_e32 v21, 3, v20
	v_sub_u32_e32 v23, 29, v46
	v_cmp_gt_u32_e64 s[0:1], 8, v20
	v_lshlrev_b32_e32 v4, 8, v4
	s_nop 0
	v_cndmask_b32_e64 v20, v21, v23, s[0:1]
	v_lshl_add_u32 v20, v20, 10, v30
	v_and_b32_e32 v21, 7, v22
	v_and_b32_e32 v20, 0xfc00, v20
	v_cndmask_b32_e64 v18, v18, v21, s[0:1]
	v_and_or_b32 v4, v4, s28, v20
	v_lshl_or_b32 v18, v18, 7, v4
.LBB249_348:                            ;   in Loop: Header=BB249_232 Depth=1
	s_or_b64 exec, exec, s[18:19]
.LBB249_349:                            ;   in Loop: Header=BB249_232 Depth=1
	s_or_b64 exec, exec, s[16:17]
.LBB249_350:                            ;   in Loop: Header=BB249_232 Depth=1
	s_or_b64 exec, exec, s[12:13]
	v_cmp_lt_u32_e64 s[0:1], s3, v16
	s_and_saveexec_b64 s[12:13], s[0:1]
	s_cbranch_execz .LBB249_356
; %bb.351:                              ;   in Loop: Header=BB249_232 Depth=1
	v_lshrrev_b32_e32 v4, 24, v16
	v_cmp_ne_u32_e64 s[0:1], s26, v4
	v_bfrev_b32_e32 v19, 1
	s_and_saveexec_b64 s[16:17], s[0:1]
	s_cbranch_execz .LBB249_355
; %bb.352:                              ;   in Loop: Header=BB249_232 Depth=1
	v_and_b32_e32 v20, 0x7f, v4
	v_cmp_ne_u32_e64 s[0:1], s27, v20
	v_mov_b32_e32 v19, 0x7c010000
	s_and_saveexec_b64 s[18:19], s[0:1]
	s_cbranch_execz .LBB249_354
; %bb.353:                              ;   in Loop: Header=BB249_232 Depth=1
	v_and_b32_e32 v19, 7, v4
	v_ffbh_u32_e32 v22, v19
	v_min_u32_e32 v46, 32, v22
	v_subrev_u32_e32 v22, 28, v46
	v_lshlrev_b64 v[22:23], v22, v[4:5]
	v_lshrrev_b32_e32 v21, 3, v20
	v_sub_u32_e32 v23, 29, v46
	v_cmp_gt_u32_e64 s[0:1], 8, v20
	v_lshlrev_b32_e32 v4, 8, v4
	s_nop 0
	v_cndmask_b32_e64 v20, v21, v23, s[0:1]
	v_lshl_add_u32 v20, v20, 10, v30
	v_and_b32_e32 v21, 7, v22
	v_and_or_b32 v4, v4, s28, v20
	v_cndmask_b32_e64 v19, v19, v21, s[0:1]
	v_lshlrev_b32_e32 v4, 16, v4
	v_lshl_or_b32 v19, v19, 23, v4
.LBB249_354:                            ;   in Loop: Header=BB249_232 Depth=1
	s_or_b64 exec, exec, s[18:19]
.LBB249_355:                            ;   in Loop: Header=BB249_232 Depth=1
	s_or_b64 exec, exec, s[16:17]
.LBB249_356:                            ;   in Loop: Header=BB249_232 Depth=1
	s_or_b64 exec, exec, s[12:13]
	v_mov_b32_e32 v4, v17
	v_cmp_ne_u16_sdwa s[0:1], v17, v5 src0_sel:BYTE_0 src1_sel:DWORD
	v_mov_b32_e32 v20, 0
	v_mov_b32_e32 v21, 0
	s_and_saveexec_b64 s[12:13], s[0:1]
	s_cbranch_execz .LBB249_362
; %bb.357:                              ;   in Loop: Header=BB249_232 Depth=1
	v_cmp_ne_u16_sdwa s[0:1], v17, s26 src0_sel:BYTE_0 src1_sel:DWORD
	v_mov_b32_e32 v21, 0x8000
	s_and_saveexec_b64 s[16:17], s[0:1]
	s_cbranch_execz .LBB249_361
; %bb.358:                              ;   in Loop: Header=BB249_232 Depth=1
	v_and_b32_e32 v22, 0x7f, v17
	v_cmp_ne_u32_e64 s[0:1], s27, v22
	v_mov_b32_e32 v21, 0x7c01
	s_and_saveexec_b64 s[18:19], s[0:1]
	s_cbranch_execz .LBB249_360
; %bb.359:                              ;   in Loop: Header=BB249_232 Depth=1
	v_and_b32_e32 v21, 7, v17
	v_ffbh_u32_e32 v46, v21
	v_min_u32_e32 v48, 32, v46
	v_subrev_u32_e32 v46, 28, v48
	v_lshlrev_b64 v[46:47], v46, v[4:5]
	v_lshrrev_b32_e32 v23, 3, v22
	v_sub_u32_e32 v47, 29, v48
	v_cmp_gt_u32_e64 s[0:1], 8, v22
	v_and_b32_e32 v46, 7, v46
	s_nop 0
	v_cndmask_b32_e64 v22, v23, v47, s[0:1]
	v_lshl_add_u32 v22, v22, 10, v30
	v_lshlrev_b32_e32 v23, 8, v17
	v_and_b32_e32 v22, 0xfc00, v22
	v_cndmask_b32_e64 v21, v21, v46, s[0:1]
	v_and_or_b32 v22, v23, s28, v22
	v_lshl_or_b32 v21, v21, 7, v22
.LBB249_360:                            ;   in Loop: Header=BB249_232 Depth=1
	s_or_b64 exec, exec, s[18:19]
.LBB249_361:                            ;   in Loop: Header=BB249_232 Depth=1
	s_or_b64 exec, exec, s[16:17]
.LBB249_362:                            ;   in Loop: Header=BB249_232 Depth=1
	s_or_b64 exec, exec, s[12:13]
	v_lshrrev_b16_e32 v4, 8, v4
	v_cmp_ne_u16_e64 s[0:1], 0, v4
	v_mov_b32_e32 v22, 0
	s_and_saveexec_b64 s[12:13], s[0:1]
	s_cbranch_execz .LBB249_368
; %bb.363:                              ;   in Loop: Header=BB249_232 Depth=1
	v_cmp_ne_u16_e64 s[0:1], s26, v4
	v_bfrev_b32_e32 v22, 1
	s_and_saveexec_b64 s[16:17], s[0:1]
	s_cbranch_execz .LBB249_367
; %bb.364:                              ;   in Loop: Header=BB249_232 Depth=1
	v_and_b32_e32 v23, 0x7f, v4
	v_cmp_ne_u32_e64 s[0:1], s27, v23
	v_mov_b32_e32 v22, 0x7c010000
	s_and_saveexec_b64 s[18:19], s[0:1]
	s_cbranch_execz .LBB249_366
; %bb.365:                              ;   in Loop: Header=BB249_232 Depth=1
	v_and_b32_e32 v22, 7, v4
	v_ffbh_u32_e32 v46, v22
	v_min_u32_e32 v49, 32, v46
	v_subrev_u32_e32 v46, 28, v49
	v_lshlrev_b64 v[46:47], v46, v[4:5]
	v_lshrrev_b32_e32 v48, 3, v23
	v_sub_u32_e32 v47, 29, v49
	v_cmp_gt_u32_e64 s[0:1], 8, v23
	v_lshlrev_b32_e32 v4, 8, v4
	v_and_b32_e32 v46, 7, v46
	v_cndmask_b32_e64 v23, v48, v47, s[0:1]
	v_lshl_add_u32 v23, v23, 10, v30
	v_and_or_b32 v4, v4, s28, v23
	v_cndmask_b32_e64 v22, v22, v46, s[0:1]
	v_lshlrev_b32_e32 v4, 16, v4
	v_lshl_or_b32 v22, v22, 23, v4
.LBB249_366:                            ;   in Loop: Header=BB249_232 Depth=1
	s_or_b64 exec, exec, s[18:19]
.LBB249_367:                            ;   in Loop: Header=BB249_232 Depth=1
	s_or_b64 exec, exec, s[16:17]
.LBB249_368:                            ;   in Loop: Header=BB249_232 Depth=1
	s_or_b64 exec, exec, s[12:13]
	v_lshrrev_b32_e32 v4, 16, v17
	v_cmp_ne_u16_sdwa s[0:1], v4, v5 src0_sel:BYTE_0 src1_sel:DWORD
	s_and_saveexec_b64 s[12:13], s[0:1]
	s_cbranch_execz .LBB249_374
; %bb.369:                              ;   in Loop: Header=BB249_232 Depth=1
	v_cmp_ne_u16_sdwa s[0:1], v4, s26 src0_sel:BYTE_0 src1_sel:DWORD
	v_mov_b32_e32 v20, 0x8000
	s_and_saveexec_b64 s[16:17], s[0:1]
	s_cbranch_execz .LBB249_373
; %bb.370:                              ;   in Loop: Header=BB249_232 Depth=1
	v_bfe_u32 v23, v17, 16, 7
	v_cmp_ne_u32_e64 s[0:1], s27, v23
	v_mov_b32_e32 v20, 0x7c01
	s_and_saveexec_b64 s[18:19], s[0:1]
	s_cbranch_execz .LBB249_372
; %bb.371:                              ;   in Loop: Header=BB249_232 Depth=1
	v_and_b32_e32 v20, 7, v4
	v_ffbh_u32_e32 v46, v20
	v_min_u32_e32 v49, 32, v46
	v_subrev_u32_e32 v46, 28, v49
	v_lshlrev_b64 v[46:47], v46, v[4:5]
	v_lshrrev_b32_e32 v48, 3, v23
	v_sub_u32_e32 v47, 29, v49
	v_cmp_gt_u32_e64 s[0:1], 8, v23
	v_lshlrev_b32_e32 v4, 8, v4
	v_and_b32_e32 v46, 7, v46
	v_cndmask_b32_e64 v23, v48, v47, s[0:1]
	v_lshl_add_u32 v23, v23, 10, v30
	v_and_b32_e32 v23, 0xfc00, v23
	v_cndmask_b32_e64 v20, v20, v46, s[0:1]
	v_and_or_b32 v4, v4, s28, v23
	v_lshl_or_b32 v20, v20, 7, v4
.LBB249_372:                            ;   in Loop: Header=BB249_232 Depth=1
	s_or_b64 exec, exec, s[18:19]
.LBB249_373:                            ;   in Loop: Header=BB249_232 Depth=1
	s_or_b64 exec, exec, s[16:17]
.LBB249_374:                            ;   in Loop: Header=BB249_232 Depth=1
	s_or_b64 exec, exec, s[12:13]
	v_cmp_lt_u64_e64 s[0:1], s[2:3], v[16:17]
	v_mov_b32_e32 v16, 0
	s_and_saveexec_b64 s[12:13], s[0:1]
	s_cbranch_execz .LBB249_380
; %bb.375:                              ;   in Loop: Header=BB249_232 Depth=1
	v_lshrrev_b32_e32 v4, 24, v17
	v_cmp_ne_u32_e64 s[0:1], s26, v4
	v_bfrev_b32_e32 v16, 1
	s_and_saveexec_b64 s[16:17], s[0:1]
	s_cbranch_execz .LBB249_379
; %bb.376:                              ;   in Loop: Header=BB249_232 Depth=1
	v_and_b32_e32 v17, 0x7f, v4
	v_cmp_ne_u32_e64 s[0:1], s27, v17
	v_mov_b32_e32 v16, 0x7c010000
	s_and_saveexec_b64 s[18:19], s[0:1]
	s_cbranch_execz .LBB249_378
; %bb.377:                              ;   in Loop: Header=BB249_232 Depth=1
	v_and_b32_e32 v16, 7, v4
	v_ffbh_u32_e32 v46, v16
	v_min_u32_e32 v48, 32, v46
	v_subrev_u32_e32 v46, 28, v48
	v_lshlrev_b64 v[46:47], v46, v[4:5]
	v_lshrrev_b32_e32 v23, 3, v17
	v_sub_u32_e32 v47, 29, v48
	v_cmp_gt_u32_e64 s[0:1], 8, v17
	v_lshlrev_b32_e32 v4, 8, v4
	s_nop 0
	v_cndmask_b32_e64 v17, v23, v47, s[0:1]
	v_lshl_add_u32 v17, v17, 10, v30
	v_and_b32_e32 v23, 7, v46
	v_and_or_b32 v4, v4, s28, v17
	v_cndmask_b32_e64 v16, v16, v23, s[0:1]
	v_lshlrev_b32_e32 v4, 16, v4
	v_lshl_or_b32 v16, v16, 23, v4
.LBB249_378:                            ;   in Loop: Header=BB249_232 Depth=1
	s_or_b64 exec, exec, s[18:19]
.LBB249_379:                            ;   in Loop: Header=BB249_232 Depth=1
	s_or_b64 exec, exec, s[16:17]
.LBB249_380:                            ;   in Loop: Header=BB249_232 Depth=1
	s_or_b64 exec, exec, s[12:13]
	v_cvt_f32_f16_sdwa v47, v1 dst_sel:DWORD dst_unused:UNUSED_PAD src0_sel:WORD_1
	v_cvt_f32_f16_sdwa v46, v19 dst_sel:DWORD dst_unused:UNUSED_PAD src0_sel:WORD_1
	v_or_b32_e32 v1, v1, v15
	v_or_b32_e32 v4, v19, v18
	;; [unrolled: 1-line block ×3, first 2 shown]
	s_waitcnt vmcnt(0)
	v_pk_mul_f32 v[18:19], v[14:15], v[46:47] op_sel_hi:[0,1]
	v_cvt_f32_f16_e32 v46, v4
	v_cvt_f32_f16_e32 v47, v1
	v_cvt_pk_f16_f32 v1, v18, v19
	v_and_b32_e32 v15, 0xffff0000, v1
	v_lshlrev_b32_e32 v4, 16, v1
	v_pk_mul_f32 v[18:19], v[14:15], v[46:47] op_sel_hi:[0,1]
	v_cvt_pk_f16_f32 v1, v18, v19
	v_or_b32_e32 v19, v22, v21
	v_cvt_f32_f16_e32 v20, v20
	v_cvt_f32_f16_e32 v21, v19
	v_cvt_f32_f16_sdwa v23, v22 dst_sel:DWORD dst_unused:UNUSED_PAD src0_sel:WORD_1
	v_cvt_f32_f16_sdwa v22, v16 dst_sel:DWORD dst_unused:UNUSED_PAD src0_sel:WORD_1
	v_lshrrev_b32_e32 v17, 16, v1
	v_pk_mul_f32 v[20:21], v[14:15], v[20:21] op_sel_hi:[0,1]
	v_cvt_pk_f16_f32 v46, v20, v21
	v_pk_mul_f32 v[20:21], v[14:15], v[22:23] op_sel_hi:[0,1]
	v_cvt_pk_f16_f32 v14, v20, v21
	v_and_b32_e32 v18, 0xffff, v1
	v_and_b32_e32 v19, 0xffff0000, v14
	v_lshlrev_b32_e32 v14, 16, v14
	v_lshrrev_b32_e32 v21, 16, v46
	v_and_b32_e32 v20, 0xffff, v46
	v_or_b32_e32 v1, v15, v17
	v_or_b32_e32 v16, v4, v18
	;; [unrolled: 1-line block ×4, first 2 shown]
	s_and_saveexec_b64 s[12:13], vcc
	s_cbranch_execz .LBB249_382
; %bb.381:                              ;   in Loop: Header=BB249_232 Depth=1
	v_cmp_gt_i32_e64 s[0:1], s31, v28
	s_nop 1
	v_cndmask_b32_e64 v1, 0, v17, s[0:1]
	v_cmp_gt_i32_e64 s[0:1], s33, v37
	s_nop 1
	v_cndmask_b32_e64 v16, 0, v18, s[0:1]
	;; [unrolled: 3-line block ×3, first 2 shown]
	v_cmp_gt_i32_e64 s[0:1], s33, v35
	v_or_b32_e32 v1, v15, v1
	s_nop 0
	v_cndmask_b32_e64 v4, 0, v4, s[0:1]
	v_cmp_gt_i32_e64 s[0:1], s31, v34
	v_or_b32_e32 v16, v4, v16
	s_nop 0
	v_cndmask_b32_e64 v4, 0, v21, s[0:1]
	v_cmp_gt_i32_e64 s[0:1], s33, v33
	s_nop 1
	v_cndmask_b32_e64 v15, 0, v20, s[0:1]
	v_cmp_gt_i32_e64 s[0:1], s31, v32
	;; [unrolled: 3-line block ×3, first 2 shown]
	v_or_b32_e32 v23, v17, v4
	s_nop 0
	v_cndmask_b32_e64 v14, 0, v14, s[0:1]
	v_or_b32_e32 v22, v14, v15
.LBB249_382:                            ;   in Loop: Header=BB249_232 Depth=1
	s_or_b64 exec, exec, s[12:13]
	;;#ASMSTART
	v_pk_mul_f16 v1, v41, v1;

	;;#ASMEND
	;;#ASMSTART
	v_pk_mul_f16 v4, v40, v16;

	;;#ASMEND
	;; [unrolled: 4-line block ×4, first 2 shown]
	s_nop 0
	;;#ASMSTART
	v_pk_add_f16 v1, v1, v4;

	;;#ASMEND
	s_nop 0
	;;#ASMSTART
	v_pk_add_f16 v1, v1, v14;

	;;#ASMEND
	;; [unrolled: 5-line block ×3, first 2 shown]
	s_nop 0
	v_lshrrev_b32_e32 v4, 16, v1
	v_and_b32_e32 v1, 0xffff, v1
	;;#ASMSTART
	v_cvt_f32_f16 v22, v1;
	;;#ASMEND
	;;#ASMSTART
	v_cvt_f32_f16 v23, v4;
	;;#ASMEND
	global_load_dwordx2 v[14:15], v[12:13], off offset:1536
	v_mov_b32_e32 v1, 0
	global_load_dword v12, v1, s[14:15]
	v_mov_b32_e32 v13, 0
	s_waitcnt vmcnt(1)
	v_cmp_ne_u16_sdwa s[0:1], v14, v5 src0_sel:BYTE_0 src1_sel:DWORD
	s_and_saveexec_b64 s[12:13], s[0:1]
	s_cbranch_execz .LBB249_388
; %bb.383:                              ;   in Loop: Header=BB249_232 Depth=1
	v_cmp_ne_u16_sdwa s[0:1], v14, s26 src0_sel:BYTE_0 src1_sel:DWORD
	v_mov_b32_e32 v13, 0x8000
	s_and_saveexec_b64 s[16:17], s[0:1]
	s_cbranch_execz .LBB249_387
; %bb.384:                              ;   in Loop: Header=BB249_232 Depth=1
	v_and_b32_e32 v4, 0x7f, v14
	v_cmp_ne_u32_e64 s[0:1], s27, v4
	v_mov_b32_e32 v13, 0x7c01
	s_and_saveexec_b64 s[18:19], s[0:1]
	s_cbranch_execz .LBB249_386
; %bb.385:                              ;   in Loop: Header=BB249_232 Depth=1
	v_and_b32_e32 v13, 7, v14
	v_ffbh_u32_e32 v16, v13
	v_min_u32_e32 v19, 32, v16
	v_subrev_u32_e32 v16, 28, v19
	v_lshlrev_b64 v[16:17], v16, v[14:15]
	v_lshrrev_b32_e32 v18, 3, v4
	v_sub_u32_e32 v17, 29, v19
	v_cmp_gt_u32_e64 s[0:1], 8, v4
	v_and_b32_e32 v16, 7, v16
	s_nop 0
	v_cndmask_b32_e64 v4, v18, v17, s[0:1]
	v_lshl_add_u32 v4, v4, 10, v30
	v_lshlrev_b32_e32 v17, 8, v14
	v_and_b32_e32 v4, 0xfc00, v4
	v_cndmask_b32_e64 v13, v13, v16, s[0:1]
	v_and_or_b32 v4, v17, s28, v4
	v_lshl_or_b32 v13, v13, 7, v4
.LBB249_386:                            ;   in Loop: Header=BB249_232 Depth=1
	s_or_b64 exec, exec, s[18:19]
.LBB249_387:                            ;   in Loop: Header=BB249_232 Depth=1
	s_or_b64 exec, exec, s[16:17]
.LBB249_388:                            ;   in Loop: Header=BB249_232 Depth=1
	s_or_b64 exec, exec, s[12:13]
	v_lshrrev_b16_e32 v4, 8, v14
	v_cmp_ne_u16_e64 s[0:1], 0, v4
	s_and_saveexec_b64 s[12:13], s[0:1]
	s_cbranch_execz .LBB249_394
; %bb.389:                              ;   in Loop: Header=BB249_232 Depth=1
	v_cmp_ne_u16_e64 s[0:1], s26, v4
	v_bfrev_b32_e32 v1, 1
	s_and_saveexec_b64 s[16:17], s[0:1]
	s_cbranch_execz .LBB249_393
; %bb.390:                              ;   in Loop: Header=BB249_232 Depth=1
	v_and_b32_e32 v16, 0x7f, v4
	v_cmp_ne_u32_e64 s[0:1], s27, v16
	v_mov_b32_e32 v1, 0x7c010000
	s_and_saveexec_b64 s[18:19], s[0:1]
	s_cbranch_execz .LBB249_392
; %bb.391:                              ;   in Loop: Header=BB249_232 Depth=1
	v_and_b32_e32 v1, 7, v4
	v_ffbh_u32_e32 v18, v1
	v_min_u32_e32 v20, 32, v18
	v_subrev_u32_e32 v18, 28, v20
	v_lshlrev_b64 v[18:19], v18, v[4:5]
	v_lshrrev_b32_e32 v17, 3, v16
	v_sub_u32_e32 v19, 29, v20
	v_cmp_gt_u32_e64 s[0:1], 8, v16
	v_lshlrev_b32_e32 v4, 8, v4
	s_nop 0
	v_cndmask_b32_e64 v16, v17, v19, s[0:1]
	v_lshl_add_u32 v16, v16, 10, v30
	v_and_b32_e32 v17, 7, v18
	v_and_or_b32 v4, v4, s28, v16
	v_cndmask_b32_e64 v1, v1, v17, s[0:1]
	v_lshlrev_b32_e32 v4, 16, v4
	v_lshl_or_b32 v1, v1, 23, v4
.LBB249_392:                            ;   in Loop: Header=BB249_232 Depth=1
	s_or_b64 exec, exec, s[18:19]
.LBB249_393:                            ;   in Loop: Header=BB249_232 Depth=1
	s_or_b64 exec, exec, s[16:17]
.LBB249_394:                            ;   in Loop: Header=BB249_232 Depth=1
	s_or_b64 exec, exec, s[12:13]
	v_lshrrev_b32_e32 v4, 16, v14
	v_cmp_ne_u16_sdwa s[0:1], v4, v5 src0_sel:BYTE_0 src1_sel:DWORD
	v_mov_b32_e32 v17, 0
	v_mov_b32_e32 v16, 0
	s_and_saveexec_b64 s[12:13], s[0:1]
	s_cbranch_execz .LBB249_400
; %bb.395:                              ;   in Loop: Header=BB249_232 Depth=1
	v_cmp_ne_u16_sdwa s[0:1], v4, s26 src0_sel:BYTE_0 src1_sel:DWORD
	v_mov_b32_e32 v16, 0x8000
	s_and_saveexec_b64 s[16:17], s[0:1]
	s_cbranch_execz .LBB249_399
; %bb.396:                              ;   in Loop: Header=BB249_232 Depth=1
	v_bfe_u32 v18, v14, 16, 7
	v_cmp_ne_u32_e64 s[0:1], s27, v18
	v_mov_b32_e32 v16, 0x7c01
	s_and_saveexec_b64 s[18:19], s[0:1]
	s_cbranch_execz .LBB249_398
; %bb.397:                              ;   in Loop: Header=BB249_232 Depth=1
	v_and_b32_e32 v16, 7, v4
	v_ffbh_u32_e32 v20, v16
	v_min_u32_e32 v46, 32, v20
	v_subrev_u32_e32 v20, 28, v46
	v_lshlrev_b64 v[20:21], v20, v[4:5]
	v_lshrrev_b32_e32 v19, 3, v18
	v_sub_u32_e32 v21, 29, v46
	v_cmp_gt_u32_e64 s[0:1], 8, v18
	v_lshlrev_b32_e32 v4, 8, v4
	s_nop 0
	v_cndmask_b32_e64 v18, v19, v21, s[0:1]
	v_lshl_add_u32 v18, v18, 10, v30
	v_and_b32_e32 v19, 7, v20
	v_and_b32_e32 v18, 0xfc00, v18
	v_cndmask_b32_e64 v16, v16, v19, s[0:1]
	v_and_or_b32 v4, v4, s28, v18
	v_lshl_or_b32 v16, v16, 7, v4
.LBB249_398:                            ;   in Loop: Header=BB249_232 Depth=1
	s_or_b64 exec, exec, s[18:19]
.LBB249_399:                            ;   in Loop: Header=BB249_232 Depth=1
	s_or_b64 exec, exec, s[16:17]
.LBB249_400:                            ;   in Loop: Header=BB249_232 Depth=1
	s_or_b64 exec, exec, s[12:13]
	v_cmp_lt_u32_e64 s[0:1], s3, v14
	s_and_saveexec_b64 s[12:13], s[0:1]
	s_cbranch_execz .LBB249_406
; %bb.401:                              ;   in Loop: Header=BB249_232 Depth=1
	v_lshrrev_b32_e32 v4, 24, v14
	v_cmp_ne_u32_e64 s[0:1], s26, v4
	v_bfrev_b32_e32 v17, 1
	s_and_saveexec_b64 s[16:17], s[0:1]
	s_cbranch_execz .LBB249_405
; %bb.402:                              ;   in Loop: Header=BB249_232 Depth=1
	v_and_b32_e32 v18, 0x7f, v4
	v_cmp_ne_u32_e64 s[0:1], s27, v18
	v_mov_b32_e32 v17, 0x7c010000
	s_and_saveexec_b64 s[18:19], s[0:1]
	s_cbranch_execz .LBB249_404
; %bb.403:                              ;   in Loop: Header=BB249_232 Depth=1
	v_and_b32_e32 v17, 7, v4
	v_ffbh_u32_e32 v20, v17
	v_min_u32_e32 v46, 32, v20
	v_subrev_u32_e32 v20, 28, v46
	v_lshlrev_b64 v[20:21], v20, v[4:5]
	v_lshrrev_b32_e32 v19, 3, v18
	v_sub_u32_e32 v21, 29, v46
	v_cmp_gt_u32_e64 s[0:1], 8, v18
	v_lshlrev_b32_e32 v4, 8, v4
	s_nop 0
	v_cndmask_b32_e64 v18, v19, v21, s[0:1]
	v_lshl_add_u32 v18, v18, 10, v30
	v_and_b32_e32 v19, 7, v20
	v_and_or_b32 v4, v4, s28, v18
	v_cndmask_b32_e64 v17, v17, v19, s[0:1]
	v_lshlrev_b32_e32 v4, 16, v4
	v_lshl_or_b32 v17, v17, 23, v4
.LBB249_404:                            ;   in Loop: Header=BB249_232 Depth=1
	s_or_b64 exec, exec, s[18:19]
.LBB249_405:                            ;   in Loop: Header=BB249_232 Depth=1
	s_or_b64 exec, exec, s[16:17]
.LBB249_406:                            ;   in Loop: Header=BB249_232 Depth=1
	s_or_b64 exec, exec, s[12:13]
	v_mov_b32_e32 v4, v15
	v_cmp_ne_u16_sdwa s[0:1], v15, v5 src0_sel:BYTE_0 src1_sel:DWORD
	v_mov_b32_e32 v18, 0
	v_mov_b32_e32 v19, 0
	s_and_saveexec_b64 s[12:13], s[0:1]
	s_cbranch_execz .LBB249_412
; %bb.407:                              ;   in Loop: Header=BB249_232 Depth=1
	v_cmp_ne_u16_sdwa s[0:1], v15, s26 src0_sel:BYTE_0 src1_sel:DWORD
	v_mov_b32_e32 v19, 0x8000
	s_and_saveexec_b64 s[16:17], s[0:1]
	s_cbranch_execz .LBB249_411
; %bb.408:                              ;   in Loop: Header=BB249_232 Depth=1
	v_and_b32_e32 v20, 0x7f, v15
	v_cmp_ne_u32_e64 s[0:1], s27, v20
	v_mov_b32_e32 v19, 0x7c01
	s_and_saveexec_b64 s[18:19], s[0:1]
	s_cbranch_execz .LBB249_410
; %bb.409:                              ;   in Loop: Header=BB249_232 Depth=1
	v_and_b32_e32 v19, 7, v15
	v_ffbh_u32_e32 v46, v19
	v_min_u32_e32 v48, 32, v46
	v_subrev_u32_e32 v46, 28, v48
	v_lshlrev_b64 v[46:47], v46, v[4:5]
	v_lshrrev_b32_e32 v21, 3, v20
	v_sub_u32_e32 v47, 29, v48
	v_cmp_gt_u32_e64 s[0:1], 8, v20
	v_and_b32_e32 v46, 7, v46
	s_nop 0
	v_cndmask_b32_e64 v20, v21, v47, s[0:1]
	v_lshl_add_u32 v20, v20, 10, v30
	v_lshlrev_b32_e32 v21, 8, v15
	v_and_b32_e32 v20, 0xfc00, v20
	v_cndmask_b32_e64 v19, v19, v46, s[0:1]
	v_and_or_b32 v20, v21, s28, v20
	v_lshl_or_b32 v19, v19, 7, v20
.LBB249_410:                            ;   in Loop: Header=BB249_232 Depth=1
	s_or_b64 exec, exec, s[18:19]
.LBB249_411:                            ;   in Loop: Header=BB249_232 Depth=1
	s_or_b64 exec, exec, s[16:17]
.LBB249_412:                            ;   in Loop: Header=BB249_232 Depth=1
	s_or_b64 exec, exec, s[12:13]
	v_lshrrev_b16_e32 v4, 8, v4
	v_cmp_ne_u16_e64 s[0:1], 0, v4
	v_mov_b32_e32 v20, 0
	s_and_saveexec_b64 s[12:13], s[0:1]
	s_cbranch_execz .LBB249_418
; %bb.413:                              ;   in Loop: Header=BB249_232 Depth=1
	v_cmp_ne_u16_e64 s[0:1], s26, v4
	v_bfrev_b32_e32 v20, 1
	s_and_saveexec_b64 s[16:17], s[0:1]
	s_cbranch_execz .LBB249_417
; %bb.414:                              ;   in Loop: Header=BB249_232 Depth=1
	v_and_b32_e32 v21, 0x7f, v4
	v_cmp_ne_u32_e64 s[0:1], s27, v21
	v_mov_b32_e32 v20, 0x7c010000
	s_and_saveexec_b64 s[18:19], s[0:1]
	s_cbranch_execz .LBB249_416
; %bb.415:                              ;   in Loop: Header=BB249_232 Depth=1
	v_and_b32_e32 v20, 7, v4
	v_ffbh_u32_e32 v46, v20
	v_min_u32_e32 v49, 32, v46
	v_subrev_u32_e32 v46, 28, v49
	v_lshlrev_b64 v[46:47], v46, v[4:5]
	v_lshrrev_b32_e32 v48, 3, v21
	v_sub_u32_e32 v47, 29, v49
	v_cmp_gt_u32_e64 s[0:1], 8, v21
	v_lshlrev_b32_e32 v4, 8, v4
	v_and_b32_e32 v46, 7, v46
	v_cndmask_b32_e64 v21, v48, v47, s[0:1]
	v_lshl_add_u32 v21, v21, 10, v30
	v_and_or_b32 v4, v4, s28, v21
	v_cndmask_b32_e64 v20, v20, v46, s[0:1]
	v_lshlrev_b32_e32 v4, 16, v4
	v_lshl_or_b32 v20, v20, 23, v4
.LBB249_416:                            ;   in Loop: Header=BB249_232 Depth=1
	s_or_b64 exec, exec, s[18:19]
.LBB249_417:                            ;   in Loop: Header=BB249_232 Depth=1
	s_or_b64 exec, exec, s[16:17]
.LBB249_418:                            ;   in Loop: Header=BB249_232 Depth=1
	s_or_b64 exec, exec, s[12:13]
	v_lshrrev_b32_e32 v4, 16, v15
	v_cmp_ne_u16_sdwa s[0:1], v4, v5 src0_sel:BYTE_0 src1_sel:DWORD
	s_and_saveexec_b64 s[12:13], s[0:1]
	s_cbranch_execz .LBB249_424
; %bb.419:                              ;   in Loop: Header=BB249_232 Depth=1
	v_cmp_ne_u16_sdwa s[0:1], v4, s26 src0_sel:BYTE_0 src1_sel:DWORD
	v_mov_b32_e32 v18, 0x8000
	s_and_saveexec_b64 s[16:17], s[0:1]
	s_cbranch_execz .LBB249_423
; %bb.420:                              ;   in Loop: Header=BB249_232 Depth=1
	v_bfe_u32 v21, v15, 16, 7
	v_cmp_ne_u32_e64 s[0:1], s27, v21
	v_mov_b32_e32 v18, 0x7c01
	s_and_saveexec_b64 s[18:19], s[0:1]
	s_cbranch_execz .LBB249_422
; %bb.421:                              ;   in Loop: Header=BB249_232 Depth=1
	v_and_b32_e32 v18, 7, v4
	v_ffbh_u32_e32 v46, v18
	v_min_u32_e32 v49, 32, v46
	v_subrev_u32_e32 v46, 28, v49
	v_lshlrev_b64 v[46:47], v46, v[4:5]
	v_lshrrev_b32_e32 v48, 3, v21
	v_sub_u32_e32 v47, 29, v49
	v_cmp_gt_u32_e64 s[0:1], 8, v21
	v_lshlrev_b32_e32 v4, 8, v4
	v_and_b32_e32 v46, 7, v46
	v_cndmask_b32_e64 v21, v48, v47, s[0:1]
	v_lshl_add_u32 v21, v21, 10, v30
	v_and_b32_e32 v21, 0xfc00, v21
	v_cndmask_b32_e64 v18, v18, v46, s[0:1]
	v_and_or_b32 v4, v4, s28, v21
	v_lshl_or_b32 v18, v18, 7, v4
.LBB249_422:                            ;   in Loop: Header=BB249_232 Depth=1
	s_or_b64 exec, exec, s[18:19]
.LBB249_423:                            ;   in Loop: Header=BB249_232 Depth=1
	s_or_b64 exec, exec, s[16:17]
.LBB249_424:                            ;   in Loop: Header=BB249_232 Depth=1
	s_or_b64 exec, exec, s[12:13]
	v_cmp_lt_u64_e64 s[0:1], s[2:3], v[14:15]
	v_mov_b32_e32 v21, 0
	s_and_saveexec_b64 s[12:13], s[0:1]
	s_cbranch_execz .LBB249_430
; %bb.425:                              ;   in Loop: Header=BB249_232 Depth=1
	v_lshrrev_b32_e32 v4, 24, v15
	v_cmp_ne_u32_e64 s[0:1], s26, v4
	v_bfrev_b32_e32 v21, 1
	s_and_saveexec_b64 s[16:17], s[0:1]
	s_cbranch_execz .LBB249_429
; %bb.426:                              ;   in Loop: Header=BB249_232 Depth=1
	v_and_b32_e32 v14, 0x7f, v4
	v_cmp_ne_u32_e64 s[0:1], s27, v14
	v_mov_b32_e32 v21, 0x7c010000
	s_and_saveexec_b64 s[18:19], s[0:1]
	s_cbranch_execz .LBB249_428
; %bb.427:                              ;   in Loop: Header=BB249_232 Depth=1
	v_and_b32_e32 v15, 7, v4
	v_ffbh_u32_e32 v46, v15
	v_min_u32_e32 v48, 32, v46
	v_subrev_u32_e32 v46, 28, v48
	v_lshlrev_b64 v[46:47], v46, v[4:5]
	v_lshrrev_b32_e32 v21, 3, v14
	v_sub_u32_e32 v47, 29, v48
	v_cmp_gt_u32_e64 s[0:1], 8, v14
	v_lshlrev_b32_e32 v4, 8, v4
	s_nop 0
	v_cndmask_b32_e64 v14, v21, v47, s[0:1]
	v_lshl_add_u32 v14, v14, 10, v30
	v_and_b32_e32 v21, 7, v46
	v_and_or_b32 v4, v4, s28, v14
	v_cndmask_b32_e64 v15, v15, v21, s[0:1]
	v_lshlrev_b32_e32 v4, 16, v4
	v_lshl_or_b32 v21, v15, 23, v4
.LBB249_428:                            ;   in Loop: Header=BB249_232 Depth=1
	s_or_b64 exec, exec, s[18:19]
.LBB249_429:                            ;   in Loop: Header=BB249_232 Depth=1
	s_or_b64 exec, exec, s[16:17]
.LBB249_430:                            ;   in Loop: Header=BB249_232 Depth=1
	s_or_b64 exec, exec, s[12:13]
	v_cvt_f32_f16_sdwa v15, v1 dst_sel:DWORD dst_unused:UNUSED_PAD src0_sel:WORD_1
	v_cvt_f32_f16_sdwa v14, v17 dst_sel:DWORD dst_unused:UNUSED_PAD src0_sel:WORD_1
	v_or_b32_e32 v1, v1, v13
	v_or_b32_e32 v4, v17, v16
	v_cvt_f32_f16_e32 v16, v4
	v_cvt_f32_f16_e32 v17, v1
	s_waitcnt vmcnt(0)
	v_pk_mul_f32 v[14:15], v[12:13], v[14:15] op_sel_hi:[0,1]
	v_cvt_pk_f16_f32 v1, v14, v15
	v_and_b32_e32 v13, 0xffff0000, v1
	v_pk_mul_f32 v[16:17], v[12:13], v[16:17] op_sel_hi:[0,1]
	v_lshlrev_b32_e32 v14, 16, v1
	v_cvt_pk_f16_f32 v1, v16, v17
	v_or_b32_e32 v4, v20, v19
	v_or_b32_e32 v17, v21, v18
	v_cvt_f32_f16_e32 v18, v17
	v_cvt_f32_f16_e32 v19, v4
	v_cvt_f32_f16_sdwa v47, v20 dst_sel:DWORD dst_unused:UNUSED_PAD src0_sel:WORD_1
	v_cvt_f32_f16_sdwa v46, v21 dst_sel:DWORD dst_unused:UNUSED_PAD src0_sel:WORD_1
	v_lshrrev_b32_e32 v15, 16, v1
	v_pk_mul_f32 v[18:19], v[12:13], v[18:19] op_sel_hi:[0,1]
	v_cvt_pk_f16_f32 v20, v18, v19
	v_pk_mul_f32 v[18:19], v[12:13], v[46:47] op_sel_hi:[0,1]
	v_cvt_pk_f16_f32 v12, v18, v19
	v_and_b32_e32 v16, 0xffff, v1
	v_and_b32_e32 v17, 0xffff0000, v12
	v_lshlrev_b32_e32 v12, 16, v12
	v_lshrrev_b32_e32 v21, 16, v20
	v_and_b32_e32 v20, 0xffff, v20
	v_or_b32_e32 v1, v13, v15
	v_or_b32_e32 v4, v14, v16
	;; [unrolled: 1-line block ×4, first 2 shown]
	s_and_saveexec_b64 s[0:1], vcc
	s_cbranch_execz .LBB249_231
; %bb.431:                              ;   in Loop: Header=BB249_232 Depth=1
	v_cmp_gt_i32_e32 vcc, s31, v28
	s_nop 1
	v_cndmask_b32_e32 v1, 0, v15, vcc
	v_cmp_gt_i32_e32 vcc, s33, v37
	s_nop 1
	v_cndmask_b32_e32 v4, 0, v16, vcc
	;; [unrolled: 3-line block ×3, first 2 shown]
	v_cmp_gt_i32_e32 vcc, s33, v35
	v_or_b32_e32 v1, v13, v1
	s_nop 0
	v_cndmask_b32_e32 v14, 0, v14, vcc
	v_cmp_gt_i32_e32 vcc, s31, v34
	v_or_b32_e32 v4, v14, v4
	s_nop 0
	v_cndmask_b32_e32 v13, 0, v21, vcc
	v_cmp_gt_i32_e32 vcc, s33, v33
	s_nop 1
	v_cndmask_b32_e32 v14, 0, v20, vcc
	v_cmp_gt_i32_e32 vcc, s31, v32
	;; [unrolled: 3-line block ×3, first 2 shown]
	v_or_b32_e32 v19, v15, v13
	s_nop 0
	v_cndmask_b32_e32 v12, 0, v12, vcc
	v_or_b32_e32 v18, v12, v14
	s_branch .LBB249_231
.LBB249_432:
	s_or_b64 exec, exec, s[10:11]
.LBB249_433:
	s_or_b64 exec, exec, s[8:9]
	ds_bpermute_b32 v4, v26, v6
	ds_bpermute_b32 v5, v26, v7
	;; [unrolled: 1-line block ×4, first 2 shown]
	v_and_b32_e32 v1, 0x3c1, v0
	v_cmp_ne_u32_e32 vcc, 64, v1
	s_waitcnt lgkmcnt(2)
	v_pk_add_f32 v[4:5], v[6:7], v[4:5]
	s_waitcnt lgkmcnt(0)
	s_barrier
	s_and_saveexec_b64 s[0:1], vcc
	s_xor_b64 s[0:1], exec, s[0:1]
; %bb.434:
                                        ; implicit-def: $vgpr25
; %bb.435:
	s_or_saveexec_b64 s[0:1], s[0:1]
	v_pk_add_f32 v[2:3], v[2:3], v[8:9]
	s_xor_b64 exec, exec, s[0:1]
	s_cbranch_execz .LBB249_437
; %bb.436:
	v_mov_b32_e32 v6, 0x110
	v_lshl_add_u32 v6, v25, 1, v6
	ds_write2_b32 v6, v4, v5 offset1:32
	ds_write2_b32 v6, v2, v3 offset0:64 offset1:96
.LBB249_437:
	s_or_b64 exec, exec, s[0:1]
	v_lshrrev_b32_e32 v0, 1, v0
	s_waitcnt lgkmcnt(0)
	s_barrier
	s_and_saveexec_b64 s[0:1], s[6:7]
	s_cbranch_execz .LBB249_444
; %bb.438:
	v_mov_b32_e32 v6, 0x110
	v_cmp_eq_u32_e32 vcc, 0, v27
	v_lshl_add_u32 v6, v0, 2, v6
	s_and_saveexec_b64 s[2:3], vcc
	s_cbranch_execnz .LBB249_447
; %bb.439:
	s_or_b64 exec, exec, s[2:3]
	s_and_saveexec_b64 s[2:3], vcc
	s_cbranch_execnz .LBB249_448
.LBB249_440:
	s_or_b64 exec, exec, s[2:3]
	s_and_saveexec_b64 s[2:3], vcc
	s_cbranch_execnz .LBB249_449
.LBB249_441:
	s_or_b64 exec, exec, s[2:3]
	s_and_saveexec_b64 s[2:3], vcc
	s_cbranch_execz .LBB249_443
.LBB249_442:
	ds_read_b32 v6, v6 offset:384
	s_waitcnt lgkmcnt(0)
	v_add_f32_e32 v3, v3, v6
.LBB249_443:
	s_or_b64 exec, exec, s[2:3]
.LBB249_444:
	s_or_b64 exec, exec, s[0:1]
	v_cmp_eq_u32_e32 vcc, 0, v1
	s_barrier
	s_and_saveexec_b64 s[0:1], vcc
	s_cbranch_execz .LBB249_446
; %bb.445:
	s_mul_i32 s0, s20, s21
	s_mul_i32 s0, s0, s5
	s_lshl_b32 s0, s0, 7
	s_ashr_i32 s1, s0, 31
	s_lshl_b64 s[0:1], s[0:1], 1
	s_add_u32 s2, s24, s0
	s_mul_i32 s0, s21, s22
	s_addc_u32 s3, s25, s1
	s_ashr_i32 s1, s0, 31
	s_lshl_b64 s[0:1], s[0:1], 1
	s_add_u32 s2, s2, s0
	s_addc_u32 s3, s3, s1
	s_lshl_b32 s0, s4, 7
	s_ashr_i32 s1, s0, 31
	s_lshl_b64 s[0:1], s[0:1], 1
	s_add_u32 s0, s2, s0
	s_addc_u32 s1, s3, s1
	v_lshlrev_b32_e32 v0, 1, v0
	;;#ASMSTART
	v_cvt_f16_f32 v1, v4;

	;;#ASMEND
	global_store_short v0, v1, s[0:1]
	;;#ASMSTART
	v_cvt_f16_f32 v1, v5;

	;;#ASMEND
	global_store_short v0, v1, s[0:1] offset:64
	;;#ASMSTART
	v_cvt_f16_f32 v1, v2;

	;;#ASMEND
	global_store_short v0, v1, s[0:1] offset:128
	;; [unrolled: 5-line block ×3, first 2 shown]
.LBB249_446:
	s_endpgm
.LBB249_447:
	ds_read_b32 v7, v6
	s_waitcnt lgkmcnt(0)
	v_add_f32_e32 v4, v4, v7
	s_or_b64 exec, exec, s[2:3]
	s_and_saveexec_b64 s[2:3], vcc
	s_cbranch_execz .LBB249_440
.LBB249_448:
	ds_read_b32 v7, v6 offset:128
	s_waitcnt lgkmcnt(0)
	v_add_f32_e32 v5, v5, v7
	s_or_b64 exec, exec, s[2:3]
	s_and_saveexec_b64 s[2:3], vcc
	s_cbranch_execz .LBB249_441
.LBB249_449:
	ds_read_b32 v7, v6 offset:256
	s_waitcnt lgkmcnt(0)
	v_add_f32_e32 v2, v2, v7
	s_or_b64 exec, exec, s[2:3]
	s_and_saveexec_b64 s[2:3], vcc
	s_cbranch_execnz .LBB249_442
	s_branch .LBB249_443
	.section	.rodata,"a",@progbits
	.p2align	6, 0x0
	.amdhsa_kernel _ZN4vllm25paged_attention_v1_kernelIthLi128ELi16ELi128ELNS_18Fp8KVCacheDataTypeE1ELb0EEEvPT_PKS2_PKT0_S8_ifPKiSA_iPKfiiiSC_SC_iiiii
		.amdhsa_group_segment_fixed_size 272
		.amdhsa_private_segment_fixed_size 0
		.amdhsa_kernarg_size 384
		.amdhsa_user_sgpr_count 2
		.amdhsa_user_sgpr_dispatch_ptr 0
		.amdhsa_user_sgpr_queue_ptr 0
		.amdhsa_user_sgpr_kernarg_segment_ptr 1
		.amdhsa_user_sgpr_dispatch_id 0
		.amdhsa_user_sgpr_kernarg_preload_length 0
		.amdhsa_user_sgpr_kernarg_preload_offset 0
		.amdhsa_user_sgpr_private_segment_size 0
		.amdhsa_uses_dynamic_stack 0
		.amdhsa_enable_private_segment 0
		.amdhsa_system_sgpr_workgroup_id_x 1
		.amdhsa_system_sgpr_workgroup_id_y 1
		.amdhsa_system_sgpr_workgroup_id_z 1
		.amdhsa_system_sgpr_workgroup_info 0
		.amdhsa_system_vgpr_workitem_id 0
		.amdhsa_next_free_vgpr 65
		.amdhsa_next_free_sgpr 47
		.amdhsa_accum_offset 68
		.amdhsa_reserve_vcc 1
		.amdhsa_float_round_mode_32 0
		.amdhsa_float_round_mode_16_64 0
		.amdhsa_float_denorm_mode_32 3
		.amdhsa_float_denorm_mode_16_64 3
		.amdhsa_dx10_clamp 1
		.amdhsa_ieee_mode 1
		.amdhsa_fp16_overflow 0
		.amdhsa_tg_split 0
		.amdhsa_exception_fp_ieee_invalid_op 0
		.amdhsa_exception_fp_denorm_src 0
		.amdhsa_exception_fp_ieee_div_zero 0
		.amdhsa_exception_fp_ieee_overflow 0
		.amdhsa_exception_fp_ieee_underflow 0
		.amdhsa_exception_fp_ieee_inexact 0
		.amdhsa_exception_int_div_zero 0
	.end_amdhsa_kernel
	.section	.text._ZN4vllm25paged_attention_v1_kernelIthLi128ELi16ELi128ELNS_18Fp8KVCacheDataTypeE1ELb0EEEvPT_PKS2_PKT0_S8_ifPKiSA_iPKfiiiSC_SC_iiiii,"axG",@progbits,_ZN4vllm25paged_attention_v1_kernelIthLi128ELi16ELi128ELNS_18Fp8KVCacheDataTypeE1ELb0EEEvPT_PKS2_PKT0_S8_ifPKiSA_iPKfiiiSC_SC_iiiii,comdat
.Lfunc_end249:
	.size	_ZN4vllm25paged_attention_v1_kernelIthLi128ELi16ELi128ELNS_18Fp8KVCacheDataTypeE1ELb0EEEvPT_PKS2_PKT0_S8_ifPKiSA_iPKfiiiSC_SC_iiiii, .Lfunc_end249-_ZN4vllm25paged_attention_v1_kernelIthLi128ELi16ELi128ELNS_18Fp8KVCacheDataTypeE1ELb0EEEvPT_PKS2_PKT0_S8_ifPKiSA_iPKfiiiSC_SC_iiiii
                                        ; -- End function
	.set _ZN4vllm25paged_attention_v1_kernelIthLi128ELi16ELi128ELNS_18Fp8KVCacheDataTypeE1ELb0EEEvPT_PKS2_PKT0_S8_ifPKiSA_iPKfiiiSC_SC_iiiii.num_vgpr, 65
	.set _ZN4vllm25paged_attention_v1_kernelIthLi128ELi16ELi128ELNS_18Fp8KVCacheDataTypeE1ELb0EEEvPT_PKS2_PKT0_S8_ifPKiSA_iPKfiiiSC_SC_iiiii.num_agpr, 0
	.set _ZN4vllm25paged_attention_v1_kernelIthLi128ELi16ELi128ELNS_18Fp8KVCacheDataTypeE1ELb0EEEvPT_PKS2_PKT0_S8_ifPKiSA_iPKfiiiSC_SC_iiiii.numbered_sgpr, 47
	.set _ZN4vllm25paged_attention_v1_kernelIthLi128ELi16ELi128ELNS_18Fp8KVCacheDataTypeE1ELb0EEEvPT_PKS2_PKT0_S8_ifPKiSA_iPKfiiiSC_SC_iiiii.num_named_barrier, 0
	.set _ZN4vllm25paged_attention_v1_kernelIthLi128ELi16ELi128ELNS_18Fp8KVCacheDataTypeE1ELb0EEEvPT_PKS2_PKT0_S8_ifPKiSA_iPKfiiiSC_SC_iiiii.private_seg_size, 0
	.set _ZN4vllm25paged_attention_v1_kernelIthLi128ELi16ELi128ELNS_18Fp8KVCacheDataTypeE1ELb0EEEvPT_PKS2_PKT0_S8_ifPKiSA_iPKfiiiSC_SC_iiiii.uses_vcc, 1
	.set _ZN4vllm25paged_attention_v1_kernelIthLi128ELi16ELi128ELNS_18Fp8KVCacheDataTypeE1ELb0EEEvPT_PKS2_PKT0_S8_ifPKiSA_iPKfiiiSC_SC_iiiii.uses_flat_scratch, 0
	.set _ZN4vllm25paged_attention_v1_kernelIthLi128ELi16ELi128ELNS_18Fp8KVCacheDataTypeE1ELb0EEEvPT_PKS2_PKT0_S8_ifPKiSA_iPKfiiiSC_SC_iiiii.has_dyn_sized_stack, 0
	.set _ZN4vllm25paged_attention_v1_kernelIthLi128ELi16ELi128ELNS_18Fp8KVCacheDataTypeE1ELb0EEEvPT_PKS2_PKT0_S8_ifPKiSA_iPKfiiiSC_SC_iiiii.has_recursion, 0
	.set _ZN4vllm25paged_attention_v1_kernelIthLi128ELi16ELi128ELNS_18Fp8KVCacheDataTypeE1ELb0EEEvPT_PKS2_PKT0_S8_ifPKiSA_iPKfiiiSC_SC_iiiii.has_indirect_call, 0
	.section	.AMDGPU.csdata,"",@progbits
; Kernel info:
; codeLenInByte = 19840
; TotalNumSgprs: 53
; NumVgprs: 65
; NumAgprs: 0
; TotalNumVgprs: 65
; ScratchSize: 0
; MemoryBound: 0
; FloatMode: 240
; IeeeMode: 1
; LDSByteSize: 272 bytes/workgroup (compile time only)
; SGPRBlocks: 6
; VGPRBlocks: 8
; NumSGPRsForWavesPerEU: 53
; NumVGPRsForWavesPerEU: 65
; AccumOffset: 68
; Occupancy: 7
; WaveLimiterHint : 1
; COMPUTE_PGM_RSRC2:SCRATCH_EN: 0
; COMPUTE_PGM_RSRC2:USER_SGPR: 2
; COMPUTE_PGM_RSRC2:TRAP_HANDLER: 0
; COMPUTE_PGM_RSRC2:TGID_X_EN: 1
; COMPUTE_PGM_RSRC2:TGID_Y_EN: 1
; COMPUTE_PGM_RSRC2:TGID_Z_EN: 1
; COMPUTE_PGM_RSRC2:TIDIG_COMP_CNT: 0
; COMPUTE_PGM_RSRC3_GFX90A:ACCUM_OFFSET: 16
; COMPUTE_PGM_RSRC3_GFX90A:TG_SPLIT: 0
	.section	.text._ZN4vllm25paged_attention_v1_kernelIthLi192ELi16ELi128ELNS_18Fp8KVCacheDataTypeE1ELb0EEEvPT_PKS2_PKT0_S8_ifPKiSA_iPKfiiiSC_SC_iiiii,"axG",@progbits,_ZN4vllm25paged_attention_v1_kernelIthLi192ELi16ELi128ELNS_18Fp8KVCacheDataTypeE1ELb0EEEvPT_PKS2_PKT0_S8_ifPKiSA_iPKfiiiSC_SC_iiiii,comdat
	.protected	_ZN4vllm25paged_attention_v1_kernelIthLi192ELi16ELi128ELNS_18Fp8KVCacheDataTypeE1ELb0EEEvPT_PKS2_PKT0_S8_ifPKiSA_iPKfiiiSC_SC_iiiii ; -- Begin function _ZN4vllm25paged_attention_v1_kernelIthLi192ELi16ELi128ELNS_18Fp8KVCacheDataTypeE1ELb0EEEvPT_PKS2_PKT0_S8_ifPKiSA_iPKfiiiSC_SC_iiiii
	.globl	_ZN4vllm25paged_attention_v1_kernelIthLi192ELi16ELi128ELNS_18Fp8KVCacheDataTypeE1ELb0EEEvPT_PKS2_PKT0_S8_ifPKiSA_iPKfiiiSC_SC_iiiii
	.p2align	8
	.type	_ZN4vllm25paged_attention_v1_kernelIthLi192ELi16ELi128ELNS_18Fp8KVCacheDataTypeE1ELb0EEEvPT_PKS2_PKT0_S8_ifPKiSA_iPKfiiiSC_SC_iiiii,@function
_ZN4vllm25paged_attention_v1_kernelIthLi192ELi16ELi128ELNS_18Fp8KVCacheDataTypeE1ELb0EEEvPT_PKS2_PKT0_S8_ifPKiSA_iPKfiiiSC_SC_iiiii: ; @_ZN4vllm25paged_attention_v1_kernelIthLi192ELi16ELi128ELNS_18Fp8KVCacheDataTypeE1ELb0EEEvPT_PKS2_PKT0_S8_ifPKiSA_iPKfiiiSC_SC_iiiii
; %bb.0:
	s_load_dword s5, s[0:1], 0x80
	s_load_dwordx2 s[6:7], s[0:1], 0x30
	s_load_dwordx2 s[28:29], s[0:1], 0x20
	s_mov_b32 s16, s3
	s_ashr_i32 s17, s3, 31
	s_lshl_b64 s[8:9], s[16:17], 2
	s_waitcnt lgkmcnt(0)
	s_add_u32 s6, s6, s8
	s_addc_u32 s7, s7, s9
	s_abs_i32 s3, s28
	v_cvt_f32_u32_e32 v1, s3
	s_sub_i32 s10, 0, s3
	s_abs_i32 s9, s5
	s_xor_b32 s8, s5, s28
	v_rcp_iflag_f32_e32 v1, v1
	s_ashr_i32 s8, s8, 31
	s_mov_b32 s28, 0
	v_mul_f32_e32 v1, 0x4f7ffffe, v1
	v_cvt_u32_f32_e32 v1, v1
	s_nop 0
	v_readfirstlane_b32 s11, v1
	s_mul_i32 s10, s10, s11
	s_mul_hi_u32 s10, s11, s10
	s_add_i32 s11, s11, s10
	s_mul_hi_u32 s10, s9, s11
	s_mul_i32 s11, s10, s3
	s_sub_i32 s9, s9, s11
	s_add_i32 s11, s10, 1
	s_sub_i32 s12, s9, s3
	s_cmp_ge_u32 s9, s3
	s_cselect_b32 s10, s11, s10
	s_cselect_b32 s9, s12, s9
	s_add_i32 s11, s10, 1
	s_cmp_ge_u32 s9, s3
	s_cselect_b32 s3, s11, s10
	s_xor_b32 s3, s3, s8
	s_sub_i32 s12, s3, s8
	s_abs_i32 s10, s12
	v_cvt_f32_u32_e32 v1, s10
	s_load_dwordx2 s[8:9], s[0:1], 0x40
	s_sub_i32 s3, 0, s10
	s_abs_i32 s11, s2
	v_rcp_iflag_f32_e32 v1, v1
	s_nop 0
	v_mul_f32_e32 v1, 0x4f7ffffe, v1
	v_cvt_u32_f32_e32 v1, v1
	s_nop 0
	v_readfirstlane_b32 s13, v1
	s_mul_i32 s3, s3, s13
	s_mul_hi_u32 s3, s13, s3
	s_add_i32 s13, s13, s3
	s_waitcnt lgkmcnt(0)
	s_cmp_eq_u64 s[8:9], 0
	s_mul_hi_u32 s17, s11, s13
	s_cbranch_scc1 .LBB250_2
; %bb.1:
	s_ashr_i32 s3, s2, 31
	s_lshl_b64 s[14:15], s[2:3], 2
	s_add_u32 s8, s8, s14
	s_addc_u32 s9, s9, s15
	s_load_dword s28, s[8:9], 0x0
.LBB250_2:
	s_load_dword s33, s[6:7], 0x0
	s_ashr_i32 s7, s12, 31
	s_load_dwordx4 s[12:15], s[0:1], 0x48
	s_movk_i32 s8, 0x60
	s_ashr_i32 s6, s2, 31
	v_and_b32_e32 v4, 3, v0
	s_mul_i32 s18, s2, 0xc0
	v_cmp_gt_u32_e32 vcc, s8, v0
	s_and_saveexec_b64 s[2:3], vcc
	s_cbranch_execz .LBB250_4
; %bb.3:
	s_load_dwordx2 s[20:21], s[0:1], 0x8
	s_waitcnt lgkmcnt(0)
	s_mul_i32 s22, s12, s16
	s_ashr_i32 s23, s22, 31
	s_lshl_b64 s[22:23], s[22:23], 1
	v_lshlrev_b32_e32 v1, 2, v0
	s_add_u32 s9, s20, s22
	s_addc_u32 s12, s21, s23
	s_ashr_i32 s19, s18, 31
	s_lshl_b64 s[20:21], s[18:19], 1
	s_add_u32 s20, s9, s20
	s_addc_u32 s21, s12, s21
	global_load_dword v1, v1, s[20:21]
	v_and_b32_e32 v2, 0x3fc, v0
	v_mad_u32_u24 v2, v4, s8, v2
	s_waitcnt vmcnt(0)
	ds_write_b32 v2, v1
.LBB250_4:
	s_or_b64 exec, exec, s[2:3]
	s_waitcnt lgkmcnt(0)
	s_add_i32 s3, s33, 15
	s_ashr_i32 s8, s3, 31
	s_lshr_b32 s8, s8, 28
	s_add_i32 s3, s3, s8
	s_ashr_i32 s19, s3, 4
	s_xor_b32 s3, s6, s7
	s_mul_i32 s6, s17, s10
	s_sub_i32 s6, s11, s6
	s_add_i32 s7, s17, 1
	s_sub_i32 s8, s6, s10
	s_load_dwordx2 s[22:23], s[0:1], 0x28
	s_load_dword s2, s[0:1], 0x38
	s_cmp_ge_u32 s6, s10
	s_cselect_b32 s7, s7, s17
	s_cselect_b32 s6, s8, s6
	s_add_i32 s8, s7, 1
	s_cmp_ge_u32 s6, s10
	s_cselect_b32 s6, s8, s7
	v_lshrrev_b32_e32 v26, 6, v0
	s_xor_b32 s6, s6, s3
	s_waitcnt lgkmcnt(0)
	s_mul_i32 s24, s2, s16
	s_sub_i32 s12, s6, s3
	s_ashr_i32 s25, s24, 31
	v_cmp_gt_i32_e64 s[6:7], s19, v26
	v_cmp_le_i32_e32 vcc, s19, v26
	v_mbcnt_lo_u32_b32 v9, -1, 0
	s_barrier
                                        ; implicit-def: $vgpr10
                                        ; implicit-def: $vgpr8
                                        ; implicit-def: $vgpr2
	s_and_saveexec_b64 s[2:3], vcc
	s_xor_b64 s[2:3], exec, s[2:3]
; %bb.5:
	v_mbcnt_hi_u32_b32 v10, -1, v9
	v_and_b32_e32 v8, 64, v10
	v_add_u32_e32 v2, 64, v8
                                        ; implicit-def: $vgpr4
                                        ; implicit-def: $vgpr9
; %bb.6:
	s_or_saveexec_b64 s[30:31], s[2:3]
	s_load_dwordx2 s[20:21], s[0:1], 0x0
	s_load_dwordx2 s[26:27], s[0:1], 0x18
	s_load_dword s17, s[0:1], 0x88
	s_load_dwordx4 s[8:11], s[0:1], 0x58
	v_mov_b32_e32 v11, 0xff7fffff
	s_mul_i32 s12, s12, s14
	v_lshrrev_b32_e32 v1, 4, v0
	s_xor_b64 exec, exec, s[30:31]
	s_cbranch_execz .LBB250_300
; %bb.7:
	s_load_dwordx2 s[0:1], s[0:1], 0x10
	s_ashr_i32 s2, s12, 31
	v_bfe_u32 v8, v0, 2, 4
	v_lshlrev_b32_e32 v2, 4, v8
	v_mov_b32_e32 v3, 0
	s_waitcnt lgkmcnt(0)
	s_add_u32 s0, s0, s12
	s_addc_u32 s1, s1, s2
	v_lshl_add_u64 v[6:7], s[0:1], 0, v[2:3]
	v_lshlrev_b32_e32 v2, 1, v4
	v_mul_u32_u24_e32 v12, 0x60, v4
	v_cmp_eq_u32_e32 vcc, 0, v4
	v_lshl_add_u64 v[4:5], v[6:7], 0, v[2:3]
	s_sub_i32 s41, 1, s33
	v_lshlrev_b32_e32 v2, 2, v8
	s_lshl_b64 s[0:1], s[24:25], 2
	v_lshl_or_b32 v2, v26, 6, v2
	s_add_u32 s0, s22, s0
	v_add_u32_e32 v14, 0x190, v2
	v_and_b32_e32 v2, 60, v1
	s_addc_u32 s1, s23, s1
	s_mov_b32 s40, s13
	v_cmp_neq_f32_e64 s[2:3], s28, 0
	v_lshl_or_b32 v13, v26, 4, v8
	v_lshl_add_u64 v[6:7], s[0:1], 0, v[2:3]
	v_mov_b32_e32 v11, 0xff7fffff
	s_mov_b64 s[14:15], 0
	s_movk_i32 s42, 0x80
	s_movk_i32 s43, 0x7f
	s_mov_b32 s44, 0x8000
	v_mbcnt_hi_u32_b32 v10, -1, v9
	v_mov_b32_e32 v15, 0x2000
	v_mov_b32_e32 v16, v26
	s_branch .LBB250_9
.LBB250_8:                              ;   in Loop: Header=BB250_9 Depth=1
	s_or_b64 exec, exec, s[34:35]
	v_add_u32_e32 v16, 2, v16
	v_cmp_le_i32_e64 s[0:1], s19, v16
	v_add_u32_e32 v13, 32, v13
	v_add_u32_e32 v14, 0x80, v14
	s_or_b64 s[14:15], s[0:1], s[14:15]
	v_lshl_add_u64 v[6:7], v[6:7], 0, 8
	s_andn2_b64 exec, exec, s[14:15]
	s_cbranch_execz .LBB250_299
.LBB250_9:                              ; =>This Inner Loop Header: Depth=1
	global_load_dword v2, v[6:7], off
	s_waitcnt vmcnt(0)
	v_mad_i64_i32 v[8:9], s[0:1], v2, s40, v[4:5]
	global_load_ushort v18, v[8:9], off
	s_waitcnt lgkmcnt(0)
	global_load_dword v17, v3, s[8:9]
	s_waitcnt vmcnt(1)
	v_and_b32_e32 v2, 0xffff, v18
	v_cmp_ne_u16_sdwa s[0:1], v18, v3 src0_sel:BYTE_0 src1_sel:DWORD
	v_mov_b32_e32 v18, 0
	s_and_saveexec_b64 s[34:35], s[0:1]
	s_cbranch_execz .LBB250_15
; %bb.10:                               ;   in Loop: Header=BB250_9 Depth=1
	v_cmp_ne_u16_sdwa s[0:1], v2, s42 src0_sel:BYTE_0 src1_sel:DWORD
	v_mov_b32_e32 v18, 0x8000
	s_and_saveexec_b64 s[36:37], s[0:1]
	s_cbranch_execz .LBB250_14
; %bb.11:                               ;   in Loop: Header=BB250_9 Depth=1
	v_and_b32_e32 v19, 0x7f, v2
	v_cmp_ne_u32_e64 s[0:1], s43, v19
	v_mov_b32_e32 v18, 0x7c01
	s_and_saveexec_b64 s[38:39], s[0:1]
	s_cbranch_execz .LBB250_13
; %bb.12:                               ;   in Loop: Header=BB250_9 Depth=1
	v_and_b32_e32 v18, 7, v2
	v_ffbh_u32_e32 v20, v18
	v_min_u32_e32 v23, 32, v20
	v_subrev_u32_e32 v20, 28, v23
	v_lshlrev_b64 v[20:21], v20, v[2:3]
	v_lshrrev_b32_e32 v22, 3, v19
	v_sub_u32_e32 v21, 29, v23
	v_cmp_gt_u32_e64 s[0:1], 8, v19
	v_and_b32_e32 v20, 7, v20
	s_nop 0
	v_cndmask_b32_e64 v19, v22, v21, s[0:1]
	v_lshl_add_u32 v19, v19, 10, v15
	v_lshlrev_b32_e32 v21, 8, v2
	v_and_b32_e32 v19, 0xfc00, v19
	v_cndmask_b32_e64 v18, v18, v20, s[0:1]
	v_and_or_b32 v19, v21, s44, v19
	v_lshl_or_b32 v18, v18, 7, v19
.LBB250_13:                             ;   in Loop: Header=BB250_9 Depth=1
	s_or_b64 exec, exec, s[38:39]
.LBB250_14:                             ;   in Loop: Header=BB250_9 Depth=1
	s_or_b64 exec, exec, s[36:37]
.LBB250_15:                             ;   in Loop: Header=BB250_9 Depth=1
	s_or_b64 exec, exec, s[34:35]
	v_lshrrev_b16_e32 v2, 8, v2
	v_cmp_ne_u16_e64 s[0:1], 0, v2
	v_mov_b32_e32 v19, 0
	v_mov_b32_e32 v20, 0
	s_and_saveexec_b64 s[34:35], s[0:1]
	s_cbranch_execz .LBB250_21
; %bb.16:                               ;   in Loop: Header=BB250_9 Depth=1
	v_cmp_ne_u16_e64 s[0:1], s42, v2
	v_bfrev_b32_e32 v20, 1
	s_and_saveexec_b64 s[36:37], s[0:1]
	s_cbranch_execz .LBB250_20
; %bb.17:                               ;   in Loop: Header=BB250_9 Depth=1
	v_and_b32_e32 v21, 0x7f, v2
	v_cmp_ne_u32_e64 s[0:1], s43, v21
	v_mov_b32_e32 v20, 0x7c010000
	s_and_saveexec_b64 s[38:39], s[0:1]
	s_cbranch_execz .LBB250_19
; %bb.18:                               ;   in Loop: Header=BB250_9 Depth=1
	v_and_b32_e32 v20, 7, v2
	v_ffbh_u32_e32 v22, v20
	v_min_u32_e32 v25, 32, v22
	v_subrev_u32_e32 v22, 28, v25
	v_lshlrev_b64 v[22:23], v22, v[2:3]
	v_lshrrev_b32_e32 v24, 3, v21
	v_sub_u32_e32 v23, 29, v25
	v_cmp_gt_u32_e64 s[0:1], 8, v21
	v_lshlrev_b32_e32 v2, 8, v2
	v_and_b32_e32 v22, 7, v22
	v_cndmask_b32_e64 v21, v24, v23, s[0:1]
	v_lshl_add_u32 v21, v21, 10, v15
	v_and_or_b32 v2, v2, s44, v21
	v_cndmask_b32_e64 v20, v20, v22, s[0:1]
	v_lshlrev_b32_e32 v2, 16, v2
	v_lshl_or_b32 v20, v20, 23, v2
.LBB250_19:                             ;   in Loop: Header=BB250_9 Depth=1
	s_or_b64 exec, exec, s[38:39]
.LBB250_20:                             ;   in Loop: Header=BB250_9 Depth=1
	s_or_b64 exec, exec, s[36:37]
.LBB250_21:                             ;   in Loop: Header=BB250_9 Depth=1
	s_or_b64 exec, exec, s[34:35]
	global_load_ushort v21, v[8:9], off offset:8
	s_waitcnt vmcnt(0)
	v_and_b32_e32 v2, 0xffff, v21
	v_cmp_ne_u16_sdwa s[0:1], v21, v3 src0_sel:BYTE_0 src1_sel:DWORD
	s_and_saveexec_b64 s[34:35], s[0:1]
	s_cbranch_execz .LBB250_27
; %bb.22:                               ;   in Loop: Header=BB250_9 Depth=1
	v_cmp_ne_u16_sdwa s[0:1], v2, s42 src0_sel:BYTE_0 src1_sel:DWORD
	v_mov_b32_e32 v19, 0x8000
	s_and_saveexec_b64 s[36:37], s[0:1]
	s_cbranch_execz .LBB250_26
; %bb.23:                               ;   in Loop: Header=BB250_9 Depth=1
	v_and_b32_e32 v21, 0x7f, v2
	v_cmp_ne_u32_e64 s[0:1], s43, v21
	v_mov_b32_e32 v19, 0x7c01
	s_and_saveexec_b64 s[38:39], s[0:1]
	s_cbranch_execz .LBB250_25
; %bb.24:                               ;   in Loop: Header=BB250_9 Depth=1
	v_and_b32_e32 v19, 7, v2
	v_ffbh_u32_e32 v22, v19
	v_min_u32_e32 v25, 32, v22
	v_subrev_u32_e32 v22, 28, v25
	v_lshlrev_b64 v[22:23], v22, v[2:3]
	v_lshrrev_b32_e32 v24, 3, v21
	v_sub_u32_e32 v23, 29, v25
	v_cmp_gt_u32_e64 s[0:1], 8, v21
	v_and_b32_e32 v22, 7, v22
	s_nop 0
	v_cndmask_b32_e64 v21, v24, v23, s[0:1]
	v_lshl_add_u32 v21, v21, 10, v15
	v_lshlrev_b32_e32 v23, 8, v2
	v_and_b32_e32 v21, 0xfc00, v21
	v_cndmask_b32_e64 v19, v19, v22, s[0:1]
	v_and_or_b32 v21, v23, s44, v21
	v_lshl_or_b32 v19, v19, 7, v21
.LBB250_25:                             ;   in Loop: Header=BB250_9 Depth=1
	s_or_b64 exec, exec, s[38:39]
.LBB250_26:                             ;   in Loop: Header=BB250_9 Depth=1
	s_or_b64 exec, exec, s[36:37]
.LBB250_27:                             ;   in Loop: Header=BB250_9 Depth=1
	s_or_b64 exec, exec, s[34:35]
	v_lshrrev_b16_e32 v2, 8, v2
	v_cmp_ne_u16_e64 s[0:1], 0, v2
	v_mov_b32_e32 v21, 0
	v_mov_b32_e32 v22, 0
	s_and_saveexec_b64 s[34:35], s[0:1]
	s_cbranch_execz .LBB250_33
; %bb.28:                               ;   in Loop: Header=BB250_9 Depth=1
	v_cmp_ne_u16_e64 s[0:1], s42, v2
	v_bfrev_b32_e32 v22, 1
	s_and_saveexec_b64 s[36:37], s[0:1]
	s_cbranch_execz .LBB250_32
; %bb.29:                               ;   in Loop: Header=BB250_9 Depth=1
	v_and_b32_e32 v23, 0x7f, v2
	v_cmp_ne_u32_e64 s[0:1], s43, v23
	v_mov_b32_e32 v22, 0x7c010000
	s_and_saveexec_b64 s[38:39], s[0:1]
	s_cbranch_execz .LBB250_31
; %bb.30:                               ;   in Loop: Header=BB250_9 Depth=1
	v_and_b32_e32 v22, 7, v2
	v_ffbh_u32_e32 v24, v22
	v_min_u32_e32 v28, 32, v24
	v_subrev_u32_e32 v24, 28, v28
	v_lshlrev_b64 v[24:25], v24, v[2:3]
	v_lshrrev_b32_e32 v27, 3, v23
	v_sub_u32_e32 v25, 29, v28
	v_cmp_gt_u32_e64 s[0:1], 8, v23
	v_lshlrev_b32_e32 v2, 8, v2
	v_and_b32_e32 v24, 7, v24
	v_cndmask_b32_e64 v23, v27, v25, s[0:1]
	v_lshl_add_u32 v23, v23, 10, v15
	v_and_or_b32 v2, v2, s44, v23
	v_cndmask_b32_e64 v22, v22, v24, s[0:1]
	v_lshlrev_b32_e32 v2, 16, v2
	v_lshl_or_b32 v22, v22, 23, v2
.LBB250_31:                             ;   in Loop: Header=BB250_9 Depth=1
	s_or_b64 exec, exec, s[38:39]
.LBB250_32:                             ;   in Loop: Header=BB250_9 Depth=1
	s_or_b64 exec, exec, s[36:37]
.LBB250_33:                             ;   in Loop: Header=BB250_9 Depth=1
	s_or_b64 exec, exec, s[34:35]
	global_load_ushort v23, v[8:9], off offset:256
	s_waitcnt vmcnt(0)
	v_and_b32_e32 v2, 0xffff, v23
	v_cmp_ne_u16_sdwa s[0:1], v23, v3 src0_sel:BYTE_0 src1_sel:DWORD
	s_and_saveexec_b64 s[34:35], s[0:1]
	s_cbranch_execz .LBB250_39
; %bb.34:                               ;   in Loop: Header=BB250_9 Depth=1
	v_cmp_ne_u16_sdwa s[0:1], v2, s42 src0_sel:BYTE_0 src1_sel:DWORD
	v_mov_b32_e32 v21, 0x8000
	s_and_saveexec_b64 s[36:37], s[0:1]
	s_cbranch_execz .LBB250_38
; %bb.35:                               ;   in Loop: Header=BB250_9 Depth=1
	v_and_b32_e32 v23, 0x7f, v2
	v_cmp_ne_u32_e64 s[0:1], s43, v23
	v_mov_b32_e32 v21, 0x7c01
	s_and_saveexec_b64 s[38:39], s[0:1]
	s_cbranch_execz .LBB250_37
; %bb.36:                               ;   in Loop: Header=BB250_9 Depth=1
	v_and_b32_e32 v21, 7, v2
	v_ffbh_u32_e32 v24, v21
	v_min_u32_e32 v28, 32, v24
	v_subrev_u32_e32 v24, 28, v28
	v_lshlrev_b64 v[24:25], v24, v[2:3]
	v_lshrrev_b32_e32 v27, 3, v23
	v_sub_u32_e32 v25, 29, v28
	v_cmp_gt_u32_e64 s[0:1], 8, v23
	v_and_b32_e32 v24, 7, v24
	s_nop 0
	v_cndmask_b32_e64 v23, v27, v25, s[0:1]
	v_lshl_add_u32 v23, v23, 10, v15
	v_lshlrev_b32_e32 v25, 8, v2
	v_and_b32_e32 v23, 0xfc00, v23
	v_cndmask_b32_e64 v21, v21, v24, s[0:1]
	v_and_or_b32 v23, v25, s44, v23
	v_lshl_or_b32 v21, v21, 7, v23
.LBB250_37:                             ;   in Loop: Header=BB250_9 Depth=1
	s_or_b64 exec, exec, s[38:39]
.LBB250_38:                             ;   in Loop: Header=BB250_9 Depth=1
	s_or_b64 exec, exec, s[36:37]
.LBB250_39:                             ;   in Loop: Header=BB250_9 Depth=1
	s_or_b64 exec, exec, s[34:35]
	v_lshrrev_b16_e32 v2, 8, v2
	v_cmp_ne_u16_e64 s[0:1], 0, v2
	v_mov_b32_e32 v23, 0
	v_mov_b32_e32 v24, 0
	s_and_saveexec_b64 s[34:35], s[0:1]
	s_cbranch_execz .LBB250_45
; %bb.40:                               ;   in Loop: Header=BB250_9 Depth=1
	v_cmp_ne_u16_e64 s[0:1], s42, v2
	v_bfrev_b32_e32 v24, 1
	s_and_saveexec_b64 s[36:37], s[0:1]
	s_cbranch_execz .LBB250_44
; %bb.41:                               ;   in Loop: Header=BB250_9 Depth=1
	v_and_b32_e32 v25, 0x7f, v2
	v_cmp_ne_u32_e64 s[0:1], s43, v25
	v_mov_b32_e32 v24, 0x7c010000
	s_and_saveexec_b64 s[38:39], s[0:1]
	s_cbranch_execz .LBB250_43
; %bb.42:                               ;   in Loop: Header=BB250_9 Depth=1
	v_and_b32_e32 v24, 7, v2
	v_ffbh_u32_e32 v28, v24
	v_min_u32_e32 v30, 32, v28
	v_subrev_u32_e32 v28, 28, v30
	v_lshlrev_b64 v[28:29], v28, v[2:3]
	v_lshrrev_b32_e32 v27, 3, v25
	v_sub_u32_e32 v29, 29, v30
	v_cmp_gt_u32_e64 s[0:1], 8, v25
	v_lshlrev_b32_e32 v2, 8, v2
	s_nop 0
	v_cndmask_b32_e64 v25, v27, v29, s[0:1]
	v_lshl_add_u32 v25, v25, 10, v15
	v_and_b32_e32 v27, 7, v28
	v_and_or_b32 v2, v2, s44, v25
	v_cndmask_b32_e64 v24, v24, v27, s[0:1]
	v_lshlrev_b32_e32 v2, 16, v2
	v_lshl_or_b32 v24, v24, 23, v2
.LBB250_43:                             ;   in Loop: Header=BB250_9 Depth=1
	s_or_b64 exec, exec, s[38:39]
.LBB250_44:                             ;   in Loop: Header=BB250_9 Depth=1
	s_or_b64 exec, exec, s[36:37]
.LBB250_45:                             ;   in Loop: Header=BB250_9 Depth=1
	s_or_b64 exec, exec, s[34:35]
	global_load_ushort v25, v[8:9], off offset:264
	s_waitcnt vmcnt(0)
	v_and_b32_e32 v2, 0xffff, v25
	v_cmp_ne_u16_sdwa s[0:1], v25, v3 src0_sel:BYTE_0 src1_sel:DWORD
	s_and_saveexec_b64 s[34:35], s[0:1]
	s_cbranch_execz .LBB250_51
; %bb.46:                               ;   in Loop: Header=BB250_9 Depth=1
	v_cmp_ne_u16_sdwa s[0:1], v2, s42 src0_sel:BYTE_0 src1_sel:DWORD
	v_mov_b32_e32 v23, 0x8000
	s_and_saveexec_b64 s[36:37], s[0:1]
	s_cbranch_execz .LBB250_50
; %bb.47:                               ;   in Loop: Header=BB250_9 Depth=1
	v_and_b32_e32 v25, 0x7f, v2
	v_cmp_ne_u32_e64 s[0:1], s43, v25
	v_mov_b32_e32 v23, 0x7c01
	s_and_saveexec_b64 s[38:39], s[0:1]
	s_cbranch_execz .LBB250_49
; %bb.48:                               ;   in Loop: Header=BB250_9 Depth=1
	v_and_b32_e32 v23, 7, v2
	v_ffbh_u32_e32 v28, v23
	v_min_u32_e32 v30, 32, v28
	v_subrev_u32_e32 v28, 28, v30
	v_lshlrev_b64 v[28:29], v28, v[2:3]
	v_lshrrev_b32_e32 v27, 3, v25
	v_sub_u32_e32 v29, 29, v30
	v_cmp_gt_u32_e64 s[0:1], 8, v25
	v_and_b32_e32 v28, 7, v28
	s_nop 0
	v_cndmask_b32_e64 v25, v27, v29, s[0:1]
	v_lshl_add_u32 v25, v25, 10, v15
	v_lshlrev_b32_e32 v27, 8, v2
	v_and_b32_e32 v25, 0xfc00, v25
	v_cndmask_b32_e64 v23, v23, v28, s[0:1]
	v_and_or_b32 v25, v27, s44, v25
	v_lshl_or_b32 v23, v23, 7, v25
.LBB250_49:                             ;   in Loop: Header=BB250_9 Depth=1
	s_or_b64 exec, exec, s[38:39]
.LBB250_50:                             ;   in Loop: Header=BB250_9 Depth=1
	s_or_b64 exec, exec, s[36:37]
.LBB250_51:                             ;   in Loop: Header=BB250_9 Depth=1
	s_or_b64 exec, exec, s[34:35]
	v_lshrrev_b16_e32 v2, 8, v2
	v_cmp_ne_u16_e64 s[0:1], 0, v2
	v_mov_b32_e32 v25, 0
	v_mov_b32_e32 v27, 0
	s_and_saveexec_b64 s[34:35], s[0:1]
	s_cbranch_execz .LBB250_57
; %bb.52:                               ;   in Loop: Header=BB250_9 Depth=1
	v_cmp_ne_u16_e64 s[0:1], s42, v2
	v_bfrev_b32_e32 v27, 1
	s_and_saveexec_b64 s[36:37], s[0:1]
	s_cbranch_execz .LBB250_56
; %bb.53:                               ;   in Loop: Header=BB250_9 Depth=1
	v_and_b32_e32 v28, 0x7f, v2
	v_cmp_ne_u32_e64 s[0:1], s43, v28
	v_mov_b32_e32 v27, 0x7c010000
	s_and_saveexec_b64 s[38:39], s[0:1]
	s_cbranch_execz .LBB250_55
; %bb.54:                               ;   in Loop: Header=BB250_9 Depth=1
	v_and_b32_e32 v27, 7, v2
	v_ffbh_u32_e32 v30, v27
	v_min_u32_e32 v32, 32, v30
	v_subrev_u32_e32 v30, 28, v32
	v_lshlrev_b64 v[30:31], v30, v[2:3]
	v_lshrrev_b32_e32 v29, 3, v28
	v_sub_u32_e32 v31, 29, v32
	v_cmp_gt_u32_e64 s[0:1], 8, v28
	v_lshlrev_b32_e32 v2, 8, v2
	s_nop 0
	v_cndmask_b32_e64 v28, v29, v31, s[0:1]
	v_lshl_add_u32 v28, v28, 10, v15
	v_and_b32_e32 v29, 7, v30
	v_and_or_b32 v2, v2, s44, v28
	v_cndmask_b32_e64 v27, v27, v29, s[0:1]
	v_lshlrev_b32_e32 v2, 16, v2
	v_lshl_or_b32 v27, v27, 23, v2
.LBB250_55:                             ;   in Loop: Header=BB250_9 Depth=1
	s_or_b64 exec, exec, s[38:39]
.LBB250_56:                             ;   in Loop: Header=BB250_9 Depth=1
	s_or_b64 exec, exec, s[36:37]
.LBB250_57:                             ;   in Loop: Header=BB250_9 Depth=1
	s_or_b64 exec, exec, s[34:35]
	global_load_ushort v28, v[8:9], off offset:512
	s_waitcnt vmcnt(0)
	v_and_b32_e32 v2, 0xffff, v28
	v_cmp_ne_u16_sdwa s[0:1], v28, v3 src0_sel:BYTE_0 src1_sel:DWORD
	s_and_saveexec_b64 s[34:35], s[0:1]
	s_cbranch_execz .LBB250_63
; %bb.58:                               ;   in Loop: Header=BB250_9 Depth=1
	v_cmp_ne_u16_sdwa s[0:1], v2, s42 src0_sel:BYTE_0 src1_sel:DWORD
	v_mov_b32_e32 v25, 0x8000
	s_and_saveexec_b64 s[36:37], s[0:1]
	s_cbranch_execz .LBB250_62
; %bb.59:                               ;   in Loop: Header=BB250_9 Depth=1
	v_and_b32_e32 v28, 0x7f, v2
	v_cmp_ne_u32_e64 s[0:1], s43, v28
	v_mov_b32_e32 v25, 0x7c01
	s_and_saveexec_b64 s[38:39], s[0:1]
	s_cbranch_execz .LBB250_61
; %bb.60:                               ;   in Loop: Header=BB250_9 Depth=1
	v_and_b32_e32 v25, 7, v2
	v_ffbh_u32_e32 v30, v25
	v_min_u32_e32 v32, 32, v30
	v_subrev_u32_e32 v30, 28, v32
	v_lshlrev_b64 v[30:31], v30, v[2:3]
	v_lshrrev_b32_e32 v29, 3, v28
	v_sub_u32_e32 v31, 29, v32
	v_cmp_gt_u32_e64 s[0:1], 8, v28
	v_and_b32_e32 v30, 7, v30
	s_nop 0
	v_cndmask_b32_e64 v28, v29, v31, s[0:1]
	v_lshl_add_u32 v28, v28, 10, v15
	v_lshlrev_b32_e32 v29, 8, v2
	v_and_b32_e32 v28, 0xfc00, v28
	v_cndmask_b32_e64 v25, v25, v30, s[0:1]
	v_and_or_b32 v28, v29, s44, v28
	v_lshl_or_b32 v25, v25, 7, v28
.LBB250_61:                             ;   in Loop: Header=BB250_9 Depth=1
	s_or_b64 exec, exec, s[38:39]
.LBB250_62:                             ;   in Loop: Header=BB250_9 Depth=1
	s_or_b64 exec, exec, s[36:37]
.LBB250_63:                             ;   in Loop: Header=BB250_9 Depth=1
	s_or_b64 exec, exec, s[34:35]
	v_lshrrev_b16_e32 v2, 8, v2
	v_cmp_ne_u16_e64 s[0:1], 0, v2
	v_mov_b32_e32 v28, 0
	v_mov_b32_e32 v29, 0
	s_and_saveexec_b64 s[34:35], s[0:1]
	s_cbranch_execz .LBB250_69
; %bb.64:                               ;   in Loop: Header=BB250_9 Depth=1
	v_cmp_ne_u16_e64 s[0:1], s42, v2
	v_bfrev_b32_e32 v29, 1
	s_and_saveexec_b64 s[36:37], s[0:1]
	s_cbranch_execz .LBB250_68
; %bb.65:                               ;   in Loop: Header=BB250_9 Depth=1
	v_and_b32_e32 v30, 0x7f, v2
	v_cmp_ne_u32_e64 s[0:1], s43, v30
	v_mov_b32_e32 v29, 0x7c010000
	s_and_saveexec_b64 s[38:39], s[0:1]
	s_cbranch_execz .LBB250_67
; %bb.66:                               ;   in Loop: Header=BB250_9 Depth=1
	v_and_b32_e32 v29, 7, v2
	v_ffbh_u32_e32 v32, v29
	v_min_u32_e32 v34, 32, v32
	v_subrev_u32_e32 v32, 28, v34
	v_lshlrev_b64 v[32:33], v32, v[2:3]
	v_lshrrev_b32_e32 v31, 3, v30
	v_sub_u32_e32 v33, 29, v34
	v_cmp_gt_u32_e64 s[0:1], 8, v30
	v_lshlrev_b32_e32 v2, 8, v2
	s_nop 0
	v_cndmask_b32_e64 v30, v31, v33, s[0:1]
	v_lshl_add_u32 v30, v30, 10, v15
	v_and_b32_e32 v31, 7, v32
	v_and_or_b32 v2, v2, s44, v30
	v_cndmask_b32_e64 v29, v29, v31, s[0:1]
	v_lshlrev_b32_e32 v2, 16, v2
	v_lshl_or_b32 v29, v29, 23, v2
.LBB250_67:                             ;   in Loop: Header=BB250_9 Depth=1
	s_or_b64 exec, exec, s[38:39]
.LBB250_68:                             ;   in Loop: Header=BB250_9 Depth=1
	s_or_b64 exec, exec, s[36:37]
.LBB250_69:                             ;   in Loop: Header=BB250_9 Depth=1
	s_or_b64 exec, exec, s[34:35]
	global_load_ushort v30, v[8:9], off offset:520
	s_waitcnt vmcnt(0)
	v_and_b32_e32 v2, 0xffff, v30
	v_cmp_ne_u16_sdwa s[0:1], v30, v3 src0_sel:BYTE_0 src1_sel:DWORD
	s_and_saveexec_b64 s[34:35], s[0:1]
	s_cbranch_execz .LBB250_75
; %bb.70:                               ;   in Loop: Header=BB250_9 Depth=1
	v_cmp_ne_u16_sdwa s[0:1], v2, s42 src0_sel:BYTE_0 src1_sel:DWORD
	v_mov_b32_e32 v28, 0x8000
	s_and_saveexec_b64 s[36:37], s[0:1]
	s_cbranch_execz .LBB250_74
; %bb.71:                               ;   in Loop: Header=BB250_9 Depth=1
	v_and_b32_e32 v30, 0x7f, v2
	v_cmp_ne_u32_e64 s[0:1], s43, v30
	v_mov_b32_e32 v28, 0x7c01
	s_and_saveexec_b64 s[38:39], s[0:1]
	s_cbranch_execz .LBB250_73
; %bb.72:                               ;   in Loop: Header=BB250_9 Depth=1
	v_and_b32_e32 v28, 7, v2
	v_ffbh_u32_e32 v32, v28
	v_min_u32_e32 v34, 32, v32
	v_subrev_u32_e32 v32, 28, v34
	v_lshlrev_b64 v[32:33], v32, v[2:3]
	v_lshrrev_b32_e32 v31, 3, v30
	v_sub_u32_e32 v33, 29, v34
	v_cmp_gt_u32_e64 s[0:1], 8, v30
	v_and_b32_e32 v32, 7, v32
	s_nop 0
	v_cndmask_b32_e64 v30, v31, v33, s[0:1]
	v_lshl_add_u32 v30, v30, 10, v15
	v_lshlrev_b32_e32 v31, 8, v2
	v_and_b32_e32 v30, 0xfc00, v30
	v_cndmask_b32_e64 v28, v28, v32, s[0:1]
	v_and_or_b32 v30, v31, s44, v30
	v_lshl_or_b32 v28, v28, 7, v30
.LBB250_73:                             ;   in Loop: Header=BB250_9 Depth=1
	s_or_b64 exec, exec, s[38:39]
.LBB250_74:                             ;   in Loop: Header=BB250_9 Depth=1
	s_or_b64 exec, exec, s[36:37]
.LBB250_75:                             ;   in Loop: Header=BB250_9 Depth=1
	s_or_b64 exec, exec, s[34:35]
	v_lshrrev_b16_e32 v2, 8, v2
	v_cmp_ne_u16_e64 s[0:1], 0, v2
	v_mov_b32_e32 v30, 0
	v_mov_b32_e32 v31, 0
	s_and_saveexec_b64 s[34:35], s[0:1]
	s_cbranch_execz .LBB250_81
; %bb.76:                               ;   in Loop: Header=BB250_9 Depth=1
	v_cmp_ne_u16_e64 s[0:1], s42, v2
	v_bfrev_b32_e32 v31, 1
	s_and_saveexec_b64 s[36:37], s[0:1]
	s_cbranch_execz .LBB250_80
; %bb.77:                               ;   in Loop: Header=BB250_9 Depth=1
	v_and_b32_e32 v32, 0x7f, v2
	v_cmp_ne_u32_e64 s[0:1], s43, v32
	v_mov_b32_e32 v31, 0x7c010000
	s_and_saveexec_b64 s[38:39], s[0:1]
	s_cbranch_execz .LBB250_79
; %bb.78:                               ;   in Loop: Header=BB250_9 Depth=1
	v_and_b32_e32 v31, 7, v2
	v_ffbh_u32_e32 v34, v31
	v_min_u32_e32 v36, 32, v34
	v_subrev_u32_e32 v34, 28, v36
	v_lshlrev_b64 v[34:35], v34, v[2:3]
	v_lshrrev_b32_e32 v33, 3, v32
	v_sub_u32_e32 v35, 29, v36
	v_cmp_gt_u32_e64 s[0:1], 8, v32
	v_lshlrev_b32_e32 v2, 8, v2
	s_nop 0
	v_cndmask_b32_e64 v32, v33, v35, s[0:1]
	v_lshl_add_u32 v32, v32, 10, v15
	v_and_b32_e32 v33, 7, v34
	v_and_or_b32 v2, v2, s44, v32
	v_cndmask_b32_e64 v31, v31, v33, s[0:1]
	v_lshlrev_b32_e32 v2, 16, v2
	v_lshl_or_b32 v31, v31, 23, v2
.LBB250_79:                             ;   in Loop: Header=BB250_9 Depth=1
	s_or_b64 exec, exec, s[38:39]
.LBB250_80:                             ;   in Loop: Header=BB250_9 Depth=1
	s_or_b64 exec, exec, s[36:37]
.LBB250_81:                             ;   in Loop: Header=BB250_9 Depth=1
	s_or_b64 exec, exec, s[34:35]
	global_load_ushort v32, v[8:9], off offset:768
	s_waitcnt vmcnt(0)
	v_and_b32_e32 v2, 0xffff, v32
	v_cmp_ne_u16_sdwa s[0:1], v32, v3 src0_sel:BYTE_0 src1_sel:DWORD
	s_and_saveexec_b64 s[34:35], s[0:1]
	s_cbranch_execz .LBB250_87
; %bb.82:                               ;   in Loop: Header=BB250_9 Depth=1
	v_cmp_ne_u16_sdwa s[0:1], v2, s42 src0_sel:BYTE_0 src1_sel:DWORD
	v_mov_b32_e32 v30, 0x8000
	s_and_saveexec_b64 s[36:37], s[0:1]
	s_cbranch_execz .LBB250_86
; %bb.83:                               ;   in Loop: Header=BB250_9 Depth=1
	v_and_b32_e32 v32, 0x7f, v2
	v_cmp_ne_u32_e64 s[0:1], s43, v32
	v_mov_b32_e32 v30, 0x7c01
	s_and_saveexec_b64 s[38:39], s[0:1]
	s_cbranch_execz .LBB250_85
; %bb.84:                               ;   in Loop: Header=BB250_9 Depth=1
	v_and_b32_e32 v30, 7, v2
	v_ffbh_u32_e32 v34, v30
	v_min_u32_e32 v36, 32, v34
	v_subrev_u32_e32 v34, 28, v36
	v_lshlrev_b64 v[34:35], v34, v[2:3]
	v_lshrrev_b32_e32 v33, 3, v32
	v_sub_u32_e32 v35, 29, v36
	v_cmp_gt_u32_e64 s[0:1], 8, v32
	v_and_b32_e32 v34, 7, v34
	s_nop 0
	v_cndmask_b32_e64 v32, v33, v35, s[0:1]
	v_lshl_add_u32 v32, v32, 10, v15
	v_lshlrev_b32_e32 v33, 8, v2
	v_and_b32_e32 v32, 0xfc00, v32
	v_cndmask_b32_e64 v30, v30, v34, s[0:1]
	v_and_or_b32 v32, v33, s44, v32
	v_lshl_or_b32 v30, v30, 7, v32
.LBB250_85:                             ;   in Loop: Header=BB250_9 Depth=1
	s_or_b64 exec, exec, s[38:39]
.LBB250_86:                             ;   in Loop: Header=BB250_9 Depth=1
	s_or_b64 exec, exec, s[36:37]
.LBB250_87:                             ;   in Loop: Header=BB250_9 Depth=1
	s_or_b64 exec, exec, s[34:35]
	v_lshrrev_b16_e32 v2, 8, v2
	v_cmp_ne_u16_e64 s[0:1], 0, v2
	v_mov_b32_e32 v32, 0
	v_mov_b32_e32 v33, 0
	s_and_saveexec_b64 s[34:35], s[0:1]
	s_cbranch_execz .LBB250_93
; %bb.88:                               ;   in Loop: Header=BB250_9 Depth=1
	v_cmp_ne_u16_e64 s[0:1], s42, v2
	v_bfrev_b32_e32 v33, 1
	s_and_saveexec_b64 s[36:37], s[0:1]
	s_cbranch_execz .LBB250_92
; %bb.89:                               ;   in Loop: Header=BB250_9 Depth=1
	v_and_b32_e32 v34, 0x7f, v2
	v_cmp_ne_u32_e64 s[0:1], s43, v34
	v_mov_b32_e32 v33, 0x7c010000
	s_and_saveexec_b64 s[38:39], s[0:1]
	s_cbranch_execz .LBB250_91
; %bb.90:                               ;   in Loop: Header=BB250_9 Depth=1
	v_and_b32_e32 v33, 7, v2
	v_ffbh_u32_e32 v36, v33
	v_min_u32_e32 v38, 32, v36
	v_subrev_u32_e32 v36, 28, v38
	v_lshlrev_b64 v[36:37], v36, v[2:3]
	v_lshrrev_b32_e32 v35, 3, v34
	v_sub_u32_e32 v37, 29, v38
	v_cmp_gt_u32_e64 s[0:1], 8, v34
	v_lshlrev_b32_e32 v2, 8, v2
	s_nop 0
	v_cndmask_b32_e64 v34, v35, v37, s[0:1]
	v_lshl_add_u32 v34, v34, 10, v15
	v_and_b32_e32 v35, 7, v36
	v_and_or_b32 v2, v2, s44, v34
	v_cndmask_b32_e64 v33, v33, v35, s[0:1]
	v_lshlrev_b32_e32 v2, 16, v2
	v_lshl_or_b32 v33, v33, 23, v2
.LBB250_91:                             ;   in Loop: Header=BB250_9 Depth=1
	s_or_b64 exec, exec, s[38:39]
.LBB250_92:                             ;   in Loop: Header=BB250_9 Depth=1
	s_or_b64 exec, exec, s[36:37]
.LBB250_93:                             ;   in Loop: Header=BB250_9 Depth=1
	s_or_b64 exec, exec, s[34:35]
	global_load_ushort v34, v[8:9], off offset:776
	s_waitcnt vmcnt(0)
	v_and_b32_e32 v2, 0xffff, v34
	v_cmp_ne_u16_sdwa s[0:1], v34, v3 src0_sel:BYTE_0 src1_sel:DWORD
	s_and_saveexec_b64 s[34:35], s[0:1]
	s_cbranch_execz .LBB250_99
; %bb.94:                               ;   in Loop: Header=BB250_9 Depth=1
	v_cmp_ne_u16_sdwa s[0:1], v2, s42 src0_sel:BYTE_0 src1_sel:DWORD
	v_mov_b32_e32 v32, 0x8000
	s_and_saveexec_b64 s[36:37], s[0:1]
	s_cbranch_execz .LBB250_98
; %bb.95:                               ;   in Loop: Header=BB250_9 Depth=1
	v_and_b32_e32 v34, 0x7f, v2
	v_cmp_ne_u32_e64 s[0:1], s43, v34
	v_mov_b32_e32 v32, 0x7c01
	s_and_saveexec_b64 s[38:39], s[0:1]
	s_cbranch_execz .LBB250_97
; %bb.96:                               ;   in Loop: Header=BB250_9 Depth=1
	v_and_b32_e32 v32, 7, v2
	v_ffbh_u32_e32 v36, v32
	v_min_u32_e32 v38, 32, v36
	v_subrev_u32_e32 v36, 28, v38
	v_lshlrev_b64 v[36:37], v36, v[2:3]
	v_lshrrev_b32_e32 v35, 3, v34
	v_sub_u32_e32 v37, 29, v38
	v_cmp_gt_u32_e64 s[0:1], 8, v34
	v_and_b32_e32 v36, 7, v36
	s_nop 0
	v_cndmask_b32_e64 v34, v35, v37, s[0:1]
	v_lshl_add_u32 v34, v34, 10, v15
	v_lshlrev_b32_e32 v35, 8, v2
	v_and_b32_e32 v34, 0xfc00, v34
	v_cndmask_b32_e64 v32, v32, v36, s[0:1]
	v_and_or_b32 v34, v35, s44, v34
	v_lshl_or_b32 v32, v32, 7, v34
.LBB250_97:                             ;   in Loop: Header=BB250_9 Depth=1
	s_or_b64 exec, exec, s[38:39]
.LBB250_98:                             ;   in Loop: Header=BB250_9 Depth=1
	s_or_b64 exec, exec, s[36:37]
.LBB250_99:                             ;   in Loop: Header=BB250_9 Depth=1
	s_or_b64 exec, exec, s[34:35]
	v_lshrrev_b16_e32 v2, 8, v2
	v_cmp_ne_u16_e64 s[0:1], 0, v2
	v_mov_b32_e32 v35, 0
	v_mov_b32_e32 v34, 0
	s_and_saveexec_b64 s[34:35], s[0:1]
	s_cbranch_execz .LBB250_105
; %bb.100:                              ;   in Loop: Header=BB250_9 Depth=1
	v_cmp_ne_u16_e64 s[0:1], s42, v2
	v_bfrev_b32_e32 v34, 1
	s_and_saveexec_b64 s[36:37], s[0:1]
	s_cbranch_execz .LBB250_104
; %bb.101:                              ;   in Loop: Header=BB250_9 Depth=1
	v_and_b32_e32 v36, 0x7f, v2
	v_cmp_ne_u32_e64 s[0:1], s43, v36
	v_mov_b32_e32 v34, 0x7c010000
	s_and_saveexec_b64 s[38:39], s[0:1]
	s_cbranch_execz .LBB250_103
; %bb.102:                              ;   in Loop: Header=BB250_9 Depth=1
	v_and_b32_e32 v34, 7, v2
	v_ffbh_u32_e32 v38, v34
	v_min_u32_e32 v40, 32, v38
	v_subrev_u32_e32 v38, 28, v40
	v_lshlrev_b64 v[38:39], v38, v[2:3]
	v_lshrrev_b32_e32 v37, 3, v36
	v_sub_u32_e32 v39, 29, v40
	v_cmp_gt_u32_e64 s[0:1], 8, v36
	v_lshlrev_b32_e32 v2, 8, v2
	s_nop 0
	v_cndmask_b32_e64 v36, v37, v39, s[0:1]
	v_lshl_add_u32 v36, v36, 10, v15
	v_and_b32_e32 v37, 7, v38
	v_and_or_b32 v2, v2, s44, v36
	v_cndmask_b32_e64 v34, v34, v37, s[0:1]
	v_lshlrev_b32_e32 v2, 16, v2
	v_lshl_or_b32 v34, v34, 23, v2
.LBB250_103:                            ;   in Loop: Header=BB250_9 Depth=1
	s_or_b64 exec, exec, s[38:39]
.LBB250_104:                            ;   in Loop: Header=BB250_9 Depth=1
	s_or_b64 exec, exec, s[36:37]
.LBB250_105:                            ;   in Loop: Header=BB250_9 Depth=1
	s_or_b64 exec, exec, s[34:35]
	global_load_ushort v36, v[8:9], off offset:1024
	s_waitcnt vmcnt(0)
	v_and_b32_e32 v2, 0xffff, v36
	v_cmp_ne_u16_sdwa s[0:1], v36, v3 src0_sel:BYTE_0 src1_sel:DWORD
	s_and_saveexec_b64 s[34:35], s[0:1]
	s_cbranch_execz .LBB250_111
; %bb.106:                              ;   in Loop: Header=BB250_9 Depth=1
	v_cmp_ne_u16_sdwa s[0:1], v2, s42 src0_sel:BYTE_0 src1_sel:DWORD
	v_mov_b32_e32 v35, 0x8000
	s_and_saveexec_b64 s[36:37], s[0:1]
	s_cbranch_execz .LBB250_110
; %bb.107:                              ;   in Loop: Header=BB250_9 Depth=1
	v_and_b32_e32 v36, 0x7f, v2
	v_cmp_ne_u32_e64 s[0:1], s43, v36
	v_mov_b32_e32 v35, 0x7c01
	s_and_saveexec_b64 s[38:39], s[0:1]
	s_cbranch_execz .LBB250_109
; %bb.108:                              ;   in Loop: Header=BB250_9 Depth=1
	v_and_b32_e32 v35, 7, v2
	v_ffbh_u32_e32 v38, v35
	v_min_u32_e32 v40, 32, v38
	v_subrev_u32_e32 v38, 28, v40
	v_lshlrev_b64 v[38:39], v38, v[2:3]
	v_lshrrev_b32_e32 v37, 3, v36
	v_sub_u32_e32 v39, 29, v40
	v_cmp_gt_u32_e64 s[0:1], 8, v36
	v_and_b32_e32 v38, 7, v38
	s_nop 0
	v_cndmask_b32_e64 v36, v37, v39, s[0:1]
	v_lshl_add_u32 v36, v36, 10, v15
	v_lshlrev_b32_e32 v37, 8, v2
	v_and_b32_e32 v36, 0xfc00, v36
	v_cndmask_b32_e64 v35, v35, v38, s[0:1]
	v_and_or_b32 v36, v37, s44, v36
	v_lshl_or_b32 v35, v35, 7, v36
.LBB250_109:                            ;   in Loop: Header=BB250_9 Depth=1
	s_or_b64 exec, exec, s[38:39]
.LBB250_110:                            ;   in Loop: Header=BB250_9 Depth=1
	s_or_b64 exec, exec, s[36:37]
.LBB250_111:                            ;   in Loop: Header=BB250_9 Depth=1
	s_or_b64 exec, exec, s[34:35]
	v_lshrrev_b16_e32 v2, 8, v2
	v_cmp_ne_u16_e64 s[0:1], 0, v2
	v_mov_b32_e32 v36, 0
	v_mov_b32_e32 v37, 0
	s_and_saveexec_b64 s[34:35], s[0:1]
	s_cbranch_execz .LBB250_117
; %bb.112:                              ;   in Loop: Header=BB250_9 Depth=1
	v_cmp_ne_u16_e64 s[0:1], s42, v2
	v_bfrev_b32_e32 v37, 1
	s_and_saveexec_b64 s[36:37], s[0:1]
	s_cbranch_execz .LBB250_116
; %bb.113:                              ;   in Loop: Header=BB250_9 Depth=1
	v_and_b32_e32 v38, 0x7f, v2
	v_cmp_ne_u32_e64 s[0:1], s43, v38
	v_mov_b32_e32 v37, 0x7c010000
	s_and_saveexec_b64 s[38:39], s[0:1]
	s_cbranch_execz .LBB250_115
; %bb.114:                              ;   in Loop: Header=BB250_9 Depth=1
	v_and_b32_e32 v37, 7, v2
	v_ffbh_u32_e32 v40, v37
	v_min_u32_e32 v42, 32, v40
	v_subrev_u32_e32 v40, 28, v42
	v_lshlrev_b64 v[40:41], v40, v[2:3]
	v_lshrrev_b32_e32 v39, 3, v38
	v_sub_u32_e32 v41, 29, v42
	v_cmp_gt_u32_e64 s[0:1], 8, v38
	v_lshlrev_b32_e32 v2, 8, v2
	s_nop 0
	v_cndmask_b32_e64 v38, v39, v41, s[0:1]
	v_lshl_add_u32 v38, v38, 10, v15
	v_and_b32_e32 v39, 7, v40
	v_and_or_b32 v2, v2, s44, v38
	v_cndmask_b32_e64 v37, v37, v39, s[0:1]
	v_lshlrev_b32_e32 v2, 16, v2
	v_lshl_or_b32 v37, v37, 23, v2
.LBB250_115:                            ;   in Loop: Header=BB250_9 Depth=1
	s_or_b64 exec, exec, s[38:39]
.LBB250_116:                            ;   in Loop: Header=BB250_9 Depth=1
	s_or_b64 exec, exec, s[36:37]
.LBB250_117:                            ;   in Loop: Header=BB250_9 Depth=1
	s_or_b64 exec, exec, s[34:35]
	global_load_ushort v38, v[8:9], off offset:1032
	s_waitcnt vmcnt(0)
	v_and_b32_e32 v2, 0xffff, v38
	v_cmp_ne_u16_sdwa s[0:1], v38, v3 src0_sel:BYTE_0 src1_sel:DWORD
	s_and_saveexec_b64 s[34:35], s[0:1]
	s_cbranch_execz .LBB250_123
; %bb.118:                              ;   in Loop: Header=BB250_9 Depth=1
	v_cmp_ne_u16_sdwa s[0:1], v2, s42 src0_sel:BYTE_0 src1_sel:DWORD
	v_mov_b32_e32 v36, 0x8000
	s_and_saveexec_b64 s[36:37], s[0:1]
	s_cbranch_execz .LBB250_122
; %bb.119:                              ;   in Loop: Header=BB250_9 Depth=1
	v_and_b32_e32 v38, 0x7f, v2
	v_cmp_ne_u32_e64 s[0:1], s43, v38
	v_mov_b32_e32 v36, 0x7c01
	s_and_saveexec_b64 s[38:39], s[0:1]
	s_cbranch_execz .LBB250_121
; %bb.120:                              ;   in Loop: Header=BB250_9 Depth=1
	v_and_b32_e32 v36, 7, v2
	v_ffbh_u32_e32 v40, v36
	v_min_u32_e32 v42, 32, v40
	v_subrev_u32_e32 v40, 28, v42
	v_lshlrev_b64 v[40:41], v40, v[2:3]
	v_lshrrev_b32_e32 v39, 3, v38
	v_sub_u32_e32 v41, 29, v42
	v_cmp_gt_u32_e64 s[0:1], 8, v38
	v_and_b32_e32 v40, 7, v40
	s_nop 0
	v_cndmask_b32_e64 v38, v39, v41, s[0:1]
	v_lshl_add_u32 v38, v38, 10, v15
	v_lshlrev_b32_e32 v39, 8, v2
	v_and_b32_e32 v38, 0xfc00, v38
	v_cndmask_b32_e64 v36, v36, v40, s[0:1]
	v_and_or_b32 v38, v39, s44, v38
	v_lshl_or_b32 v36, v36, 7, v38
.LBB250_121:                            ;   in Loop: Header=BB250_9 Depth=1
	s_or_b64 exec, exec, s[38:39]
.LBB250_122:                            ;   in Loop: Header=BB250_9 Depth=1
	s_or_b64 exec, exec, s[36:37]
.LBB250_123:                            ;   in Loop: Header=BB250_9 Depth=1
	s_or_b64 exec, exec, s[34:35]
	v_lshrrev_b16_e32 v2, 8, v2
	v_cmp_ne_u16_e64 s[0:1], 0, v2
	v_mov_b32_e32 v38, 0
	v_mov_b32_e32 v39, 0
	s_and_saveexec_b64 s[34:35], s[0:1]
	s_cbranch_execz .LBB250_129
; %bb.124:                              ;   in Loop: Header=BB250_9 Depth=1
	v_cmp_ne_u16_e64 s[0:1], s42, v2
	v_bfrev_b32_e32 v39, 1
	s_and_saveexec_b64 s[36:37], s[0:1]
	s_cbranch_execz .LBB250_128
; %bb.125:                              ;   in Loop: Header=BB250_9 Depth=1
	v_and_b32_e32 v40, 0x7f, v2
	v_cmp_ne_u32_e64 s[0:1], s43, v40
	v_mov_b32_e32 v39, 0x7c010000
	s_and_saveexec_b64 s[38:39], s[0:1]
	s_cbranch_execz .LBB250_127
; %bb.126:                              ;   in Loop: Header=BB250_9 Depth=1
	v_and_b32_e32 v39, 7, v2
	v_ffbh_u32_e32 v42, v39
	v_min_u32_e32 v44, 32, v42
	v_subrev_u32_e32 v42, 28, v44
	v_lshlrev_b64 v[42:43], v42, v[2:3]
	v_lshrrev_b32_e32 v41, 3, v40
	v_sub_u32_e32 v43, 29, v44
	v_cmp_gt_u32_e64 s[0:1], 8, v40
	v_lshlrev_b32_e32 v2, 8, v2
	s_nop 0
	v_cndmask_b32_e64 v40, v41, v43, s[0:1]
	v_lshl_add_u32 v40, v40, 10, v15
	v_and_b32_e32 v41, 7, v42
	v_and_or_b32 v2, v2, s44, v40
	v_cndmask_b32_e64 v39, v39, v41, s[0:1]
	v_lshlrev_b32_e32 v2, 16, v2
	v_lshl_or_b32 v39, v39, 23, v2
.LBB250_127:                            ;   in Loop: Header=BB250_9 Depth=1
	s_or_b64 exec, exec, s[38:39]
.LBB250_128:                            ;   in Loop: Header=BB250_9 Depth=1
	s_or_b64 exec, exec, s[36:37]
.LBB250_129:                            ;   in Loop: Header=BB250_9 Depth=1
	s_or_b64 exec, exec, s[34:35]
	global_load_ushort v40, v[8:9], off offset:1280
	s_waitcnt vmcnt(0)
	v_and_b32_e32 v2, 0xffff, v40
	v_cmp_ne_u16_sdwa s[0:1], v40, v3 src0_sel:BYTE_0 src1_sel:DWORD
	s_and_saveexec_b64 s[34:35], s[0:1]
	s_cbranch_execz .LBB250_135
; %bb.130:                              ;   in Loop: Header=BB250_9 Depth=1
	v_cmp_ne_u16_sdwa s[0:1], v2, s42 src0_sel:BYTE_0 src1_sel:DWORD
	v_mov_b32_e32 v38, 0x8000
	s_and_saveexec_b64 s[36:37], s[0:1]
	s_cbranch_execz .LBB250_134
; %bb.131:                              ;   in Loop: Header=BB250_9 Depth=1
	v_and_b32_e32 v40, 0x7f, v2
	v_cmp_ne_u32_e64 s[0:1], s43, v40
	v_mov_b32_e32 v38, 0x7c01
	s_and_saveexec_b64 s[38:39], s[0:1]
	s_cbranch_execz .LBB250_133
; %bb.132:                              ;   in Loop: Header=BB250_9 Depth=1
	v_and_b32_e32 v38, 7, v2
	v_ffbh_u32_e32 v42, v38
	v_min_u32_e32 v44, 32, v42
	v_subrev_u32_e32 v42, 28, v44
	v_lshlrev_b64 v[42:43], v42, v[2:3]
	v_lshrrev_b32_e32 v41, 3, v40
	v_sub_u32_e32 v43, 29, v44
	v_cmp_gt_u32_e64 s[0:1], 8, v40
	v_and_b32_e32 v42, 7, v42
	s_nop 0
	v_cndmask_b32_e64 v40, v41, v43, s[0:1]
	v_lshl_add_u32 v40, v40, 10, v15
	v_lshlrev_b32_e32 v41, 8, v2
	v_and_b32_e32 v40, 0xfc00, v40
	v_cndmask_b32_e64 v38, v38, v42, s[0:1]
	v_and_or_b32 v40, v41, s44, v40
	v_lshl_or_b32 v38, v38, 7, v40
.LBB250_133:                            ;   in Loop: Header=BB250_9 Depth=1
	s_or_b64 exec, exec, s[38:39]
.LBB250_134:                            ;   in Loop: Header=BB250_9 Depth=1
	s_or_b64 exec, exec, s[36:37]
.LBB250_135:                            ;   in Loop: Header=BB250_9 Depth=1
	s_or_b64 exec, exec, s[34:35]
	v_lshrrev_b16_e32 v2, 8, v2
	v_cmp_ne_u16_e64 s[0:1], 0, v2
	v_mov_b32_e32 v40, 0
	v_mov_b32_e32 v41, 0
	s_and_saveexec_b64 s[34:35], s[0:1]
	s_cbranch_execz .LBB250_141
; %bb.136:                              ;   in Loop: Header=BB250_9 Depth=1
	v_cmp_ne_u16_e64 s[0:1], s42, v2
	v_bfrev_b32_e32 v41, 1
	s_and_saveexec_b64 s[36:37], s[0:1]
	s_cbranch_execz .LBB250_140
; %bb.137:                              ;   in Loop: Header=BB250_9 Depth=1
	v_and_b32_e32 v42, 0x7f, v2
	v_cmp_ne_u32_e64 s[0:1], s43, v42
	v_mov_b32_e32 v41, 0x7c010000
	s_and_saveexec_b64 s[38:39], s[0:1]
	s_cbranch_execz .LBB250_139
; %bb.138:                              ;   in Loop: Header=BB250_9 Depth=1
	v_and_b32_e32 v41, 7, v2
	v_ffbh_u32_e32 v44, v41
	v_min_u32_e32 v46, 32, v44
	v_subrev_u32_e32 v44, 28, v46
	v_lshlrev_b64 v[44:45], v44, v[2:3]
	v_lshrrev_b32_e32 v43, 3, v42
	v_sub_u32_e32 v45, 29, v46
	v_cmp_gt_u32_e64 s[0:1], 8, v42
	v_lshlrev_b32_e32 v2, 8, v2
	s_nop 0
	v_cndmask_b32_e64 v42, v43, v45, s[0:1]
	v_lshl_add_u32 v42, v42, 10, v15
	v_and_b32_e32 v43, 7, v44
	v_and_or_b32 v2, v2, s44, v42
	v_cndmask_b32_e64 v41, v41, v43, s[0:1]
	v_lshlrev_b32_e32 v2, 16, v2
	v_lshl_or_b32 v41, v41, 23, v2
.LBB250_139:                            ;   in Loop: Header=BB250_9 Depth=1
	s_or_b64 exec, exec, s[38:39]
.LBB250_140:                            ;   in Loop: Header=BB250_9 Depth=1
	s_or_b64 exec, exec, s[36:37]
.LBB250_141:                            ;   in Loop: Header=BB250_9 Depth=1
	s_or_b64 exec, exec, s[34:35]
	global_load_ushort v42, v[8:9], off offset:1288
	s_waitcnt vmcnt(0)
	v_and_b32_e32 v2, 0xffff, v42
	v_cmp_ne_u16_sdwa s[0:1], v42, v3 src0_sel:BYTE_0 src1_sel:DWORD
	s_and_saveexec_b64 s[34:35], s[0:1]
	s_cbranch_execz .LBB250_147
; %bb.142:                              ;   in Loop: Header=BB250_9 Depth=1
	v_cmp_ne_u16_sdwa s[0:1], v2, s42 src0_sel:BYTE_0 src1_sel:DWORD
	v_mov_b32_e32 v40, 0x8000
	s_and_saveexec_b64 s[36:37], s[0:1]
	s_cbranch_execz .LBB250_146
; %bb.143:                              ;   in Loop: Header=BB250_9 Depth=1
	v_and_b32_e32 v42, 0x7f, v2
	v_cmp_ne_u32_e64 s[0:1], s43, v42
	v_mov_b32_e32 v40, 0x7c01
	s_and_saveexec_b64 s[38:39], s[0:1]
	s_cbranch_execz .LBB250_145
; %bb.144:                              ;   in Loop: Header=BB250_9 Depth=1
	v_and_b32_e32 v40, 7, v2
	v_ffbh_u32_e32 v44, v40
	v_min_u32_e32 v46, 32, v44
	v_subrev_u32_e32 v44, 28, v46
	v_lshlrev_b64 v[44:45], v44, v[2:3]
	v_lshrrev_b32_e32 v43, 3, v42
	v_sub_u32_e32 v45, 29, v46
	v_cmp_gt_u32_e64 s[0:1], 8, v42
	v_and_b32_e32 v44, 7, v44
	s_nop 0
	v_cndmask_b32_e64 v42, v43, v45, s[0:1]
	v_lshl_add_u32 v42, v42, 10, v15
	v_lshlrev_b32_e32 v43, 8, v2
	v_and_b32_e32 v42, 0xfc00, v42
	v_cndmask_b32_e64 v40, v40, v44, s[0:1]
	v_and_or_b32 v42, v43, s44, v42
	v_lshl_or_b32 v40, v40, 7, v42
.LBB250_145:                            ;   in Loop: Header=BB250_9 Depth=1
	s_or_b64 exec, exec, s[38:39]
.LBB250_146:                            ;   in Loop: Header=BB250_9 Depth=1
	s_or_b64 exec, exec, s[36:37]
.LBB250_147:                            ;   in Loop: Header=BB250_9 Depth=1
	s_or_b64 exec, exec, s[34:35]
	v_lshrrev_b16_e32 v2, 8, v2
	v_cmp_ne_u16_e64 s[0:1], 0, v2
	v_mov_b32_e32 v42, 0
	v_mov_b32_e32 v43, 0
	s_and_saveexec_b64 s[34:35], s[0:1]
	s_cbranch_execz .LBB250_153
; %bb.148:                              ;   in Loop: Header=BB250_9 Depth=1
	v_cmp_ne_u16_e64 s[0:1], s42, v2
	v_bfrev_b32_e32 v43, 1
	s_and_saveexec_b64 s[36:37], s[0:1]
	s_cbranch_execz .LBB250_152
; %bb.149:                              ;   in Loop: Header=BB250_9 Depth=1
	v_and_b32_e32 v44, 0x7f, v2
	v_cmp_ne_u32_e64 s[0:1], s43, v44
	v_mov_b32_e32 v43, 0x7c010000
	s_and_saveexec_b64 s[38:39], s[0:1]
	s_cbranch_execz .LBB250_151
; %bb.150:                              ;   in Loop: Header=BB250_9 Depth=1
	v_and_b32_e32 v43, 7, v2
	v_ffbh_u32_e32 v46, v43
	v_min_u32_e32 v48, 32, v46
	v_subrev_u32_e32 v46, 28, v48
	v_lshlrev_b64 v[46:47], v46, v[2:3]
	v_lshrrev_b32_e32 v45, 3, v44
	v_sub_u32_e32 v47, 29, v48
	v_cmp_gt_u32_e64 s[0:1], 8, v44
	v_lshlrev_b32_e32 v2, 8, v2
	s_nop 0
	v_cndmask_b32_e64 v44, v45, v47, s[0:1]
	v_lshl_add_u32 v44, v44, 10, v15
	v_and_b32_e32 v45, 7, v46
	v_and_or_b32 v2, v2, s44, v44
	v_cndmask_b32_e64 v43, v43, v45, s[0:1]
	v_lshlrev_b32_e32 v2, 16, v2
	v_lshl_or_b32 v43, v43, 23, v2
.LBB250_151:                            ;   in Loop: Header=BB250_9 Depth=1
	s_or_b64 exec, exec, s[38:39]
.LBB250_152:                            ;   in Loop: Header=BB250_9 Depth=1
	s_or_b64 exec, exec, s[36:37]
.LBB250_153:                            ;   in Loop: Header=BB250_9 Depth=1
	s_or_b64 exec, exec, s[34:35]
	global_load_ushort v44, v[8:9], off offset:1536
	s_waitcnt vmcnt(0)
	v_and_b32_e32 v2, 0xffff, v44
	v_cmp_ne_u16_sdwa s[0:1], v44, v3 src0_sel:BYTE_0 src1_sel:DWORD
	s_and_saveexec_b64 s[34:35], s[0:1]
	s_cbranch_execz .LBB250_159
; %bb.154:                              ;   in Loop: Header=BB250_9 Depth=1
	v_cmp_ne_u16_sdwa s[0:1], v2, s42 src0_sel:BYTE_0 src1_sel:DWORD
	v_mov_b32_e32 v42, 0x8000
	s_and_saveexec_b64 s[36:37], s[0:1]
	s_cbranch_execz .LBB250_158
; %bb.155:                              ;   in Loop: Header=BB250_9 Depth=1
	v_and_b32_e32 v44, 0x7f, v2
	v_cmp_ne_u32_e64 s[0:1], s43, v44
	v_mov_b32_e32 v42, 0x7c01
	s_and_saveexec_b64 s[38:39], s[0:1]
	s_cbranch_execz .LBB250_157
; %bb.156:                              ;   in Loop: Header=BB250_9 Depth=1
	v_and_b32_e32 v42, 7, v2
	v_ffbh_u32_e32 v46, v42
	v_min_u32_e32 v48, 32, v46
	v_subrev_u32_e32 v46, 28, v48
	v_lshlrev_b64 v[46:47], v46, v[2:3]
	v_lshrrev_b32_e32 v45, 3, v44
	v_sub_u32_e32 v47, 29, v48
	v_cmp_gt_u32_e64 s[0:1], 8, v44
	v_and_b32_e32 v46, 7, v46
	s_nop 0
	v_cndmask_b32_e64 v44, v45, v47, s[0:1]
	v_lshl_add_u32 v44, v44, 10, v15
	v_lshlrev_b32_e32 v45, 8, v2
	v_and_b32_e32 v44, 0xfc00, v44
	v_cndmask_b32_e64 v42, v42, v46, s[0:1]
	v_and_or_b32 v44, v45, s44, v44
	v_lshl_or_b32 v42, v42, 7, v44
.LBB250_157:                            ;   in Loop: Header=BB250_9 Depth=1
	s_or_b64 exec, exec, s[38:39]
.LBB250_158:                            ;   in Loop: Header=BB250_9 Depth=1
	s_or_b64 exec, exec, s[36:37]
.LBB250_159:                            ;   in Loop: Header=BB250_9 Depth=1
	s_or_b64 exec, exec, s[34:35]
	v_lshrrev_b16_e32 v2, 8, v2
	v_cmp_ne_u16_e64 s[0:1], 0, v2
	v_mov_b32_e32 v46, 0
	v_mov_b32_e32 v44, 0
	s_and_saveexec_b64 s[34:35], s[0:1]
	s_cbranch_execz .LBB250_165
; %bb.160:                              ;   in Loop: Header=BB250_9 Depth=1
	v_cmp_ne_u16_e64 s[0:1], s42, v2
	v_bfrev_b32_e32 v44, 1
	s_and_saveexec_b64 s[36:37], s[0:1]
	s_cbranch_execz .LBB250_164
; %bb.161:                              ;   in Loop: Header=BB250_9 Depth=1
	v_and_b32_e32 v45, 0x7f, v2
	v_cmp_ne_u32_e64 s[0:1], s43, v45
	v_mov_b32_e32 v44, 0x7c010000
	s_and_saveexec_b64 s[38:39], s[0:1]
	s_cbranch_execz .LBB250_163
; %bb.162:                              ;   in Loop: Header=BB250_9 Depth=1
	v_and_b32_e32 v44, 7, v2
	v_ffbh_u32_e32 v48, v44
	v_min_u32_e32 v50, 32, v48
	v_subrev_u32_e32 v48, 28, v50
	v_lshlrev_b64 v[48:49], v48, v[2:3]
	v_lshrrev_b32_e32 v47, 3, v45
	v_sub_u32_e32 v49, 29, v50
	v_cmp_gt_u32_e64 s[0:1], 8, v45
	v_lshlrev_b32_e32 v2, 8, v2
	s_nop 0
	v_cndmask_b32_e64 v45, v47, v49, s[0:1]
	v_lshl_add_u32 v45, v45, 10, v15
	v_and_b32_e32 v47, 7, v48
	v_and_or_b32 v2, v2, s44, v45
	v_cndmask_b32_e64 v44, v44, v47, s[0:1]
	v_lshlrev_b32_e32 v2, 16, v2
	v_lshl_or_b32 v44, v44, 23, v2
.LBB250_163:                            ;   in Loop: Header=BB250_9 Depth=1
	s_or_b64 exec, exec, s[38:39]
.LBB250_164:                            ;   in Loop: Header=BB250_9 Depth=1
	s_or_b64 exec, exec, s[36:37]
.LBB250_165:                            ;   in Loop: Header=BB250_9 Depth=1
	s_or_b64 exec, exec, s[34:35]
	global_load_ushort v45, v[8:9], off offset:1544
	s_waitcnt vmcnt(0)
	v_and_b32_e32 v2, 0xffff, v45
	v_cmp_ne_u16_sdwa s[0:1], v45, v3 src0_sel:BYTE_0 src1_sel:DWORD
	s_and_saveexec_b64 s[34:35], s[0:1]
	s_cbranch_execz .LBB250_171
; %bb.166:                              ;   in Loop: Header=BB250_9 Depth=1
	v_cmp_ne_u16_sdwa s[0:1], v2, s42 src0_sel:BYTE_0 src1_sel:DWORD
	v_mov_b32_e32 v46, 0x8000
	s_and_saveexec_b64 s[36:37], s[0:1]
	s_cbranch_execz .LBB250_170
; %bb.167:                              ;   in Loop: Header=BB250_9 Depth=1
	v_and_b32_e32 v45, 0x7f, v2
	v_cmp_ne_u32_e64 s[0:1], s43, v45
	v_mov_b32_e32 v46, 0x7c01
	s_and_saveexec_b64 s[38:39], s[0:1]
	s_cbranch_execz .LBB250_169
; %bb.168:                              ;   in Loop: Header=BB250_9 Depth=1
	v_and_b32_e32 v48, 7, v2
	v_ffbh_u32_e32 v46, v48
	v_min_u32_e32 v50, 32, v46
	v_subrev_u32_e32 v46, 28, v50
	v_lshlrev_b64 v[46:47], v46, v[2:3]
	v_lshrrev_b32_e32 v49, 3, v45
	v_sub_u32_e32 v47, 29, v50
	v_cmp_gt_u32_e64 s[0:1], 8, v45
	v_and_b32_e32 v46, 7, v46
	s_nop 0
	v_cndmask_b32_e64 v45, v49, v47, s[0:1]
	v_lshl_add_u32 v45, v45, 10, v15
	v_lshlrev_b32_e32 v47, 8, v2
	v_and_b32_e32 v45, 0xfc00, v45
	v_cndmask_b32_e64 v46, v48, v46, s[0:1]
	v_and_or_b32 v45, v47, s44, v45
	v_lshl_or_b32 v46, v46, 7, v45
.LBB250_169:                            ;   in Loop: Header=BB250_9 Depth=1
	s_or_b64 exec, exec, s[38:39]
.LBB250_170:                            ;   in Loop: Header=BB250_9 Depth=1
	s_or_b64 exec, exec, s[36:37]
.LBB250_171:                            ;   in Loop: Header=BB250_9 Depth=1
	s_or_b64 exec, exec, s[34:35]
	v_lshrrev_b16_e32 v2, 8, v2
	v_cmp_ne_u16_e64 s[0:1], 0, v2
	v_mov_b32_e32 v47, 0
	v_mov_b32_e32 v45, 0
	s_and_saveexec_b64 s[34:35], s[0:1]
	s_cbranch_execz .LBB250_177
; %bb.172:                              ;   in Loop: Header=BB250_9 Depth=1
	v_cmp_ne_u16_e64 s[0:1], s42, v2
	v_bfrev_b32_e32 v45, 1
	s_and_saveexec_b64 s[36:37], s[0:1]
	s_cbranch_execz .LBB250_176
; %bb.173:                              ;   in Loop: Header=BB250_9 Depth=1
	v_and_b32_e32 v48, 0x7f, v2
	v_cmp_ne_u32_e64 s[0:1], s43, v48
	v_mov_b32_e32 v45, 0x7c010000
	s_and_saveexec_b64 s[38:39], s[0:1]
	s_cbranch_execz .LBB250_175
; %bb.174:                              ;   in Loop: Header=BB250_9 Depth=1
	v_and_b32_e32 v45, 7, v2
	v_ffbh_u32_e32 v50, v45
	v_min_u32_e32 v52, 32, v50
	v_subrev_u32_e32 v50, 28, v52
	v_lshlrev_b64 v[50:51], v50, v[2:3]
	v_lshrrev_b32_e32 v49, 3, v48
	v_sub_u32_e32 v51, 29, v52
	v_cmp_gt_u32_e64 s[0:1], 8, v48
	v_lshlrev_b32_e32 v2, 8, v2
	s_nop 0
	v_cndmask_b32_e64 v48, v49, v51, s[0:1]
	v_lshl_add_u32 v48, v48, 10, v15
	v_and_b32_e32 v49, 7, v50
	v_and_or_b32 v2, v2, s44, v48
	v_cndmask_b32_e64 v45, v45, v49, s[0:1]
	v_lshlrev_b32_e32 v2, 16, v2
	v_lshl_or_b32 v45, v45, 23, v2
.LBB250_175:                            ;   in Loop: Header=BB250_9 Depth=1
	s_or_b64 exec, exec, s[38:39]
.LBB250_176:                            ;   in Loop: Header=BB250_9 Depth=1
	s_or_b64 exec, exec, s[36:37]
.LBB250_177:                            ;   in Loop: Header=BB250_9 Depth=1
	s_or_b64 exec, exec, s[34:35]
	global_load_ushort v48, v[8:9], off offset:1792
	s_waitcnt vmcnt(0)
	v_and_b32_e32 v2, 0xffff, v48
	v_cmp_ne_u16_sdwa s[0:1], v48, v3 src0_sel:BYTE_0 src1_sel:DWORD
	s_and_saveexec_b64 s[34:35], s[0:1]
	s_cbranch_execz .LBB250_183
; %bb.178:                              ;   in Loop: Header=BB250_9 Depth=1
	v_cmp_ne_u16_sdwa s[0:1], v2, s42 src0_sel:BYTE_0 src1_sel:DWORD
	v_mov_b32_e32 v47, 0x8000
	s_and_saveexec_b64 s[36:37], s[0:1]
	s_cbranch_execz .LBB250_182
; %bb.179:                              ;   in Loop: Header=BB250_9 Depth=1
	v_and_b32_e32 v48, 0x7f, v2
	v_cmp_ne_u32_e64 s[0:1], s43, v48
	v_mov_b32_e32 v47, 0x7c01
	s_and_saveexec_b64 s[38:39], s[0:1]
	s_cbranch_execz .LBB250_181
; %bb.180:                              ;   in Loop: Header=BB250_9 Depth=1
	v_and_b32_e32 v47, 7, v2
	v_ffbh_u32_e32 v50, v47
	v_min_u32_e32 v52, 32, v50
	v_subrev_u32_e32 v50, 28, v52
	v_lshlrev_b64 v[50:51], v50, v[2:3]
	v_lshrrev_b32_e32 v49, 3, v48
	v_sub_u32_e32 v51, 29, v52
	v_cmp_gt_u32_e64 s[0:1], 8, v48
	v_and_b32_e32 v50, 7, v50
	s_nop 0
	v_cndmask_b32_e64 v48, v49, v51, s[0:1]
	v_lshl_add_u32 v48, v48, 10, v15
	v_lshlrev_b32_e32 v49, 8, v2
	v_and_b32_e32 v48, 0xfc00, v48
	v_cndmask_b32_e64 v47, v47, v50, s[0:1]
	v_and_or_b32 v48, v49, s44, v48
	v_lshl_or_b32 v47, v47, 7, v48
.LBB250_181:                            ;   in Loop: Header=BB250_9 Depth=1
	s_or_b64 exec, exec, s[38:39]
.LBB250_182:                            ;   in Loop: Header=BB250_9 Depth=1
	s_or_b64 exec, exec, s[36:37]
.LBB250_183:                            ;   in Loop: Header=BB250_9 Depth=1
	s_or_b64 exec, exec, s[34:35]
	v_lshrrev_b16_e32 v2, 8, v2
	v_cmp_ne_u16_e64 s[0:1], 0, v2
	v_mov_b32_e32 v49, 0
	v_mov_b32_e32 v48, 0
	s_and_saveexec_b64 s[34:35], s[0:1]
	s_cbranch_execz .LBB250_189
; %bb.184:                              ;   in Loop: Header=BB250_9 Depth=1
	v_cmp_ne_u16_e64 s[0:1], s42, v2
	v_bfrev_b32_e32 v48, 1
	s_and_saveexec_b64 s[36:37], s[0:1]
	s_cbranch_execz .LBB250_188
; %bb.185:                              ;   in Loop: Header=BB250_9 Depth=1
	v_and_b32_e32 v50, 0x7f, v2
	v_cmp_ne_u32_e64 s[0:1], s43, v50
	v_mov_b32_e32 v48, 0x7c010000
	s_and_saveexec_b64 s[38:39], s[0:1]
	s_cbranch_execz .LBB250_187
; %bb.186:                              ;   in Loop: Header=BB250_9 Depth=1
	v_and_b32_e32 v48, 7, v2
	v_ffbh_u32_e32 v52, v48
	v_min_u32_e32 v54, 32, v52
	v_subrev_u32_e32 v52, 28, v54
	v_lshlrev_b64 v[52:53], v52, v[2:3]
	v_lshrrev_b32_e32 v51, 3, v50
	v_sub_u32_e32 v53, 29, v54
	v_cmp_gt_u32_e64 s[0:1], 8, v50
	v_lshlrev_b32_e32 v2, 8, v2
	s_nop 0
	v_cndmask_b32_e64 v50, v51, v53, s[0:1]
	v_lshl_add_u32 v50, v50, 10, v15
	v_and_b32_e32 v51, 7, v52
	v_and_or_b32 v2, v2, s44, v50
	v_cndmask_b32_e64 v48, v48, v51, s[0:1]
	v_lshlrev_b32_e32 v2, 16, v2
	v_lshl_or_b32 v48, v48, 23, v2
.LBB250_187:                            ;   in Loop: Header=BB250_9 Depth=1
	s_or_b64 exec, exec, s[38:39]
.LBB250_188:                            ;   in Loop: Header=BB250_9 Depth=1
	s_or_b64 exec, exec, s[36:37]
.LBB250_189:                            ;   in Loop: Header=BB250_9 Depth=1
	s_or_b64 exec, exec, s[34:35]
	global_load_ushort v50, v[8:9], off offset:1800
	s_waitcnt vmcnt(0)
	v_and_b32_e32 v2, 0xffff, v50
	v_cmp_ne_u16_sdwa s[0:1], v50, v3 src0_sel:BYTE_0 src1_sel:DWORD
	s_and_saveexec_b64 s[34:35], s[0:1]
	s_cbranch_execz .LBB250_195
; %bb.190:                              ;   in Loop: Header=BB250_9 Depth=1
	v_cmp_ne_u16_sdwa s[0:1], v2, s42 src0_sel:BYTE_0 src1_sel:DWORD
	v_mov_b32_e32 v49, 0x8000
	s_and_saveexec_b64 s[36:37], s[0:1]
	s_cbranch_execz .LBB250_194
; %bb.191:                              ;   in Loop: Header=BB250_9 Depth=1
	v_and_b32_e32 v50, 0x7f, v2
	v_cmp_ne_u32_e64 s[0:1], s43, v50
	v_mov_b32_e32 v49, 0x7c01
	s_and_saveexec_b64 s[38:39], s[0:1]
	s_cbranch_execz .LBB250_193
; %bb.192:                              ;   in Loop: Header=BB250_9 Depth=1
	v_and_b32_e32 v49, 7, v2
	v_ffbh_u32_e32 v52, v49
	v_min_u32_e32 v54, 32, v52
	v_subrev_u32_e32 v52, 28, v54
	v_lshlrev_b64 v[52:53], v52, v[2:3]
	v_lshrrev_b32_e32 v51, 3, v50
	v_sub_u32_e32 v53, 29, v54
	v_cmp_gt_u32_e64 s[0:1], 8, v50
	v_and_b32_e32 v52, 7, v52
	s_nop 0
	v_cndmask_b32_e64 v50, v51, v53, s[0:1]
	v_lshl_add_u32 v50, v50, 10, v15
	v_lshlrev_b32_e32 v51, 8, v2
	v_and_b32_e32 v50, 0xfc00, v50
	v_cndmask_b32_e64 v49, v49, v52, s[0:1]
	v_and_or_b32 v50, v51, s44, v50
	v_lshl_or_b32 v49, v49, 7, v50
.LBB250_193:                            ;   in Loop: Header=BB250_9 Depth=1
	s_or_b64 exec, exec, s[38:39]
.LBB250_194:                            ;   in Loop: Header=BB250_9 Depth=1
	s_or_b64 exec, exec, s[36:37]
.LBB250_195:                            ;   in Loop: Header=BB250_9 Depth=1
	s_or_b64 exec, exec, s[34:35]
	v_lshrrev_b16_e32 v2, 8, v2
	v_cmp_ne_u16_e64 s[0:1], 0, v2
	v_mov_b32_e32 v51, 0
	v_mov_b32_e32 v50, 0
	s_and_saveexec_b64 s[34:35], s[0:1]
	s_cbranch_execz .LBB250_201
; %bb.196:                              ;   in Loop: Header=BB250_9 Depth=1
	v_cmp_ne_u16_e64 s[0:1], s42, v2
	v_bfrev_b32_e32 v50, 1
	s_and_saveexec_b64 s[36:37], s[0:1]
	s_cbranch_execz .LBB250_200
; %bb.197:                              ;   in Loop: Header=BB250_9 Depth=1
	v_and_b32_e32 v52, 0x7f, v2
	v_cmp_ne_u32_e64 s[0:1], s43, v52
	v_mov_b32_e32 v50, 0x7c010000
	s_and_saveexec_b64 s[38:39], s[0:1]
	s_cbranch_execz .LBB250_199
; %bb.198:                              ;   in Loop: Header=BB250_9 Depth=1
	v_and_b32_e32 v50, 7, v2
	v_ffbh_u32_e32 v54, v50
	v_min_u32_e32 v56, 32, v54
	v_subrev_u32_e32 v54, 28, v56
	v_lshlrev_b64 v[54:55], v54, v[2:3]
	v_lshrrev_b32_e32 v53, 3, v52
	v_sub_u32_e32 v55, 29, v56
	v_cmp_gt_u32_e64 s[0:1], 8, v52
	v_lshlrev_b32_e32 v2, 8, v2
	s_nop 0
	v_cndmask_b32_e64 v52, v53, v55, s[0:1]
	v_lshl_add_u32 v52, v52, 10, v15
	v_and_b32_e32 v53, 7, v54
	v_and_or_b32 v2, v2, s44, v52
	v_cndmask_b32_e64 v50, v50, v53, s[0:1]
	v_lshlrev_b32_e32 v2, 16, v2
	v_lshl_or_b32 v50, v50, 23, v2
.LBB250_199:                            ;   in Loop: Header=BB250_9 Depth=1
	s_or_b64 exec, exec, s[38:39]
.LBB250_200:                            ;   in Loop: Header=BB250_9 Depth=1
	s_or_b64 exec, exec, s[36:37]
.LBB250_201:                            ;   in Loop: Header=BB250_9 Depth=1
	s_or_b64 exec, exec, s[34:35]
	global_load_ushort v52, v[8:9], off offset:2048
	s_waitcnt vmcnt(0)
	v_and_b32_e32 v2, 0xffff, v52
	v_cmp_ne_u16_sdwa s[0:1], v52, v3 src0_sel:BYTE_0 src1_sel:DWORD
	s_and_saveexec_b64 s[34:35], s[0:1]
	s_cbranch_execz .LBB250_207
; %bb.202:                              ;   in Loop: Header=BB250_9 Depth=1
	v_cmp_ne_u16_sdwa s[0:1], v2, s42 src0_sel:BYTE_0 src1_sel:DWORD
	v_mov_b32_e32 v51, 0x8000
	s_and_saveexec_b64 s[36:37], s[0:1]
	s_cbranch_execz .LBB250_206
; %bb.203:                              ;   in Loop: Header=BB250_9 Depth=1
	v_and_b32_e32 v52, 0x7f, v2
	v_cmp_ne_u32_e64 s[0:1], s43, v52
	v_mov_b32_e32 v51, 0x7c01
	s_and_saveexec_b64 s[38:39], s[0:1]
	s_cbranch_execz .LBB250_205
; %bb.204:                              ;   in Loop: Header=BB250_9 Depth=1
	v_and_b32_e32 v51, 7, v2
	v_ffbh_u32_e32 v54, v51
	v_min_u32_e32 v56, 32, v54
	v_subrev_u32_e32 v54, 28, v56
	v_lshlrev_b64 v[54:55], v54, v[2:3]
	v_lshrrev_b32_e32 v53, 3, v52
	v_sub_u32_e32 v55, 29, v56
	v_cmp_gt_u32_e64 s[0:1], 8, v52
	v_and_b32_e32 v54, 7, v54
	s_nop 0
	v_cndmask_b32_e64 v52, v53, v55, s[0:1]
	v_lshl_add_u32 v52, v52, 10, v15
	v_lshlrev_b32_e32 v53, 8, v2
	v_and_b32_e32 v52, 0xfc00, v52
	v_cndmask_b32_e64 v51, v51, v54, s[0:1]
	v_and_or_b32 v52, v53, s44, v52
	v_lshl_or_b32 v51, v51, 7, v52
.LBB250_205:                            ;   in Loop: Header=BB250_9 Depth=1
	s_or_b64 exec, exec, s[38:39]
.LBB250_206:                            ;   in Loop: Header=BB250_9 Depth=1
	s_or_b64 exec, exec, s[36:37]
.LBB250_207:                            ;   in Loop: Header=BB250_9 Depth=1
	s_or_b64 exec, exec, s[34:35]
	v_lshrrev_b16_e32 v2, 8, v2
	v_cmp_ne_u16_e64 s[0:1], 0, v2
	v_mov_b32_e32 v53, 0
	v_mov_b32_e32 v52, 0
	s_and_saveexec_b64 s[34:35], s[0:1]
	s_cbranch_execz .LBB250_213
; %bb.208:                              ;   in Loop: Header=BB250_9 Depth=1
	v_cmp_ne_u16_e64 s[0:1], s42, v2
	v_bfrev_b32_e32 v52, 1
	s_and_saveexec_b64 s[36:37], s[0:1]
	s_cbranch_execz .LBB250_212
; %bb.209:                              ;   in Loop: Header=BB250_9 Depth=1
	v_and_b32_e32 v54, 0x7f, v2
	v_cmp_ne_u32_e64 s[0:1], s43, v54
	v_mov_b32_e32 v52, 0x7c010000
	s_and_saveexec_b64 s[38:39], s[0:1]
	s_cbranch_execz .LBB250_211
; %bb.210:                              ;   in Loop: Header=BB250_9 Depth=1
	v_and_b32_e32 v52, 7, v2
	v_ffbh_u32_e32 v56, v52
	v_min_u32_e32 v58, 32, v56
	v_subrev_u32_e32 v56, 28, v58
	v_lshlrev_b64 v[56:57], v56, v[2:3]
	v_lshrrev_b32_e32 v55, 3, v54
	v_sub_u32_e32 v57, 29, v58
	v_cmp_gt_u32_e64 s[0:1], 8, v54
	v_lshlrev_b32_e32 v2, 8, v2
	s_nop 0
	v_cndmask_b32_e64 v54, v55, v57, s[0:1]
	v_lshl_add_u32 v54, v54, 10, v15
	v_and_b32_e32 v55, 7, v56
	v_and_or_b32 v2, v2, s44, v54
	v_cndmask_b32_e64 v52, v52, v55, s[0:1]
	v_lshlrev_b32_e32 v2, 16, v2
	v_lshl_or_b32 v52, v52, 23, v2
.LBB250_211:                            ;   in Loop: Header=BB250_9 Depth=1
	s_or_b64 exec, exec, s[38:39]
.LBB250_212:                            ;   in Loop: Header=BB250_9 Depth=1
	s_or_b64 exec, exec, s[36:37]
.LBB250_213:                            ;   in Loop: Header=BB250_9 Depth=1
	s_or_b64 exec, exec, s[34:35]
	global_load_ushort v54, v[8:9], off offset:2056
	s_waitcnt vmcnt(0)
	v_and_b32_e32 v2, 0xffff, v54
	v_cmp_ne_u16_sdwa s[0:1], v54, v3 src0_sel:BYTE_0 src1_sel:DWORD
	s_and_saveexec_b64 s[34:35], s[0:1]
	s_cbranch_execz .LBB250_219
; %bb.214:                              ;   in Loop: Header=BB250_9 Depth=1
	v_cmp_ne_u16_sdwa s[0:1], v2, s42 src0_sel:BYTE_0 src1_sel:DWORD
	v_mov_b32_e32 v53, 0x8000
	s_and_saveexec_b64 s[36:37], s[0:1]
	s_cbranch_execz .LBB250_218
; %bb.215:                              ;   in Loop: Header=BB250_9 Depth=1
	v_and_b32_e32 v54, 0x7f, v2
	v_cmp_ne_u32_e64 s[0:1], s43, v54
	v_mov_b32_e32 v53, 0x7c01
	s_and_saveexec_b64 s[38:39], s[0:1]
	s_cbranch_execz .LBB250_217
; %bb.216:                              ;   in Loop: Header=BB250_9 Depth=1
	v_and_b32_e32 v53, 7, v2
	v_ffbh_u32_e32 v56, v53
	v_min_u32_e32 v58, 32, v56
	v_subrev_u32_e32 v56, 28, v58
	v_lshlrev_b64 v[56:57], v56, v[2:3]
	v_lshrrev_b32_e32 v55, 3, v54
	v_sub_u32_e32 v57, 29, v58
	v_cmp_gt_u32_e64 s[0:1], 8, v54
	v_and_b32_e32 v56, 7, v56
	s_nop 0
	v_cndmask_b32_e64 v54, v55, v57, s[0:1]
	v_lshl_add_u32 v54, v54, 10, v15
	v_lshlrev_b32_e32 v55, 8, v2
	v_and_b32_e32 v54, 0xfc00, v54
	v_cndmask_b32_e64 v53, v53, v56, s[0:1]
	v_and_or_b32 v54, v55, s44, v54
	v_lshl_or_b32 v53, v53, 7, v54
.LBB250_217:                            ;   in Loop: Header=BB250_9 Depth=1
	s_or_b64 exec, exec, s[38:39]
.LBB250_218:                            ;   in Loop: Header=BB250_9 Depth=1
	s_or_b64 exec, exec, s[36:37]
.LBB250_219:                            ;   in Loop: Header=BB250_9 Depth=1
	s_or_b64 exec, exec, s[34:35]
	v_lshrrev_b16_e32 v2, 8, v2
	v_cmp_ne_u16_e64 s[0:1], 0, v2
	v_mov_b32_e32 v55, 0
	v_mov_b32_e32 v54, 0
	s_and_saveexec_b64 s[34:35], s[0:1]
	s_cbranch_execz .LBB250_225
; %bb.220:                              ;   in Loop: Header=BB250_9 Depth=1
	v_cmp_ne_u16_e64 s[0:1], s42, v2
	v_bfrev_b32_e32 v54, 1
	s_and_saveexec_b64 s[36:37], s[0:1]
	s_cbranch_execz .LBB250_224
; %bb.221:                              ;   in Loop: Header=BB250_9 Depth=1
	v_and_b32_e32 v56, 0x7f, v2
	v_cmp_ne_u32_e64 s[0:1], s43, v56
	v_mov_b32_e32 v54, 0x7c010000
	s_and_saveexec_b64 s[38:39], s[0:1]
	s_cbranch_execz .LBB250_223
; %bb.222:                              ;   in Loop: Header=BB250_9 Depth=1
	v_and_b32_e32 v54, 7, v2
	v_ffbh_u32_e32 v58, v54
	v_min_u32_e32 v60, 32, v58
	v_subrev_u32_e32 v58, 28, v60
	v_lshlrev_b64 v[58:59], v58, v[2:3]
	v_lshrrev_b32_e32 v57, 3, v56
	v_sub_u32_e32 v59, 29, v60
	v_cmp_gt_u32_e64 s[0:1], 8, v56
	v_lshlrev_b32_e32 v2, 8, v2
	s_nop 0
	v_cndmask_b32_e64 v56, v57, v59, s[0:1]
	v_lshl_add_u32 v56, v56, 10, v15
	v_and_b32_e32 v57, 7, v58
	v_and_or_b32 v2, v2, s44, v56
	v_cndmask_b32_e64 v54, v54, v57, s[0:1]
	v_lshlrev_b32_e32 v2, 16, v2
	v_lshl_or_b32 v54, v54, 23, v2
.LBB250_223:                            ;   in Loop: Header=BB250_9 Depth=1
	s_or_b64 exec, exec, s[38:39]
.LBB250_224:                            ;   in Loop: Header=BB250_9 Depth=1
	s_or_b64 exec, exec, s[36:37]
.LBB250_225:                            ;   in Loop: Header=BB250_9 Depth=1
	s_or_b64 exec, exec, s[34:35]
	global_load_ushort v56, v[8:9], off offset:2304
	s_waitcnt vmcnt(0)
	v_and_b32_e32 v2, 0xffff, v56
	v_cmp_ne_u16_sdwa s[0:1], v56, v3 src0_sel:BYTE_0 src1_sel:DWORD
	s_and_saveexec_b64 s[34:35], s[0:1]
	s_cbranch_execz .LBB250_231
; %bb.226:                              ;   in Loop: Header=BB250_9 Depth=1
	v_cmp_ne_u16_sdwa s[0:1], v2, s42 src0_sel:BYTE_0 src1_sel:DWORD
	v_mov_b32_e32 v55, 0x8000
	s_and_saveexec_b64 s[36:37], s[0:1]
	s_cbranch_execz .LBB250_230
; %bb.227:                              ;   in Loop: Header=BB250_9 Depth=1
	v_and_b32_e32 v56, 0x7f, v2
	v_cmp_ne_u32_e64 s[0:1], s43, v56
	v_mov_b32_e32 v55, 0x7c01
	s_and_saveexec_b64 s[38:39], s[0:1]
	s_cbranch_execz .LBB250_229
; %bb.228:                              ;   in Loop: Header=BB250_9 Depth=1
	v_and_b32_e32 v55, 7, v2
	v_ffbh_u32_e32 v58, v55
	v_min_u32_e32 v60, 32, v58
	v_subrev_u32_e32 v58, 28, v60
	v_lshlrev_b64 v[58:59], v58, v[2:3]
	v_lshrrev_b32_e32 v57, 3, v56
	v_sub_u32_e32 v59, 29, v60
	v_cmp_gt_u32_e64 s[0:1], 8, v56
	v_and_b32_e32 v58, 7, v58
	s_nop 0
	v_cndmask_b32_e64 v56, v57, v59, s[0:1]
	v_lshl_add_u32 v56, v56, 10, v15
	v_lshlrev_b32_e32 v57, 8, v2
	v_and_b32_e32 v56, 0xfc00, v56
	v_cndmask_b32_e64 v55, v55, v58, s[0:1]
	v_and_or_b32 v56, v57, s44, v56
	v_lshl_or_b32 v55, v55, 7, v56
.LBB250_229:                            ;   in Loop: Header=BB250_9 Depth=1
	s_or_b64 exec, exec, s[38:39]
.LBB250_230:                            ;   in Loop: Header=BB250_9 Depth=1
	s_or_b64 exec, exec, s[36:37]
.LBB250_231:                            ;   in Loop: Header=BB250_9 Depth=1
	s_or_b64 exec, exec, s[34:35]
	v_lshrrev_b16_e32 v2, 8, v2
	v_cmp_ne_u16_e64 s[0:1], 0, v2
	v_mov_b32_e32 v57, 0
	v_mov_b32_e32 v56, 0
	s_and_saveexec_b64 s[34:35], s[0:1]
	s_cbranch_execz .LBB250_237
; %bb.232:                              ;   in Loop: Header=BB250_9 Depth=1
	v_cmp_ne_u16_e64 s[0:1], s42, v2
	v_bfrev_b32_e32 v56, 1
	s_and_saveexec_b64 s[36:37], s[0:1]
	s_cbranch_execz .LBB250_236
; %bb.233:                              ;   in Loop: Header=BB250_9 Depth=1
	v_and_b32_e32 v58, 0x7f, v2
	v_cmp_ne_u32_e64 s[0:1], s43, v58
	v_mov_b32_e32 v56, 0x7c010000
	s_and_saveexec_b64 s[38:39], s[0:1]
	s_cbranch_execz .LBB250_235
; %bb.234:                              ;   in Loop: Header=BB250_9 Depth=1
	v_and_b32_e32 v56, 7, v2
	v_ffbh_u32_e32 v60, v56
	v_min_u32_e32 v62, 32, v60
	v_subrev_u32_e32 v60, 28, v62
	v_lshlrev_b64 v[60:61], v60, v[2:3]
	v_lshrrev_b32_e32 v59, 3, v58
	v_sub_u32_e32 v61, 29, v62
	v_cmp_gt_u32_e64 s[0:1], 8, v58
	v_lshlrev_b32_e32 v2, 8, v2
	s_nop 0
	v_cndmask_b32_e64 v58, v59, v61, s[0:1]
	v_lshl_add_u32 v58, v58, 10, v15
	v_and_b32_e32 v59, 7, v60
	v_and_or_b32 v2, v2, s44, v58
	v_cndmask_b32_e64 v56, v56, v59, s[0:1]
	v_lshlrev_b32_e32 v2, 16, v2
	v_lshl_or_b32 v56, v56, 23, v2
.LBB250_235:                            ;   in Loop: Header=BB250_9 Depth=1
	s_or_b64 exec, exec, s[38:39]
.LBB250_236:                            ;   in Loop: Header=BB250_9 Depth=1
	s_or_b64 exec, exec, s[36:37]
.LBB250_237:                            ;   in Loop: Header=BB250_9 Depth=1
	s_or_b64 exec, exec, s[34:35]
	global_load_ushort v58, v[8:9], off offset:2312
	s_waitcnt vmcnt(0)
	v_and_b32_e32 v2, 0xffff, v58
	v_cmp_ne_u16_sdwa s[0:1], v58, v3 src0_sel:BYTE_0 src1_sel:DWORD
	s_and_saveexec_b64 s[34:35], s[0:1]
	s_cbranch_execz .LBB250_243
; %bb.238:                              ;   in Loop: Header=BB250_9 Depth=1
	v_cmp_ne_u16_sdwa s[0:1], v2, s42 src0_sel:BYTE_0 src1_sel:DWORD
	v_mov_b32_e32 v57, 0x8000
	s_and_saveexec_b64 s[36:37], s[0:1]
	s_cbranch_execz .LBB250_242
; %bb.239:                              ;   in Loop: Header=BB250_9 Depth=1
	v_and_b32_e32 v58, 0x7f, v2
	v_cmp_ne_u32_e64 s[0:1], s43, v58
	v_mov_b32_e32 v57, 0x7c01
	s_and_saveexec_b64 s[38:39], s[0:1]
	s_cbranch_execz .LBB250_241
; %bb.240:                              ;   in Loop: Header=BB250_9 Depth=1
	v_and_b32_e32 v57, 7, v2
	v_ffbh_u32_e32 v60, v57
	v_min_u32_e32 v62, 32, v60
	v_subrev_u32_e32 v60, 28, v62
	v_lshlrev_b64 v[60:61], v60, v[2:3]
	v_lshrrev_b32_e32 v59, 3, v58
	v_sub_u32_e32 v61, 29, v62
	v_cmp_gt_u32_e64 s[0:1], 8, v58
	v_and_b32_e32 v60, 7, v60
	s_nop 0
	v_cndmask_b32_e64 v58, v59, v61, s[0:1]
	v_lshl_add_u32 v58, v58, 10, v15
	v_lshlrev_b32_e32 v59, 8, v2
	v_and_b32_e32 v58, 0xfc00, v58
	v_cndmask_b32_e64 v57, v57, v60, s[0:1]
	v_and_or_b32 v58, v59, s44, v58
	v_lshl_or_b32 v57, v57, 7, v58
.LBB250_241:                            ;   in Loop: Header=BB250_9 Depth=1
	s_or_b64 exec, exec, s[38:39]
.LBB250_242:                            ;   in Loop: Header=BB250_9 Depth=1
	s_or_b64 exec, exec, s[36:37]
.LBB250_243:                            ;   in Loop: Header=BB250_9 Depth=1
	s_or_b64 exec, exec, s[34:35]
	v_lshrrev_b16_e32 v2, 8, v2
	v_cmp_ne_u16_e64 s[0:1], 0, v2
	v_mov_b32_e32 v60, 0
	v_mov_b32_e32 v58, 0
	s_and_saveexec_b64 s[34:35], s[0:1]
	s_cbranch_execz .LBB250_249
; %bb.244:                              ;   in Loop: Header=BB250_9 Depth=1
	v_cmp_ne_u16_e64 s[0:1], s42, v2
	v_bfrev_b32_e32 v58, 1
	s_and_saveexec_b64 s[36:37], s[0:1]
	s_cbranch_execz .LBB250_248
; %bb.245:                              ;   in Loop: Header=BB250_9 Depth=1
	v_and_b32_e32 v59, 0x7f, v2
	v_cmp_ne_u32_e64 s[0:1], s43, v59
	v_mov_b32_e32 v58, 0x7c010000
	s_and_saveexec_b64 s[38:39], s[0:1]
	s_cbranch_execz .LBB250_247
; %bb.246:                              ;   in Loop: Header=BB250_9 Depth=1
	v_and_b32_e32 v58, 7, v2
	v_ffbh_u32_e32 v62, v58
	v_min_u32_e32 v64, 32, v62
	v_subrev_u32_e32 v62, 28, v64
	v_lshlrev_b64 v[62:63], v62, v[2:3]
	v_lshrrev_b32_e32 v61, 3, v59
	v_sub_u32_e32 v63, 29, v64
	v_cmp_gt_u32_e64 s[0:1], 8, v59
	v_lshlrev_b32_e32 v2, 8, v2
	s_nop 0
	v_cndmask_b32_e64 v59, v61, v63, s[0:1]
	v_lshl_add_u32 v59, v59, 10, v15
	v_and_b32_e32 v61, 7, v62
	v_and_or_b32 v2, v2, s44, v59
	v_cndmask_b32_e64 v58, v58, v61, s[0:1]
	v_lshlrev_b32_e32 v2, 16, v2
	v_lshl_or_b32 v58, v58, 23, v2
.LBB250_247:                            ;   in Loop: Header=BB250_9 Depth=1
	s_or_b64 exec, exec, s[38:39]
.LBB250_248:                            ;   in Loop: Header=BB250_9 Depth=1
	s_or_b64 exec, exec, s[36:37]
.LBB250_249:                            ;   in Loop: Header=BB250_9 Depth=1
	s_or_b64 exec, exec, s[34:35]
	global_load_ushort v59, v[8:9], off offset:2560
	s_waitcnt vmcnt(0)
	v_and_b32_e32 v2, 0xffff, v59
	v_cmp_ne_u16_sdwa s[0:1], v59, v3 src0_sel:BYTE_0 src1_sel:DWORD
	s_and_saveexec_b64 s[34:35], s[0:1]
	s_cbranch_execz .LBB250_255
; %bb.250:                              ;   in Loop: Header=BB250_9 Depth=1
	v_cmp_ne_u16_sdwa s[0:1], v2, s42 src0_sel:BYTE_0 src1_sel:DWORD
	v_mov_b32_e32 v60, 0x8000
	s_and_saveexec_b64 s[36:37], s[0:1]
	s_cbranch_execz .LBB250_254
; %bb.251:                              ;   in Loop: Header=BB250_9 Depth=1
	v_and_b32_e32 v59, 0x7f, v2
	v_cmp_ne_u32_e64 s[0:1], s43, v59
	v_mov_b32_e32 v60, 0x7c01
	s_and_saveexec_b64 s[38:39], s[0:1]
	s_cbranch_execz .LBB250_253
; %bb.252:                              ;   in Loop: Header=BB250_9 Depth=1
	v_and_b32_e32 v62, 7, v2
	v_ffbh_u32_e32 v60, v62
	v_min_u32_e32 v64, 32, v60
	v_subrev_u32_e32 v60, 28, v64
	v_lshlrev_b64 v[60:61], v60, v[2:3]
	v_lshrrev_b32_e32 v63, 3, v59
	v_sub_u32_e32 v61, 29, v64
	v_cmp_gt_u32_e64 s[0:1], 8, v59
	v_and_b32_e32 v60, 7, v60
	s_nop 0
	v_cndmask_b32_e64 v59, v63, v61, s[0:1]
	v_lshl_add_u32 v59, v59, 10, v15
	v_lshlrev_b32_e32 v61, 8, v2
	v_and_b32_e32 v59, 0xfc00, v59
	v_cndmask_b32_e64 v60, v62, v60, s[0:1]
	v_and_or_b32 v59, v61, s44, v59
	v_lshl_or_b32 v60, v60, 7, v59
.LBB250_253:                            ;   in Loop: Header=BB250_9 Depth=1
	s_or_b64 exec, exec, s[38:39]
.LBB250_254:                            ;   in Loop: Header=BB250_9 Depth=1
	s_or_b64 exec, exec, s[36:37]
.LBB250_255:                            ;   in Loop: Header=BB250_9 Depth=1
	s_or_b64 exec, exec, s[34:35]
	v_lshrrev_b16_e32 v2, 8, v2
	v_cmp_ne_u16_e64 s[0:1], 0, v2
	v_mov_b32_e32 v59, 0
	v_mov_b32_e32 v63, 0
	s_and_saveexec_b64 s[34:35], s[0:1]
	s_cbranch_execz .LBB250_261
; %bb.256:                              ;   in Loop: Header=BB250_9 Depth=1
	v_cmp_ne_u16_e64 s[0:1], s42, v2
	v_bfrev_b32_e32 v63, 1
	s_and_saveexec_b64 s[36:37], s[0:1]
	s_cbranch_execz .LBB250_260
; %bb.257:                              ;   in Loop: Header=BB250_9 Depth=1
	v_and_b32_e32 v61, 0x7f, v2
	v_cmp_ne_u32_e64 s[0:1], s43, v61
	v_mov_b32_e32 v63, 0x7c010000
	s_and_saveexec_b64 s[38:39], s[0:1]
	s_cbranch_execz .LBB250_259
; %bb.258:                              ;   in Loop: Header=BB250_9 Depth=1
	v_and_b32_e32 v64, 7, v2
	v_ffbh_u32_e32 v62, v64
	v_min_u32_e32 v66, 32, v62
	v_subrev_u32_e32 v62, 28, v66
	v_lshlrev_b64 v[62:63], v62, v[2:3]
	v_lshrrev_b32_e32 v65, 3, v61
	v_sub_u32_e32 v63, 29, v66
	v_cmp_gt_u32_e64 s[0:1], 8, v61
	v_lshlrev_b32_e32 v2, 8, v2
	v_and_b32_e32 v62, 7, v62
	v_cndmask_b32_e64 v61, v65, v63, s[0:1]
	v_lshl_add_u32 v61, v61, 10, v15
	v_and_or_b32 v2, v2, s44, v61
	v_cndmask_b32_e64 v62, v64, v62, s[0:1]
	v_lshlrev_b32_e32 v2, 16, v2
	v_lshl_or_b32 v63, v62, 23, v2
.LBB250_259:                            ;   in Loop: Header=BB250_9 Depth=1
	s_or_b64 exec, exec, s[38:39]
.LBB250_260:                            ;   in Loop: Header=BB250_9 Depth=1
	s_or_b64 exec, exec, s[36:37]
.LBB250_261:                            ;   in Loop: Header=BB250_9 Depth=1
	s_or_b64 exec, exec, s[34:35]
	global_load_ushort v61, v[8:9], off offset:2568
	s_waitcnt vmcnt(0)
	v_and_b32_e32 v2, 0xffff, v61
	v_cmp_ne_u16_sdwa s[0:1], v61, v3 src0_sel:BYTE_0 src1_sel:DWORD
	s_and_saveexec_b64 s[34:35], s[0:1]
	s_cbranch_execz .LBB250_267
; %bb.262:                              ;   in Loop: Header=BB250_9 Depth=1
	v_cmp_ne_u16_sdwa s[0:1], v2, s42 src0_sel:BYTE_0 src1_sel:DWORD
	v_mov_b32_e32 v59, 0x8000
	s_and_saveexec_b64 s[36:37], s[0:1]
	s_cbranch_execz .LBB250_266
; %bb.263:                              ;   in Loop: Header=BB250_9 Depth=1
	v_and_b32_e32 v61, 0x7f, v2
	v_cmp_ne_u32_e64 s[0:1], s43, v61
	v_mov_b32_e32 v59, 0x7c01
	s_and_saveexec_b64 s[38:39], s[0:1]
	s_cbranch_execz .LBB250_265
; %bb.264:                              ;   in Loop: Header=BB250_9 Depth=1
	v_and_b32_e32 v59, 7, v2
	v_ffbh_u32_e32 v64, v59
	v_min_u32_e32 v66, 32, v64
	v_subrev_u32_e32 v64, 28, v66
	v_lshlrev_b64 v[64:65], v64, v[2:3]
	v_lshrrev_b32_e32 v62, 3, v61
	v_sub_u32_e32 v65, 29, v66
	v_cmp_gt_u32_e64 s[0:1], 8, v61
	v_and_b32_e32 v64, 7, v64
	s_nop 0
	v_cndmask_b32_e64 v61, v62, v65, s[0:1]
	v_lshl_add_u32 v61, v61, 10, v15
	v_lshlrev_b32_e32 v62, 8, v2
	v_and_b32_e32 v61, 0xfc00, v61
	v_cndmask_b32_e64 v59, v59, v64, s[0:1]
	v_and_or_b32 v61, v62, s44, v61
	v_lshl_or_b32 v59, v59, 7, v61
.LBB250_265:                            ;   in Loop: Header=BB250_9 Depth=1
	s_or_b64 exec, exec, s[38:39]
.LBB250_266:                            ;   in Loop: Header=BB250_9 Depth=1
	s_or_b64 exec, exec, s[36:37]
.LBB250_267:                            ;   in Loop: Header=BB250_9 Depth=1
	s_or_b64 exec, exec, s[34:35]
	v_lshrrev_b16_e32 v2, 8, v2
	v_cmp_ne_u16_e64 s[0:1], 0, v2
	v_mov_b32_e32 v65, 0
	v_mov_b32_e32 v62, 0
	s_and_saveexec_b64 s[34:35], s[0:1]
	s_cbranch_execz .LBB250_273
; %bb.268:                              ;   in Loop: Header=BB250_9 Depth=1
	v_cmp_ne_u16_e64 s[0:1], s42, v2
	v_bfrev_b32_e32 v62, 1
	s_and_saveexec_b64 s[36:37], s[0:1]
	s_cbranch_execz .LBB250_272
; %bb.269:                              ;   in Loop: Header=BB250_9 Depth=1
	v_and_b32_e32 v61, 0x7f, v2
	v_cmp_ne_u32_e64 s[0:1], s43, v61
	v_mov_b32_e32 v62, 0x7c010000
	s_and_saveexec_b64 s[38:39], s[0:1]
	s_cbranch_execz .LBB250_271
; %bb.270:                              ;   in Loop: Header=BB250_9 Depth=1
	v_and_b32_e32 v62, 7, v2
	v_ffbh_u32_e32 v66, v62
	v_min_u32_e32 v68, 32, v66
	v_subrev_u32_e32 v66, 28, v68
	v_lshlrev_b64 v[66:67], v66, v[2:3]
	v_lshrrev_b32_e32 v64, 3, v61
	v_sub_u32_e32 v67, 29, v68
	v_cmp_gt_u32_e64 s[0:1], 8, v61
	v_lshlrev_b32_e32 v2, 8, v2
	s_nop 0
	v_cndmask_b32_e64 v61, v64, v67, s[0:1]
	v_lshl_add_u32 v61, v61, 10, v15
	v_and_b32_e32 v64, 7, v66
	v_and_or_b32 v2, v2, s44, v61
	v_cndmask_b32_e64 v62, v62, v64, s[0:1]
	v_lshlrev_b32_e32 v2, 16, v2
	v_lshl_or_b32 v62, v62, 23, v2
.LBB250_271:                            ;   in Loop: Header=BB250_9 Depth=1
	s_or_b64 exec, exec, s[38:39]
.LBB250_272:                            ;   in Loop: Header=BB250_9 Depth=1
	s_or_b64 exec, exec, s[36:37]
.LBB250_273:                            ;   in Loop: Header=BB250_9 Depth=1
	s_or_b64 exec, exec, s[34:35]
	global_load_ushort v61, v[8:9], off offset:2816
	s_waitcnt vmcnt(0)
	v_and_b32_e32 v2, 0xffff, v61
	v_cmp_ne_u16_sdwa s[0:1], v61, v3 src0_sel:BYTE_0 src1_sel:DWORD
	s_and_saveexec_b64 s[34:35], s[0:1]
	s_cbranch_execz .LBB250_279
; %bb.274:                              ;   in Loop: Header=BB250_9 Depth=1
	v_cmp_ne_u16_sdwa s[0:1], v2, s42 src0_sel:BYTE_0 src1_sel:DWORD
	v_mov_b32_e32 v65, 0x8000
	s_and_saveexec_b64 s[36:37], s[0:1]
	s_cbranch_execz .LBB250_278
; %bb.275:                              ;   in Loop: Header=BB250_9 Depth=1
	v_and_b32_e32 v61, 0x7f, v2
	v_cmp_ne_u32_e64 s[0:1], s43, v61
	v_mov_b32_e32 v65, 0x7c01
	s_and_saveexec_b64 s[38:39], s[0:1]
	s_cbranch_execz .LBB250_277
; %bb.276:                              ;   in Loop: Header=BB250_9 Depth=1
	v_and_b32_e32 v66, 7, v2
	v_ffbh_u32_e32 v64, v66
	v_min_u32_e32 v68, 32, v64
	v_subrev_u32_e32 v64, 28, v68
	v_lshlrev_b64 v[64:65], v64, v[2:3]
	v_lshrrev_b32_e32 v67, 3, v61
	v_sub_u32_e32 v65, 29, v68
	v_cmp_gt_u32_e64 s[0:1], 8, v61
	v_and_b32_e32 v64, 7, v64
	s_nop 0
	v_cndmask_b32_e64 v61, v67, v65, s[0:1]
	v_lshl_add_u32 v61, v61, 10, v15
	v_lshlrev_b32_e32 v65, 8, v2
	v_and_b32_e32 v61, 0xfc00, v61
	v_cndmask_b32_e64 v64, v66, v64, s[0:1]
	v_and_or_b32 v61, v65, s44, v61
	v_lshl_or_b32 v65, v64, 7, v61
.LBB250_277:                            ;   in Loop: Header=BB250_9 Depth=1
	s_or_b64 exec, exec, s[38:39]
.LBB250_278:                            ;   in Loop: Header=BB250_9 Depth=1
	s_or_b64 exec, exec, s[36:37]
.LBB250_279:                            ;   in Loop: Header=BB250_9 Depth=1
	s_or_b64 exec, exec, s[34:35]
	v_lshrrev_b16_e32 v2, 8, v2
	v_cmp_ne_u16_e64 s[0:1], 0, v2
	v_mov_b32_e32 v61, 0
	v_mov_b32_e32 v66, 0
	s_and_saveexec_b64 s[34:35], s[0:1]
	s_cbranch_execz .LBB250_285
; %bb.280:                              ;   in Loop: Header=BB250_9 Depth=1
	v_cmp_ne_u16_e64 s[0:1], s42, v2
	v_bfrev_b32_e32 v66, 1
	s_and_saveexec_b64 s[36:37], s[0:1]
	s_cbranch_execz .LBB250_284
; %bb.281:                              ;   in Loop: Header=BB250_9 Depth=1
	v_and_b32_e32 v64, 0x7f, v2
	v_cmp_ne_u32_e64 s[0:1], s43, v64
	v_mov_b32_e32 v66, 0x7c010000
	s_and_saveexec_b64 s[38:39], s[0:1]
	s_cbranch_execz .LBB250_283
; %bb.282:                              ;   in Loop: Header=BB250_9 Depth=1
	v_and_b32_e32 v68, 7, v2
	v_ffbh_u32_e32 v66, v68
	v_min_u32_e32 v70, 32, v66
	v_subrev_u32_e32 v66, 28, v70
	v_lshlrev_b64 v[66:67], v66, v[2:3]
	v_lshrrev_b32_e32 v69, 3, v64
	v_sub_u32_e32 v67, 29, v70
	v_cmp_gt_u32_e64 s[0:1], 8, v64
	v_lshlrev_b32_e32 v2, 8, v2
	v_and_b32_e32 v66, 7, v66
	v_cndmask_b32_e64 v64, v69, v67, s[0:1]
	v_lshl_add_u32 v64, v64, 10, v15
	v_and_or_b32 v2, v2, s44, v64
	v_cndmask_b32_e64 v66, v68, v66, s[0:1]
	v_lshlrev_b32_e32 v2, 16, v2
	v_lshl_or_b32 v66, v66, 23, v2
.LBB250_283:                            ;   in Loop: Header=BB250_9 Depth=1
	s_or_b64 exec, exec, s[38:39]
.LBB250_284:                            ;   in Loop: Header=BB250_9 Depth=1
	s_or_b64 exec, exec, s[36:37]
.LBB250_285:                            ;   in Loop: Header=BB250_9 Depth=1
	s_or_b64 exec, exec, s[34:35]
	global_load_ushort v8, v[8:9], off offset:2824
	s_waitcnt vmcnt(0)
	v_and_b32_e32 v2, 0xffff, v8
	v_cmp_ne_u16_sdwa s[0:1], v8, v3 src0_sel:BYTE_0 src1_sel:DWORD
	s_and_saveexec_b64 s[34:35], s[0:1]
	s_cbranch_execz .LBB250_291
; %bb.286:                              ;   in Loop: Header=BB250_9 Depth=1
	v_cmp_ne_u16_sdwa s[0:1], v2, s42 src0_sel:BYTE_0 src1_sel:DWORD
	v_mov_b32_e32 v61, 0x8000
	s_and_saveexec_b64 s[36:37], s[0:1]
	s_cbranch_execz .LBB250_290
; %bb.287:                              ;   in Loop: Header=BB250_9 Depth=1
	v_and_b32_e32 v8, 0x7f, v2
	v_cmp_ne_u32_e64 s[0:1], s43, v8
	v_mov_b32_e32 v61, 0x7c01
	s_and_saveexec_b64 s[38:39], s[0:1]
	s_cbranch_execz .LBB250_289
; %bb.288:                              ;   in Loop: Header=BB250_9 Depth=1
	v_and_b32_e32 v9, 7, v2
	v_ffbh_u32_e32 v64, v9
	v_min_u32_e32 v64, 32, v64
	v_lshrrev_b32_e32 v61, 3, v8
	v_subrev_u32_e32 v67, 28, v64
	v_sub_u32_e32 v64, 29, v64
	v_cmp_gt_u32_e64 s[0:1], 8, v8
	v_lshlrev_b64 v[68:69], v67, v[2:3]
	s_nop 0
	v_cndmask_b32_e64 v8, v61, v64, s[0:1]
	v_lshl_add_u32 v8, v8, 10, v15
	v_lshlrev_b32_e32 v61, 8, v2
	v_and_b32_e32 v64, 7, v68
	v_and_b32_e32 v8, 0xfc00, v8
	v_cndmask_b32_e64 v9, v9, v64, s[0:1]
	v_and_or_b32 v8, v61, s44, v8
	v_lshl_or_b32 v61, v9, 7, v8
.LBB250_289:                            ;   in Loop: Header=BB250_9 Depth=1
	s_or_b64 exec, exec, s[38:39]
.LBB250_290:                            ;   in Loop: Header=BB250_9 Depth=1
	s_or_b64 exec, exec, s[36:37]
.LBB250_291:                            ;   in Loop: Header=BB250_9 Depth=1
	s_or_b64 exec, exec, s[34:35]
	v_lshrrev_b16_e32 v2, 8, v2
	v_cmp_ne_u16_e64 s[0:1], 0, v2
	v_mov_b32_e32 v64, 0
	s_and_saveexec_b64 s[34:35], s[0:1]
	s_cbranch_execz .LBB250_297
; %bb.292:                              ;   in Loop: Header=BB250_9 Depth=1
	v_cmp_ne_u16_e64 s[0:1], s42, v2
	v_bfrev_b32_e32 v64, 1
	s_and_saveexec_b64 s[36:37], s[0:1]
	s_cbranch_execz .LBB250_296
; %bb.293:                              ;   in Loop: Header=BB250_9 Depth=1
	v_and_b32_e32 v8, 0x7f, v2
	v_cmp_ne_u32_e64 s[0:1], s43, v8
	v_mov_b32_e32 v64, 0x7c010000
	s_and_saveexec_b64 s[38:39], s[0:1]
	s_cbranch_execz .LBB250_295
; %bb.294:                              ;   in Loop: Header=BB250_9 Depth=1
	v_and_b32_e32 v9, 7, v2
	v_ffbh_u32_e32 v67, v9
	v_min_u32_e32 v67, 32, v67
	v_lshrrev_b32_e32 v64, 3, v8
	v_subrev_u32_e32 v68, 28, v67
	v_sub_u32_e32 v67, 29, v67
	v_cmp_gt_u32_e64 s[0:1], 8, v8
	v_lshlrev_b64 v[68:69], v68, v[2:3]
	v_lshlrev_b32_e32 v2, 8, v2
	v_cndmask_b32_e64 v8, v64, v67, s[0:1]
	v_lshl_add_u32 v8, v8, 10, v15
	v_and_b32_e32 v64, 7, v68
	v_and_or_b32 v2, v2, s44, v8
	v_cndmask_b32_e64 v9, v9, v64, s[0:1]
	v_lshlrev_b32_e32 v2, 16, v2
	v_lshl_or_b32 v64, v9, 23, v2
.LBB250_295:                            ;   in Loop: Header=BB250_9 Depth=1
	s_or_b64 exec, exec, s[38:39]
.LBB250_296:                            ;   in Loop: Header=BB250_9 Depth=1
	s_or_b64 exec, exec, s[36:37]
.LBB250_297:                            ;   in Loop: Header=BB250_9 Depth=1
	s_or_b64 exec, exec, s[34:35]
	v_or_b32_e32 v9, v62, v59
	v_or_b32_e32 v60, v63, v60
	;; [unrolled: 1-line block ×6, first 2 shown]
	v_fma_mixlo_f16 v59, v17, v9, 0 op_sel_hi:[0,1,0]
	v_fma_mixlo_f16 v9, v17, v62, 0 op_sel:[0,1,0] op_sel_hi:[0,1,0]
	v_fma_mixlo_f16 v62, v17, v60, 0 op_sel_hi:[0,1,0]
	v_fma_mixlo_f16 v60, v17, v63, 0 op_sel:[0,1,0] op_sel_hi:[0,1,0]
	;; [unrolled: 2-line block ×6, first 2 shown]
	ds_read_b32 v52, v12
	v_or_b32_e32 v18, v20, v18
	v_fma_mixlo_f16 v18, v17, v18, 0 op_sel_hi:[0,1,0]
	v_or_b32_e32 v2, v66, v65
	v_fma_mixlo_f16 v20, v17, v20, 0 op_sel:[0,1,0] op_sel_hi:[0,1,0]
	s_waitcnt lgkmcnt(0)
	v_lshrrev_b32_e32 v65, 16, v52
	v_and_b32_e32 v52, 0xffff, v52
	v_and_b32_e32 v18, 0xffff, v18
	v_fma_mixlo_f16 v8, v17, v2, 0 op_sel_hi:[0,1,0]
	v_fma_mixlo_f16 v2, v17, v66, 0 op_sel:[0,1,0] op_sel_hi:[0,1,0]
	;;#ASMSTART
	v_cvt_f32_f16 v52, v52;
	;;#ASMEND
	;;#ASMSTART
	v_cvt_f32_f16 v65, v65;
	;;#ASMEND
	;; [unrolled: 3-line block ×3, first 2 shown]
	v_and_b32_e32 v18, 0xffff, v20
	;;#ASMSTART
	v_cvt_f32_f16 v67, v18;
	;;#ASMEND
	ds_read_b32 v18, v12 offset:4
	v_or_b32_e32 v19, v22, v19
	v_fma_mixlo_f16 v19, v17, v19, 0 op_sel_hi:[0,1,0]
	v_fma_mixlo_f16 v22, v17, v22, 0 op_sel:[0,1,0] op_sel_hi:[0,1,0]
	v_or_b32_e32 v49, v50, v49
	v_fma_mixlo_f16 v20, v17, v50, 0 op_sel:[0,1,0] op_sel_hi:[0,1,0]
	s_waitcnt lgkmcnt(0)
	v_lshrrev_b32_e32 v50, 16, v18
	v_and_b32_e32 v18, 0xffff, v18
	v_and_b32_e32 v19, 0xffff, v19
	;; [unrolled: 1-line block ×3, first 2 shown]
	;;#ASMSTART
	v_cvt_f32_f16 v18, v18;
	;;#ASMEND
	;;#ASMSTART
	v_cvt_f32_f16 v50, v50;
	;;#ASMEND
	;;#ASMSTART
	v_cvt_f32_f16 v19, v19;
	;;#ASMEND
	;;#ASMSTART
	v_cvt_f32_f16 v22, v22;
	;;#ASMEND
	ds_read_b32 v68, v12 offset:8
	v_or_b32_e32 v21, v24, v21
	v_fma_mixlo_f16 v21, v17, v21, 0 op_sel_hi:[0,1,0]
	v_fma_mixlo_f16 v24, v17, v24, 0 op_sel:[0,1,0] op_sel_hi:[0,1,0]
	v_and_b32_e32 v21, 0xffff, v21
	s_waitcnt lgkmcnt(0)
	v_lshrrev_b32_e32 v69, 16, v68
	v_and_b32_e32 v68, 0xffff, v68
	v_and_b32_e32 v24, 0xffff, v24
	;;#ASMSTART
	v_cvt_f32_f16 v68, v68;
	;;#ASMEND
	;;#ASMSTART
	v_cvt_f32_f16 v69, v69;
	;;#ASMEND
	;;#ASMSTART
	v_cvt_f32_f16 v21, v21;
	;;#ASMEND
	;;#ASMSTART
	v_cvt_f32_f16 v24, v24;
	;;#ASMEND
	ds_read_b32 v70, v12 offset:12
	v_or_b32_e32 v23, v27, v23
	v_fma_mixlo_f16 v23, v17, v23, 0 op_sel_hi:[0,1,0]
	v_fma_mixlo_f16 v27, v17, v27, 0 op_sel:[0,1,0] op_sel_hi:[0,1,0]
	v_and_b32_e32 v23, 0xffff, v23
	s_waitcnt lgkmcnt(0)
	v_lshrrev_b32_e32 v71, 16, v70
	v_and_b32_e32 v70, 0xffff, v70
	v_and_b32_e32 v27, 0xffff, v27
	;; [unrolled: 21-line block ×6, first 2 shown]
	;;#ASMSTART
	v_cvt_f32_f16 v78, v78;
	;;#ASMEND
	;;#ASMSTART
	v_cvt_f32_f16 v79, v79;
	;;#ASMEND
	;; [unrolled: 3-line block ×4, first 2 shown]
	ds_read_b32 v80, v12 offset:32
	v_or_b32_e32 v35, v37, v35
	v_mul_f32_e32 v18, v18, v19
	v_fma_mixlo_f16 v35, v17, v35, 0 op_sel_hi:[0,1,0]
	v_fmac_f32_e32 v18, v52, v66
	s_waitcnt lgkmcnt(0)
	v_lshrrev_b32_e32 v19, 16, v80
	v_and_b32_e32 v52, 0xffff, v80
	v_fma_mixlo_f16 v37, v17, v37, 0 op_sel:[0,1,0] op_sel_hi:[0,1,0]
	;;#ASMSTART
	v_cvt_f32_f16 v52, v52;
	;;#ASMEND
	;;#ASMSTART
	v_cvt_f32_f16 v66, v19;
	;;#ASMEND
	v_and_b32_e32 v19, 0xffff, v35
	;;#ASMSTART
	v_cvt_f32_f16 v35, v19;
	;;#ASMEND
	v_and_b32_e32 v19, 0xffff, v37
	;;#ASMSTART
	v_cvt_f32_f16 v37, v19;
	;;#ASMEND
	ds_read_b32 v80, v12 offset:36
	v_or_b32_e32 v19, v39, v36
	v_fma_mixlo_f16 v36, v17, v19, 0 op_sel_hi:[0,1,0]
	v_fma_mixlo_f16 v39, v17, v39, 0 op_sel:[0,1,0] op_sel_hi:[0,1,0]
	v_mul_f32_e32 v19, v50, v22
	s_waitcnt lgkmcnt(0)
	v_lshrrev_b32_e32 v50, 16, v80
	v_and_b32_e32 v22, 0xffff, v80
	v_and_b32_e32 v36, 0xffff, v36
	v_and_b32_e32 v39, 0xffff, v39
	;;#ASMSTART
	v_cvt_f32_f16 v22, v22;
	;;#ASMEND
	;;#ASMSTART
	v_cvt_f32_f16 v50, v50;
	;;#ASMEND
	;;#ASMSTART
	v_cvt_f32_f16 v36, v36;
	;;#ASMEND
	;;#ASMSTART
	v_cvt_f32_f16 v39, v39;
	;;#ASMEND
	ds_read_b32 v80, v12 offset:40
	v_or_b32_e32 v38, v41, v38
	v_fma_mixlo_f16 v38, v17, v38, 0 op_sel_hi:[0,1,0]
	v_fma_mixlo_f16 v41, v17, v41, 0 op_sel:[0,1,0] op_sel_hi:[0,1,0]
	v_fmac_f32_e32 v19, v65, v67
	s_waitcnt lgkmcnt(0)
	v_lshrrev_b32_e32 v67, 16, v80
	v_and_b32_e32 v65, 0xffff, v80
	v_and_b32_e32 v38, 0xffff, v38
	v_and_b32_e32 v41, 0xffff, v41
	;;#ASMSTART
	v_cvt_f32_f16 v65, v65;
	;;#ASMEND
	;;#ASMSTART
	v_cvt_f32_f16 v67, v67;
	;;#ASMEND
	;;#ASMSTART
	v_cvt_f32_f16 v38, v38;
	;;#ASMEND
	;;#ASMSTART
	v_cvt_f32_f16 v41, v41;
	;;#ASMEND
	ds_read_b32 v80, v12 offset:44
	v_or_b32_e32 v40, v43, v40
	v_fma_mixlo_f16 v40, v17, v40, 0 op_sel_hi:[0,1,0]
	v_fma_mixlo_f16 v43, v17, v43, 0 op_sel:[0,1,0] op_sel_hi:[0,1,0]
	v_fmac_f32_e32 v18, v68, v21
	;; [unrolled: 22-line block ×5, first 2 shown]
	v_fmac_f32_e32 v18, v72, v25
	v_fmac_f32_e32 v19, v73, v29
	s_waitcnt lgkmcnt(0)
	v_lshrrev_b32_e32 v27, 16, v80
	v_and_b32_e32 v25, 0xffff, v80
	v_and_b32_e32 v29, 0xffff, v47
	;; [unrolled: 1-line block ×3, first 2 shown]
	;;#ASMSTART
	v_cvt_f32_f16 v25, v25;
	;;#ASMEND
	;;#ASMSTART
	v_cvt_f32_f16 v27, v27;
	;;#ASMEND
	;; [unrolled: 3-line block ×4, first 2 shown]
	ds_read_b32 v48, v12 offset:60
	v_fma_mixlo_f16 v49, v17, v49, 0 op_sel_hi:[0,1,0]
	v_fmac_f32_e32 v18, v74, v28
	v_fmac_f32_e32 v19, v75, v31
	;; [unrolled: 1-line block ×3, first 2 shown]
	s_waitcnt lgkmcnt(0)
	v_lshrrev_b32_e32 v30, 16, v48
	v_and_b32_e32 v28, 0xffff, v48
	v_and_b32_e32 v31, 0xffff, v49
	;; [unrolled: 1-line block ×3, first 2 shown]
	v_fmac_f32_e32 v19, v77, v33
	;;#ASMSTART
	v_cvt_f32_f16 v28, v28;
	;;#ASMEND
	;;#ASMSTART
	v_cvt_f32_f16 v30, v30;
	;;#ASMEND
	;; [unrolled: 3-line block ×4, first 2 shown]
	ds_read_b32 v33, v12 offset:64
	v_fmac_f32_e32 v18, v78, v32
	v_fmac_f32_e32 v19, v79, v34
	;; [unrolled: 1-line block ×3, first 2 shown]
	v_and_b32_e32 v35, 0xffff, v51
	s_waitcnt lgkmcnt(0)
	v_lshrrev_b32_e32 v34, 16, v33
	v_and_b32_e32 v32, 0xffff, v33
	;;#ASMSTART
	v_cvt_f32_f16 v32, v32;
	;;#ASMEND
	;;#ASMSTART
	v_cvt_f32_f16 v33, v34;
	;;#ASMEND
	v_and_b32_e32 v34, 0xffff, v54
	v_fmac_f32_e32 v19, v66, v37
	;;#ASMSTART
	v_cvt_f32_f16 v34, v34;
	;;#ASMEND
	;;#ASMSTART
	v_cvt_f32_f16 v35, v35;
	;;#ASMEND
	ds_read_b32 v37, v12 offset:68
	v_fmac_f32_e32 v18, v22, v36
	v_fmac_f32_e32 v18, v65, v38
	v_and_b32_e32 v38, 0xffff, v53
	v_fmac_f32_e32 v19, v50, v39
	s_waitcnt lgkmcnt(0)
	v_lshrrev_b32_e32 v36, 16, v37
	v_and_b32_e32 v22, 0xffff, v37
	v_and_b32_e32 v37, 0xffff, v56
	;;#ASMSTART
	v_cvt_f32_f16 v22, v22;
	;;#ASMEND
	;;#ASMSTART
	v_cvt_f32_f16 v36, v36;
	;;#ASMEND
	;; [unrolled: 3-line block ×4, first 2 shown]
	ds_read_b32 v39, v12 offset:72
	v_fmac_f32_e32 v18, v21, v40
	v_fmac_f32_e32 v18, v24, v42
	v_and_b32_e32 v40, 0xffff, v55
	v_fmac_f32_e32 v19, v67, v41
	s_waitcnt lgkmcnt(0)
	v_lshrrev_b32_e32 v24, 16, v39
	v_and_b32_e32 v21, 0xffff, v39
	v_and_b32_e32 v39, 0xffff, v58
	;;#ASMSTART
	v_cvt_f32_f16 v21, v21;
	;;#ASMEND
	;;#ASMSTART
	v_cvt_f32_f16 v24, v24;
	;;#ASMEND
	;; [unrolled: 3-line block ×4, first 2 shown]
	ds_read_b32 v41, v12 offset:76
	v_fmac_f32_e32 v19, v68, v43
	v_fmac_f32_e32 v19, v69, v44
	;; [unrolled: 1-line block ×6, first 2 shown]
	s_waitcnt lgkmcnt(0)
	v_lshrrev_b32_e32 v25, 16, v41
	v_and_b32_e32 v23, 0xffff, v41
	v_and_b32_e32 v27, 0xffff, v63
	;; [unrolled: 1-line block ×3, first 2 shown]
	;;#ASMSTART
	v_cvt_f32_f16 v23, v23;
	;;#ASMEND
	;;#ASMSTART
	v_cvt_f32_f16 v25, v25;
	;;#ASMEND
	;;#ASMSTART
	v_cvt_f32_f16 v27, v27;
	;;#ASMEND
	;;#ASMSTART
	v_cvt_f32_f16 v29, v29;
	;;#ASMEND
	ds_read_b32 v41, v12 offset:80
	v_fmac_f32_e32 v18, v28, v31
	v_fmac_f32_e32 v19, v30, v20
	v_and_b32_e32 v30, 0xffff, v62
	v_and_b32_e32 v31, 0xffff, v60
	s_waitcnt lgkmcnt(0)
	v_lshrrev_b32_e32 v28, 16, v41
	v_and_b32_e32 v20, 0xffff, v41
	v_fmac_f32_e32 v18, v32, v34
	;;#ASMSTART
	v_cvt_f32_f16 v20, v20;
	;;#ASMEND
	;;#ASMSTART
	v_cvt_f32_f16 v28, v28;
	;;#ASMEND
	;; [unrolled: 3-line block ×4, first 2 shown]
	ds_read_b32 v32, v12 offset:84
	v_fmac_f32_e32 v19, v33, v35
	v_fmac_f32_e32 v18, v22, v37
	;; [unrolled: 1-line block ×5, first 2 shown]
	s_waitcnt lgkmcnt(0)
	v_lshrrev_b32_e32 v22, 16, v32
	v_and_b32_e32 v21, 0xffff, v32
	v_and_b32_e32 v24, 0xffff, v59
	;; [unrolled: 1-line block ×3, first 2 shown]
	;;#ASMSTART
	v_cvt_f32_f16 v21, v21;
	;;#ASMEND
	;;#ASMSTART
	v_cvt_f32_f16 v22, v22;
	;;#ASMEND
	;; [unrolled: 3-line block ×4, first 2 shown]
	ds_read_b32 v32, v12 offset:88
	v_fmac_f32_e32 v18, v23, v27
	v_fmac_f32_e32 v18, v20, v30
	v_and_b32_e32 v8, 0xffff, v8
	v_and_b32_e32 v2, 0xffff, v2
	s_waitcnt lgkmcnt(0)
	v_lshrrev_b32_e32 v23, 16, v32
	v_and_b32_e32 v20, 0xffff, v32
	v_fmac_f32_e32 v19, v25, v29
	;;#ASMSTART
	v_cvt_f32_f16 v20, v20;
	;;#ASMEND
	;;#ASMSTART
	v_cvt_f32_f16 v23, v23;
	;;#ASMEND
	;; [unrolled: 3-line block ×4, first 2 shown]
	ds_read_b32 v25, v12 offset:92
	v_fmac_f32_e32 v19, v28, v31
	v_or_b32_e32 v61, v64, v61
	v_fmac_f32_e32 v18, v21, v24
	v_fmac_f32_e32 v19, v22, v9
	v_fma_mixlo_f16 v61, v17, v61, 0 op_sel_hi:[0,1,0]
	v_fma_mixlo_f16 v17, v17, v64, 0 op_sel:[0,1,0] op_sel_hi:[0,1,0]
	v_fmac_f32_e32 v18, v20, v8
	v_fmac_f32_e32 v19, v23, v2
	s_waitcnt lgkmcnt(0)
	v_lshrrev_b32_e32 v8, 16, v25
	v_and_b32_e32 v2, 0xffff, v25
	;;#ASMSTART
	v_cvt_f32_f16 v2, v2;
	;;#ASMEND
	;;#ASMSTART
	v_cvt_f32_f16 v8, v8;
	;;#ASMEND
	v_and_b32_e32 v9, 0xffff, v61
	v_and_b32_e32 v17, 0xffff, v17
	;;#ASMSTART
	v_cvt_f32_f16 v9, v9;
	;;#ASMEND
	;;#ASMSTART
	v_cvt_f32_f16 v17, v17;
	;;#ASMEND
	s_nop 0
	v_fmac_f32_e32 v19, v8, v17
	v_and_b32_e32 v8, 64, v10
	v_fmac_f32_e32 v18, v2, v9
	v_add_u32_e32 v2, 64, v8
	v_xor_b32_e32 v17, 2, v10
	v_cmp_lt_i32_e64 s[0:1], v17, v2
	v_add_f32_e32 v9, v18, v19
	s_nop 0
	v_cndmask_b32_e64 v17, v10, v17, s[0:1]
	v_lshlrev_b32_e32 v17, 2, v17
	ds_bpermute_b32 v17, v17, v9
	s_waitcnt lgkmcnt(0)
	v_add_f32_e32 v9, v9, v17
	v_xor_b32_e32 v17, 1, v10
	v_cmp_lt_i32_e64 s[0:1], v17, v2
	s_nop 1
	v_cndmask_b32_e64 v17, v10, v17, s[0:1]
	v_lshlrev_b32_e32 v17, 2, v17
	ds_bpermute_b32 v17, v17, v9
	s_and_saveexec_b64 s[34:35], vcc
	s_cbranch_execz .LBB250_8
; %bb.298:                              ;   in Loop: Header=BB250_9 Depth=1
	v_add_u32_e32 v18, s41, v13
	v_cvt_f32_i32_e32 v18, v18
	s_waitcnt lgkmcnt(0)
	v_add_f32_e32 v9, v9, v17
	v_cmp_gt_i32_e64 s[0:1], s33, v13
	v_max_f32_e32 v17, v11, v11
	v_mul_f32_e32 v18, s28, v18
	v_cndmask_b32_e64 v18, 0, v18, s[2:3]
	v_fmac_f32_e32 v18, s29, v9
	v_cndmask_b32_e64 v9, 0, v18, s[0:1]
	ds_write_b32 v14, v9
	v_max_f32_e32 v9, v17, v18
	v_cndmask_b32_e64 v11, v11, v9, s[0:1]
	s_branch .LBB250_8
.LBB250_299:
	s_or_b64 exec, exec, s[14:15]
.LBB250_300:
	s_or_b64 exec, exec, s[30:31]
	v_xor_b32_e32 v3, 32, v10
	v_cmp_lt_i32_e32 vcc, v3, v2
	v_xor_b32_e32 v6, 16, v10
	v_max_f32_e32 v5, v11, v11
	v_cndmask_b32_e32 v3, v10, v3, vcc
	v_lshlrev_b32_e32 v3, 2, v3
	ds_bpermute_b32 v4, v3, v11
	v_cmp_lt_i32_e32 vcc, v6, v2
	v_xor_b32_e32 v7, 8, v10
	v_xor_b32_e32 v9, 4, v10
	v_and_b32_e32 v27, 63, v0
	s_waitcnt lgkmcnt(0)
	v_max_f32_e32 v4, v4, v4
	v_max_f32_e32 v5, v5, v4
	v_cndmask_b32_e32 v4, v10, v6, vcc
	v_lshlrev_b32_e32 v4, 2, v4
	ds_bpermute_b32 v6, v4, v5
	v_cmp_lt_i32_e32 vcc, v7, v2
	s_waitcnt lgkmcnt(0)
	v_max_f32_e32 v6, v6, v6
	v_max_f32_e32 v5, v5, v6
	v_cndmask_b32_e32 v6, v10, v7, vcc
	v_lshlrev_b32_e32 v7, 2, v6
	ds_bpermute_b32 v6, v7, v5
	v_cmp_lt_i32_e32 vcc, v9, v2
	s_waitcnt lgkmcnt(0)
	v_max_f32_e32 v6, v6, v6
	v_max_f32_e32 v6, v5, v6
	v_cndmask_b32_e32 v5, v10, v9, vcc
	v_lshlrev_b32_e32 v9, 2, v5
	ds_bpermute_b32 v11, v9, v6
	v_cmp_eq_u32_e32 vcc, 0, v27
	v_lshlrev_b32_e32 v5, 2, v26
	s_and_saveexec_b64 s[0:1], vcc
	s_cbranch_execz .LBB250_302
; %bb.301:
	s_waitcnt lgkmcnt(0)
	v_max_f32_e32 v11, v11, v11
	v_max_f32_e32 v6, v6, v6
	v_max_f32_e32 v6, v6, v11
	ds_write_b32 v5, v6 offset:384
.LBB250_302:
	s_or_b64 exec, exec, s[0:1]
	v_cmp_gt_u32_e64 s[0:1], 2, v27
	s_waitcnt lgkmcnt(0)
	v_mov_b32_e32 v11, 0xff7fffff
	v_lshlrev_b32_e32 v6, 2, v27
	s_barrier
	s_and_saveexec_b64 s[2:3], s[0:1]
; %bb.303:
	ds_read_b32 v11, v6 offset:384
; %bb.304:
	s_or_b64 exec, exec, s[2:3]
	v_xor_b32_e32 v12, 1, v10
	v_cmp_lt_i32_e64 s[2:3], v12, v2
	v_lshlrev_b32_e32 v8, 2, v8
	s_nop 0
	v_cndmask_b32_e64 v12, v10, v12, s[2:3]
	v_lshlrev_b32_e32 v28, 2, v12
	s_waitcnt lgkmcnt(0)
	ds_bpermute_b32 v12, v28, v11
	v_max_f32_e32 v11, v11, v11
	s_lshl_b32 s2, s19, 4
	s_min_i32 s30, s2, s33
	v_cmp_gt_i32_e64 s[2:3], s30, v0
	s_waitcnt lgkmcnt(0)
	v_max_f32_e32 v12, v12, v12
	v_max_f32_e32 v11, v11, v12
	ds_bpermute_b32 v11, v8, v11
	v_mov_b32_e32 v8, 0
	s_and_saveexec_b64 s[14:15], s[2:3]
	s_cbranch_execz .LBB250_308
; %bb.305:
	v_mov_b32_e32 v8, 0x190
	v_lshl_add_u32 v12, v0, 2, v8
	v_mov_b32_e32 v8, 0
	s_mov_b64 s[28:29], 0
	v_mov_b32_e32 v13, v0
.LBB250_306:                            ; =>This Inner Loop Header: Depth=1
	ds_read_b32 v14, v12
	v_add_u32_e32 v13, 0x80, v13
	v_cmp_le_i32_e64 s[8:9], s30, v13
	s_or_b64 s[28:29], s[8:9], s[28:29]
	s_waitcnt lgkmcnt(0)
	v_sub_f32_e32 v14, v14, v11
	v_mul_f32_e32 v14, 0x3fb8aa3b, v14
	v_exp_f32_e32 v14, v14
	ds_write_b32 v12, v14
	v_add_f32_e32 v8, v8, v14
	v_add_u32_e32 v12, 0x200, v12
	s_andn2_b64 exec, exec, s[28:29]
	s_cbranch_execnz .LBB250_306
; %bb.307:
	s_or_b64 exec, exec, s[28:29]
.LBB250_308:
	s_or_b64 exec, exec, s[14:15]
	ds_bpermute_b32 v3, v3, v8
	s_waitcnt lgkmcnt(0)
	v_add_f32_e32 v3, v8, v3
	ds_bpermute_b32 v4, v4, v3
	s_waitcnt lgkmcnt(0)
	v_add_f32_e32 v3, v3, v4
	ds_bpermute_b32 v4, v7, v3
	v_xor_b32_e32 v7, 2, v10
	v_cmp_lt_i32_e64 s[8:9], v7, v2
	s_waitcnt lgkmcnt(0)
	v_add_f32_e32 v3, v3, v4
	ds_bpermute_b32 v4, v9, v3
	v_cndmask_b32_e64 v2, v10, v7, s[8:9]
	v_lshlrev_b32_e32 v2, 2, v2
	s_waitcnt lgkmcnt(0)
	v_add_f32_e32 v3, v3, v4
	ds_bpermute_b32 v2, v2, v3
	s_waitcnt lgkmcnt(0)
	v_add_f32_e32 v2, v3, v2
	ds_bpermute_b32 v3, v28, v2
	s_waitcnt lgkmcnt(0)
	v_add_f32_e32 v2, v2, v3
	s_and_saveexec_b64 s[8:9], vcc
; %bb.309:
	ds_write_b32 v5, v2 offset:392
; %bb.310:
	s_or_b64 exec, exec, s[8:9]
	s_waitcnt lgkmcnt(0)
	s_barrier
	s_and_saveexec_b64 s[8:9], s[0:1]
; %bb.311:
	ds_read_b32 v2, v6 offset:392
; %bb.312:
	s_or_b64 exec, exec, s[8:9]
	s_waitcnt lgkmcnt(0)
	ds_bpermute_b32 v3, v28, v2
	v_lshlrev_b32_e32 v4, 2, v10
	s_waitcnt lgkmcnt(0)
	v_add_f32_e32 v2, v2, v3
	v_and_b32_e32 v3, 0xffffff00, v4
	ds_bpermute_b32 v2, v3, v2
	s_and_saveexec_b64 s[0:1], s[2:3]
	s_cbranch_execz .LBB250_325
; %bb.313:
	s_waitcnt lgkmcnt(0)
	v_add_f32_e32 v2, 0x358637bd, v2
	v_div_scale_f32 v3, s[2:3], v2, v2, 1.0
	v_rcp_f32_e32 v4, v3
	v_div_scale_f32 v5, vcc, 1.0, v2, 1.0
	s_movk_i32 s2, 0x7f
	v_fma_f32 v6, -v3, v4, 1.0
	v_fmac_f32_e32 v4, v6, v4
	v_mul_f32_e32 v6, v5, v4
	v_fma_f32 v7, -v3, v6, v5
	v_fmac_f32_e32 v6, v7, v4
	v_fma_f32 v3, -v3, v6, v5
	v_div_fmas_f32 v3, v3, v4, v6
	v_xad_u32 v4, v0, -1, s30
	v_div_fixup_f32 v2, v3, v2, 1.0
	v_cmp_lt_u32_e32 vcc, s2, v4
	s_mov_b64 s[8:9], -1
	v_mov_b32_e32 v3, v0
	s_and_saveexec_b64 s[2:3], vcc
	s_cbranch_execz .LBB250_322
; %bb.314:
	v_lshrrev_b32_e32 v4, 7, v4
	v_add_u32_e32 v6, -1, v4
	v_lshrrev_b32_e32 v5, 1, v6
	v_mov_b32_e32 v3, v2
	v_add_u32_e32 v5, 1, v5
	v_cmp_lt_u32_e32 vcc, 13, v6
	v_mov_b32_e32 v8, 0
	s_and_saveexec_b64 s[8:9], vcc
	s_cbranch_execz .LBB250_318
; %bb.315:
	v_mov_b32_e32 v7, 0x190
	v_and_b32_e32 v6, -8, v5
	v_lshl_add_u32 v7, v0, 2, v7
	s_mov_b32 s28, 0
	s_mov_b64 s[14:15], 0
.LBB250_316:                            ; =>This Inner Loop Header: Depth=1
	ds_read2st64_b32 v[8:9], v7 offset1:2
	ds_read2st64_b32 v[10:11], v7 offset0:4 offset1:6
	ds_read2st64_b32 v[12:13], v7 offset0:8 offset1:10
	;; [unrolled: 1-line block ×3, first 2 shown]
	v_add_u32_e32 v6, -8, v6
	s_waitcnt lgkmcnt(3)
	v_pk_mul_f32 v[8:9], v[2:3], v[8:9]
	s_waitcnt lgkmcnt(2)
	v_pk_mul_f32 v[10:11], v[2:3], v[10:11]
	ds_write2st64_b32 v7, v8, v9 offset1:2
	ds_write2st64_b32 v7, v10, v11 offset0:4 offset1:6
	ds_read2st64_b32 v[10:11], v7 offset0:16 offset1:18
	s_waitcnt lgkmcnt(4)
	v_pk_mul_f32 v[8:9], v[2:3], v[12:13]
	ds_write2st64_b32 v7, v8, v9 offset0:8 offset1:10
	s_waitcnt lgkmcnt(4)
	v_pk_mul_f32 v[8:9], v[2:3], v[14:15]
	ds_write2st64_b32 v7, v8, v9 offset0:12 offset1:14
	ds_read2st64_b32 v[8:9], v7 offset0:20 offset1:22
	s_waitcnt lgkmcnt(3)
	v_pk_mul_f32 v[10:11], v[2:3], v[10:11]
	ds_read2st64_b32 v[12:13], v7 offset0:24 offset1:26
	ds_write2st64_b32 v7, v10, v11 offset0:16 offset1:18
	ds_read2st64_b32 v[10:11], v7 offset0:28 offset1:30
	s_waitcnt lgkmcnt(3)
	v_pk_mul_f32 v[8:9], v[2:3], v[8:9]
	ds_write2st64_b32 v7, v8, v9 offset0:20 offset1:22
	s_waitcnt lgkmcnt(3)
	v_pk_mul_f32 v[8:9], v[2:3], v[12:13]
	ds_write2st64_b32 v7, v8, v9 offset0:24 offset1:26
	s_waitcnt lgkmcnt(2)
	v_pk_mul_f32 v[8:9], v[2:3], v[10:11]
	s_add_i32 s28, s28, 16
	v_cmp_eq_u32_e32 vcc, 0, v6
	ds_write2st64_b32 v7, v8, v9 offset0:28 offset1:30
	v_add_u32_e32 v7, 0x2000, v7
	s_or_b64 s[14:15], vcc, s[14:15]
	v_mov_b32_e32 v8, s28
	s_andn2_b64 exec, exec, s[14:15]
	s_cbranch_execnz .LBB250_316
; %bb.317:
	s_or_b64 exec, exec, s[14:15]
.LBB250_318:
	s_or_b64 exec, exec, s[8:9]
	v_and_b32_e32 v5, 7, v5
	v_cmp_ne_u32_e32 vcc, 0, v5
	s_and_saveexec_b64 s[8:9], vcc
	s_cbranch_execz .LBB250_321
; %bb.319:
	v_lshlrev_b32_e32 v6, 9, v8
	v_lshlrev_b32_e32 v7, 2, v0
	s_movk_i32 s14, 0x190
	v_add3_u32 v6, v6, v7, s14
	s_mov_b64 s[14:15], 0
.LBB250_320:                            ; =>This Inner Loop Header: Depth=1
	ds_read2st64_b32 v[8:9], v6 offset1:2
	v_add_u32_e32 v5, -1, v5
	v_cmp_eq_u32_e32 vcc, 0, v5
	s_or_b64 s[14:15], vcc, s[14:15]
	s_waitcnt lgkmcnt(0)
	v_pk_mul_f32 v[8:9], v[2:3], v[8:9]
	ds_write2st64_b32 v6, v8, v9 offset1:2
	v_add_u32_e32 v6, 0x400, v6
	s_andn2_b64 exec, exec, s[14:15]
	s_cbranch_execnz .LBB250_320
.LBB250_321:
	s_or_b64 exec, exec, s[8:9]
	v_add_u32_e32 v4, 1, v4
	v_and_b32_e32 v5, 0x3fffffe, v4
	v_cmp_ne_u32_e32 vcc, v4, v5
	v_lshl_add_u32 v3, v5, 7, v0
	s_orn2_b64 s[8:9], vcc, exec
.LBB250_322:
	s_or_b64 exec, exec, s[2:3]
	s_and_b64 exec, exec, s[8:9]
	s_cbranch_execz .LBB250_325
; %bb.323:
	v_mov_b32_e32 v4, 0x190
	v_lshl_add_u32 v4, v3, 2, v4
	s_mov_b64 s[2:3], 0
.LBB250_324:                            ; =>This Inner Loop Header: Depth=1
	ds_read_b32 v5, v4
	v_add_u32_e32 v3, 0x80, v3
	v_cmp_le_i32_e32 vcc, s30, v3
	s_or_b64 s[2:3], vcc, s[2:3]
	s_waitcnt lgkmcnt(0)
	v_mul_f32_e32 v5, v2, v5
	ds_write_b32 v4, v5
	v_add_u32_e32 v4, 0x200, v4
	s_andn2_b64 exec, exec, s[2:3]
	s_cbranch_execnz .LBB250_324
.LBB250_325:
	s_or_b64 exec, exec, s[0:1]
	v_mov_b32_e32 v3, 0
	v_and_b32_e32 v29, 1, v0
	s_waitcnt lgkmcnt(0)
	v_mov_b32_e32 v2, v3
	v_mov_b32_e32 v5, v3
	;; [unrolled: 1-line block ×5, first 2 shown]
	s_barrier
	s_and_saveexec_b64 s[2:3], s[6:7]
	s_cbranch_execz .LBB250_629
; %bb.326:
	s_ashr_i32 s1, s12, 31
	v_lshlrev_b32_e32 v2, 3, v0
	s_add_u32 s0, s26, s12
	s_addc_u32 s1, s27, s1
	v_and_b32_e32 v8, 0x1f8, v2
	v_mov_b32_e32 v9, 0
	s_add_i32 s26, s19, -1
	v_lshl_add_u64 v[10:11], s[0:1], 0, v[8:9]
	s_lshl_b64 s[0:1], s[24:25], 2
	v_and_b32_e32 v3, 8, v2
	v_lshlrev_b32_e32 v2, 5, v29
	s_add_u32 s0, s22, s0
	s_mov_b32 s6, -1
	v_lshl_or_b32 v2, v26, 6, v2
	v_and_b32_e32 v8, 60, v1
	s_addc_u32 s1, s23, s1
	s_mov_b32 s28, s13
	s_mov_b32 s7, 0xffffff
	;; [unrolled: 1-line block ×3, first 2 shown]
	v_lshl_or_b32 v30, v26, 4, v3
	v_add_u32_e32 v31, 0x190, v2
	v_lshl_add_u64 v[12:13], s[0:1], 0, v[8:9]
	s_mov_b64 s[8:9], 0
	s_movk_i32 s24, 0x80
	s_movk_i32 s25, 0x7f
	s_mov_b32 s29, 0x8000
	v_mov_b32_e32 v32, 0x2000
	v_mov_b32_e32 v3, 0
	;; [unrolled: 1-line block ×7, first 2 shown]
	s_branch .LBB250_328
.LBB250_327:                            ;   in Loop: Header=BB250_328 Depth=1
	s_or_b64 exec, exec, s[0:1]
	v_add_f32_e32 v14, v24, v25
	v_add_f32_e32 v2, v2, v14
	;; [unrolled: 1-line block ×9, first 2 shown]
	;;#ASMSTART
	v_pk_mul_f16 v1, v43, v1;

	;;#ASMEND
	v_add_f32_e32 v6, v6, v14
	;;#ASMSTART
	v_pk_mul_f16 v8, v42, v8;

	;;#ASMEND
	;;#ASMSTART
	v_pk_mul_f16 v14, v41, v21;

	;;#ASMEND
	;;#ASMSTART
	v_pk_mul_f16 v15, v40, v20;

	;;#ASMEND
	v_add_u32_e32 v26, 2, v26
	;;#ASMSTART
	v_pk_add_f16 v1, v1, v8;

	;;#ASMEND
	v_cmp_le_i32_e32 vcc, s19, v26
	;;#ASMSTART
	v_pk_add_f16 v1, v1, v14;

	;;#ASMEND
	v_add_u32_e32 v30, 32, v30
	;;#ASMSTART
	v_pk_add_f16 v1, v1, v15;

	;;#ASMEND
	v_add_u32_e32 v31, 0x80, v31
	v_lshrrev_b32_e32 v8, 16, v1
	v_and_b32_e32 v1, 0xffff, v1
	;;#ASMSTART
	v_cvt_f32_f16 v1, v1;
	;;#ASMEND
	;;#ASMSTART
	v_cvt_f32_f16 v8, v8;
	;;#ASMEND
	s_or_b64 s[8:9], vcc, s[8:9]
	v_add_f32_e32 v1, v1, v8
	v_add_f32_e32 v3, v3, v1
	v_lshl_add_u64 v[12:13], v[12:13], 0, 8
	s_andn2_b64 exec, exec, s[8:9]
	s_cbranch_execz .LBB250_628
.LBB250_328:                            ; =>This Inner Loop Header: Depth=1
	global_load_dword v1, v[12:13], off
	ds_read2_b64 v[14:17], v31 offset1:1
	ds_read2_b64 v[18:21], v31 offset0:2 offset1:3
	s_waitcnt lgkmcnt(1)
	;;#ASMSTART
	v_cvt_f16_f32 v40, v14;

	;;#ASMEND
	;;#ASMSTART
	v_cvt_f16_f32 v41, v15;

	;;#ASMEND
	;; [unrolled: 4-line block ×4, first 2 shown]
	s_waitcnt lgkmcnt(0)
	;;#ASMSTART
	v_cvt_f16_f32 v45, v18;

	;;#ASMEND
	;;#ASMSTART
	v_cvt_f16_f32 v46, v19;

	;;#ASMEND
	;; [unrolled: 4-line block ×4, first 2 shown]
	s_waitcnt vmcnt(0)
	v_mad_i64_i32 v[14:15], s[0:1], v1, s28, v[10:11]
	global_load_dwordx2 v[18:19], v[14:15], off
	global_load_dword v16, v9, s[10:11]
	v_mov_b32_e32 v1, 0
	s_waitcnt vmcnt(1)
	v_cmp_ne_u16_sdwa s[12:13], v18, v9 src0_sel:BYTE_0 src1_sel:DWORD
	s_and_saveexec_b64 s[0:1], s[12:13]
	s_cbranch_execz .LBB250_334
; %bb.329:                              ;   in Loop: Header=BB250_328 Depth=1
	v_cmp_ne_u16_sdwa s[14:15], v18, s24 src0_sel:BYTE_0 src1_sel:DWORD
	v_mov_b32_e32 v1, 0x8000
	s_and_saveexec_b64 s[12:13], s[14:15]
	s_cbranch_execz .LBB250_333
; %bb.330:                              ;   in Loop: Header=BB250_328 Depth=1
	v_and_b32_e32 v8, 0x7f, v18
	v_cmp_ne_u32_e32 vcc, s25, v8
	v_mov_b32_e32 v1, 0x7c01
	s_and_saveexec_b64 s[14:15], vcc
	s_cbranch_execz .LBB250_332
; %bb.331:                              ;   in Loop: Header=BB250_328 Depth=1
	v_and_b32_e32 v1, 7, v18
	v_ffbh_u32_e32 v20, v1
	v_min_u32_e32 v22, 32, v20
	v_subrev_u32_e32 v20, 28, v22
	v_lshlrev_b64 v[20:21], v20, v[18:19]
	v_lshrrev_b32_e32 v17, 3, v8
	v_sub_u32_e32 v21, 29, v22
	v_cmp_gt_u32_e32 vcc, 8, v8
	v_and_b32_e32 v20, 7, v20
	s_nop 0
	v_cndmask_b32_e32 v8, v17, v21, vcc
	v_lshl_add_u32 v8, v8, 10, v32
	v_lshlrev_b32_e32 v17, 8, v18
	v_and_b32_e32 v8, 0xfc00, v8
	v_cndmask_b32_e32 v1, v1, v20, vcc
	v_and_or_b32 v8, v17, s29, v8
	v_lshl_or_b32 v1, v1, 7, v8
.LBB250_332:                            ;   in Loop: Header=BB250_328 Depth=1
	s_or_b64 exec, exec, s[14:15]
.LBB250_333:                            ;   in Loop: Header=BB250_328 Depth=1
	s_or_b64 exec, exec, s[12:13]
.LBB250_334:                            ;   in Loop: Header=BB250_328 Depth=1
	s_or_b64 exec, exec, s[0:1]
	v_lshrrev_b16_e32 v8, 8, v18
	v_cmp_ne_u16_e32 vcc, 0, v8
	v_mov_b32_e32 v17, 0
	v_mov_b32_e32 v20, 0
	s_and_saveexec_b64 s[0:1], vcc
	s_cbranch_execz .LBB250_340
; %bb.335:                              ;   in Loop: Header=BB250_328 Depth=1
	v_cmp_ne_u16_e32 vcc, s24, v8
	v_bfrev_b32_e32 v20, 1
	s_and_saveexec_b64 s[12:13], vcc
	s_cbranch_execz .LBB250_339
; %bb.336:                              ;   in Loop: Header=BB250_328 Depth=1
	v_and_b32_e32 v21, 0x7f, v8
	v_cmp_ne_u32_e32 vcc, s25, v21
	v_mov_b32_e32 v20, 0x7c010000
	s_and_saveexec_b64 s[14:15], vcc
	s_cbranch_execz .LBB250_338
; %bb.337:                              ;   in Loop: Header=BB250_328 Depth=1
	v_and_b32_e32 v20, 7, v8
	v_ffbh_u32_e32 v22, v20
	v_min_u32_e32 v25, 32, v22
	v_subrev_u32_e32 v22, 28, v25
	v_lshlrev_b64 v[22:23], v22, v[8:9]
	v_lshrrev_b32_e32 v24, 3, v21
	v_sub_u32_e32 v23, 29, v25
	v_cmp_gt_u32_e32 vcc, 8, v21
	v_lshlrev_b32_e32 v8, 8, v8
	v_and_b32_e32 v22, 7, v22
	v_cndmask_b32_e32 v21, v24, v23, vcc
	v_lshl_add_u32 v21, v21, 10, v32
	v_and_or_b32 v8, v8, s29, v21
	v_cndmask_b32_e32 v20, v20, v22, vcc
	v_lshlrev_b32_e32 v8, 16, v8
	v_lshl_or_b32 v20, v20, 23, v8
.LBB250_338:                            ;   in Loop: Header=BB250_328 Depth=1
	s_or_b64 exec, exec, s[14:15]
.LBB250_339:                            ;   in Loop: Header=BB250_328 Depth=1
	s_or_b64 exec, exec, s[12:13]
.LBB250_340:                            ;   in Loop: Header=BB250_328 Depth=1
	s_or_b64 exec, exec, s[0:1]
	v_lshrrev_b32_e32 v8, 16, v18
	v_cmp_ne_u16_sdwa s[12:13], v8, v9 src0_sel:BYTE_0 src1_sel:DWORD
	s_and_saveexec_b64 s[0:1], s[12:13]
	s_cbranch_execz .LBB250_346
; %bb.341:                              ;   in Loop: Header=BB250_328 Depth=1
	v_cmp_ne_u16_sdwa s[14:15], v8, s24 src0_sel:BYTE_0 src1_sel:DWORD
	v_mov_b32_e32 v17, 0x8000
	s_and_saveexec_b64 s[12:13], s[14:15]
	s_cbranch_execz .LBB250_345
; %bb.342:                              ;   in Loop: Header=BB250_328 Depth=1
	v_bfe_u32 v21, v18, 16, 7
	v_cmp_ne_u32_e32 vcc, s25, v21
	v_mov_b32_e32 v17, 0x7c01
	s_and_saveexec_b64 s[14:15], vcc
	s_cbranch_execz .LBB250_344
; %bb.343:                              ;   in Loop: Header=BB250_328 Depth=1
	v_and_b32_e32 v17, 7, v8
	v_ffbh_u32_e32 v22, v17
	v_min_u32_e32 v25, 32, v22
	v_subrev_u32_e32 v22, 28, v25
	v_lshlrev_b64 v[22:23], v22, v[8:9]
	v_lshrrev_b32_e32 v24, 3, v21
	v_sub_u32_e32 v23, 29, v25
	v_cmp_gt_u32_e32 vcc, 8, v21
	v_lshlrev_b32_e32 v8, 8, v8
	v_and_b32_e32 v22, 7, v22
	v_cndmask_b32_e32 v21, v24, v23, vcc
	v_lshl_add_u32 v21, v21, 10, v32
	v_and_b32_e32 v21, 0xfc00, v21
	v_cndmask_b32_e32 v17, v17, v22, vcc
	v_and_or_b32 v8, v8, s29, v21
	v_lshl_or_b32 v17, v17, 7, v8
.LBB250_344:                            ;   in Loop: Header=BB250_328 Depth=1
	s_or_b64 exec, exec, s[14:15]
.LBB250_345:                            ;   in Loop: Header=BB250_328 Depth=1
	s_or_b64 exec, exec, s[12:13]
.LBB250_346:                            ;   in Loop: Header=BB250_328 Depth=1
	s_or_b64 exec, exec, s[0:1]
	v_cmp_lt_u32_e32 vcc, s7, v18
	v_mov_b32_e32 v21, 0
	v_mov_b32_e32 v22, 0
	s_and_saveexec_b64 s[0:1], vcc
	s_cbranch_execz .LBB250_352
; %bb.347:                              ;   in Loop: Header=BB250_328 Depth=1
	v_lshrrev_b32_e32 v8, 24, v18
	v_cmp_ne_u32_e32 vcc, s24, v8
	v_bfrev_b32_e32 v22, 1
	s_and_saveexec_b64 s[12:13], vcc
	s_cbranch_execz .LBB250_351
; %bb.348:                              ;   in Loop: Header=BB250_328 Depth=1
	v_and_b32_e32 v23, 0x7f, v8
	v_cmp_ne_u32_e32 vcc, s25, v23
	v_mov_b32_e32 v22, 0x7c010000
	s_and_saveexec_b64 s[14:15], vcc
	s_cbranch_execz .LBB250_350
; %bb.349:                              ;   in Loop: Header=BB250_328 Depth=1
	v_and_b32_e32 v22, 7, v8
	v_ffbh_u32_e32 v24, v22
	v_min_u32_e32 v34, 32, v24
	v_subrev_u32_e32 v24, 28, v34
	v_lshlrev_b64 v[24:25], v24, v[8:9]
	v_lshrrev_b32_e32 v33, 3, v23
	v_sub_u32_e32 v25, 29, v34
	v_cmp_gt_u32_e32 vcc, 8, v23
	v_lshlrev_b32_e32 v8, 8, v8
	v_and_b32_e32 v24, 7, v24
	v_cndmask_b32_e32 v23, v33, v25, vcc
	v_lshl_add_u32 v23, v23, 10, v32
	v_and_or_b32 v8, v8, s29, v23
	v_cndmask_b32_e32 v22, v22, v24, vcc
	v_lshlrev_b32_e32 v8, 16, v8
	v_lshl_or_b32 v22, v22, 23, v8
.LBB250_350:                            ;   in Loop: Header=BB250_328 Depth=1
	s_or_b64 exec, exec, s[14:15]
.LBB250_351:                            ;   in Loop: Header=BB250_328 Depth=1
	s_or_b64 exec, exec, s[12:13]
.LBB250_352:                            ;   in Loop: Header=BB250_328 Depth=1
	s_or_b64 exec, exec, s[0:1]
	v_mov_b32_e32 v8, v19
	v_cmp_ne_u16_sdwa s[12:13], v19, v9 src0_sel:BYTE_0 src1_sel:DWORD
	s_and_saveexec_b64 s[0:1], s[12:13]
	s_cbranch_execz .LBB250_358
; %bb.353:                              ;   in Loop: Header=BB250_328 Depth=1
	v_cmp_ne_u16_sdwa s[14:15], v19, s24 src0_sel:BYTE_0 src1_sel:DWORD
	v_mov_b32_e32 v21, 0x8000
	s_and_saveexec_b64 s[12:13], s[14:15]
	s_cbranch_execz .LBB250_357
; %bb.354:                              ;   in Loop: Header=BB250_328 Depth=1
	v_and_b32_e32 v23, 0x7f, v19
	v_cmp_ne_u32_e32 vcc, s25, v23
	v_mov_b32_e32 v21, 0x7c01
	s_and_saveexec_b64 s[14:15], vcc
	s_cbranch_execz .LBB250_356
; %bb.355:                              ;   in Loop: Header=BB250_328 Depth=1
	v_and_b32_e32 v21, 7, v19
	v_ffbh_u32_e32 v24, v21
	v_min_u32_e32 v34, 32, v24
	v_subrev_u32_e32 v24, 28, v34
	v_lshlrev_b64 v[24:25], v24, v[8:9]
	v_lshrrev_b32_e32 v33, 3, v23
	v_sub_u32_e32 v25, 29, v34
	v_cmp_gt_u32_e32 vcc, 8, v23
	v_and_b32_e32 v24, 7, v24
	s_nop 0
	v_cndmask_b32_e32 v23, v33, v25, vcc
	v_lshl_add_u32 v23, v23, 10, v32
	v_lshlrev_b32_e32 v25, 8, v19
	v_and_b32_e32 v23, 0xfc00, v23
	v_cndmask_b32_e32 v21, v21, v24, vcc
	v_and_or_b32 v23, v25, s29, v23
	v_lshl_or_b32 v21, v21, 7, v23
.LBB250_356:                            ;   in Loop: Header=BB250_328 Depth=1
	s_or_b64 exec, exec, s[14:15]
.LBB250_357:                            ;   in Loop: Header=BB250_328 Depth=1
	s_or_b64 exec, exec, s[12:13]
.LBB250_358:                            ;   in Loop: Header=BB250_328 Depth=1
	s_or_b64 exec, exec, s[0:1]
	v_lshrrev_b16_e32 v8, 8, v8
	v_cmp_ne_u16_e32 vcc, 0, v8
	v_mov_b32_e32 v24, 0
	v_mov_b32_e32 v23, 0
	s_and_saveexec_b64 s[0:1], vcc
	s_cbranch_execz .LBB250_364
; %bb.359:                              ;   in Loop: Header=BB250_328 Depth=1
	v_cmp_ne_u16_e32 vcc, s24, v8
	v_bfrev_b32_e32 v23, 1
	s_and_saveexec_b64 s[12:13], vcc
	s_cbranch_execz .LBB250_363
; %bb.360:                              ;   in Loop: Header=BB250_328 Depth=1
	v_and_b32_e32 v25, 0x7f, v8
	v_cmp_ne_u32_e32 vcc, s25, v25
	v_mov_b32_e32 v23, 0x7c010000
	s_and_saveexec_b64 s[14:15], vcc
	s_cbranch_execz .LBB250_362
; %bb.361:                              ;   in Loop: Header=BB250_328 Depth=1
	v_and_b32_e32 v23, 7, v8
	v_ffbh_u32_e32 v34, v23
	v_min_u32_e32 v36, 32, v34
	v_subrev_u32_e32 v34, 28, v36
	v_lshlrev_b64 v[34:35], v34, v[8:9]
	v_lshrrev_b32_e32 v33, 3, v25
	v_sub_u32_e32 v35, 29, v36
	v_cmp_gt_u32_e32 vcc, 8, v25
	v_lshlrev_b32_e32 v8, 8, v8
	s_nop 0
	v_cndmask_b32_e32 v25, v33, v35, vcc
	v_lshl_add_u32 v25, v25, 10, v32
	v_and_b32_e32 v33, 7, v34
	v_and_or_b32 v8, v8, s29, v25
	v_cndmask_b32_e32 v23, v23, v33, vcc
	v_lshlrev_b32_e32 v8, 16, v8
	v_lshl_or_b32 v23, v23, 23, v8
.LBB250_362:                            ;   in Loop: Header=BB250_328 Depth=1
	s_or_b64 exec, exec, s[14:15]
.LBB250_363:                            ;   in Loop: Header=BB250_328 Depth=1
	s_or_b64 exec, exec, s[12:13]
.LBB250_364:                            ;   in Loop: Header=BB250_328 Depth=1
	s_or_b64 exec, exec, s[0:1]
	v_lshrrev_b32_e32 v8, 16, v19
	v_cmp_ne_u16_sdwa s[12:13], v8, v9 src0_sel:BYTE_0 src1_sel:DWORD
	s_and_saveexec_b64 s[0:1], s[12:13]
	s_cbranch_execz .LBB250_370
; %bb.365:                              ;   in Loop: Header=BB250_328 Depth=1
	v_cmp_ne_u16_sdwa s[14:15], v8, s24 src0_sel:BYTE_0 src1_sel:DWORD
	v_mov_b32_e32 v24, 0x8000
	s_and_saveexec_b64 s[12:13], s[14:15]
	s_cbranch_execz .LBB250_369
; %bb.366:                              ;   in Loop: Header=BB250_328 Depth=1
	v_bfe_u32 v25, v19, 16, 7
	v_cmp_ne_u32_e32 vcc, s25, v25
	v_mov_b32_e32 v24, 0x7c01
	s_and_saveexec_b64 s[14:15], vcc
	s_cbranch_execz .LBB250_368
; %bb.367:                              ;   in Loop: Header=BB250_328 Depth=1
	v_and_b32_e32 v24, 7, v8
	v_ffbh_u32_e32 v34, v24
	v_min_u32_e32 v36, 32, v34
	v_subrev_u32_e32 v34, 28, v36
	v_lshlrev_b64 v[34:35], v34, v[8:9]
	v_lshrrev_b32_e32 v33, 3, v25
	v_sub_u32_e32 v35, 29, v36
	v_cmp_gt_u32_e32 vcc, 8, v25
	v_lshlrev_b32_e32 v8, 8, v8
	s_nop 0
	v_cndmask_b32_e32 v25, v33, v35, vcc
	v_lshl_add_u32 v25, v25, 10, v32
	v_and_b32_e32 v33, 7, v34
	v_and_b32_e32 v25, 0xfc00, v25
	v_cndmask_b32_e32 v24, v24, v33, vcc
	v_and_or_b32 v8, v8, s29, v25
	v_lshl_or_b32 v24, v24, 7, v8
.LBB250_368:                            ;   in Loop: Header=BB250_328 Depth=1
	s_or_b64 exec, exec, s[14:15]
.LBB250_369:                            ;   in Loop: Header=BB250_328 Depth=1
	s_or_b64 exec, exec, s[12:13]
.LBB250_370:                            ;   in Loop: Header=BB250_328 Depth=1
	s_or_b64 exec, exec, s[0:1]
	v_cmp_lt_u64_e32 vcc, s[6:7], v[18:19]
	v_mov_b32_e32 v25, 0
	s_and_saveexec_b64 s[0:1], vcc
	s_cbranch_execz .LBB250_376
; %bb.371:                              ;   in Loop: Header=BB250_328 Depth=1
	v_lshrrev_b32_e32 v8, 24, v19
	v_cmp_ne_u32_e32 vcc, s24, v8
	v_bfrev_b32_e32 v25, 1
	s_and_saveexec_b64 s[12:13], vcc
	s_cbranch_execz .LBB250_375
; %bb.372:                              ;   in Loop: Header=BB250_328 Depth=1
	v_and_b32_e32 v18, 0x7f, v8
	v_cmp_ne_u32_e32 vcc, s25, v18
	v_mov_b32_e32 v25, 0x7c010000
	s_and_saveexec_b64 s[14:15], vcc
	s_cbranch_execz .LBB250_374
; %bb.373:                              ;   in Loop: Header=BB250_328 Depth=1
	v_and_b32_e32 v19, 7, v8
	v_ffbh_u32_e32 v33, v19
	v_min_u32_e32 v33, 32, v33
	v_lshrrev_b32_e32 v25, 3, v18
	v_subrev_u32_e32 v34, 28, v33
	v_sub_u32_e32 v33, 29, v33
	v_cmp_gt_u32_e32 vcc, 8, v18
	v_lshlrev_b64 v[34:35], v34, v[8:9]
	v_lshlrev_b32_e32 v8, 8, v8
	v_cndmask_b32_e32 v18, v25, v33, vcc
	v_lshl_add_u32 v18, v18, 10, v32
	v_and_b32_e32 v25, 7, v34
	v_and_or_b32 v8, v8, s29, v18
	v_cndmask_b32_e32 v19, v19, v25, vcc
	v_lshlrev_b32_e32 v8, 16, v8
	v_lshl_or_b32 v25, v19, 23, v8
.LBB250_374:                            ;   in Loop: Header=BB250_328 Depth=1
	s_or_b64 exec, exec, s[14:15]
.LBB250_375:                            ;   in Loop: Header=BB250_328 Depth=1
	s_or_b64 exec, exec, s[12:13]
.LBB250_376:                            ;   in Loop: Header=BB250_328 Depth=1
	s_or_b64 exec, exec, s[0:1]
	v_cvt_f32_f16_sdwa v19, v20 dst_sel:DWORD dst_unused:UNUSED_PAD src0_sel:WORD_1
	v_cvt_f32_f16_sdwa v18, v22 dst_sel:DWORD dst_unused:UNUSED_PAD src0_sel:WORD_1
	v_or_b32_e32 v1, v20, v1
	v_or_b32_e32 v8, v22, v17
	v_cvt_f32_f16_e32 v34, v8
	v_cvt_f32_f16_e32 v35, v1
	s_waitcnt vmcnt(0)
	v_pk_mul_f32 v[18:19], v[16:17], v[18:19] op_sel_hi:[0,1]
	v_cvt_pk_f16_f32 v1, v18, v19
	v_and_b32_e32 v17, 0xffff0000, v1
	v_pk_mul_f32 v[34:35], v[16:17], v[34:35] op_sel_hi:[0,1]
	v_or_b32_e32 v8, v23, v21
	v_or_b32_e32 v21, v25, v24
	v_lshlrev_b32_e32 v18, 16, v1
	v_cvt_pk_f16_f32 v1, v34, v35
	v_cvt_f32_f16_e32 v34, v21
	v_cvt_f32_f16_e32 v35, v8
	v_cvt_f32_f16_sdwa v23, v23 dst_sel:DWORD dst_unused:UNUSED_PAD src0_sel:WORD_1
	v_cvt_f32_f16_sdwa v22, v25 dst_sel:DWORD dst_unused:UNUSED_PAD src0_sel:WORD_1
	v_lshrrev_b32_e32 v19, 16, v1
	v_pk_mul_f32 v[24:25], v[16:17], v[34:35] op_sel_hi:[0,1]
	v_cvt_pk_f16_f32 v24, v24, v25
	v_pk_mul_f32 v[22:23], v[16:17], v[22:23] op_sel_hi:[0,1]
	v_cvt_pk_f16_f32 v16, v22, v23
	v_and_b32_e32 v20, 0xffff, v1
	v_and_b32_e32 v21, 0xffff0000, v16
	v_lshlrev_b32_e32 v16, 16, v16
	v_lshrrev_b32_e32 v25, 16, v24
	v_and_b32_e32 v24, 0xffff, v24
	v_cmp_eq_u32_e32 vcc, s26, v26
	v_or_b32_e32 v1, v17, v19
	v_or_b32_e32 v8, v18, v20
	v_or_b32_e32 v23, v21, v25
	v_or_b32_e32 v22, v16, v24
	v_add_u32_e32 v39, 2, v30
	v_or_b32_e32 v38, 1, v30
	v_or_b32_e32 v37, 3, v30
	;; [unrolled: 1-line block ×6, first 2 shown]
	s_and_saveexec_b64 s[12:13], vcc
	s_cbranch_execz .LBB250_378
; %bb.377:                              ;   in Loop: Header=BB250_328 Depth=1
	v_cmp_gt_i32_e64 s[0:1], s27, v30
	s_nop 1
	v_cndmask_b32_e64 v1, 0, v19, s[0:1]
	v_cmp_gt_i32_e64 s[0:1], s33, v39
	s_nop 1
	v_cndmask_b32_e64 v8, 0, v20, s[0:1]
	;; [unrolled: 3-line block ×3, first 2 shown]
	v_cmp_gt_i32_e64 s[0:1], s33, v37
	v_or_b32_e32 v1, v17, v1
	s_nop 0
	v_cndmask_b32_e64 v18, 0, v18, s[0:1]
	v_cmp_gt_i32_e64 s[0:1], s27, v36
	v_or_b32_e32 v8, v18, v8
	s_nop 0
	v_cndmask_b32_e64 v17, 0, v25, s[0:1]
	v_cmp_gt_i32_e64 s[0:1], s33, v35
	s_nop 1
	v_cndmask_b32_e64 v18, 0, v24, s[0:1]
	v_cmp_gt_i32_e64 s[0:1], s27, v34
	;; [unrolled: 3-line block ×3, first 2 shown]
	v_or_b32_e32 v23, v19, v17
	s_nop 0
	v_cndmask_b32_e64 v16, 0, v16, s[0:1]
	v_or_b32_e32 v22, v16, v18
.LBB250_378:                            ;   in Loop: Header=BB250_328 Depth=1
	s_or_b64 exec, exec, s[12:13]
	v_and_b32_e32 v16, 0xffff, v40
	v_lshl_or_b32 v43, v41, 16, v16
	v_and_b32_e32 v16, 0xffff, v42
	v_lshl_or_b32 v42, v44, 16, v16
	v_and_b32_e32 v16, 0xffff, v45
	v_lshl_or_b32 v41, v46, 16, v16
	v_and_b32_e32 v16, 0xffff, v47
	;;#ASMSTART
	v_pk_mul_f16 v1, v43, v1;

	;;#ASMEND
	v_lshl_or_b32 v40, v48, 16, v16
	;;#ASMSTART
	v_pk_mul_f16 v8, v42, v8;

	;;#ASMEND
	;;#ASMSTART
	v_pk_mul_f16 v16, v41, v23;

	;;#ASMEND
	;; [unrolled: 4-line block ×3, first 2 shown]
	s_nop 0
	;;#ASMSTART
	v_pk_add_f16 v1, v1, v8;

	;;#ASMEND
	s_nop 0
	;;#ASMSTART
	v_pk_add_f16 v1, v1, v16;

	;;#ASMEND
	;; [unrolled: 5-line block ×3, first 2 shown]
	v_mov_b32_e32 v17, 0
	v_lshrrev_b32_e32 v8, 16, v1
	v_and_b32_e32 v1, 0xffff, v1
	;;#ASMSTART
	v_cvt_f32_f16 v44, v1;
	;;#ASMEND
	;;#ASMSTART
	v_cvt_f32_f16 v45, v8;
	;;#ASMEND
	global_load_dwordx2 v[18:19], v[14:15], off offset:512
	v_mov_b32_e32 v1, 0
	global_load_dword v16, v1, s[10:11]
	s_waitcnt vmcnt(1)
	v_cmp_ne_u16_sdwa s[0:1], v18, v9 src0_sel:BYTE_0 src1_sel:DWORD
	s_and_saveexec_b64 s[12:13], s[0:1]
	s_cbranch_execz .LBB250_384
; %bb.379:                              ;   in Loop: Header=BB250_328 Depth=1
	v_cmp_ne_u16_sdwa s[0:1], v18, s24 src0_sel:BYTE_0 src1_sel:DWORD
	v_mov_b32_e32 v17, 0x8000
	s_and_saveexec_b64 s[14:15], s[0:1]
	s_cbranch_execz .LBB250_383
; %bb.380:                              ;   in Loop: Header=BB250_328 Depth=1
	v_and_b32_e32 v8, 0x7f, v18
	v_cmp_ne_u32_e64 s[0:1], s25, v8
	v_mov_b32_e32 v17, 0x7c01
	s_and_saveexec_b64 s[22:23], s[0:1]
	s_cbranch_execz .LBB250_382
; %bb.381:                              ;   in Loop: Header=BB250_328 Depth=1
	v_and_b32_e32 v17, 7, v18
	v_ffbh_u32_e32 v20, v17
	v_min_u32_e32 v23, 32, v20
	v_subrev_u32_e32 v20, 28, v23
	v_lshlrev_b64 v[20:21], v20, v[18:19]
	v_lshrrev_b32_e32 v22, 3, v8
	v_sub_u32_e32 v21, 29, v23
	v_cmp_gt_u32_e64 s[0:1], 8, v8
	v_and_b32_e32 v20, 7, v20
	s_nop 0
	v_cndmask_b32_e64 v8, v22, v21, s[0:1]
	v_lshl_add_u32 v8, v8, 10, v32
	v_lshlrev_b32_e32 v21, 8, v18
	v_and_b32_e32 v8, 0xfc00, v8
	v_cndmask_b32_e64 v17, v17, v20, s[0:1]
	v_and_or_b32 v8, v21, s29, v8
	v_lshl_or_b32 v17, v17, 7, v8
.LBB250_382:                            ;   in Loop: Header=BB250_328 Depth=1
	s_or_b64 exec, exec, s[22:23]
.LBB250_383:                            ;   in Loop: Header=BB250_328 Depth=1
	s_or_b64 exec, exec, s[14:15]
.LBB250_384:                            ;   in Loop: Header=BB250_328 Depth=1
	s_or_b64 exec, exec, s[12:13]
	v_lshrrev_b16_e32 v8, 8, v18
	v_cmp_ne_u16_e64 s[0:1], 0, v8
	s_and_saveexec_b64 s[12:13], s[0:1]
	s_cbranch_execz .LBB250_390
; %bb.385:                              ;   in Loop: Header=BB250_328 Depth=1
	v_cmp_ne_u16_e64 s[0:1], s24, v8
	v_bfrev_b32_e32 v1, 1
	s_and_saveexec_b64 s[14:15], s[0:1]
	s_cbranch_execz .LBB250_389
; %bb.386:                              ;   in Loop: Header=BB250_328 Depth=1
	v_and_b32_e32 v20, 0x7f, v8
	v_cmp_ne_u32_e64 s[0:1], s25, v20
	v_mov_b32_e32 v1, 0x7c010000
	s_and_saveexec_b64 s[22:23], s[0:1]
	s_cbranch_execz .LBB250_388
; %bb.387:                              ;   in Loop: Header=BB250_328 Depth=1
	v_and_b32_e32 v1, 7, v8
	v_ffbh_u32_e32 v22, v1
	v_min_u32_e32 v24, 32, v22
	v_subrev_u32_e32 v22, 28, v24
	v_lshlrev_b64 v[22:23], v22, v[8:9]
	v_lshrrev_b32_e32 v21, 3, v20
	v_sub_u32_e32 v23, 29, v24
	v_cmp_gt_u32_e64 s[0:1], 8, v20
	v_lshlrev_b32_e32 v8, 8, v8
	s_nop 0
	v_cndmask_b32_e64 v20, v21, v23, s[0:1]
	v_lshl_add_u32 v20, v20, 10, v32
	v_and_b32_e32 v21, 7, v22
	v_and_or_b32 v8, v8, s29, v20
	v_cndmask_b32_e64 v1, v1, v21, s[0:1]
	v_lshlrev_b32_e32 v8, 16, v8
	v_lshl_or_b32 v1, v1, 23, v8
.LBB250_388:                            ;   in Loop: Header=BB250_328 Depth=1
	s_or_b64 exec, exec, s[22:23]
.LBB250_389:                            ;   in Loop: Header=BB250_328 Depth=1
	s_or_b64 exec, exec, s[14:15]
.LBB250_390:                            ;   in Loop: Header=BB250_328 Depth=1
	s_or_b64 exec, exec, s[12:13]
	v_lshrrev_b32_e32 v8, 16, v18
	v_cmp_ne_u16_sdwa s[0:1], v8, v9 src0_sel:BYTE_0 src1_sel:DWORD
	v_mov_b32_e32 v21, 0
	v_mov_b32_e32 v20, 0
	s_and_saveexec_b64 s[12:13], s[0:1]
	s_cbranch_execz .LBB250_396
; %bb.391:                              ;   in Loop: Header=BB250_328 Depth=1
	v_cmp_ne_u16_sdwa s[0:1], v8, s24 src0_sel:BYTE_0 src1_sel:DWORD
	v_mov_b32_e32 v20, 0x8000
	s_and_saveexec_b64 s[14:15], s[0:1]
	s_cbranch_execz .LBB250_395
; %bb.392:                              ;   in Loop: Header=BB250_328 Depth=1
	v_bfe_u32 v22, v18, 16, 7
	v_cmp_ne_u32_e64 s[0:1], s25, v22
	v_mov_b32_e32 v20, 0x7c01
	s_and_saveexec_b64 s[22:23], s[0:1]
	s_cbranch_execz .LBB250_394
; %bb.393:                              ;   in Loop: Header=BB250_328 Depth=1
	v_and_b32_e32 v20, 7, v8
	v_ffbh_u32_e32 v24, v20
	v_min_u32_e32 v46, 32, v24
	v_subrev_u32_e32 v24, 28, v46
	v_lshlrev_b64 v[24:25], v24, v[8:9]
	v_lshrrev_b32_e32 v23, 3, v22
	v_sub_u32_e32 v25, 29, v46
	v_cmp_gt_u32_e64 s[0:1], 8, v22
	v_lshlrev_b32_e32 v8, 8, v8
	s_nop 0
	v_cndmask_b32_e64 v22, v23, v25, s[0:1]
	v_lshl_add_u32 v22, v22, 10, v32
	v_and_b32_e32 v23, 7, v24
	v_and_b32_e32 v22, 0xfc00, v22
	v_cndmask_b32_e64 v20, v20, v23, s[0:1]
	v_and_or_b32 v8, v8, s29, v22
	v_lshl_or_b32 v20, v20, 7, v8
.LBB250_394:                            ;   in Loop: Header=BB250_328 Depth=1
	s_or_b64 exec, exec, s[22:23]
.LBB250_395:                            ;   in Loop: Header=BB250_328 Depth=1
	s_or_b64 exec, exec, s[14:15]
.LBB250_396:                            ;   in Loop: Header=BB250_328 Depth=1
	s_or_b64 exec, exec, s[12:13]
	v_cmp_lt_u32_e64 s[0:1], s7, v18
	s_and_saveexec_b64 s[12:13], s[0:1]
	s_cbranch_execz .LBB250_402
; %bb.397:                              ;   in Loop: Header=BB250_328 Depth=1
	v_lshrrev_b32_e32 v8, 24, v18
	v_cmp_ne_u32_e64 s[0:1], s24, v8
	v_bfrev_b32_e32 v21, 1
	s_and_saveexec_b64 s[14:15], s[0:1]
	s_cbranch_execz .LBB250_401
; %bb.398:                              ;   in Loop: Header=BB250_328 Depth=1
	v_and_b32_e32 v22, 0x7f, v8
	v_cmp_ne_u32_e64 s[0:1], s25, v22
	v_mov_b32_e32 v21, 0x7c010000
	s_and_saveexec_b64 s[22:23], s[0:1]
	s_cbranch_execz .LBB250_400
; %bb.399:                              ;   in Loop: Header=BB250_328 Depth=1
	v_and_b32_e32 v21, 7, v8
	v_ffbh_u32_e32 v24, v21
	v_min_u32_e32 v46, 32, v24
	v_subrev_u32_e32 v24, 28, v46
	v_lshlrev_b64 v[24:25], v24, v[8:9]
	v_lshrrev_b32_e32 v23, 3, v22
	v_sub_u32_e32 v25, 29, v46
	v_cmp_gt_u32_e64 s[0:1], 8, v22
	v_lshlrev_b32_e32 v8, 8, v8
	s_nop 0
	v_cndmask_b32_e64 v22, v23, v25, s[0:1]
	v_lshl_add_u32 v22, v22, 10, v32
	v_and_b32_e32 v23, 7, v24
	v_and_or_b32 v8, v8, s29, v22
	v_cndmask_b32_e64 v21, v21, v23, s[0:1]
	v_lshlrev_b32_e32 v8, 16, v8
	v_lshl_or_b32 v21, v21, 23, v8
.LBB250_400:                            ;   in Loop: Header=BB250_328 Depth=1
	s_or_b64 exec, exec, s[22:23]
.LBB250_401:                            ;   in Loop: Header=BB250_328 Depth=1
	s_or_b64 exec, exec, s[14:15]
.LBB250_402:                            ;   in Loop: Header=BB250_328 Depth=1
	s_or_b64 exec, exec, s[12:13]
	v_mov_b32_e32 v8, v19
	v_cmp_ne_u16_sdwa s[0:1], v19, v9 src0_sel:BYTE_0 src1_sel:DWORD
	v_mov_b32_e32 v22, 0
	v_mov_b32_e32 v23, 0
	s_and_saveexec_b64 s[12:13], s[0:1]
	s_cbranch_execz .LBB250_408
; %bb.403:                              ;   in Loop: Header=BB250_328 Depth=1
	v_cmp_ne_u16_sdwa s[0:1], v19, s24 src0_sel:BYTE_0 src1_sel:DWORD
	v_mov_b32_e32 v23, 0x8000
	s_and_saveexec_b64 s[14:15], s[0:1]
	s_cbranch_execz .LBB250_407
; %bb.404:                              ;   in Loop: Header=BB250_328 Depth=1
	v_and_b32_e32 v24, 0x7f, v19
	v_cmp_ne_u32_e64 s[0:1], s25, v24
	v_mov_b32_e32 v23, 0x7c01
	s_and_saveexec_b64 s[22:23], s[0:1]
	s_cbranch_execz .LBB250_406
; %bb.405:                              ;   in Loop: Header=BB250_328 Depth=1
	v_and_b32_e32 v23, 7, v19
	v_ffbh_u32_e32 v46, v23
	v_min_u32_e32 v48, 32, v46
	v_subrev_u32_e32 v46, 28, v48
	v_lshlrev_b64 v[46:47], v46, v[8:9]
	v_lshrrev_b32_e32 v25, 3, v24
	v_sub_u32_e32 v47, 29, v48
	v_cmp_gt_u32_e64 s[0:1], 8, v24
	v_and_b32_e32 v46, 7, v46
	s_nop 0
	v_cndmask_b32_e64 v24, v25, v47, s[0:1]
	v_lshl_add_u32 v24, v24, 10, v32
	v_lshlrev_b32_e32 v25, 8, v19
	v_and_b32_e32 v24, 0xfc00, v24
	v_cndmask_b32_e64 v23, v23, v46, s[0:1]
	v_and_or_b32 v24, v25, s29, v24
	v_lshl_or_b32 v23, v23, 7, v24
.LBB250_406:                            ;   in Loop: Header=BB250_328 Depth=1
	s_or_b64 exec, exec, s[22:23]
.LBB250_407:                            ;   in Loop: Header=BB250_328 Depth=1
	s_or_b64 exec, exec, s[14:15]
.LBB250_408:                            ;   in Loop: Header=BB250_328 Depth=1
	s_or_b64 exec, exec, s[12:13]
	v_lshrrev_b16_e32 v8, 8, v8
	v_cmp_ne_u16_e64 s[0:1], 0, v8
	v_mov_b32_e32 v24, 0
	s_and_saveexec_b64 s[12:13], s[0:1]
	s_cbranch_execz .LBB250_414
; %bb.409:                              ;   in Loop: Header=BB250_328 Depth=1
	v_cmp_ne_u16_e64 s[0:1], s24, v8
	v_bfrev_b32_e32 v24, 1
	s_and_saveexec_b64 s[14:15], s[0:1]
	s_cbranch_execz .LBB250_413
; %bb.410:                              ;   in Loop: Header=BB250_328 Depth=1
	v_and_b32_e32 v25, 0x7f, v8
	v_cmp_ne_u32_e64 s[0:1], s25, v25
	v_mov_b32_e32 v24, 0x7c010000
	s_and_saveexec_b64 s[22:23], s[0:1]
	s_cbranch_execz .LBB250_412
; %bb.411:                              ;   in Loop: Header=BB250_328 Depth=1
	v_and_b32_e32 v24, 7, v8
	v_ffbh_u32_e32 v46, v24
	v_min_u32_e32 v49, 32, v46
	v_subrev_u32_e32 v46, 28, v49
	v_lshlrev_b64 v[46:47], v46, v[8:9]
	v_lshrrev_b32_e32 v48, 3, v25
	v_sub_u32_e32 v47, 29, v49
	v_cmp_gt_u32_e64 s[0:1], 8, v25
	v_lshlrev_b32_e32 v8, 8, v8
	v_and_b32_e32 v46, 7, v46
	v_cndmask_b32_e64 v25, v48, v47, s[0:1]
	v_lshl_add_u32 v25, v25, 10, v32
	v_and_or_b32 v8, v8, s29, v25
	v_cndmask_b32_e64 v24, v24, v46, s[0:1]
	v_lshlrev_b32_e32 v8, 16, v8
	v_lshl_or_b32 v24, v24, 23, v8
.LBB250_412:                            ;   in Loop: Header=BB250_328 Depth=1
	s_or_b64 exec, exec, s[22:23]
.LBB250_413:                            ;   in Loop: Header=BB250_328 Depth=1
	s_or_b64 exec, exec, s[14:15]
.LBB250_414:                            ;   in Loop: Header=BB250_328 Depth=1
	s_or_b64 exec, exec, s[12:13]
	v_lshrrev_b32_e32 v8, 16, v19
	v_cmp_ne_u16_sdwa s[0:1], v8, v9 src0_sel:BYTE_0 src1_sel:DWORD
	s_and_saveexec_b64 s[12:13], s[0:1]
	s_cbranch_execz .LBB250_420
; %bb.415:                              ;   in Loop: Header=BB250_328 Depth=1
	v_cmp_ne_u16_sdwa s[0:1], v8, s24 src0_sel:BYTE_0 src1_sel:DWORD
	v_mov_b32_e32 v22, 0x8000
	s_and_saveexec_b64 s[14:15], s[0:1]
	s_cbranch_execz .LBB250_419
; %bb.416:                              ;   in Loop: Header=BB250_328 Depth=1
	v_bfe_u32 v25, v19, 16, 7
	v_cmp_ne_u32_e64 s[0:1], s25, v25
	v_mov_b32_e32 v22, 0x7c01
	s_and_saveexec_b64 s[22:23], s[0:1]
	s_cbranch_execz .LBB250_418
; %bb.417:                              ;   in Loop: Header=BB250_328 Depth=1
	v_and_b32_e32 v22, 7, v8
	v_ffbh_u32_e32 v46, v22
	v_min_u32_e32 v49, 32, v46
	v_subrev_u32_e32 v46, 28, v49
	v_lshlrev_b64 v[46:47], v46, v[8:9]
	v_lshrrev_b32_e32 v48, 3, v25
	v_sub_u32_e32 v47, 29, v49
	v_cmp_gt_u32_e64 s[0:1], 8, v25
	v_lshlrev_b32_e32 v8, 8, v8
	v_and_b32_e32 v46, 7, v46
	v_cndmask_b32_e64 v25, v48, v47, s[0:1]
	v_lshl_add_u32 v25, v25, 10, v32
	v_and_b32_e32 v25, 0xfc00, v25
	v_cndmask_b32_e64 v22, v22, v46, s[0:1]
	v_and_or_b32 v8, v8, s29, v25
	v_lshl_or_b32 v22, v22, 7, v8
.LBB250_418:                            ;   in Loop: Header=BB250_328 Depth=1
	s_or_b64 exec, exec, s[22:23]
.LBB250_419:                            ;   in Loop: Header=BB250_328 Depth=1
	s_or_b64 exec, exec, s[14:15]
.LBB250_420:                            ;   in Loop: Header=BB250_328 Depth=1
	s_or_b64 exec, exec, s[12:13]
	v_cmp_lt_u64_e64 s[0:1], s[6:7], v[18:19]
	v_mov_b32_e32 v18, 0
	s_and_saveexec_b64 s[12:13], s[0:1]
	s_cbranch_execz .LBB250_426
; %bb.421:                              ;   in Loop: Header=BB250_328 Depth=1
	v_lshrrev_b32_e32 v8, 24, v19
	v_cmp_ne_u32_e64 s[0:1], s24, v8
	v_bfrev_b32_e32 v18, 1
	s_and_saveexec_b64 s[14:15], s[0:1]
	s_cbranch_execz .LBB250_425
; %bb.422:                              ;   in Loop: Header=BB250_328 Depth=1
	v_and_b32_e32 v19, 0x7f, v8
	v_cmp_ne_u32_e64 s[0:1], s25, v19
	v_mov_b32_e32 v18, 0x7c010000
	s_and_saveexec_b64 s[22:23], s[0:1]
	s_cbranch_execz .LBB250_424
; %bb.423:                              ;   in Loop: Header=BB250_328 Depth=1
	v_and_b32_e32 v18, 7, v8
	v_ffbh_u32_e32 v46, v18
	v_min_u32_e32 v48, 32, v46
	v_subrev_u32_e32 v46, 28, v48
	v_lshlrev_b64 v[46:47], v46, v[8:9]
	v_lshrrev_b32_e32 v25, 3, v19
	v_sub_u32_e32 v47, 29, v48
	v_cmp_gt_u32_e64 s[0:1], 8, v19
	v_lshlrev_b32_e32 v8, 8, v8
	s_nop 0
	v_cndmask_b32_e64 v19, v25, v47, s[0:1]
	v_lshl_add_u32 v19, v19, 10, v32
	v_and_b32_e32 v25, 7, v46
	v_and_or_b32 v8, v8, s29, v19
	v_cndmask_b32_e64 v18, v18, v25, s[0:1]
	v_lshlrev_b32_e32 v8, 16, v8
	v_lshl_or_b32 v18, v18, 23, v8
.LBB250_424:                            ;   in Loop: Header=BB250_328 Depth=1
	s_or_b64 exec, exec, s[22:23]
.LBB250_425:                            ;   in Loop: Header=BB250_328 Depth=1
	s_or_b64 exec, exec, s[14:15]
.LBB250_426:                            ;   in Loop: Header=BB250_328 Depth=1
	s_or_b64 exec, exec, s[12:13]
	v_cvt_f32_f16_sdwa v47, v1 dst_sel:DWORD dst_unused:UNUSED_PAD src0_sel:WORD_1
	v_cvt_f32_f16_sdwa v46, v21 dst_sel:DWORD dst_unused:UNUSED_PAD src0_sel:WORD_1
	v_or_b32_e32 v1, v1, v17
	v_or_b32_e32 v8, v21, v20
	;; [unrolled: 1-line block ×3, first 2 shown]
	s_waitcnt vmcnt(0)
	v_pk_mul_f32 v[20:21], v[16:17], v[46:47] op_sel_hi:[0,1]
	v_cvt_f32_f16_e32 v46, v8
	v_cvt_f32_f16_e32 v47, v1
	v_cvt_pk_f16_f32 v1, v20, v21
	v_and_b32_e32 v17, 0xffff0000, v1
	v_lshlrev_b32_e32 v8, 16, v1
	v_pk_mul_f32 v[20:21], v[16:17], v[46:47] op_sel_hi:[0,1]
	v_cvt_pk_f16_f32 v1, v20, v21
	v_or_b32_e32 v21, v24, v23
	v_cvt_f32_f16_e32 v22, v22
	v_cvt_f32_f16_e32 v23, v21
	v_cvt_f32_f16_sdwa v25, v24 dst_sel:DWORD dst_unused:UNUSED_PAD src0_sel:WORD_1
	v_cvt_f32_f16_sdwa v24, v18 dst_sel:DWORD dst_unused:UNUSED_PAD src0_sel:WORD_1
	v_lshrrev_b32_e32 v19, 16, v1
	v_pk_mul_f32 v[22:23], v[16:17], v[22:23] op_sel_hi:[0,1]
	v_cvt_pk_f16_f32 v46, v22, v23
	v_pk_mul_f32 v[22:23], v[16:17], v[24:25] op_sel_hi:[0,1]
	v_cvt_pk_f16_f32 v16, v22, v23
	v_and_b32_e32 v20, 0xffff, v1
	v_and_b32_e32 v21, 0xffff0000, v16
	v_lshlrev_b32_e32 v16, 16, v16
	v_lshrrev_b32_e32 v23, 16, v46
	v_and_b32_e32 v22, 0xffff, v46
	v_or_b32_e32 v1, v17, v19
	v_or_b32_e32 v18, v8, v20
	;; [unrolled: 1-line block ×4, first 2 shown]
	s_and_saveexec_b64 s[12:13], vcc
	s_cbranch_execz .LBB250_428
; %bb.427:                              ;   in Loop: Header=BB250_328 Depth=1
	v_cmp_gt_i32_e64 s[0:1], s27, v30
	s_nop 1
	v_cndmask_b32_e64 v1, 0, v19, s[0:1]
	v_cmp_gt_i32_e64 s[0:1], s33, v39
	s_nop 1
	v_cndmask_b32_e64 v18, 0, v20, s[0:1]
	;; [unrolled: 3-line block ×3, first 2 shown]
	v_cmp_gt_i32_e64 s[0:1], s33, v37
	v_or_b32_e32 v1, v17, v1
	s_nop 0
	v_cndmask_b32_e64 v8, 0, v8, s[0:1]
	v_cmp_gt_i32_e64 s[0:1], s27, v36
	v_or_b32_e32 v18, v8, v18
	s_nop 0
	v_cndmask_b32_e64 v8, 0, v23, s[0:1]
	v_cmp_gt_i32_e64 s[0:1], s33, v35
	s_nop 1
	v_cndmask_b32_e64 v17, 0, v22, s[0:1]
	v_cmp_gt_i32_e64 s[0:1], s27, v34
	;; [unrolled: 3-line block ×3, first 2 shown]
	v_or_b32_e32 v25, v19, v8
	s_nop 0
	v_cndmask_b32_e64 v16, 0, v16, s[0:1]
	v_or_b32_e32 v24, v16, v17
.LBB250_428:                            ;   in Loop: Header=BB250_328 Depth=1
	s_or_b64 exec, exec, s[12:13]
	;;#ASMSTART
	v_pk_mul_f16 v1, v43, v1;

	;;#ASMEND
	;;#ASMSTART
	v_pk_mul_f16 v8, v42, v18;

	;;#ASMEND
	;; [unrolled: 4-line block ×4, first 2 shown]
	s_nop 0
	;;#ASMSTART
	v_pk_add_f16 v1, v1, v8;

	;;#ASMEND
	s_nop 0
	;;#ASMSTART
	v_pk_add_f16 v1, v1, v16;

	;;#ASMEND
	;; [unrolled: 5-line block ×3, first 2 shown]
	v_mov_b32_e32 v17, 0
	v_lshrrev_b32_e32 v8, 16, v1
	v_and_b32_e32 v1, 0xffff, v1
	;;#ASMSTART
	v_cvt_f32_f16 v46, v1;
	;;#ASMEND
	;;#ASMSTART
	v_cvt_f32_f16 v47, v8;
	;;#ASMEND
	global_load_dwordx2 v[18:19], v[14:15], off offset:1024
	v_mov_b32_e32 v1, 0
	global_load_dword v16, v1, s[10:11]
	s_waitcnt vmcnt(1)
	v_cmp_ne_u16_sdwa s[0:1], v18, v9 src0_sel:BYTE_0 src1_sel:DWORD
	s_and_saveexec_b64 s[12:13], s[0:1]
	s_cbranch_execz .LBB250_434
; %bb.429:                              ;   in Loop: Header=BB250_328 Depth=1
	v_cmp_ne_u16_sdwa s[0:1], v18, s24 src0_sel:BYTE_0 src1_sel:DWORD
	v_mov_b32_e32 v17, 0x8000
	s_and_saveexec_b64 s[14:15], s[0:1]
	s_cbranch_execz .LBB250_433
; %bb.430:                              ;   in Loop: Header=BB250_328 Depth=1
	v_and_b32_e32 v8, 0x7f, v18
	v_cmp_ne_u32_e64 s[0:1], s25, v8
	v_mov_b32_e32 v17, 0x7c01
	s_and_saveexec_b64 s[22:23], s[0:1]
	s_cbranch_execz .LBB250_432
; %bb.431:                              ;   in Loop: Header=BB250_328 Depth=1
	v_and_b32_e32 v17, 7, v18
	v_ffbh_u32_e32 v20, v17
	v_min_u32_e32 v23, 32, v20
	v_subrev_u32_e32 v20, 28, v23
	v_lshlrev_b64 v[20:21], v20, v[18:19]
	v_lshrrev_b32_e32 v22, 3, v8
	v_sub_u32_e32 v21, 29, v23
	v_cmp_gt_u32_e64 s[0:1], 8, v8
	v_and_b32_e32 v20, 7, v20
	s_nop 0
	v_cndmask_b32_e64 v8, v22, v21, s[0:1]
	v_lshl_add_u32 v8, v8, 10, v32
	v_lshlrev_b32_e32 v21, 8, v18
	v_and_b32_e32 v8, 0xfc00, v8
	v_cndmask_b32_e64 v17, v17, v20, s[0:1]
	v_and_or_b32 v8, v21, s29, v8
	v_lshl_or_b32 v17, v17, 7, v8
.LBB250_432:                            ;   in Loop: Header=BB250_328 Depth=1
	s_or_b64 exec, exec, s[22:23]
.LBB250_433:                            ;   in Loop: Header=BB250_328 Depth=1
	s_or_b64 exec, exec, s[14:15]
.LBB250_434:                            ;   in Loop: Header=BB250_328 Depth=1
	s_or_b64 exec, exec, s[12:13]
	v_lshrrev_b16_e32 v8, 8, v18
	v_cmp_ne_u16_e64 s[0:1], 0, v8
	s_and_saveexec_b64 s[12:13], s[0:1]
	s_cbranch_execz .LBB250_440
; %bb.435:                              ;   in Loop: Header=BB250_328 Depth=1
	v_cmp_ne_u16_e64 s[0:1], s24, v8
	v_bfrev_b32_e32 v1, 1
	s_and_saveexec_b64 s[14:15], s[0:1]
	s_cbranch_execz .LBB250_439
; %bb.436:                              ;   in Loop: Header=BB250_328 Depth=1
	v_and_b32_e32 v20, 0x7f, v8
	v_cmp_ne_u32_e64 s[0:1], s25, v20
	v_mov_b32_e32 v1, 0x7c010000
	s_and_saveexec_b64 s[22:23], s[0:1]
	s_cbranch_execz .LBB250_438
; %bb.437:                              ;   in Loop: Header=BB250_328 Depth=1
	v_and_b32_e32 v1, 7, v8
	v_ffbh_u32_e32 v22, v1
	v_min_u32_e32 v24, 32, v22
	v_subrev_u32_e32 v22, 28, v24
	v_lshlrev_b64 v[22:23], v22, v[8:9]
	v_lshrrev_b32_e32 v21, 3, v20
	v_sub_u32_e32 v23, 29, v24
	v_cmp_gt_u32_e64 s[0:1], 8, v20
	v_lshlrev_b32_e32 v8, 8, v8
	s_nop 0
	v_cndmask_b32_e64 v20, v21, v23, s[0:1]
	v_lshl_add_u32 v20, v20, 10, v32
	v_and_b32_e32 v21, 7, v22
	v_and_or_b32 v8, v8, s29, v20
	v_cndmask_b32_e64 v1, v1, v21, s[0:1]
	v_lshlrev_b32_e32 v8, 16, v8
	v_lshl_or_b32 v1, v1, 23, v8
.LBB250_438:                            ;   in Loop: Header=BB250_328 Depth=1
	s_or_b64 exec, exec, s[22:23]
.LBB250_439:                            ;   in Loop: Header=BB250_328 Depth=1
	s_or_b64 exec, exec, s[14:15]
.LBB250_440:                            ;   in Loop: Header=BB250_328 Depth=1
	s_or_b64 exec, exec, s[12:13]
	v_lshrrev_b32_e32 v8, 16, v18
	v_cmp_ne_u16_sdwa s[0:1], v8, v9 src0_sel:BYTE_0 src1_sel:DWORD
	v_mov_b32_e32 v21, 0
	v_mov_b32_e32 v20, 0
	s_and_saveexec_b64 s[12:13], s[0:1]
	s_cbranch_execz .LBB250_446
; %bb.441:                              ;   in Loop: Header=BB250_328 Depth=1
	v_cmp_ne_u16_sdwa s[0:1], v8, s24 src0_sel:BYTE_0 src1_sel:DWORD
	v_mov_b32_e32 v20, 0x8000
	s_and_saveexec_b64 s[14:15], s[0:1]
	s_cbranch_execz .LBB250_445
; %bb.442:                              ;   in Loop: Header=BB250_328 Depth=1
	v_bfe_u32 v22, v18, 16, 7
	v_cmp_ne_u32_e64 s[0:1], s25, v22
	v_mov_b32_e32 v20, 0x7c01
	s_and_saveexec_b64 s[22:23], s[0:1]
	s_cbranch_execz .LBB250_444
; %bb.443:                              ;   in Loop: Header=BB250_328 Depth=1
	v_and_b32_e32 v20, 7, v8
	v_ffbh_u32_e32 v24, v20
	v_min_u32_e32 v48, 32, v24
	v_subrev_u32_e32 v24, 28, v48
	v_lshlrev_b64 v[24:25], v24, v[8:9]
	v_lshrrev_b32_e32 v23, 3, v22
	v_sub_u32_e32 v25, 29, v48
	v_cmp_gt_u32_e64 s[0:1], 8, v22
	v_lshlrev_b32_e32 v8, 8, v8
	s_nop 0
	v_cndmask_b32_e64 v22, v23, v25, s[0:1]
	v_lshl_add_u32 v22, v22, 10, v32
	v_and_b32_e32 v23, 7, v24
	v_and_b32_e32 v22, 0xfc00, v22
	v_cndmask_b32_e64 v20, v20, v23, s[0:1]
	v_and_or_b32 v8, v8, s29, v22
	v_lshl_or_b32 v20, v20, 7, v8
.LBB250_444:                            ;   in Loop: Header=BB250_328 Depth=1
	s_or_b64 exec, exec, s[22:23]
.LBB250_445:                            ;   in Loop: Header=BB250_328 Depth=1
	s_or_b64 exec, exec, s[14:15]
.LBB250_446:                            ;   in Loop: Header=BB250_328 Depth=1
	s_or_b64 exec, exec, s[12:13]
	v_cmp_lt_u32_e64 s[0:1], s7, v18
	s_and_saveexec_b64 s[12:13], s[0:1]
	s_cbranch_execz .LBB250_452
; %bb.447:                              ;   in Loop: Header=BB250_328 Depth=1
	v_lshrrev_b32_e32 v8, 24, v18
	v_cmp_ne_u32_e64 s[0:1], s24, v8
	v_bfrev_b32_e32 v21, 1
	s_and_saveexec_b64 s[14:15], s[0:1]
	s_cbranch_execz .LBB250_451
; %bb.448:                              ;   in Loop: Header=BB250_328 Depth=1
	v_and_b32_e32 v22, 0x7f, v8
	v_cmp_ne_u32_e64 s[0:1], s25, v22
	v_mov_b32_e32 v21, 0x7c010000
	s_and_saveexec_b64 s[22:23], s[0:1]
	s_cbranch_execz .LBB250_450
; %bb.449:                              ;   in Loop: Header=BB250_328 Depth=1
	v_and_b32_e32 v21, 7, v8
	v_ffbh_u32_e32 v24, v21
	v_min_u32_e32 v48, 32, v24
	v_subrev_u32_e32 v24, 28, v48
	v_lshlrev_b64 v[24:25], v24, v[8:9]
	v_lshrrev_b32_e32 v23, 3, v22
	v_sub_u32_e32 v25, 29, v48
	v_cmp_gt_u32_e64 s[0:1], 8, v22
	v_lshlrev_b32_e32 v8, 8, v8
	s_nop 0
	v_cndmask_b32_e64 v22, v23, v25, s[0:1]
	v_lshl_add_u32 v22, v22, 10, v32
	v_and_b32_e32 v23, 7, v24
	v_and_or_b32 v8, v8, s29, v22
	v_cndmask_b32_e64 v21, v21, v23, s[0:1]
	v_lshlrev_b32_e32 v8, 16, v8
	v_lshl_or_b32 v21, v21, 23, v8
.LBB250_450:                            ;   in Loop: Header=BB250_328 Depth=1
	s_or_b64 exec, exec, s[22:23]
.LBB250_451:                            ;   in Loop: Header=BB250_328 Depth=1
	s_or_b64 exec, exec, s[14:15]
.LBB250_452:                            ;   in Loop: Header=BB250_328 Depth=1
	s_or_b64 exec, exec, s[12:13]
	v_mov_b32_e32 v8, v19
	v_cmp_ne_u16_sdwa s[0:1], v19, v9 src0_sel:BYTE_0 src1_sel:DWORD
	v_mov_b32_e32 v22, 0
	v_mov_b32_e32 v23, 0
	s_and_saveexec_b64 s[12:13], s[0:1]
	s_cbranch_execz .LBB250_458
; %bb.453:                              ;   in Loop: Header=BB250_328 Depth=1
	v_cmp_ne_u16_sdwa s[0:1], v19, s24 src0_sel:BYTE_0 src1_sel:DWORD
	v_mov_b32_e32 v23, 0x8000
	s_and_saveexec_b64 s[14:15], s[0:1]
	s_cbranch_execz .LBB250_457
; %bb.454:                              ;   in Loop: Header=BB250_328 Depth=1
	v_and_b32_e32 v24, 0x7f, v19
	v_cmp_ne_u32_e64 s[0:1], s25, v24
	v_mov_b32_e32 v23, 0x7c01
	s_and_saveexec_b64 s[22:23], s[0:1]
	s_cbranch_execz .LBB250_456
; %bb.455:                              ;   in Loop: Header=BB250_328 Depth=1
	v_and_b32_e32 v23, 7, v19
	v_ffbh_u32_e32 v48, v23
	v_min_u32_e32 v50, 32, v48
	v_subrev_u32_e32 v48, 28, v50
	v_lshlrev_b64 v[48:49], v48, v[8:9]
	v_lshrrev_b32_e32 v25, 3, v24
	v_sub_u32_e32 v49, 29, v50
	v_cmp_gt_u32_e64 s[0:1], 8, v24
	v_and_b32_e32 v48, 7, v48
	s_nop 0
	v_cndmask_b32_e64 v24, v25, v49, s[0:1]
	v_lshl_add_u32 v24, v24, 10, v32
	v_lshlrev_b32_e32 v25, 8, v19
	v_and_b32_e32 v24, 0xfc00, v24
	v_cndmask_b32_e64 v23, v23, v48, s[0:1]
	v_and_or_b32 v24, v25, s29, v24
	v_lshl_or_b32 v23, v23, 7, v24
.LBB250_456:                            ;   in Loop: Header=BB250_328 Depth=1
	s_or_b64 exec, exec, s[22:23]
.LBB250_457:                            ;   in Loop: Header=BB250_328 Depth=1
	s_or_b64 exec, exec, s[14:15]
.LBB250_458:                            ;   in Loop: Header=BB250_328 Depth=1
	s_or_b64 exec, exec, s[12:13]
	v_lshrrev_b16_e32 v8, 8, v8
	v_cmp_ne_u16_e64 s[0:1], 0, v8
	v_mov_b32_e32 v24, 0
	s_and_saveexec_b64 s[12:13], s[0:1]
	s_cbranch_execz .LBB250_464
; %bb.459:                              ;   in Loop: Header=BB250_328 Depth=1
	v_cmp_ne_u16_e64 s[0:1], s24, v8
	v_bfrev_b32_e32 v24, 1
	s_and_saveexec_b64 s[14:15], s[0:1]
	s_cbranch_execz .LBB250_463
; %bb.460:                              ;   in Loop: Header=BB250_328 Depth=1
	v_and_b32_e32 v25, 0x7f, v8
	v_cmp_ne_u32_e64 s[0:1], s25, v25
	v_mov_b32_e32 v24, 0x7c010000
	s_and_saveexec_b64 s[22:23], s[0:1]
	s_cbranch_execz .LBB250_462
; %bb.461:                              ;   in Loop: Header=BB250_328 Depth=1
	v_and_b32_e32 v24, 7, v8
	v_ffbh_u32_e32 v48, v24
	v_min_u32_e32 v51, 32, v48
	v_subrev_u32_e32 v48, 28, v51
	v_lshlrev_b64 v[48:49], v48, v[8:9]
	v_lshrrev_b32_e32 v50, 3, v25
	v_sub_u32_e32 v49, 29, v51
	v_cmp_gt_u32_e64 s[0:1], 8, v25
	v_lshlrev_b32_e32 v8, 8, v8
	v_and_b32_e32 v48, 7, v48
	v_cndmask_b32_e64 v25, v50, v49, s[0:1]
	v_lshl_add_u32 v25, v25, 10, v32
	v_and_or_b32 v8, v8, s29, v25
	v_cndmask_b32_e64 v24, v24, v48, s[0:1]
	v_lshlrev_b32_e32 v8, 16, v8
	v_lshl_or_b32 v24, v24, 23, v8
.LBB250_462:                            ;   in Loop: Header=BB250_328 Depth=1
	s_or_b64 exec, exec, s[22:23]
.LBB250_463:                            ;   in Loop: Header=BB250_328 Depth=1
	s_or_b64 exec, exec, s[14:15]
.LBB250_464:                            ;   in Loop: Header=BB250_328 Depth=1
	s_or_b64 exec, exec, s[12:13]
	v_lshrrev_b32_e32 v8, 16, v19
	v_cmp_ne_u16_sdwa s[0:1], v8, v9 src0_sel:BYTE_0 src1_sel:DWORD
	s_and_saveexec_b64 s[12:13], s[0:1]
	s_cbranch_execz .LBB250_470
; %bb.465:                              ;   in Loop: Header=BB250_328 Depth=1
	v_cmp_ne_u16_sdwa s[0:1], v8, s24 src0_sel:BYTE_0 src1_sel:DWORD
	v_mov_b32_e32 v22, 0x8000
	s_and_saveexec_b64 s[14:15], s[0:1]
	s_cbranch_execz .LBB250_469
; %bb.466:                              ;   in Loop: Header=BB250_328 Depth=1
	v_bfe_u32 v25, v19, 16, 7
	v_cmp_ne_u32_e64 s[0:1], s25, v25
	v_mov_b32_e32 v22, 0x7c01
	s_and_saveexec_b64 s[22:23], s[0:1]
	s_cbranch_execz .LBB250_468
; %bb.467:                              ;   in Loop: Header=BB250_328 Depth=1
	v_and_b32_e32 v22, 7, v8
	v_ffbh_u32_e32 v48, v22
	v_min_u32_e32 v51, 32, v48
	v_subrev_u32_e32 v48, 28, v51
	v_lshlrev_b64 v[48:49], v48, v[8:9]
	v_lshrrev_b32_e32 v50, 3, v25
	v_sub_u32_e32 v49, 29, v51
	v_cmp_gt_u32_e64 s[0:1], 8, v25
	v_lshlrev_b32_e32 v8, 8, v8
	v_and_b32_e32 v48, 7, v48
	v_cndmask_b32_e64 v25, v50, v49, s[0:1]
	v_lshl_add_u32 v25, v25, 10, v32
	v_and_b32_e32 v25, 0xfc00, v25
	v_cndmask_b32_e64 v22, v22, v48, s[0:1]
	v_and_or_b32 v8, v8, s29, v25
	v_lshl_or_b32 v22, v22, 7, v8
.LBB250_468:                            ;   in Loop: Header=BB250_328 Depth=1
	s_or_b64 exec, exec, s[22:23]
.LBB250_469:                            ;   in Loop: Header=BB250_328 Depth=1
	s_or_b64 exec, exec, s[14:15]
.LBB250_470:                            ;   in Loop: Header=BB250_328 Depth=1
	s_or_b64 exec, exec, s[12:13]
	v_cmp_lt_u64_e64 s[0:1], s[6:7], v[18:19]
	v_mov_b32_e32 v18, 0
	s_and_saveexec_b64 s[12:13], s[0:1]
	s_cbranch_execz .LBB250_476
; %bb.471:                              ;   in Loop: Header=BB250_328 Depth=1
	v_lshrrev_b32_e32 v8, 24, v19
	v_cmp_ne_u32_e64 s[0:1], s24, v8
	v_bfrev_b32_e32 v18, 1
	s_and_saveexec_b64 s[14:15], s[0:1]
	s_cbranch_execz .LBB250_475
; %bb.472:                              ;   in Loop: Header=BB250_328 Depth=1
	v_and_b32_e32 v19, 0x7f, v8
	v_cmp_ne_u32_e64 s[0:1], s25, v19
	v_mov_b32_e32 v18, 0x7c010000
	s_and_saveexec_b64 s[22:23], s[0:1]
	s_cbranch_execz .LBB250_474
; %bb.473:                              ;   in Loop: Header=BB250_328 Depth=1
	v_and_b32_e32 v18, 7, v8
	v_ffbh_u32_e32 v48, v18
	v_min_u32_e32 v50, 32, v48
	v_subrev_u32_e32 v48, 28, v50
	v_lshlrev_b64 v[48:49], v48, v[8:9]
	v_lshrrev_b32_e32 v25, 3, v19
	v_sub_u32_e32 v49, 29, v50
	v_cmp_gt_u32_e64 s[0:1], 8, v19
	v_lshlrev_b32_e32 v8, 8, v8
	s_nop 0
	v_cndmask_b32_e64 v19, v25, v49, s[0:1]
	v_lshl_add_u32 v19, v19, 10, v32
	v_and_b32_e32 v25, 7, v48
	v_and_or_b32 v8, v8, s29, v19
	v_cndmask_b32_e64 v18, v18, v25, s[0:1]
	v_lshlrev_b32_e32 v8, 16, v8
	v_lshl_or_b32 v18, v18, 23, v8
.LBB250_474:                            ;   in Loop: Header=BB250_328 Depth=1
	s_or_b64 exec, exec, s[22:23]
.LBB250_475:                            ;   in Loop: Header=BB250_328 Depth=1
	s_or_b64 exec, exec, s[14:15]
.LBB250_476:                            ;   in Loop: Header=BB250_328 Depth=1
	s_or_b64 exec, exec, s[12:13]
	v_cvt_f32_f16_sdwa v49, v1 dst_sel:DWORD dst_unused:UNUSED_PAD src0_sel:WORD_1
	v_cvt_f32_f16_sdwa v48, v21 dst_sel:DWORD dst_unused:UNUSED_PAD src0_sel:WORD_1
	v_or_b32_e32 v1, v1, v17
	v_or_b32_e32 v8, v21, v20
	;; [unrolled: 1-line block ×3, first 2 shown]
	s_waitcnt vmcnt(0)
	v_pk_mul_f32 v[20:21], v[16:17], v[48:49] op_sel_hi:[0,1]
	v_cvt_f32_f16_e32 v48, v8
	v_cvt_f32_f16_e32 v49, v1
	v_cvt_pk_f16_f32 v1, v20, v21
	v_and_b32_e32 v17, 0xffff0000, v1
	v_lshlrev_b32_e32 v8, 16, v1
	v_pk_mul_f32 v[20:21], v[16:17], v[48:49] op_sel_hi:[0,1]
	v_cvt_pk_f16_f32 v1, v20, v21
	v_or_b32_e32 v21, v24, v23
	v_cvt_f32_f16_e32 v22, v22
	v_cvt_f32_f16_e32 v23, v21
	v_cvt_f32_f16_sdwa v25, v24 dst_sel:DWORD dst_unused:UNUSED_PAD src0_sel:WORD_1
	v_cvt_f32_f16_sdwa v24, v18 dst_sel:DWORD dst_unused:UNUSED_PAD src0_sel:WORD_1
	v_lshrrev_b32_e32 v19, 16, v1
	v_pk_mul_f32 v[22:23], v[16:17], v[22:23] op_sel_hi:[0,1]
	v_cvt_pk_f16_f32 v48, v22, v23
	v_pk_mul_f32 v[22:23], v[16:17], v[24:25] op_sel_hi:[0,1]
	v_cvt_pk_f16_f32 v16, v22, v23
	v_and_b32_e32 v20, 0xffff, v1
	v_and_b32_e32 v21, 0xffff0000, v16
	v_lshlrev_b32_e32 v16, 16, v16
	v_lshrrev_b32_e32 v23, 16, v48
	v_and_b32_e32 v22, 0xffff, v48
	v_or_b32_e32 v1, v17, v19
	v_or_b32_e32 v18, v8, v20
	v_or_b32_e32 v25, v21, v23
	v_or_b32_e32 v24, v16, v22
	s_and_saveexec_b64 s[12:13], vcc
	s_cbranch_execz .LBB250_478
; %bb.477:                              ;   in Loop: Header=BB250_328 Depth=1
	v_cmp_gt_i32_e64 s[0:1], s27, v30
	s_nop 1
	v_cndmask_b32_e64 v1, 0, v19, s[0:1]
	v_cmp_gt_i32_e64 s[0:1], s33, v39
	s_nop 1
	v_cndmask_b32_e64 v18, 0, v20, s[0:1]
	;; [unrolled: 3-line block ×3, first 2 shown]
	v_cmp_gt_i32_e64 s[0:1], s33, v37
	v_or_b32_e32 v1, v17, v1
	s_nop 0
	v_cndmask_b32_e64 v8, 0, v8, s[0:1]
	v_cmp_gt_i32_e64 s[0:1], s27, v36
	v_or_b32_e32 v18, v8, v18
	s_nop 0
	v_cndmask_b32_e64 v8, 0, v23, s[0:1]
	v_cmp_gt_i32_e64 s[0:1], s33, v35
	s_nop 1
	v_cndmask_b32_e64 v17, 0, v22, s[0:1]
	v_cmp_gt_i32_e64 s[0:1], s27, v34
	;; [unrolled: 3-line block ×3, first 2 shown]
	v_or_b32_e32 v25, v19, v8
	s_nop 0
	v_cndmask_b32_e64 v16, 0, v16, s[0:1]
	v_or_b32_e32 v24, v16, v17
.LBB250_478:                            ;   in Loop: Header=BB250_328 Depth=1
	s_or_b64 exec, exec, s[12:13]
	;;#ASMSTART
	v_pk_mul_f16 v1, v43, v1;

	;;#ASMEND
	;;#ASMSTART
	v_pk_mul_f16 v8, v42, v18;

	;;#ASMEND
	;; [unrolled: 4-line block ×4, first 2 shown]
	s_nop 0
	;;#ASMSTART
	v_pk_add_f16 v1, v1, v8;

	;;#ASMEND
	s_nop 0
	;;#ASMSTART
	v_pk_add_f16 v1, v1, v16;

	;;#ASMEND
	;; [unrolled: 5-line block ×3, first 2 shown]
	v_mov_b32_e32 v17, 0
	v_lshrrev_b32_e32 v8, 16, v1
	v_and_b32_e32 v1, 0xffff, v1
	;;#ASMSTART
	v_cvt_f32_f16 v48, v1;
	;;#ASMEND
	;;#ASMSTART
	v_cvt_f32_f16 v49, v8;
	;;#ASMEND
	global_load_dwordx2 v[18:19], v[14:15], off offset:1536
	v_mov_b32_e32 v1, 0
	global_load_dword v16, v1, s[10:11]
	s_waitcnt vmcnt(1)
	v_cmp_ne_u16_sdwa s[0:1], v18, v9 src0_sel:BYTE_0 src1_sel:DWORD
	s_and_saveexec_b64 s[12:13], s[0:1]
	s_cbranch_execz .LBB250_484
; %bb.479:                              ;   in Loop: Header=BB250_328 Depth=1
	v_cmp_ne_u16_sdwa s[0:1], v18, s24 src0_sel:BYTE_0 src1_sel:DWORD
	v_mov_b32_e32 v17, 0x8000
	s_and_saveexec_b64 s[14:15], s[0:1]
	s_cbranch_execz .LBB250_483
; %bb.480:                              ;   in Loop: Header=BB250_328 Depth=1
	v_and_b32_e32 v8, 0x7f, v18
	v_cmp_ne_u32_e64 s[0:1], s25, v8
	v_mov_b32_e32 v17, 0x7c01
	s_and_saveexec_b64 s[22:23], s[0:1]
	s_cbranch_execz .LBB250_482
; %bb.481:                              ;   in Loop: Header=BB250_328 Depth=1
	v_and_b32_e32 v17, 7, v18
	v_ffbh_u32_e32 v20, v17
	v_min_u32_e32 v23, 32, v20
	v_subrev_u32_e32 v20, 28, v23
	v_lshlrev_b64 v[20:21], v20, v[18:19]
	v_lshrrev_b32_e32 v22, 3, v8
	v_sub_u32_e32 v21, 29, v23
	v_cmp_gt_u32_e64 s[0:1], 8, v8
	v_and_b32_e32 v20, 7, v20
	s_nop 0
	v_cndmask_b32_e64 v8, v22, v21, s[0:1]
	v_lshl_add_u32 v8, v8, 10, v32
	v_lshlrev_b32_e32 v21, 8, v18
	v_and_b32_e32 v8, 0xfc00, v8
	v_cndmask_b32_e64 v17, v17, v20, s[0:1]
	v_and_or_b32 v8, v21, s29, v8
	v_lshl_or_b32 v17, v17, 7, v8
.LBB250_482:                            ;   in Loop: Header=BB250_328 Depth=1
	s_or_b64 exec, exec, s[22:23]
.LBB250_483:                            ;   in Loop: Header=BB250_328 Depth=1
	s_or_b64 exec, exec, s[14:15]
.LBB250_484:                            ;   in Loop: Header=BB250_328 Depth=1
	s_or_b64 exec, exec, s[12:13]
	v_lshrrev_b16_e32 v8, 8, v18
	v_cmp_ne_u16_e64 s[0:1], 0, v8
	s_and_saveexec_b64 s[12:13], s[0:1]
	s_cbranch_execz .LBB250_490
; %bb.485:                              ;   in Loop: Header=BB250_328 Depth=1
	v_cmp_ne_u16_e64 s[0:1], s24, v8
	v_bfrev_b32_e32 v1, 1
	s_and_saveexec_b64 s[14:15], s[0:1]
	s_cbranch_execz .LBB250_489
; %bb.486:                              ;   in Loop: Header=BB250_328 Depth=1
	v_and_b32_e32 v20, 0x7f, v8
	v_cmp_ne_u32_e64 s[0:1], s25, v20
	v_mov_b32_e32 v1, 0x7c010000
	s_and_saveexec_b64 s[22:23], s[0:1]
	s_cbranch_execz .LBB250_488
; %bb.487:                              ;   in Loop: Header=BB250_328 Depth=1
	v_and_b32_e32 v1, 7, v8
	v_ffbh_u32_e32 v22, v1
	v_min_u32_e32 v24, 32, v22
	v_subrev_u32_e32 v22, 28, v24
	v_lshlrev_b64 v[22:23], v22, v[8:9]
	v_lshrrev_b32_e32 v21, 3, v20
	v_sub_u32_e32 v23, 29, v24
	v_cmp_gt_u32_e64 s[0:1], 8, v20
	v_lshlrev_b32_e32 v8, 8, v8
	s_nop 0
	v_cndmask_b32_e64 v20, v21, v23, s[0:1]
	v_lshl_add_u32 v20, v20, 10, v32
	v_and_b32_e32 v21, 7, v22
	v_and_or_b32 v8, v8, s29, v20
	v_cndmask_b32_e64 v1, v1, v21, s[0:1]
	v_lshlrev_b32_e32 v8, 16, v8
	v_lshl_or_b32 v1, v1, 23, v8
.LBB250_488:                            ;   in Loop: Header=BB250_328 Depth=1
	s_or_b64 exec, exec, s[22:23]
.LBB250_489:                            ;   in Loop: Header=BB250_328 Depth=1
	s_or_b64 exec, exec, s[14:15]
.LBB250_490:                            ;   in Loop: Header=BB250_328 Depth=1
	s_or_b64 exec, exec, s[12:13]
	v_lshrrev_b32_e32 v8, 16, v18
	v_cmp_ne_u16_sdwa s[0:1], v8, v9 src0_sel:BYTE_0 src1_sel:DWORD
	v_mov_b32_e32 v21, 0
	v_mov_b32_e32 v20, 0
	s_and_saveexec_b64 s[12:13], s[0:1]
	s_cbranch_execz .LBB250_496
; %bb.491:                              ;   in Loop: Header=BB250_328 Depth=1
	v_cmp_ne_u16_sdwa s[0:1], v8, s24 src0_sel:BYTE_0 src1_sel:DWORD
	v_mov_b32_e32 v20, 0x8000
	s_and_saveexec_b64 s[14:15], s[0:1]
	s_cbranch_execz .LBB250_495
; %bb.492:                              ;   in Loop: Header=BB250_328 Depth=1
	v_bfe_u32 v22, v18, 16, 7
	v_cmp_ne_u32_e64 s[0:1], s25, v22
	v_mov_b32_e32 v20, 0x7c01
	s_and_saveexec_b64 s[22:23], s[0:1]
	s_cbranch_execz .LBB250_494
; %bb.493:                              ;   in Loop: Header=BB250_328 Depth=1
	v_and_b32_e32 v20, 7, v8
	v_ffbh_u32_e32 v24, v20
	v_min_u32_e32 v50, 32, v24
	v_subrev_u32_e32 v24, 28, v50
	v_lshlrev_b64 v[24:25], v24, v[8:9]
	v_lshrrev_b32_e32 v23, 3, v22
	v_sub_u32_e32 v25, 29, v50
	v_cmp_gt_u32_e64 s[0:1], 8, v22
	v_lshlrev_b32_e32 v8, 8, v8
	s_nop 0
	v_cndmask_b32_e64 v22, v23, v25, s[0:1]
	v_lshl_add_u32 v22, v22, 10, v32
	v_and_b32_e32 v23, 7, v24
	v_and_b32_e32 v22, 0xfc00, v22
	v_cndmask_b32_e64 v20, v20, v23, s[0:1]
	v_and_or_b32 v8, v8, s29, v22
	v_lshl_or_b32 v20, v20, 7, v8
.LBB250_494:                            ;   in Loop: Header=BB250_328 Depth=1
	s_or_b64 exec, exec, s[22:23]
.LBB250_495:                            ;   in Loop: Header=BB250_328 Depth=1
	s_or_b64 exec, exec, s[14:15]
.LBB250_496:                            ;   in Loop: Header=BB250_328 Depth=1
	s_or_b64 exec, exec, s[12:13]
	v_cmp_lt_u32_e64 s[0:1], s7, v18
	s_and_saveexec_b64 s[12:13], s[0:1]
	s_cbranch_execz .LBB250_502
; %bb.497:                              ;   in Loop: Header=BB250_328 Depth=1
	v_lshrrev_b32_e32 v8, 24, v18
	v_cmp_ne_u32_e64 s[0:1], s24, v8
	v_bfrev_b32_e32 v21, 1
	s_and_saveexec_b64 s[14:15], s[0:1]
	s_cbranch_execz .LBB250_501
; %bb.498:                              ;   in Loop: Header=BB250_328 Depth=1
	v_and_b32_e32 v22, 0x7f, v8
	v_cmp_ne_u32_e64 s[0:1], s25, v22
	v_mov_b32_e32 v21, 0x7c010000
	s_and_saveexec_b64 s[22:23], s[0:1]
	s_cbranch_execz .LBB250_500
; %bb.499:                              ;   in Loop: Header=BB250_328 Depth=1
	v_and_b32_e32 v21, 7, v8
	v_ffbh_u32_e32 v24, v21
	v_min_u32_e32 v50, 32, v24
	v_subrev_u32_e32 v24, 28, v50
	v_lshlrev_b64 v[24:25], v24, v[8:9]
	v_lshrrev_b32_e32 v23, 3, v22
	v_sub_u32_e32 v25, 29, v50
	v_cmp_gt_u32_e64 s[0:1], 8, v22
	v_lshlrev_b32_e32 v8, 8, v8
	s_nop 0
	v_cndmask_b32_e64 v22, v23, v25, s[0:1]
	v_lshl_add_u32 v22, v22, 10, v32
	v_and_b32_e32 v23, 7, v24
	v_and_or_b32 v8, v8, s29, v22
	v_cndmask_b32_e64 v21, v21, v23, s[0:1]
	v_lshlrev_b32_e32 v8, 16, v8
	v_lshl_or_b32 v21, v21, 23, v8
.LBB250_500:                            ;   in Loop: Header=BB250_328 Depth=1
	s_or_b64 exec, exec, s[22:23]
.LBB250_501:                            ;   in Loop: Header=BB250_328 Depth=1
	s_or_b64 exec, exec, s[14:15]
.LBB250_502:                            ;   in Loop: Header=BB250_328 Depth=1
	s_or_b64 exec, exec, s[12:13]
	v_mov_b32_e32 v8, v19
	v_cmp_ne_u16_sdwa s[0:1], v19, v9 src0_sel:BYTE_0 src1_sel:DWORD
	v_mov_b32_e32 v22, 0
	v_mov_b32_e32 v23, 0
	s_and_saveexec_b64 s[12:13], s[0:1]
	s_cbranch_execz .LBB250_508
; %bb.503:                              ;   in Loop: Header=BB250_328 Depth=1
	v_cmp_ne_u16_sdwa s[0:1], v19, s24 src0_sel:BYTE_0 src1_sel:DWORD
	v_mov_b32_e32 v23, 0x8000
	s_and_saveexec_b64 s[14:15], s[0:1]
	s_cbranch_execz .LBB250_507
; %bb.504:                              ;   in Loop: Header=BB250_328 Depth=1
	v_and_b32_e32 v24, 0x7f, v19
	v_cmp_ne_u32_e64 s[0:1], s25, v24
	v_mov_b32_e32 v23, 0x7c01
	s_and_saveexec_b64 s[22:23], s[0:1]
	s_cbranch_execz .LBB250_506
; %bb.505:                              ;   in Loop: Header=BB250_328 Depth=1
	v_and_b32_e32 v23, 7, v19
	v_ffbh_u32_e32 v50, v23
	v_min_u32_e32 v52, 32, v50
	v_subrev_u32_e32 v50, 28, v52
	v_lshlrev_b64 v[50:51], v50, v[8:9]
	v_lshrrev_b32_e32 v25, 3, v24
	v_sub_u32_e32 v51, 29, v52
	v_cmp_gt_u32_e64 s[0:1], 8, v24
	v_and_b32_e32 v50, 7, v50
	s_nop 0
	v_cndmask_b32_e64 v24, v25, v51, s[0:1]
	v_lshl_add_u32 v24, v24, 10, v32
	v_lshlrev_b32_e32 v25, 8, v19
	v_and_b32_e32 v24, 0xfc00, v24
	v_cndmask_b32_e64 v23, v23, v50, s[0:1]
	v_and_or_b32 v24, v25, s29, v24
	v_lshl_or_b32 v23, v23, 7, v24
.LBB250_506:                            ;   in Loop: Header=BB250_328 Depth=1
	s_or_b64 exec, exec, s[22:23]
.LBB250_507:                            ;   in Loop: Header=BB250_328 Depth=1
	s_or_b64 exec, exec, s[14:15]
.LBB250_508:                            ;   in Loop: Header=BB250_328 Depth=1
	s_or_b64 exec, exec, s[12:13]
	v_lshrrev_b16_e32 v8, 8, v8
	v_cmp_ne_u16_e64 s[0:1], 0, v8
	v_mov_b32_e32 v24, 0
	s_and_saveexec_b64 s[12:13], s[0:1]
	s_cbranch_execz .LBB250_514
; %bb.509:                              ;   in Loop: Header=BB250_328 Depth=1
	v_cmp_ne_u16_e64 s[0:1], s24, v8
	v_bfrev_b32_e32 v24, 1
	s_and_saveexec_b64 s[14:15], s[0:1]
	s_cbranch_execz .LBB250_513
; %bb.510:                              ;   in Loop: Header=BB250_328 Depth=1
	v_and_b32_e32 v25, 0x7f, v8
	v_cmp_ne_u32_e64 s[0:1], s25, v25
	v_mov_b32_e32 v24, 0x7c010000
	s_and_saveexec_b64 s[22:23], s[0:1]
	s_cbranch_execz .LBB250_512
; %bb.511:                              ;   in Loop: Header=BB250_328 Depth=1
	v_and_b32_e32 v24, 7, v8
	v_ffbh_u32_e32 v50, v24
	v_min_u32_e32 v53, 32, v50
	v_subrev_u32_e32 v50, 28, v53
	v_lshlrev_b64 v[50:51], v50, v[8:9]
	v_lshrrev_b32_e32 v52, 3, v25
	v_sub_u32_e32 v51, 29, v53
	v_cmp_gt_u32_e64 s[0:1], 8, v25
	v_lshlrev_b32_e32 v8, 8, v8
	v_and_b32_e32 v50, 7, v50
	v_cndmask_b32_e64 v25, v52, v51, s[0:1]
	v_lshl_add_u32 v25, v25, 10, v32
	v_and_or_b32 v8, v8, s29, v25
	v_cndmask_b32_e64 v24, v24, v50, s[0:1]
	v_lshlrev_b32_e32 v8, 16, v8
	v_lshl_or_b32 v24, v24, 23, v8
.LBB250_512:                            ;   in Loop: Header=BB250_328 Depth=1
	s_or_b64 exec, exec, s[22:23]
.LBB250_513:                            ;   in Loop: Header=BB250_328 Depth=1
	s_or_b64 exec, exec, s[14:15]
.LBB250_514:                            ;   in Loop: Header=BB250_328 Depth=1
	s_or_b64 exec, exec, s[12:13]
	v_lshrrev_b32_e32 v8, 16, v19
	v_cmp_ne_u16_sdwa s[0:1], v8, v9 src0_sel:BYTE_0 src1_sel:DWORD
	s_and_saveexec_b64 s[12:13], s[0:1]
	s_cbranch_execz .LBB250_520
; %bb.515:                              ;   in Loop: Header=BB250_328 Depth=1
	v_cmp_ne_u16_sdwa s[0:1], v8, s24 src0_sel:BYTE_0 src1_sel:DWORD
	v_mov_b32_e32 v22, 0x8000
	s_and_saveexec_b64 s[14:15], s[0:1]
	s_cbranch_execz .LBB250_519
; %bb.516:                              ;   in Loop: Header=BB250_328 Depth=1
	v_bfe_u32 v25, v19, 16, 7
	v_cmp_ne_u32_e64 s[0:1], s25, v25
	v_mov_b32_e32 v22, 0x7c01
	s_and_saveexec_b64 s[22:23], s[0:1]
	s_cbranch_execz .LBB250_518
; %bb.517:                              ;   in Loop: Header=BB250_328 Depth=1
	v_and_b32_e32 v22, 7, v8
	v_ffbh_u32_e32 v50, v22
	v_min_u32_e32 v53, 32, v50
	v_subrev_u32_e32 v50, 28, v53
	v_lshlrev_b64 v[50:51], v50, v[8:9]
	v_lshrrev_b32_e32 v52, 3, v25
	v_sub_u32_e32 v51, 29, v53
	v_cmp_gt_u32_e64 s[0:1], 8, v25
	v_lshlrev_b32_e32 v8, 8, v8
	v_and_b32_e32 v50, 7, v50
	v_cndmask_b32_e64 v25, v52, v51, s[0:1]
	v_lshl_add_u32 v25, v25, 10, v32
	v_and_b32_e32 v25, 0xfc00, v25
	v_cndmask_b32_e64 v22, v22, v50, s[0:1]
	v_and_or_b32 v8, v8, s29, v25
	v_lshl_or_b32 v22, v22, 7, v8
.LBB250_518:                            ;   in Loop: Header=BB250_328 Depth=1
	s_or_b64 exec, exec, s[22:23]
.LBB250_519:                            ;   in Loop: Header=BB250_328 Depth=1
	s_or_b64 exec, exec, s[14:15]
.LBB250_520:                            ;   in Loop: Header=BB250_328 Depth=1
	s_or_b64 exec, exec, s[12:13]
	v_cmp_lt_u64_e64 s[0:1], s[6:7], v[18:19]
	v_mov_b32_e32 v18, 0
	s_and_saveexec_b64 s[12:13], s[0:1]
	s_cbranch_execz .LBB250_526
; %bb.521:                              ;   in Loop: Header=BB250_328 Depth=1
	v_lshrrev_b32_e32 v8, 24, v19
	v_cmp_ne_u32_e64 s[0:1], s24, v8
	v_bfrev_b32_e32 v18, 1
	s_and_saveexec_b64 s[14:15], s[0:1]
	s_cbranch_execz .LBB250_525
; %bb.522:                              ;   in Loop: Header=BB250_328 Depth=1
	v_and_b32_e32 v19, 0x7f, v8
	v_cmp_ne_u32_e64 s[0:1], s25, v19
	v_mov_b32_e32 v18, 0x7c010000
	s_and_saveexec_b64 s[22:23], s[0:1]
	s_cbranch_execz .LBB250_524
; %bb.523:                              ;   in Loop: Header=BB250_328 Depth=1
	v_and_b32_e32 v18, 7, v8
	v_ffbh_u32_e32 v50, v18
	v_min_u32_e32 v52, 32, v50
	v_subrev_u32_e32 v50, 28, v52
	v_lshlrev_b64 v[50:51], v50, v[8:9]
	v_lshrrev_b32_e32 v25, 3, v19
	v_sub_u32_e32 v51, 29, v52
	v_cmp_gt_u32_e64 s[0:1], 8, v19
	v_lshlrev_b32_e32 v8, 8, v8
	s_nop 0
	v_cndmask_b32_e64 v19, v25, v51, s[0:1]
	v_lshl_add_u32 v19, v19, 10, v32
	v_and_b32_e32 v25, 7, v50
	v_and_or_b32 v8, v8, s29, v19
	v_cndmask_b32_e64 v18, v18, v25, s[0:1]
	v_lshlrev_b32_e32 v8, 16, v8
	v_lshl_or_b32 v18, v18, 23, v8
.LBB250_524:                            ;   in Loop: Header=BB250_328 Depth=1
	s_or_b64 exec, exec, s[22:23]
.LBB250_525:                            ;   in Loop: Header=BB250_328 Depth=1
	s_or_b64 exec, exec, s[14:15]
.LBB250_526:                            ;   in Loop: Header=BB250_328 Depth=1
	s_or_b64 exec, exec, s[12:13]
	v_cvt_f32_f16_sdwa v51, v1 dst_sel:DWORD dst_unused:UNUSED_PAD src0_sel:WORD_1
	v_cvt_f32_f16_sdwa v50, v21 dst_sel:DWORD dst_unused:UNUSED_PAD src0_sel:WORD_1
	v_or_b32_e32 v1, v1, v17
	v_or_b32_e32 v8, v21, v20
	;; [unrolled: 1-line block ×3, first 2 shown]
	s_waitcnt vmcnt(0)
	v_pk_mul_f32 v[20:21], v[16:17], v[50:51] op_sel_hi:[0,1]
	v_cvt_f32_f16_e32 v50, v8
	v_cvt_f32_f16_e32 v51, v1
	v_cvt_pk_f16_f32 v1, v20, v21
	v_and_b32_e32 v17, 0xffff0000, v1
	v_lshlrev_b32_e32 v8, 16, v1
	v_pk_mul_f32 v[20:21], v[16:17], v[50:51] op_sel_hi:[0,1]
	v_cvt_pk_f16_f32 v1, v20, v21
	v_or_b32_e32 v21, v24, v23
	v_cvt_f32_f16_e32 v22, v22
	v_cvt_f32_f16_e32 v23, v21
	v_cvt_f32_f16_sdwa v25, v24 dst_sel:DWORD dst_unused:UNUSED_PAD src0_sel:WORD_1
	v_cvt_f32_f16_sdwa v24, v18 dst_sel:DWORD dst_unused:UNUSED_PAD src0_sel:WORD_1
	v_lshrrev_b32_e32 v19, 16, v1
	v_pk_mul_f32 v[22:23], v[16:17], v[22:23] op_sel_hi:[0,1]
	v_cvt_pk_f16_f32 v50, v22, v23
	v_pk_mul_f32 v[22:23], v[16:17], v[24:25] op_sel_hi:[0,1]
	v_cvt_pk_f16_f32 v16, v22, v23
	v_and_b32_e32 v20, 0xffff, v1
	v_and_b32_e32 v21, 0xffff0000, v16
	v_lshlrev_b32_e32 v16, 16, v16
	v_lshrrev_b32_e32 v23, 16, v50
	v_and_b32_e32 v22, 0xffff, v50
	v_or_b32_e32 v1, v17, v19
	v_or_b32_e32 v18, v8, v20
	v_or_b32_e32 v25, v21, v23
	v_or_b32_e32 v24, v16, v22
	s_and_saveexec_b64 s[12:13], vcc
	s_cbranch_execz .LBB250_528
; %bb.527:                              ;   in Loop: Header=BB250_328 Depth=1
	v_cmp_gt_i32_e64 s[0:1], s27, v30
	s_nop 1
	v_cndmask_b32_e64 v1, 0, v19, s[0:1]
	v_cmp_gt_i32_e64 s[0:1], s33, v39
	s_nop 1
	v_cndmask_b32_e64 v18, 0, v20, s[0:1]
	v_cmp_gt_i32_e64 s[0:1], s27, v38
	s_nop 1
	v_cndmask_b32_e64 v17, 0, v17, s[0:1]
	v_cmp_gt_i32_e64 s[0:1], s33, v37
	v_or_b32_e32 v1, v17, v1
	s_nop 0
	v_cndmask_b32_e64 v8, 0, v8, s[0:1]
	v_cmp_gt_i32_e64 s[0:1], s27, v36
	v_or_b32_e32 v18, v8, v18
	s_nop 0
	v_cndmask_b32_e64 v8, 0, v23, s[0:1]
	v_cmp_gt_i32_e64 s[0:1], s33, v35
	s_nop 1
	v_cndmask_b32_e64 v17, 0, v22, s[0:1]
	v_cmp_gt_i32_e64 s[0:1], s27, v34
	;; [unrolled: 3-line block ×3, first 2 shown]
	v_or_b32_e32 v25, v19, v8
	s_nop 0
	v_cndmask_b32_e64 v16, 0, v16, s[0:1]
	v_or_b32_e32 v24, v16, v17
.LBB250_528:                            ;   in Loop: Header=BB250_328 Depth=1
	s_or_b64 exec, exec, s[12:13]
	;;#ASMSTART
	v_pk_mul_f16 v1, v43, v1;

	;;#ASMEND
	;;#ASMSTART
	v_pk_mul_f16 v8, v42, v18;

	;;#ASMEND
	;; [unrolled: 4-line block ×4, first 2 shown]
	s_nop 0
	;;#ASMSTART
	v_pk_add_f16 v1, v1, v8;

	;;#ASMEND
	s_nop 0
	;;#ASMSTART
	v_pk_add_f16 v1, v1, v16;

	;;#ASMEND
	s_nop 0
	;;#ASMSTART
	v_pk_add_f16 v1, v1, v17;

	;;#ASMEND
	v_mov_b32_e32 v17, 0
	v_lshrrev_b32_e32 v8, 16, v1
	v_and_b32_e32 v1, 0xffff, v1
	;;#ASMSTART
	v_cvt_f32_f16 v50, v1;
	;;#ASMEND
	;;#ASMSTART
	v_cvt_f32_f16 v51, v8;
	;;#ASMEND
	global_load_dwordx2 v[18:19], v[14:15], off offset:2048
	v_mov_b32_e32 v1, 0
	global_load_dword v16, v1, s[10:11]
	s_waitcnt vmcnt(1)
	v_cmp_ne_u16_sdwa s[0:1], v18, v9 src0_sel:BYTE_0 src1_sel:DWORD
	s_and_saveexec_b64 s[12:13], s[0:1]
	s_cbranch_execz .LBB250_534
; %bb.529:                              ;   in Loop: Header=BB250_328 Depth=1
	v_cmp_ne_u16_sdwa s[0:1], v18, s24 src0_sel:BYTE_0 src1_sel:DWORD
	v_mov_b32_e32 v17, 0x8000
	s_and_saveexec_b64 s[14:15], s[0:1]
	s_cbranch_execz .LBB250_533
; %bb.530:                              ;   in Loop: Header=BB250_328 Depth=1
	v_and_b32_e32 v8, 0x7f, v18
	v_cmp_ne_u32_e64 s[0:1], s25, v8
	v_mov_b32_e32 v17, 0x7c01
	s_and_saveexec_b64 s[22:23], s[0:1]
	s_cbranch_execz .LBB250_532
; %bb.531:                              ;   in Loop: Header=BB250_328 Depth=1
	v_and_b32_e32 v17, 7, v18
	v_ffbh_u32_e32 v20, v17
	v_min_u32_e32 v23, 32, v20
	v_subrev_u32_e32 v20, 28, v23
	v_lshlrev_b64 v[20:21], v20, v[18:19]
	v_lshrrev_b32_e32 v22, 3, v8
	v_sub_u32_e32 v21, 29, v23
	v_cmp_gt_u32_e64 s[0:1], 8, v8
	v_and_b32_e32 v20, 7, v20
	s_nop 0
	v_cndmask_b32_e64 v8, v22, v21, s[0:1]
	v_lshl_add_u32 v8, v8, 10, v32
	v_lshlrev_b32_e32 v21, 8, v18
	v_and_b32_e32 v8, 0xfc00, v8
	v_cndmask_b32_e64 v17, v17, v20, s[0:1]
	v_and_or_b32 v8, v21, s29, v8
	v_lshl_or_b32 v17, v17, 7, v8
.LBB250_532:                            ;   in Loop: Header=BB250_328 Depth=1
	s_or_b64 exec, exec, s[22:23]
.LBB250_533:                            ;   in Loop: Header=BB250_328 Depth=1
	s_or_b64 exec, exec, s[14:15]
.LBB250_534:                            ;   in Loop: Header=BB250_328 Depth=1
	s_or_b64 exec, exec, s[12:13]
	v_lshrrev_b16_e32 v8, 8, v18
	v_cmp_ne_u16_e64 s[0:1], 0, v8
	s_and_saveexec_b64 s[12:13], s[0:1]
	s_cbranch_execz .LBB250_540
; %bb.535:                              ;   in Loop: Header=BB250_328 Depth=1
	v_cmp_ne_u16_e64 s[0:1], s24, v8
	v_bfrev_b32_e32 v1, 1
	s_and_saveexec_b64 s[14:15], s[0:1]
	s_cbranch_execz .LBB250_539
; %bb.536:                              ;   in Loop: Header=BB250_328 Depth=1
	v_and_b32_e32 v20, 0x7f, v8
	v_cmp_ne_u32_e64 s[0:1], s25, v20
	v_mov_b32_e32 v1, 0x7c010000
	s_and_saveexec_b64 s[22:23], s[0:1]
	s_cbranch_execz .LBB250_538
; %bb.537:                              ;   in Loop: Header=BB250_328 Depth=1
	v_and_b32_e32 v1, 7, v8
	v_ffbh_u32_e32 v22, v1
	v_min_u32_e32 v24, 32, v22
	v_subrev_u32_e32 v22, 28, v24
	v_lshlrev_b64 v[22:23], v22, v[8:9]
	v_lshrrev_b32_e32 v21, 3, v20
	v_sub_u32_e32 v23, 29, v24
	v_cmp_gt_u32_e64 s[0:1], 8, v20
	v_lshlrev_b32_e32 v8, 8, v8
	s_nop 0
	v_cndmask_b32_e64 v20, v21, v23, s[0:1]
	v_lshl_add_u32 v20, v20, 10, v32
	v_and_b32_e32 v21, 7, v22
	v_and_or_b32 v8, v8, s29, v20
	v_cndmask_b32_e64 v1, v1, v21, s[0:1]
	v_lshlrev_b32_e32 v8, 16, v8
	v_lshl_or_b32 v1, v1, 23, v8
.LBB250_538:                            ;   in Loop: Header=BB250_328 Depth=1
	s_or_b64 exec, exec, s[22:23]
.LBB250_539:                            ;   in Loop: Header=BB250_328 Depth=1
	s_or_b64 exec, exec, s[14:15]
.LBB250_540:                            ;   in Loop: Header=BB250_328 Depth=1
	s_or_b64 exec, exec, s[12:13]
	v_lshrrev_b32_e32 v8, 16, v18
	v_cmp_ne_u16_sdwa s[0:1], v8, v9 src0_sel:BYTE_0 src1_sel:DWORD
	v_mov_b32_e32 v21, 0
	v_mov_b32_e32 v20, 0
	s_and_saveexec_b64 s[12:13], s[0:1]
	s_cbranch_execz .LBB250_546
; %bb.541:                              ;   in Loop: Header=BB250_328 Depth=1
	v_cmp_ne_u16_sdwa s[0:1], v8, s24 src0_sel:BYTE_0 src1_sel:DWORD
	v_mov_b32_e32 v20, 0x8000
	s_and_saveexec_b64 s[14:15], s[0:1]
	s_cbranch_execz .LBB250_545
; %bb.542:                              ;   in Loop: Header=BB250_328 Depth=1
	v_bfe_u32 v22, v18, 16, 7
	v_cmp_ne_u32_e64 s[0:1], s25, v22
	v_mov_b32_e32 v20, 0x7c01
	s_and_saveexec_b64 s[22:23], s[0:1]
	s_cbranch_execz .LBB250_544
; %bb.543:                              ;   in Loop: Header=BB250_328 Depth=1
	v_and_b32_e32 v20, 7, v8
	v_ffbh_u32_e32 v24, v20
	v_min_u32_e32 v52, 32, v24
	v_subrev_u32_e32 v24, 28, v52
	v_lshlrev_b64 v[24:25], v24, v[8:9]
	v_lshrrev_b32_e32 v23, 3, v22
	v_sub_u32_e32 v25, 29, v52
	v_cmp_gt_u32_e64 s[0:1], 8, v22
	v_lshlrev_b32_e32 v8, 8, v8
	s_nop 0
	v_cndmask_b32_e64 v22, v23, v25, s[0:1]
	v_lshl_add_u32 v22, v22, 10, v32
	v_and_b32_e32 v23, 7, v24
	v_and_b32_e32 v22, 0xfc00, v22
	v_cndmask_b32_e64 v20, v20, v23, s[0:1]
	v_and_or_b32 v8, v8, s29, v22
	v_lshl_or_b32 v20, v20, 7, v8
.LBB250_544:                            ;   in Loop: Header=BB250_328 Depth=1
	s_or_b64 exec, exec, s[22:23]
.LBB250_545:                            ;   in Loop: Header=BB250_328 Depth=1
	s_or_b64 exec, exec, s[14:15]
.LBB250_546:                            ;   in Loop: Header=BB250_328 Depth=1
	s_or_b64 exec, exec, s[12:13]
	v_cmp_lt_u32_e64 s[0:1], s7, v18
	s_and_saveexec_b64 s[12:13], s[0:1]
	s_cbranch_execz .LBB250_552
; %bb.547:                              ;   in Loop: Header=BB250_328 Depth=1
	v_lshrrev_b32_e32 v8, 24, v18
	v_cmp_ne_u32_e64 s[0:1], s24, v8
	v_bfrev_b32_e32 v21, 1
	s_and_saveexec_b64 s[14:15], s[0:1]
	s_cbranch_execz .LBB250_551
; %bb.548:                              ;   in Loop: Header=BB250_328 Depth=1
	v_and_b32_e32 v22, 0x7f, v8
	v_cmp_ne_u32_e64 s[0:1], s25, v22
	v_mov_b32_e32 v21, 0x7c010000
	s_and_saveexec_b64 s[22:23], s[0:1]
	s_cbranch_execz .LBB250_550
; %bb.549:                              ;   in Loop: Header=BB250_328 Depth=1
	v_and_b32_e32 v21, 7, v8
	v_ffbh_u32_e32 v24, v21
	v_min_u32_e32 v52, 32, v24
	v_subrev_u32_e32 v24, 28, v52
	v_lshlrev_b64 v[24:25], v24, v[8:9]
	v_lshrrev_b32_e32 v23, 3, v22
	v_sub_u32_e32 v25, 29, v52
	v_cmp_gt_u32_e64 s[0:1], 8, v22
	v_lshlrev_b32_e32 v8, 8, v8
	s_nop 0
	v_cndmask_b32_e64 v22, v23, v25, s[0:1]
	v_lshl_add_u32 v22, v22, 10, v32
	v_and_b32_e32 v23, 7, v24
	v_and_or_b32 v8, v8, s29, v22
	v_cndmask_b32_e64 v21, v21, v23, s[0:1]
	v_lshlrev_b32_e32 v8, 16, v8
	v_lshl_or_b32 v21, v21, 23, v8
.LBB250_550:                            ;   in Loop: Header=BB250_328 Depth=1
	s_or_b64 exec, exec, s[22:23]
.LBB250_551:                            ;   in Loop: Header=BB250_328 Depth=1
	s_or_b64 exec, exec, s[14:15]
.LBB250_552:                            ;   in Loop: Header=BB250_328 Depth=1
	s_or_b64 exec, exec, s[12:13]
	v_mov_b32_e32 v8, v19
	v_cmp_ne_u16_sdwa s[0:1], v19, v9 src0_sel:BYTE_0 src1_sel:DWORD
	v_mov_b32_e32 v22, 0
	v_mov_b32_e32 v23, 0
	s_and_saveexec_b64 s[12:13], s[0:1]
	s_cbranch_execz .LBB250_558
; %bb.553:                              ;   in Loop: Header=BB250_328 Depth=1
	v_cmp_ne_u16_sdwa s[0:1], v19, s24 src0_sel:BYTE_0 src1_sel:DWORD
	v_mov_b32_e32 v23, 0x8000
	s_and_saveexec_b64 s[14:15], s[0:1]
	s_cbranch_execz .LBB250_557
; %bb.554:                              ;   in Loop: Header=BB250_328 Depth=1
	v_and_b32_e32 v24, 0x7f, v19
	v_cmp_ne_u32_e64 s[0:1], s25, v24
	v_mov_b32_e32 v23, 0x7c01
	s_and_saveexec_b64 s[22:23], s[0:1]
	s_cbranch_execz .LBB250_556
; %bb.555:                              ;   in Loop: Header=BB250_328 Depth=1
	v_and_b32_e32 v23, 7, v19
	v_ffbh_u32_e32 v52, v23
	v_min_u32_e32 v54, 32, v52
	v_subrev_u32_e32 v52, 28, v54
	v_lshlrev_b64 v[52:53], v52, v[8:9]
	v_lshrrev_b32_e32 v25, 3, v24
	v_sub_u32_e32 v53, 29, v54
	v_cmp_gt_u32_e64 s[0:1], 8, v24
	v_and_b32_e32 v52, 7, v52
	s_nop 0
	v_cndmask_b32_e64 v24, v25, v53, s[0:1]
	v_lshl_add_u32 v24, v24, 10, v32
	v_lshlrev_b32_e32 v25, 8, v19
	v_and_b32_e32 v24, 0xfc00, v24
	v_cndmask_b32_e64 v23, v23, v52, s[0:1]
	v_and_or_b32 v24, v25, s29, v24
	v_lshl_or_b32 v23, v23, 7, v24
.LBB250_556:                            ;   in Loop: Header=BB250_328 Depth=1
	s_or_b64 exec, exec, s[22:23]
.LBB250_557:                            ;   in Loop: Header=BB250_328 Depth=1
	s_or_b64 exec, exec, s[14:15]
.LBB250_558:                            ;   in Loop: Header=BB250_328 Depth=1
	s_or_b64 exec, exec, s[12:13]
	v_lshrrev_b16_e32 v8, 8, v8
	v_cmp_ne_u16_e64 s[0:1], 0, v8
	v_mov_b32_e32 v24, 0
	s_and_saveexec_b64 s[12:13], s[0:1]
	s_cbranch_execz .LBB250_564
; %bb.559:                              ;   in Loop: Header=BB250_328 Depth=1
	v_cmp_ne_u16_e64 s[0:1], s24, v8
	v_bfrev_b32_e32 v24, 1
	s_and_saveexec_b64 s[14:15], s[0:1]
	s_cbranch_execz .LBB250_563
; %bb.560:                              ;   in Loop: Header=BB250_328 Depth=1
	v_and_b32_e32 v25, 0x7f, v8
	v_cmp_ne_u32_e64 s[0:1], s25, v25
	v_mov_b32_e32 v24, 0x7c010000
	s_and_saveexec_b64 s[22:23], s[0:1]
	s_cbranch_execz .LBB250_562
; %bb.561:                              ;   in Loop: Header=BB250_328 Depth=1
	v_and_b32_e32 v24, 7, v8
	v_ffbh_u32_e32 v52, v24
	v_min_u32_e32 v55, 32, v52
	v_subrev_u32_e32 v52, 28, v55
	v_lshlrev_b64 v[52:53], v52, v[8:9]
	v_lshrrev_b32_e32 v54, 3, v25
	v_sub_u32_e32 v53, 29, v55
	v_cmp_gt_u32_e64 s[0:1], 8, v25
	v_lshlrev_b32_e32 v8, 8, v8
	v_and_b32_e32 v52, 7, v52
	v_cndmask_b32_e64 v25, v54, v53, s[0:1]
	v_lshl_add_u32 v25, v25, 10, v32
	v_and_or_b32 v8, v8, s29, v25
	v_cndmask_b32_e64 v24, v24, v52, s[0:1]
	v_lshlrev_b32_e32 v8, 16, v8
	v_lshl_or_b32 v24, v24, 23, v8
.LBB250_562:                            ;   in Loop: Header=BB250_328 Depth=1
	s_or_b64 exec, exec, s[22:23]
.LBB250_563:                            ;   in Loop: Header=BB250_328 Depth=1
	s_or_b64 exec, exec, s[14:15]
.LBB250_564:                            ;   in Loop: Header=BB250_328 Depth=1
	s_or_b64 exec, exec, s[12:13]
	v_lshrrev_b32_e32 v8, 16, v19
	v_cmp_ne_u16_sdwa s[0:1], v8, v9 src0_sel:BYTE_0 src1_sel:DWORD
	s_and_saveexec_b64 s[12:13], s[0:1]
	s_cbranch_execz .LBB250_570
; %bb.565:                              ;   in Loop: Header=BB250_328 Depth=1
	v_cmp_ne_u16_sdwa s[0:1], v8, s24 src0_sel:BYTE_0 src1_sel:DWORD
	v_mov_b32_e32 v22, 0x8000
	s_and_saveexec_b64 s[14:15], s[0:1]
	s_cbranch_execz .LBB250_569
; %bb.566:                              ;   in Loop: Header=BB250_328 Depth=1
	v_bfe_u32 v25, v19, 16, 7
	v_cmp_ne_u32_e64 s[0:1], s25, v25
	v_mov_b32_e32 v22, 0x7c01
	s_and_saveexec_b64 s[22:23], s[0:1]
	s_cbranch_execz .LBB250_568
; %bb.567:                              ;   in Loop: Header=BB250_328 Depth=1
	v_and_b32_e32 v22, 7, v8
	v_ffbh_u32_e32 v52, v22
	v_min_u32_e32 v55, 32, v52
	v_subrev_u32_e32 v52, 28, v55
	v_lshlrev_b64 v[52:53], v52, v[8:9]
	v_lshrrev_b32_e32 v54, 3, v25
	v_sub_u32_e32 v53, 29, v55
	v_cmp_gt_u32_e64 s[0:1], 8, v25
	v_lshlrev_b32_e32 v8, 8, v8
	v_and_b32_e32 v52, 7, v52
	v_cndmask_b32_e64 v25, v54, v53, s[0:1]
	v_lshl_add_u32 v25, v25, 10, v32
	v_and_b32_e32 v25, 0xfc00, v25
	v_cndmask_b32_e64 v22, v22, v52, s[0:1]
	v_and_or_b32 v8, v8, s29, v25
	v_lshl_or_b32 v22, v22, 7, v8
.LBB250_568:                            ;   in Loop: Header=BB250_328 Depth=1
	s_or_b64 exec, exec, s[22:23]
.LBB250_569:                            ;   in Loop: Header=BB250_328 Depth=1
	s_or_b64 exec, exec, s[14:15]
.LBB250_570:                            ;   in Loop: Header=BB250_328 Depth=1
	s_or_b64 exec, exec, s[12:13]
	v_cmp_lt_u64_e64 s[0:1], s[6:7], v[18:19]
	v_mov_b32_e32 v18, 0
	s_and_saveexec_b64 s[12:13], s[0:1]
	s_cbranch_execz .LBB250_576
; %bb.571:                              ;   in Loop: Header=BB250_328 Depth=1
	v_lshrrev_b32_e32 v8, 24, v19
	v_cmp_ne_u32_e64 s[0:1], s24, v8
	v_bfrev_b32_e32 v18, 1
	s_and_saveexec_b64 s[14:15], s[0:1]
	s_cbranch_execz .LBB250_575
; %bb.572:                              ;   in Loop: Header=BB250_328 Depth=1
	v_and_b32_e32 v19, 0x7f, v8
	v_cmp_ne_u32_e64 s[0:1], s25, v19
	v_mov_b32_e32 v18, 0x7c010000
	s_and_saveexec_b64 s[22:23], s[0:1]
	s_cbranch_execz .LBB250_574
; %bb.573:                              ;   in Loop: Header=BB250_328 Depth=1
	v_and_b32_e32 v18, 7, v8
	v_ffbh_u32_e32 v52, v18
	v_min_u32_e32 v54, 32, v52
	v_subrev_u32_e32 v52, 28, v54
	v_lshlrev_b64 v[52:53], v52, v[8:9]
	v_lshrrev_b32_e32 v25, 3, v19
	v_sub_u32_e32 v53, 29, v54
	v_cmp_gt_u32_e64 s[0:1], 8, v19
	v_lshlrev_b32_e32 v8, 8, v8
	s_nop 0
	v_cndmask_b32_e64 v19, v25, v53, s[0:1]
	v_lshl_add_u32 v19, v19, 10, v32
	v_and_b32_e32 v25, 7, v52
	v_and_or_b32 v8, v8, s29, v19
	v_cndmask_b32_e64 v18, v18, v25, s[0:1]
	v_lshlrev_b32_e32 v8, 16, v8
	v_lshl_or_b32 v18, v18, 23, v8
.LBB250_574:                            ;   in Loop: Header=BB250_328 Depth=1
	s_or_b64 exec, exec, s[22:23]
.LBB250_575:                            ;   in Loop: Header=BB250_328 Depth=1
	s_or_b64 exec, exec, s[14:15]
.LBB250_576:                            ;   in Loop: Header=BB250_328 Depth=1
	s_or_b64 exec, exec, s[12:13]
	v_cvt_f32_f16_sdwa v53, v1 dst_sel:DWORD dst_unused:UNUSED_PAD src0_sel:WORD_1
	v_cvt_f32_f16_sdwa v52, v21 dst_sel:DWORD dst_unused:UNUSED_PAD src0_sel:WORD_1
	v_or_b32_e32 v1, v1, v17
	v_or_b32_e32 v8, v21, v20
	;; [unrolled: 1-line block ×3, first 2 shown]
	s_waitcnt vmcnt(0)
	v_pk_mul_f32 v[20:21], v[16:17], v[52:53] op_sel_hi:[0,1]
	v_cvt_f32_f16_e32 v52, v8
	v_cvt_f32_f16_e32 v53, v1
	v_cvt_pk_f16_f32 v1, v20, v21
	v_and_b32_e32 v17, 0xffff0000, v1
	v_lshlrev_b32_e32 v8, 16, v1
	v_pk_mul_f32 v[20:21], v[16:17], v[52:53] op_sel_hi:[0,1]
	v_cvt_pk_f16_f32 v1, v20, v21
	v_or_b32_e32 v21, v24, v23
	v_cvt_f32_f16_e32 v22, v22
	v_cvt_f32_f16_e32 v23, v21
	v_cvt_f32_f16_sdwa v25, v24 dst_sel:DWORD dst_unused:UNUSED_PAD src0_sel:WORD_1
	v_cvt_f32_f16_sdwa v24, v18 dst_sel:DWORD dst_unused:UNUSED_PAD src0_sel:WORD_1
	v_lshrrev_b32_e32 v19, 16, v1
	v_pk_mul_f32 v[22:23], v[16:17], v[22:23] op_sel_hi:[0,1]
	v_cvt_pk_f16_f32 v52, v22, v23
	v_pk_mul_f32 v[22:23], v[16:17], v[24:25] op_sel_hi:[0,1]
	v_cvt_pk_f16_f32 v16, v22, v23
	v_and_b32_e32 v20, 0xffff, v1
	v_and_b32_e32 v21, 0xffff0000, v16
	v_lshlrev_b32_e32 v16, 16, v16
	v_lshrrev_b32_e32 v23, 16, v52
	v_and_b32_e32 v22, 0xffff, v52
	v_or_b32_e32 v1, v17, v19
	v_or_b32_e32 v18, v8, v20
	;; [unrolled: 1-line block ×4, first 2 shown]
	s_and_saveexec_b64 s[12:13], vcc
	s_cbranch_execz .LBB250_578
; %bb.577:                              ;   in Loop: Header=BB250_328 Depth=1
	v_cmp_gt_i32_e64 s[0:1], s27, v30
	s_nop 1
	v_cndmask_b32_e64 v1, 0, v19, s[0:1]
	v_cmp_gt_i32_e64 s[0:1], s33, v39
	s_nop 1
	v_cndmask_b32_e64 v18, 0, v20, s[0:1]
	;; [unrolled: 3-line block ×3, first 2 shown]
	v_cmp_gt_i32_e64 s[0:1], s33, v37
	v_or_b32_e32 v1, v17, v1
	s_nop 0
	v_cndmask_b32_e64 v8, 0, v8, s[0:1]
	v_cmp_gt_i32_e64 s[0:1], s27, v36
	v_or_b32_e32 v18, v8, v18
	s_nop 0
	v_cndmask_b32_e64 v8, 0, v23, s[0:1]
	v_cmp_gt_i32_e64 s[0:1], s33, v35
	s_nop 1
	v_cndmask_b32_e64 v17, 0, v22, s[0:1]
	v_cmp_gt_i32_e64 s[0:1], s27, v34
	;; [unrolled: 3-line block ×3, first 2 shown]
	v_or_b32_e32 v25, v19, v8
	s_nop 0
	v_cndmask_b32_e64 v16, 0, v16, s[0:1]
	v_or_b32_e32 v24, v16, v17
.LBB250_578:                            ;   in Loop: Header=BB250_328 Depth=1
	s_or_b64 exec, exec, s[12:13]
	;;#ASMSTART
	v_pk_mul_f16 v1, v43, v1;

	;;#ASMEND
	;;#ASMSTART
	v_pk_mul_f16 v8, v42, v18;

	;;#ASMEND
	;; [unrolled: 4-line block ×4, first 2 shown]
	s_nop 0
	;;#ASMSTART
	v_pk_add_f16 v1, v1, v8;

	;;#ASMEND
	s_nop 0
	;;#ASMSTART
	v_pk_add_f16 v1, v1, v16;

	;;#ASMEND
	;; [unrolled: 5-line block ×3, first 2 shown]
	s_nop 0
	v_lshrrev_b32_e32 v8, 16, v1
	v_and_b32_e32 v1, 0xffff, v1
	;;#ASMSTART
	v_cvt_f32_f16 v24, v1;
	;;#ASMEND
	;;#ASMSTART
	v_cvt_f32_f16 v25, v8;
	;;#ASMEND
	global_load_dwordx2 v[16:17], v[14:15], off offset:2560
	v_mov_b32_e32 v1, 0
	global_load_dword v14, v1, s[10:11]
	v_mov_b32_e32 v15, 0
	s_waitcnt vmcnt(1)
	v_cmp_ne_u16_sdwa s[0:1], v16, v9 src0_sel:BYTE_0 src1_sel:DWORD
	s_and_saveexec_b64 s[12:13], s[0:1]
	s_cbranch_execz .LBB250_584
; %bb.579:                              ;   in Loop: Header=BB250_328 Depth=1
	v_cmp_ne_u16_sdwa s[0:1], v16, s24 src0_sel:BYTE_0 src1_sel:DWORD
	v_mov_b32_e32 v15, 0x8000
	s_and_saveexec_b64 s[14:15], s[0:1]
	s_cbranch_execz .LBB250_583
; %bb.580:                              ;   in Loop: Header=BB250_328 Depth=1
	v_and_b32_e32 v8, 0x7f, v16
	v_cmp_ne_u32_e64 s[0:1], s25, v8
	v_mov_b32_e32 v15, 0x7c01
	s_and_saveexec_b64 s[22:23], s[0:1]
	s_cbranch_execz .LBB250_582
; %bb.581:                              ;   in Loop: Header=BB250_328 Depth=1
	v_and_b32_e32 v15, 7, v16
	v_ffbh_u32_e32 v18, v15
	v_min_u32_e32 v21, 32, v18
	v_subrev_u32_e32 v18, 28, v21
	v_lshlrev_b64 v[18:19], v18, v[16:17]
	v_lshrrev_b32_e32 v20, 3, v8
	v_sub_u32_e32 v19, 29, v21
	v_cmp_gt_u32_e64 s[0:1], 8, v8
	v_and_b32_e32 v18, 7, v18
	s_nop 0
	v_cndmask_b32_e64 v8, v20, v19, s[0:1]
	v_lshl_add_u32 v8, v8, 10, v32
	v_lshlrev_b32_e32 v19, 8, v16
	v_and_b32_e32 v8, 0xfc00, v8
	v_cndmask_b32_e64 v15, v15, v18, s[0:1]
	v_and_or_b32 v8, v19, s29, v8
	v_lshl_or_b32 v15, v15, 7, v8
.LBB250_582:                            ;   in Loop: Header=BB250_328 Depth=1
	s_or_b64 exec, exec, s[22:23]
.LBB250_583:                            ;   in Loop: Header=BB250_328 Depth=1
	s_or_b64 exec, exec, s[14:15]
.LBB250_584:                            ;   in Loop: Header=BB250_328 Depth=1
	s_or_b64 exec, exec, s[12:13]
	v_lshrrev_b16_e32 v8, 8, v16
	v_cmp_ne_u16_e64 s[0:1], 0, v8
	s_and_saveexec_b64 s[12:13], s[0:1]
	s_cbranch_execz .LBB250_590
; %bb.585:                              ;   in Loop: Header=BB250_328 Depth=1
	v_cmp_ne_u16_e64 s[0:1], s24, v8
	v_bfrev_b32_e32 v1, 1
	s_and_saveexec_b64 s[14:15], s[0:1]
	s_cbranch_execz .LBB250_589
; %bb.586:                              ;   in Loop: Header=BB250_328 Depth=1
	v_and_b32_e32 v18, 0x7f, v8
	v_cmp_ne_u32_e64 s[0:1], s25, v18
	v_mov_b32_e32 v1, 0x7c010000
	s_and_saveexec_b64 s[22:23], s[0:1]
	s_cbranch_execz .LBB250_588
; %bb.587:                              ;   in Loop: Header=BB250_328 Depth=1
	v_and_b32_e32 v1, 7, v8
	v_ffbh_u32_e32 v20, v1
	v_min_u32_e32 v22, 32, v20
	v_subrev_u32_e32 v20, 28, v22
	v_lshlrev_b64 v[20:21], v20, v[8:9]
	v_lshrrev_b32_e32 v19, 3, v18
	v_sub_u32_e32 v21, 29, v22
	v_cmp_gt_u32_e64 s[0:1], 8, v18
	v_lshlrev_b32_e32 v8, 8, v8
	s_nop 0
	v_cndmask_b32_e64 v18, v19, v21, s[0:1]
	v_lshl_add_u32 v18, v18, 10, v32
	v_and_b32_e32 v19, 7, v20
	v_and_or_b32 v8, v8, s29, v18
	v_cndmask_b32_e64 v1, v1, v19, s[0:1]
	v_lshlrev_b32_e32 v8, 16, v8
	v_lshl_or_b32 v1, v1, 23, v8
.LBB250_588:                            ;   in Loop: Header=BB250_328 Depth=1
	s_or_b64 exec, exec, s[22:23]
.LBB250_589:                            ;   in Loop: Header=BB250_328 Depth=1
	s_or_b64 exec, exec, s[14:15]
.LBB250_590:                            ;   in Loop: Header=BB250_328 Depth=1
	s_or_b64 exec, exec, s[12:13]
	v_lshrrev_b32_e32 v8, 16, v16
	v_cmp_ne_u16_sdwa s[0:1], v8, v9 src0_sel:BYTE_0 src1_sel:DWORD
	v_mov_b32_e32 v19, 0
	v_mov_b32_e32 v18, 0
	s_and_saveexec_b64 s[12:13], s[0:1]
	s_cbranch_execz .LBB250_596
; %bb.591:                              ;   in Loop: Header=BB250_328 Depth=1
	v_cmp_ne_u16_sdwa s[0:1], v8, s24 src0_sel:BYTE_0 src1_sel:DWORD
	v_mov_b32_e32 v18, 0x8000
	s_and_saveexec_b64 s[14:15], s[0:1]
	s_cbranch_execz .LBB250_595
; %bb.592:                              ;   in Loop: Header=BB250_328 Depth=1
	v_bfe_u32 v20, v16, 16, 7
	v_cmp_ne_u32_e64 s[0:1], s25, v20
	v_mov_b32_e32 v18, 0x7c01
	s_and_saveexec_b64 s[22:23], s[0:1]
	s_cbranch_execz .LBB250_594
; %bb.593:                              ;   in Loop: Header=BB250_328 Depth=1
	v_and_b32_e32 v18, 7, v8
	v_ffbh_u32_e32 v22, v18
	v_min_u32_e32 v52, 32, v22
	v_subrev_u32_e32 v22, 28, v52
	v_lshlrev_b64 v[22:23], v22, v[8:9]
	v_lshrrev_b32_e32 v21, 3, v20
	v_sub_u32_e32 v23, 29, v52
	v_cmp_gt_u32_e64 s[0:1], 8, v20
	v_lshlrev_b32_e32 v8, 8, v8
	s_nop 0
	v_cndmask_b32_e64 v20, v21, v23, s[0:1]
	v_lshl_add_u32 v20, v20, 10, v32
	v_and_b32_e32 v21, 7, v22
	v_and_b32_e32 v20, 0xfc00, v20
	v_cndmask_b32_e64 v18, v18, v21, s[0:1]
	v_and_or_b32 v8, v8, s29, v20
	v_lshl_or_b32 v18, v18, 7, v8
.LBB250_594:                            ;   in Loop: Header=BB250_328 Depth=1
	s_or_b64 exec, exec, s[22:23]
.LBB250_595:                            ;   in Loop: Header=BB250_328 Depth=1
	s_or_b64 exec, exec, s[14:15]
.LBB250_596:                            ;   in Loop: Header=BB250_328 Depth=1
	s_or_b64 exec, exec, s[12:13]
	v_cmp_lt_u32_e64 s[0:1], s7, v16
	s_and_saveexec_b64 s[12:13], s[0:1]
	s_cbranch_execz .LBB250_602
; %bb.597:                              ;   in Loop: Header=BB250_328 Depth=1
	v_lshrrev_b32_e32 v8, 24, v16
	v_cmp_ne_u32_e64 s[0:1], s24, v8
	v_bfrev_b32_e32 v19, 1
	s_and_saveexec_b64 s[14:15], s[0:1]
	s_cbranch_execz .LBB250_601
; %bb.598:                              ;   in Loop: Header=BB250_328 Depth=1
	v_and_b32_e32 v20, 0x7f, v8
	v_cmp_ne_u32_e64 s[0:1], s25, v20
	v_mov_b32_e32 v19, 0x7c010000
	s_and_saveexec_b64 s[22:23], s[0:1]
	s_cbranch_execz .LBB250_600
; %bb.599:                              ;   in Loop: Header=BB250_328 Depth=1
	v_and_b32_e32 v19, 7, v8
	v_ffbh_u32_e32 v22, v19
	v_min_u32_e32 v52, 32, v22
	v_subrev_u32_e32 v22, 28, v52
	v_lshlrev_b64 v[22:23], v22, v[8:9]
	v_lshrrev_b32_e32 v21, 3, v20
	v_sub_u32_e32 v23, 29, v52
	v_cmp_gt_u32_e64 s[0:1], 8, v20
	v_lshlrev_b32_e32 v8, 8, v8
	s_nop 0
	v_cndmask_b32_e64 v20, v21, v23, s[0:1]
	v_lshl_add_u32 v20, v20, 10, v32
	v_and_b32_e32 v21, 7, v22
	v_and_or_b32 v8, v8, s29, v20
	v_cndmask_b32_e64 v19, v19, v21, s[0:1]
	v_lshlrev_b32_e32 v8, 16, v8
	v_lshl_or_b32 v19, v19, 23, v8
.LBB250_600:                            ;   in Loop: Header=BB250_328 Depth=1
	s_or_b64 exec, exec, s[22:23]
.LBB250_601:                            ;   in Loop: Header=BB250_328 Depth=1
	s_or_b64 exec, exec, s[14:15]
.LBB250_602:                            ;   in Loop: Header=BB250_328 Depth=1
	s_or_b64 exec, exec, s[12:13]
	v_mov_b32_e32 v8, v17
	v_cmp_ne_u16_sdwa s[0:1], v17, v9 src0_sel:BYTE_0 src1_sel:DWORD
	v_mov_b32_e32 v20, 0
	v_mov_b32_e32 v21, 0
	s_and_saveexec_b64 s[12:13], s[0:1]
	s_cbranch_execz .LBB250_608
; %bb.603:                              ;   in Loop: Header=BB250_328 Depth=1
	v_cmp_ne_u16_sdwa s[0:1], v17, s24 src0_sel:BYTE_0 src1_sel:DWORD
	v_mov_b32_e32 v21, 0x8000
	s_and_saveexec_b64 s[14:15], s[0:1]
	s_cbranch_execz .LBB250_607
; %bb.604:                              ;   in Loop: Header=BB250_328 Depth=1
	v_and_b32_e32 v22, 0x7f, v17
	v_cmp_ne_u32_e64 s[0:1], s25, v22
	v_mov_b32_e32 v21, 0x7c01
	s_and_saveexec_b64 s[22:23], s[0:1]
	s_cbranch_execz .LBB250_606
; %bb.605:                              ;   in Loop: Header=BB250_328 Depth=1
	v_and_b32_e32 v21, 7, v17
	v_ffbh_u32_e32 v52, v21
	v_min_u32_e32 v54, 32, v52
	v_subrev_u32_e32 v52, 28, v54
	v_lshlrev_b64 v[52:53], v52, v[8:9]
	v_lshrrev_b32_e32 v23, 3, v22
	v_sub_u32_e32 v53, 29, v54
	v_cmp_gt_u32_e64 s[0:1], 8, v22
	v_and_b32_e32 v52, 7, v52
	s_nop 0
	v_cndmask_b32_e64 v22, v23, v53, s[0:1]
	v_lshl_add_u32 v22, v22, 10, v32
	v_lshlrev_b32_e32 v23, 8, v17
	v_and_b32_e32 v22, 0xfc00, v22
	v_cndmask_b32_e64 v21, v21, v52, s[0:1]
	v_and_or_b32 v22, v23, s29, v22
	v_lshl_or_b32 v21, v21, 7, v22
.LBB250_606:                            ;   in Loop: Header=BB250_328 Depth=1
	s_or_b64 exec, exec, s[22:23]
.LBB250_607:                            ;   in Loop: Header=BB250_328 Depth=1
	s_or_b64 exec, exec, s[14:15]
.LBB250_608:                            ;   in Loop: Header=BB250_328 Depth=1
	s_or_b64 exec, exec, s[12:13]
	v_lshrrev_b16_e32 v8, 8, v8
	v_cmp_ne_u16_e64 s[0:1], 0, v8
	v_mov_b32_e32 v22, 0
	s_and_saveexec_b64 s[12:13], s[0:1]
	s_cbranch_execz .LBB250_614
; %bb.609:                              ;   in Loop: Header=BB250_328 Depth=1
	v_cmp_ne_u16_e64 s[0:1], s24, v8
	v_bfrev_b32_e32 v22, 1
	s_and_saveexec_b64 s[14:15], s[0:1]
	s_cbranch_execz .LBB250_613
; %bb.610:                              ;   in Loop: Header=BB250_328 Depth=1
	v_and_b32_e32 v23, 0x7f, v8
	v_cmp_ne_u32_e64 s[0:1], s25, v23
	v_mov_b32_e32 v22, 0x7c010000
	s_and_saveexec_b64 s[22:23], s[0:1]
	s_cbranch_execz .LBB250_612
; %bb.611:                              ;   in Loop: Header=BB250_328 Depth=1
	v_and_b32_e32 v22, 7, v8
	v_ffbh_u32_e32 v52, v22
	v_min_u32_e32 v55, 32, v52
	v_subrev_u32_e32 v52, 28, v55
	v_lshlrev_b64 v[52:53], v52, v[8:9]
	v_lshrrev_b32_e32 v54, 3, v23
	v_sub_u32_e32 v53, 29, v55
	v_cmp_gt_u32_e64 s[0:1], 8, v23
	v_lshlrev_b32_e32 v8, 8, v8
	v_and_b32_e32 v52, 7, v52
	v_cndmask_b32_e64 v23, v54, v53, s[0:1]
	v_lshl_add_u32 v23, v23, 10, v32
	v_and_or_b32 v8, v8, s29, v23
	v_cndmask_b32_e64 v22, v22, v52, s[0:1]
	v_lshlrev_b32_e32 v8, 16, v8
	v_lshl_or_b32 v22, v22, 23, v8
.LBB250_612:                            ;   in Loop: Header=BB250_328 Depth=1
	s_or_b64 exec, exec, s[22:23]
.LBB250_613:                            ;   in Loop: Header=BB250_328 Depth=1
	s_or_b64 exec, exec, s[14:15]
.LBB250_614:                            ;   in Loop: Header=BB250_328 Depth=1
	s_or_b64 exec, exec, s[12:13]
	v_lshrrev_b32_e32 v8, 16, v17
	v_cmp_ne_u16_sdwa s[0:1], v8, v9 src0_sel:BYTE_0 src1_sel:DWORD
	s_and_saveexec_b64 s[12:13], s[0:1]
	s_cbranch_execz .LBB250_620
; %bb.615:                              ;   in Loop: Header=BB250_328 Depth=1
	v_cmp_ne_u16_sdwa s[0:1], v8, s24 src0_sel:BYTE_0 src1_sel:DWORD
	v_mov_b32_e32 v20, 0x8000
	s_and_saveexec_b64 s[14:15], s[0:1]
	s_cbranch_execz .LBB250_619
; %bb.616:                              ;   in Loop: Header=BB250_328 Depth=1
	v_bfe_u32 v23, v17, 16, 7
	v_cmp_ne_u32_e64 s[0:1], s25, v23
	v_mov_b32_e32 v20, 0x7c01
	s_and_saveexec_b64 s[22:23], s[0:1]
	s_cbranch_execz .LBB250_618
; %bb.617:                              ;   in Loop: Header=BB250_328 Depth=1
	v_and_b32_e32 v20, 7, v8
	v_ffbh_u32_e32 v52, v20
	v_min_u32_e32 v55, 32, v52
	v_subrev_u32_e32 v52, 28, v55
	v_lshlrev_b64 v[52:53], v52, v[8:9]
	v_lshrrev_b32_e32 v54, 3, v23
	v_sub_u32_e32 v53, 29, v55
	v_cmp_gt_u32_e64 s[0:1], 8, v23
	v_lshlrev_b32_e32 v8, 8, v8
	v_and_b32_e32 v52, 7, v52
	v_cndmask_b32_e64 v23, v54, v53, s[0:1]
	v_lshl_add_u32 v23, v23, 10, v32
	v_and_b32_e32 v23, 0xfc00, v23
	v_cndmask_b32_e64 v20, v20, v52, s[0:1]
	v_and_or_b32 v8, v8, s29, v23
	v_lshl_or_b32 v20, v20, 7, v8
.LBB250_618:                            ;   in Loop: Header=BB250_328 Depth=1
	s_or_b64 exec, exec, s[22:23]
.LBB250_619:                            ;   in Loop: Header=BB250_328 Depth=1
	s_or_b64 exec, exec, s[14:15]
.LBB250_620:                            ;   in Loop: Header=BB250_328 Depth=1
	s_or_b64 exec, exec, s[12:13]
	v_cmp_lt_u64_e64 s[0:1], s[6:7], v[16:17]
	v_mov_b32_e32 v23, 0
	s_and_saveexec_b64 s[12:13], s[0:1]
	s_cbranch_execz .LBB250_626
; %bb.621:                              ;   in Loop: Header=BB250_328 Depth=1
	v_lshrrev_b32_e32 v8, 24, v17
	v_cmp_ne_u32_e64 s[0:1], s24, v8
	v_bfrev_b32_e32 v23, 1
	s_and_saveexec_b64 s[14:15], s[0:1]
	s_cbranch_execz .LBB250_625
; %bb.622:                              ;   in Loop: Header=BB250_328 Depth=1
	v_and_b32_e32 v16, 0x7f, v8
	v_cmp_ne_u32_e64 s[0:1], s25, v16
	v_mov_b32_e32 v23, 0x7c010000
	s_and_saveexec_b64 s[22:23], s[0:1]
	s_cbranch_execz .LBB250_624
; %bb.623:                              ;   in Loop: Header=BB250_328 Depth=1
	v_and_b32_e32 v17, 7, v8
	v_ffbh_u32_e32 v52, v17
	v_min_u32_e32 v54, 32, v52
	v_subrev_u32_e32 v52, 28, v54
	v_lshlrev_b64 v[52:53], v52, v[8:9]
	v_lshrrev_b32_e32 v23, 3, v16
	v_sub_u32_e32 v53, 29, v54
	v_cmp_gt_u32_e64 s[0:1], 8, v16
	v_lshlrev_b32_e32 v8, 8, v8
	s_nop 0
	v_cndmask_b32_e64 v16, v23, v53, s[0:1]
	v_lshl_add_u32 v16, v16, 10, v32
	v_and_b32_e32 v23, 7, v52
	v_and_or_b32 v8, v8, s29, v16
	v_cndmask_b32_e64 v17, v17, v23, s[0:1]
	v_lshlrev_b32_e32 v8, 16, v8
	v_lshl_or_b32 v23, v17, 23, v8
.LBB250_624:                            ;   in Loop: Header=BB250_328 Depth=1
	s_or_b64 exec, exec, s[22:23]
.LBB250_625:                            ;   in Loop: Header=BB250_328 Depth=1
	s_or_b64 exec, exec, s[14:15]
.LBB250_626:                            ;   in Loop: Header=BB250_328 Depth=1
	s_or_b64 exec, exec, s[12:13]
	v_cvt_f32_f16_sdwa v17, v1 dst_sel:DWORD dst_unused:UNUSED_PAD src0_sel:WORD_1
	v_cvt_f32_f16_sdwa v16, v19 dst_sel:DWORD dst_unused:UNUSED_PAD src0_sel:WORD_1
	v_or_b32_e32 v1, v1, v15
	v_or_b32_e32 v8, v19, v18
	v_cvt_f32_f16_e32 v18, v8
	v_cvt_f32_f16_e32 v19, v1
	s_waitcnt vmcnt(0)
	v_pk_mul_f32 v[16:17], v[14:15], v[16:17] op_sel_hi:[0,1]
	v_cvt_pk_f16_f32 v1, v16, v17
	v_and_b32_e32 v15, 0xffff0000, v1
	v_pk_mul_f32 v[18:19], v[14:15], v[18:19] op_sel_hi:[0,1]
	v_lshlrev_b32_e32 v16, 16, v1
	v_cvt_pk_f16_f32 v1, v18, v19
	v_or_b32_e32 v8, v22, v21
	v_or_b32_e32 v19, v23, v20
	v_cvt_f32_f16_e32 v20, v19
	v_cvt_f32_f16_e32 v21, v8
	v_cvt_f32_f16_sdwa v53, v22 dst_sel:DWORD dst_unused:UNUSED_PAD src0_sel:WORD_1
	v_cvt_f32_f16_sdwa v52, v23 dst_sel:DWORD dst_unused:UNUSED_PAD src0_sel:WORD_1
	v_lshrrev_b32_e32 v17, 16, v1
	v_pk_mul_f32 v[20:21], v[14:15], v[20:21] op_sel_hi:[0,1]
	v_cvt_pk_f16_f32 v22, v20, v21
	v_pk_mul_f32 v[20:21], v[14:15], v[52:53] op_sel_hi:[0,1]
	v_cvt_pk_f16_f32 v14, v20, v21
	v_and_b32_e32 v18, 0xffff, v1
	v_and_b32_e32 v19, 0xffff0000, v14
	v_lshlrev_b32_e32 v14, 16, v14
	v_lshrrev_b32_e32 v23, 16, v22
	v_and_b32_e32 v22, 0xffff, v22
	v_or_b32_e32 v1, v15, v17
	v_or_b32_e32 v8, v16, v18
	;; [unrolled: 1-line block ×4, first 2 shown]
	s_and_saveexec_b64 s[0:1], vcc
	s_cbranch_execz .LBB250_327
; %bb.627:                              ;   in Loop: Header=BB250_328 Depth=1
	v_cmp_gt_i32_e32 vcc, s27, v30
	s_nop 1
	v_cndmask_b32_e32 v1, 0, v17, vcc
	v_cmp_gt_i32_e32 vcc, s33, v39
	s_nop 1
	v_cndmask_b32_e32 v8, 0, v18, vcc
	;; [unrolled: 3-line block ×3, first 2 shown]
	v_cmp_gt_i32_e32 vcc, s33, v37
	v_or_b32_e32 v1, v15, v1
	s_nop 0
	v_cndmask_b32_e32 v16, 0, v16, vcc
	v_cmp_gt_i32_e32 vcc, s27, v36
	v_or_b32_e32 v8, v16, v8
	s_nop 0
	v_cndmask_b32_e32 v15, 0, v23, vcc
	v_cmp_gt_i32_e32 vcc, s33, v35
	s_nop 1
	v_cndmask_b32_e32 v16, 0, v22, vcc
	v_cmp_gt_i32_e32 vcc, s27, v34
	;; [unrolled: 3-line block ×3, first 2 shown]
	v_or_b32_e32 v21, v17, v15
	s_nop 0
	v_cndmask_b32_e32 v14, 0, v14, vcc
	v_or_b32_e32 v20, v14, v16
	s_branch .LBB250_327
.LBB250_628:
	s_or_b64 exec, exec, s[8:9]
.LBB250_629:
	s_or_b64 exec, exec, s[2:3]
	ds_bpermute_b32 v8, v28, v6
	ds_bpermute_b32 v9, v28, v7
	;; [unrolled: 1-line block ×4, first 2 shown]
	v_and_b32_e32 v1, 0x3c1, v0
	v_cmp_ne_u32_e32 vcc, 64, v1
	s_waitcnt lgkmcnt(2)
	v_pk_add_f32 v[6:7], v[6:7], v[8:9]
	ds_bpermute_b32 v8, v28, v2
	ds_bpermute_b32 v9, v28, v3
	s_waitcnt lgkmcnt(2)
	v_pk_add_f32 v[4:5], v[4:5], v[10:11]
	s_waitcnt lgkmcnt(0)
	s_barrier
	s_and_saveexec_b64 s[0:1], vcc
	s_xor_b64 s[0:1], exec, s[0:1]
; %bb.630:
                                        ; implicit-def: $vgpr27
; %bb.631:
	s_or_saveexec_b64 s[0:1], s[0:1]
	v_pk_add_f32 v[2:3], v[2:3], v[8:9]
	s_xor_b64 exec, exec, s[0:1]
	s_cbranch_execz .LBB250_633
; %bb.632:
	v_mov_b32_e32 v8, 0x190
	v_lshl_add_u32 v8, v27, 1, v8
	ds_write2_b32 v8, v6, v7 offset1:32
	ds_write2_b32 v8, v4, v5 offset0:64 offset1:96
	ds_write2_b32 v8, v2, v3 offset0:128 offset1:160
.LBB250_633:
	s_or_b64 exec, exec, s[0:1]
	v_cmp_gt_u32_e32 vcc, 64, v0
	v_lshrrev_b32_e32 v0, 1, v0
	s_waitcnt lgkmcnt(0)
	s_barrier
	s_and_saveexec_b64 s[0:1], vcc
	s_cbranch_execz .LBB250_642
; %bb.634:
	v_mov_b32_e32 v8, 0x190
	v_cmp_eq_u32_e32 vcc, 0, v29
	v_lshl_add_u32 v8, v0, 2, v8
	s_and_saveexec_b64 s[2:3], vcc
	s_cbranch_execnz .LBB250_645
; %bb.635:
	s_or_b64 exec, exec, s[2:3]
	s_and_saveexec_b64 s[2:3], vcc
	s_cbranch_execnz .LBB250_646
.LBB250_636:
	s_or_b64 exec, exec, s[2:3]
	s_and_saveexec_b64 s[2:3], vcc
	s_cbranch_execnz .LBB250_647
.LBB250_637:
	s_or_b64 exec, exec, s[2:3]
	s_and_saveexec_b64 s[2:3], vcc
	s_cbranch_execnz .LBB250_648
.LBB250_638:
	s_or_b64 exec, exec, s[2:3]
	s_and_saveexec_b64 s[2:3], vcc
	s_cbranch_execnz .LBB250_649
.LBB250_639:
	s_or_b64 exec, exec, s[2:3]
	s_and_saveexec_b64 s[2:3], vcc
	s_cbranch_execz .LBB250_641
.LBB250_640:
	ds_read_b32 v8, v8 offset:640
	s_waitcnt lgkmcnt(0)
	v_add_f32_e32 v3, v3, v8
.LBB250_641:
	s_or_b64 exec, exec, s[2:3]
.LBB250_642:
	s_or_b64 exec, exec, s[0:1]
	v_cmp_eq_u32_e32 vcc, 0, v1
	s_barrier
	s_and_saveexec_b64 s[0:1], vcc
	s_cbranch_execz .LBB250_644
; %bb.643:
	s_mul_i32 s0, s16, s17
	s_mul_i32 s0, s0, s5
	s_mulk_i32 s0, 0xc0
	s_ashr_i32 s1, s0, 31
	s_lshl_b64 s[0:1], s[0:1], 1
	s_add_u32 s2, s20, s0
	s_mul_i32 s0, s17, s18
	s_addc_u32 s3, s21, s1
	s_ashr_i32 s1, s0, 31
	s_lshl_b64 s[0:1], s[0:1], 1
	s_add_u32 s2, s2, s0
	s_mul_i32 s0, s4, 0xc0
	s_addc_u32 s3, s3, s1
	s_ashr_i32 s1, s0, 31
	s_lshl_b64 s[0:1], s[0:1], 1
	s_add_u32 s0, s2, s0
	s_addc_u32 s1, s3, s1
	v_lshlrev_b32_e32 v0, 1, v0
	;;#ASMSTART
	v_cvt_f16_f32 v1, v6;

	;;#ASMEND
	global_store_short v0, v1, s[0:1]
	;;#ASMSTART
	v_cvt_f16_f32 v1, v7;

	;;#ASMEND
	global_store_short v0, v1, s[0:1] offset:64
	;;#ASMSTART
	v_cvt_f16_f32 v1, v4;

	;;#ASMEND
	global_store_short v0, v1, s[0:1] offset:128
	;; [unrolled: 5-line block ×5, first 2 shown]
.LBB250_644:
	s_endpgm
.LBB250_645:
	ds_read_b32 v9, v8
	s_waitcnt lgkmcnt(0)
	v_add_f32_e32 v6, v6, v9
	s_or_b64 exec, exec, s[2:3]
	s_and_saveexec_b64 s[2:3], vcc
	s_cbranch_execz .LBB250_636
.LBB250_646:
	ds_read_b32 v9, v8 offset:128
	s_waitcnt lgkmcnt(0)
	v_add_f32_e32 v7, v7, v9
	s_or_b64 exec, exec, s[2:3]
	s_and_saveexec_b64 s[2:3], vcc
	s_cbranch_execz .LBB250_637
.LBB250_647:
	ds_read_b32 v9, v8 offset:256
	s_waitcnt lgkmcnt(0)
	v_add_f32_e32 v4, v4, v9
	s_or_b64 exec, exec, s[2:3]
	s_and_saveexec_b64 s[2:3], vcc
	s_cbranch_execz .LBB250_638
.LBB250_648:
	ds_read_b32 v9, v8 offset:384
	s_waitcnt lgkmcnt(0)
	v_add_f32_e32 v5, v5, v9
	s_or_b64 exec, exec, s[2:3]
	s_and_saveexec_b64 s[2:3], vcc
	s_cbranch_execz .LBB250_639
.LBB250_649:
	ds_read_b32 v9, v8 offset:512
	s_waitcnt lgkmcnt(0)
	v_add_f32_e32 v2, v2, v9
	s_or_b64 exec, exec, s[2:3]
	s_and_saveexec_b64 s[2:3], vcc
	s_cbranch_execnz .LBB250_640
	s_branch .LBB250_641
	.section	.rodata,"a",@progbits
	.p2align	6, 0x0
	.amdhsa_kernel _ZN4vllm25paged_attention_v1_kernelIthLi192ELi16ELi128ELNS_18Fp8KVCacheDataTypeE1ELb0EEEvPT_PKS2_PKT0_S8_ifPKiSA_iPKfiiiSC_SC_iiiii
		.amdhsa_group_segment_fixed_size 400
		.amdhsa_private_segment_fixed_size 0
		.amdhsa_kernarg_size 384
		.amdhsa_user_sgpr_count 2
		.amdhsa_user_sgpr_dispatch_ptr 0
		.amdhsa_user_sgpr_queue_ptr 0
		.amdhsa_user_sgpr_kernarg_segment_ptr 1
		.amdhsa_user_sgpr_dispatch_id 0
		.amdhsa_user_sgpr_kernarg_preload_length 0
		.amdhsa_user_sgpr_kernarg_preload_offset 0
		.amdhsa_user_sgpr_private_segment_size 0
		.amdhsa_uses_dynamic_stack 0
		.amdhsa_enable_private_segment 0
		.amdhsa_system_sgpr_workgroup_id_x 1
		.amdhsa_system_sgpr_workgroup_id_y 1
		.amdhsa_system_sgpr_workgroup_id_z 1
		.amdhsa_system_sgpr_workgroup_info 0
		.amdhsa_system_vgpr_workitem_id 0
		.amdhsa_next_free_vgpr 81
		.amdhsa_next_free_sgpr 45
		.amdhsa_accum_offset 84
		.amdhsa_reserve_vcc 1
		.amdhsa_float_round_mode_32 0
		.amdhsa_float_round_mode_16_64 0
		.amdhsa_float_denorm_mode_32 3
		.amdhsa_float_denorm_mode_16_64 3
		.amdhsa_dx10_clamp 1
		.amdhsa_ieee_mode 1
		.amdhsa_fp16_overflow 0
		.amdhsa_tg_split 0
		.amdhsa_exception_fp_ieee_invalid_op 0
		.amdhsa_exception_fp_denorm_src 0
		.amdhsa_exception_fp_ieee_div_zero 0
		.amdhsa_exception_fp_ieee_overflow 0
		.amdhsa_exception_fp_ieee_underflow 0
		.amdhsa_exception_fp_ieee_inexact 0
		.amdhsa_exception_int_div_zero 0
	.end_amdhsa_kernel
	.section	.text._ZN4vllm25paged_attention_v1_kernelIthLi192ELi16ELi128ELNS_18Fp8KVCacheDataTypeE1ELb0EEEvPT_PKS2_PKT0_S8_ifPKiSA_iPKfiiiSC_SC_iiiii,"axG",@progbits,_ZN4vllm25paged_attention_v1_kernelIthLi192ELi16ELi128ELNS_18Fp8KVCacheDataTypeE1ELb0EEEvPT_PKS2_PKT0_S8_ifPKiSA_iPKfiiiSC_SC_iiiii,comdat
.Lfunc_end250:
	.size	_ZN4vllm25paged_attention_v1_kernelIthLi192ELi16ELi128ELNS_18Fp8KVCacheDataTypeE1ELb0EEEvPT_PKS2_PKT0_S8_ifPKiSA_iPKfiiiSC_SC_iiiii, .Lfunc_end250-_ZN4vllm25paged_attention_v1_kernelIthLi192ELi16ELi128ELNS_18Fp8KVCacheDataTypeE1ELb0EEEvPT_PKS2_PKT0_S8_ifPKiSA_iPKfiiiSC_SC_iiiii
                                        ; -- End function
	.set _ZN4vllm25paged_attention_v1_kernelIthLi192ELi16ELi128ELNS_18Fp8KVCacheDataTypeE1ELb0EEEvPT_PKS2_PKT0_S8_ifPKiSA_iPKfiiiSC_SC_iiiii.num_vgpr, 81
	.set _ZN4vllm25paged_attention_v1_kernelIthLi192ELi16ELi128ELNS_18Fp8KVCacheDataTypeE1ELb0EEEvPT_PKS2_PKT0_S8_ifPKiSA_iPKfiiiSC_SC_iiiii.num_agpr, 0
	.set _ZN4vllm25paged_attention_v1_kernelIthLi192ELi16ELi128ELNS_18Fp8KVCacheDataTypeE1ELb0EEEvPT_PKS2_PKT0_S8_ifPKiSA_iPKfiiiSC_SC_iiiii.numbered_sgpr, 45
	.set _ZN4vllm25paged_attention_v1_kernelIthLi192ELi16ELi128ELNS_18Fp8KVCacheDataTypeE1ELb0EEEvPT_PKS2_PKT0_S8_ifPKiSA_iPKfiiiSC_SC_iiiii.num_named_barrier, 0
	.set _ZN4vllm25paged_attention_v1_kernelIthLi192ELi16ELi128ELNS_18Fp8KVCacheDataTypeE1ELb0EEEvPT_PKS2_PKT0_S8_ifPKiSA_iPKfiiiSC_SC_iiiii.private_seg_size, 0
	.set _ZN4vllm25paged_attention_v1_kernelIthLi192ELi16ELi128ELNS_18Fp8KVCacheDataTypeE1ELb0EEEvPT_PKS2_PKT0_S8_ifPKiSA_iPKfiiiSC_SC_iiiii.uses_vcc, 1
	.set _ZN4vllm25paged_attention_v1_kernelIthLi192ELi16ELi128ELNS_18Fp8KVCacheDataTypeE1ELb0EEEvPT_PKS2_PKT0_S8_ifPKiSA_iPKfiiiSC_SC_iiiii.uses_flat_scratch, 0
	.set _ZN4vllm25paged_attention_v1_kernelIthLi192ELi16ELi128ELNS_18Fp8KVCacheDataTypeE1ELb0EEEvPT_PKS2_PKT0_S8_ifPKiSA_iPKfiiiSC_SC_iiiii.has_dyn_sized_stack, 0
	.set _ZN4vllm25paged_attention_v1_kernelIthLi192ELi16ELi128ELNS_18Fp8KVCacheDataTypeE1ELb0EEEvPT_PKS2_PKT0_S8_ifPKiSA_iPKfiiiSC_SC_iiiii.has_recursion, 0
	.set _ZN4vllm25paged_attention_v1_kernelIthLi192ELi16ELi128ELNS_18Fp8KVCacheDataTypeE1ELb0EEEvPT_PKS2_PKT0_S8_ifPKiSA_iPKfiiiSC_SC_iiiii.has_indirect_call, 0
	.section	.AMDGPU.csdata,"",@progbits
; Kernel info:
; codeLenInByte = 28368
; TotalNumSgprs: 51
; NumVgprs: 81
; NumAgprs: 0
; TotalNumVgprs: 81
; ScratchSize: 0
; MemoryBound: 0
; FloatMode: 240
; IeeeMode: 1
; LDSByteSize: 400 bytes/workgroup (compile time only)
; SGPRBlocks: 6
; VGPRBlocks: 10
; NumSGPRsForWavesPerEU: 51
; NumVGPRsForWavesPerEU: 81
; AccumOffset: 84
; Occupancy: 5
; WaveLimiterHint : 1
; COMPUTE_PGM_RSRC2:SCRATCH_EN: 0
; COMPUTE_PGM_RSRC2:USER_SGPR: 2
; COMPUTE_PGM_RSRC2:TRAP_HANDLER: 0
; COMPUTE_PGM_RSRC2:TGID_X_EN: 1
; COMPUTE_PGM_RSRC2:TGID_Y_EN: 1
; COMPUTE_PGM_RSRC2:TGID_Z_EN: 1
; COMPUTE_PGM_RSRC2:TIDIG_COMP_CNT: 0
; COMPUTE_PGM_RSRC3_GFX90A:ACCUM_OFFSET: 20
; COMPUTE_PGM_RSRC3_GFX90A:TG_SPLIT: 0
	.section	.text._ZN4vllm25paged_attention_v1_kernelIthLi256ELi16ELi128ELNS_18Fp8KVCacheDataTypeE1ELb0EEEvPT_PKS2_PKT0_S8_ifPKiSA_iPKfiiiSC_SC_iiiii,"axG",@progbits,_ZN4vllm25paged_attention_v1_kernelIthLi256ELi16ELi128ELNS_18Fp8KVCacheDataTypeE1ELb0EEEvPT_PKS2_PKT0_S8_ifPKiSA_iPKfiiiSC_SC_iiiii,comdat
	.protected	_ZN4vllm25paged_attention_v1_kernelIthLi256ELi16ELi128ELNS_18Fp8KVCacheDataTypeE1ELb0EEEvPT_PKS2_PKT0_S8_ifPKiSA_iPKfiiiSC_SC_iiiii ; -- Begin function _ZN4vllm25paged_attention_v1_kernelIthLi256ELi16ELi128ELNS_18Fp8KVCacheDataTypeE1ELb0EEEvPT_PKS2_PKT0_S8_ifPKiSA_iPKfiiiSC_SC_iiiii
	.globl	_ZN4vllm25paged_attention_v1_kernelIthLi256ELi16ELi128ELNS_18Fp8KVCacheDataTypeE1ELb0EEEvPT_PKS2_PKT0_S8_ifPKiSA_iPKfiiiSC_SC_iiiii
	.p2align	8
	.type	_ZN4vllm25paged_attention_v1_kernelIthLi256ELi16ELi128ELNS_18Fp8KVCacheDataTypeE1ELb0EEEvPT_PKS2_PKT0_S8_ifPKiSA_iPKfiiiSC_SC_iiiii,@function
_ZN4vllm25paged_attention_v1_kernelIthLi256ELi16ELi128ELNS_18Fp8KVCacheDataTypeE1ELb0EEEvPT_PKS2_PKT0_S8_ifPKiSA_iPKfiiiSC_SC_iiiii: ; @_ZN4vllm25paged_attention_v1_kernelIthLi256ELi16ELi128ELNS_18Fp8KVCacheDataTypeE1ELb0EEEvPT_PKS2_PKT0_S8_ifPKiSA_iPKfiiiSC_SC_iiiii
; %bb.0:
	s_load_dword s5, s[0:1], 0x80
	s_load_dwordx2 s[6:7], s[0:1], 0x30
	s_load_dwordx2 s[28:29], s[0:1], 0x20
	s_mov_b32 s16, s3
	s_ashr_i32 s17, s3, 31
	s_lshl_b64 s[8:9], s[16:17], 2
	s_waitcnt lgkmcnt(0)
	s_add_u32 s6, s6, s8
	s_addc_u32 s7, s7, s9
	s_abs_i32 s3, s28
	v_cvt_f32_u32_e32 v1, s3
	s_sub_i32 s10, 0, s3
	s_abs_i32 s9, s5
	s_xor_b32 s8, s5, s28
	v_rcp_iflag_f32_e32 v1, v1
	s_ashr_i32 s8, s8, 31
	s_mov_b32 s28, 0
	v_mul_f32_e32 v1, 0x4f7ffffe, v1
	v_cvt_u32_f32_e32 v1, v1
	s_nop 0
	v_readfirstlane_b32 s11, v1
	s_mul_i32 s10, s10, s11
	s_mul_hi_u32 s10, s11, s10
	s_add_i32 s11, s11, s10
	s_mul_hi_u32 s10, s9, s11
	s_mul_i32 s11, s10, s3
	s_sub_i32 s9, s9, s11
	s_add_i32 s11, s10, 1
	s_sub_i32 s12, s9, s3
	s_cmp_ge_u32 s9, s3
	s_cselect_b32 s10, s11, s10
	s_cselect_b32 s9, s12, s9
	s_add_i32 s11, s10, 1
	s_cmp_ge_u32 s9, s3
	s_cselect_b32 s3, s11, s10
	s_xor_b32 s3, s3, s8
	s_sub_i32 s12, s3, s8
	s_abs_i32 s10, s12
	v_cvt_f32_u32_e32 v1, s10
	s_load_dwordx2 s[8:9], s[0:1], 0x40
	s_sub_i32 s3, 0, s10
	s_abs_i32 s11, s2
	v_rcp_iflag_f32_e32 v1, v1
	s_nop 0
	v_mul_f32_e32 v1, 0x4f7ffffe, v1
	v_cvt_u32_f32_e32 v1, v1
	s_nop 0
	v_readfirstlane_b32 s13, v1
	s_mul_i32 s3, s3, s13
	s_mul_hi_u32 s3, s13, s3
	s_add_i32 s13, s13, s3
	s_waitcnt lgkmcnt(0)
	s_cmp_eq_u64 s[8:9], 0
	s_mul_hi_u32 s17, s11, s13
	s_cbranch_scc1 .LBB251_2
; %bb.1:
	s_ashr_i32 s3, s2, 31
	s_lshl_b64 s[14:15], s[2:3], 2
	s_add_u32 s8, s8, s14
	s_addc_u32 s9, s9, s15
	s_load_dword s28, s[8:9], 0x0
.LBB251_2:
	s_load_dword s33, s[6:7], 0x0
	s_ashr_i32 s7, s12, 31
	s_load_dwordx4 s[12:15], s[0:1], 0x48
	s_ashr_i32 s6, s2, 31
	s_lshl_b32 s18, s2, 8
	s_movk_i32 s2, 0x80
	v_and_b32_e32 v4, 3, v0
	v_cmp_gt_u32_e32 vcc, s2, v0
	s_and_saveexec_b64 s[2:3], vcc
	s_cbranch_execz .LBB251_4
; %bb.3:
	s_load_dwordx2 s[8:9], s[0:1], 0x8
	s_waitcnt lgkmcnt(0)
	s_mul_i32 s20, s12, s16
	s_ashr_i32 s21, s20, 31
	s_lshl_b64 s[20:21], s[20:21], 1
	v_lshlrev_b32_e32 v1, 2, v0
	s_add_u32 s12, s8, s20
	s_addc_u32 s15, s9, s21
	s_ashr_i32 s19, s18, 31
	s_lshl_b64 s[8:9], s[18:19], 1
	s_add_u32 s8, s12, s8
	s_addc_u32 s9, s15, s9
	global_load_dword v1, v1, s[8:9]
	v_and_b32_e32 v2, 0x3fc, v0
	v_lshl_add_u32 v2, v4, 7, v2
	s_waitcnt vmcnt(0)
	ds_write_b32 v2, v1
.LBB251_4:
	s_or_b64 exec, exec, s[2:3]
	s_waitcnt lgkmcnt(0)
	s_add_i32 s3, s33, 15
	s_ashr_i32 s8, s3, 31
	s_lshr_b32 s8, s8, 28
	s_add_i32 s3, s3, s8
	s_ashr_i32 s19, s3, 4
	s_xor_b32 s3, s6, s7
	s_mul_i32 s6, s17, s10
	s_sub_i32 s6, s11, s6
	s_add_i32 s7, s17, 1
	s_sub_i32 s8, s6, s10
	s_load_dwordx2 s[22:23], s[0:1], 0x28
	s_load_dword s2, s[0:1], 0x38
	s_cmp_ge_u32 s6, s10
	s_cselect_b32 s7, s7, s17
	s_cselect_b32 s6, s8, s6
	s_add_i32 s8, s7, 1
	s_cmp_ge_u32 s6, s10
	s_cselect_b32 s6, s8, s7
	v_lshrrev_b32_e32 v28, 6, v0
	s_xor_b32 s6, s6, s3
	s_waitcnt lgkmcnt(0)
	s_mul_i32 s24, s2, s16
	s_sub_i32 s12, s6, s3
	s_ashr_i32 s25, s24, 31
	v_cmp_gt_i32_e64 s[6:7], s19, v28
	v_cmp_le_i32_e32 vcc, s19, v28
	v_mbcnt_lo_u32_b32 v9, -1, 0
	s_barrier
                                        ; implicit-def: $vgpr10
                                        ; implicit-def: $vgpr8
                                        ; implicit-def: $vgpr2
	s_and_saveexec_b64 s[2:3], vcc
	s_xor_b64 s[2:3], exec, s[2:3]
; %bb.5:
	v_mbcnt_hi_u32_b32 v10, -1, v9
	v_and_b32_e32 v8, 64, v10
	v_add_u32_e32 v2, 64, v8
                                        ; implicit-def: $vgpr4
                                        ; implicit-def: $vgpr9
; %bb.6:
	s_or_saveexec_b64 s[30:31], s[2:3]
	s_load_dwordx2 s[20:21], s[0:1], 0x0
	s_load_dwordx2 s[26:27], s[0:1], 0x18
	s_load_dword s17, s[0:1], 0x88
	s_load_dwordx4 s[8:11], s[0:1], 0x58
	v_mov_b32_e32 v11, 0xff7fffff
	s_mul_i32 s12, s12, s14
	v_lshrrev_b32_e32 v1, 4, v0
	s_xor_b64 exec, exec, s[30:31]
	s_cbranch_execz .LBB251_396
; %bb.7:
	s_load_dwordx2 s[0:1], s[0:1], 0x10
	s_ashr_i32 s2, s12, 31
	v_bfe_u32 v8, v0, 2, 4
	v_lshlrev_b32_e32 v2, 4, v8
	v_mov_b32_e32 v3, 0
	s_waitcnt lgkmcnt(0)
	s_add_u32 s0, s0, s12
	s_addc_u32 s1, s1, s2
	v_lshl_add_u64 v[6:7], s[0:1], 0, v[2:3]
	v_lshlrev_b32_e32 v2, 1, v4
	v_lshlrev_b32_e32 v12, 7, v4
	v_cmp_eq_u32_e32 vcc, 0, v4
	v_lshl_add_u64 v[4:5], v[6:7], 0, v[2:3]
	s_sub_i32 s41, 1, s33
	v_lshlrev_b32_e32 v2, 2, v8
	s_lshl_b64 s[0:1], s[24:25], 2
	v_lshl_or_b32 v2, v28, 6, v2
	s_add_u32 s0, s22, s0
	v_add_u32_e32 v14, 0x210, v2
	v_and_b32_e32 v2, 60, v1
	s_addc_u32 s1, s23, s1
	s_mov_b32 s40, s13
	v_cmp_neq_f32_e64 s[2:3], s28, 0
	v_lshl_or_b32 v13, v28, 4, v8
	v_lshl_add_u64 v[6:7], s[0:1], 0, v[2:3]
	v_mov_b32_e32 v11, 0xff7fffff
	s_mov_b64 s[14:15], 0
	s_movk_i32 s42, 0x80
	s_movk_i32 s43, 0x7f
	s_mov_b32 s44, 0x8000
	v_mbcnt_hi_u32_b32 v10, -1, v9
	v_mov_b32_e32 v15, 0x2000
	v_mov_b32_e32 v16, v28
	s_branch .LBB251_9
.LBB251_8:                              ;   in Loop: Header=BB251_9 Depth=1
	s_or_b64 exec, exec, s[34:35]
	v_add_u32_e32 v16, 2, v16
	v_cmp_le_i32_e64 s[0:1], s19, v16
	v_add_u32_e32 v13, 32, v13
	v_add_u32_e32 v14, 0x80, v14
	s_or_b64 s[14:15], s[0:1], s[14:15]
	v_lshl_add_u64 v[6:7], v[6:7], 0, 8
	s_andn2_b64 exec, exec, s[14:15]
	s_cbranch_execz .LBB251_395
.LBB251_9:                              ; =>This Inner Loop Header: Depth=1
	global_load_dword v2, v[6:7], off
	s_waitcnt vmcnt(0)
	v_mad_i64_i32 v[8:9], s[0:1], v2, s40, v[4:5]
	global_load_ushort v18, v[8:9], off
	s_waitcnt lgkmcnt(0)
	global_load_dword v17, v3, s[8:9]
	s_waitcnt vmcnt(1)
	v_and_b32_e32 v2, 0xffff, v18
	v_cmp_ne_u16_sdwa s[0:1], v18, v3 src0_sel:BYTE_0 src1_sel:DWORD
	v_mov_b32_e32 v18, 0
	s_and_saveexec_b64 s[34:35], s[0:1]
	s_cbranch_execz .LBB251_15
; %bb.10:                               ;   in Loop: Header=BB251_9 Depth=1
	v_cmp_ne_u16_sdwa s[0:1], v2, s42 src0_sel:BYTE_0 src1_sel:DWORD
	v_mov_b32_e32 v18, 0x8000
	s_and_saveexec_b64 s[36:37], s[0:1]
	s_cbranch_execz .LBB251_14
; %bb.11:                               ;   in Loop: Header=BB251_9 Depth=1
	v_and_b32_e32 v19, 0x7f, v2
	v_cmp_ne_u32_e64 s[0:1], s43, v19
	v_mov_b32_e32 v18, 0x7c01
	s_and_saveexec_b64 s[38:39], s[0:1]
	s_cbranch_execz .LBB251_13
; %bb.12:                               ;   in Loop: Header=BB251_9 Depth=1
	v_and_b32_e32 v18, 7, v2
	v_ffbh_u32_e32 v20, v18
	v_min_u32_e32 v23, 32, v20
	v_subrev_u32_e32 v20, 28, v23
	v_lshlrev_b64 v[20:21], v20, v[2:3]
	v_lshrrev_b32_e32 v22, 3, v19
	v_sub_u32_e32 v21, 29, v23
	v_cmp_gt_u32_e64 s[0:1], 8, v19
	v_and_b32_e32 v20, 7, v20
	s_nop 0
	v_cndmask_b32_e64 v19, v22, v21, s[0:1]
	v_lshl_add_u32 v19, v19, 10, v15
	v_lshlrev_b32_e32 v21, 8, v2
	v_and_b32_e32 v19, 0xfc00, v19
	v_cndmask_b32_e64 v18, v18, v20, s[0:1]
	v_and_or_b32 v19, v21, s44, v19
	v_lshl_or_b32 v18, v18, 7, v19
.LBB251_13:                             ;   in Loop: Header=BB251_9 Depth=1
	s_or_b64 exec, exec, s[38:39]
.LBB251_14:                             ;   in Loop: Header=BB251_9 Depth=1
	s_or_b64 exec, exec, s[36:37]
.LBB251_15:                             ;   in Loop: Header=BB251_9 Depth=1
	s_or_b64 exec, exec, s[34:35]
	v_lshrrev_b16_e32 v2, 8, v2
	v_cmp_ne_u16_e64 s[0:1], 0, v2
	v_mov_b32_e32 v19, 0
	v_mov_b32_e32 v20, 0
	s_and_saveexec_b64 s[34:35], s[0:1]
	s_cbranch_execz .LBB251_21
; %bb.16:                               ;   in Loop: Header=BB251_9 Depth=1
	v_cmp_ne_u16_e64 s[0:1], s42, v2
	v_bfrev_b32_e32 v20, 1
	s_and_saveexec_b64 s[36:37], s[0:1]
	s_cbranch_execz .LBB251_20
; %bb.17:                               ;   in Loop: Header=BB251_9 Depth=1
	v_and_b32_e32 v21, 0x7f, v2
	v_cmp_ne_u32_e64 s[0:1], s43, v21
	v_mov_b32_e32 v20, 0x7c010000
	s_and_saveexec_b64 s[38:39], s[0:1]
	s_cbranch_execz .LBB251_19
; %bb.18:                               ;   in Loop: Header=BB251_9 Depth=1
	v_and_b32_e32 v20, 7, v2
	v_ffbh_u32_e32 v22, v20
	v_min_u32_e32 v25, 32, v22
	v_subrev_u32_e32 v22, 28, v25
	v_lshlrev_b64 v[22:23], v22, v[2:3]
	v_lshrrev_b32_e32 v24, 3, v21
	v_sub_u32_e32 v23, 29, v25
	v_cmp_gt_u32_e64 s[0:1], 8, v21
	v_lshlrev_b32_e32 v2, 8, v2
	v_and_b32_e32 v22, 7, v22
	v_cndmask_b32_e64 v21, v24, v23, s[0:1]
	v_lshl_add_u32 v21, v21, 10, v15
	v_and_or_b32 v2, v2, s44, v21
	v_cndmask_b32_e64 v20, v20, v22, s[0:1]
	v_lshlrev_b32_e32 v2, 16, v2
	v_lshl_or_b32 v20, v20, 23, v2
.LBB251_19:                             ;   in Loop: Header=BB251_9 Depth=1
	s_or_b64 exec, exec, s[38:39]
.LBB251_20:                             ;   in Loop: Header=BB251_9 Depth=1
	s_or_b64 exec, exec, s[36:37]
.LBB251_21:                             ;   in Loop: Header=BB251_9 Depth=1
	s_or_b64 exec, exec, s[34:35]
	global_load_ushort v21, v[8:9], off offset:8
	s_waitcnt vmcnt(0)
	v_and_b32_e32 v2, 0xffff, v21
	v_cmp_ne_u16_sdwa s[0:1], v21, v3 src0_sel:BYTE_0 src1_sel:DWORD
	s_and_saveexec_b64 s[34:35], s[0:1]
	s_cbranch_execz .LBB251_27
; %bb.22:                               ;   in Loop: Header=BB251_9 Depth=1
	v_cmp_ne_u16_sdwa s[0:1], v2, s42 src0_sel:BYTE_0 src1_sel:DWORD
	v_mov_b32_e32 v19, 0x8000
	s_and_saveexec_b64 s[36:37], s[0:1]
	s_cbranch_execz .LBB251_26
; %bb.23:                               ;   in Loop: Header=BB251_9 Depth=1
	v_and_b32_e32 v21, 0x7f, v2
	v_cmp_ne_u32_e64 s[0:1], s43, v21
	v_mov_b32_e32 v19, 0x7c01
	s_and_saveexec_b64 s[38:39], s[0:1]
	s_cbranch_execz .LBB251_25
; %bb.24:                               ;   in Loop: Header=BB251_9 Depth=1
	v_and_b32_e32 v19, 7, v2
	v_ffbh_u32_e32 v22, v19
	v_min_u32_e32 v25, 32, v22
	v_subrev_u32_e32 v22, 28, v25
	v_lshlrev_b64 v[22:23], v22, v[2:3]
	v_lshrrev_b32_e32 v24, 3, v21
	v_sub_u32_e32 v23, 29, v25
	v_cmp_gt_u32_e64 s[0:1], 8, v21
	v_and_b32_e32 v22, 7, v22
	s_nop 0
	v_cndmask_b32_e64 v21, v24, v23, s[0:1]
	v_lshl_add_u32 v21, v21, 10, v15
	v_lshlrev_b32_e32 v23, 8, v2
	v_and_b32_e32 v21, 0xfc00, v21
	v_cndmask_b32_e64 v19, v19, v22, s[0:1]
	v_and_or_b32 v21, v23, s44, v21
	v_lshl_or_b32 v19, v19, 7, v21
.LBB251_25:                             ;   in Loop: Header=BB251_9 Depth=1
	s_or_b64 exec, exec, s[38:39]
.LBB251_26:                             ;   in Loop: Header=BB251_9 Depth=1
	s_or_b64 exec, exec, s[36:37]
.LBB251_27:                             ;   in Loop: Header=BB251_9 Depth=1
	s_or_b64 exec, exec, s[34:35]
	v_lshrrev_b16_e32 v2, 8, v2
	v_cmp_ne_u16_e64 s[0:1], 0, v2
	v_mov_b32_e32 v21, 0
	v_mov_b32_e32 v22, 0
	s_and_saveexec_b64 s[34:35], s[0:1]
	s_cbranch_execz .LBB251_33
; %bb.28:                               ;   in Loop: Header=BB251_9 Depth=1
	v_cmp_ne_u16_e64 s[0:1], s42, v2
	v_bfrev_b32_e32 v22, 1
	s_and_saveexec_b64 s[36:37], s[0:1]
	s_cbranch_execz .LBB251_32
; %bb.29:                               ;   in Loop: Header=BB251_9 Depth=1
	v_and_b32_e32 v23, 0x7f, v2
	v_cmp_ne_u32_e64 s[0:1], s43, v23
	v_mov_b32_e32 v22, 0x7c010000
	s_and_saveexec_b64 s[38:39], s[0:1]
	s_cbranch_execz .LBB251_31
; %bb.30:                               ;   in Loop: Header=BB251_9 Depth=1
	v_and_b32_e32 v22, 7, v2
	v_ffbh_u32_e32 v24, v22
	v_min_u32_e32 v27, 32, v24
	v_subrev_u32_e32 v24, 28, v27
	v_lshlrev_b64 v[24:25], v24, v[2:3]
	v_lshrrev_b32_e32 v26, 3, v23
	v_sub_u32_e32 v25, 29, v27
	v_cmp_gt_u32_e64 s[0:1], 8, v23
	v_lshlrev_b32_e32 v2, 8, v2
	v_and_b32_e32 v24, 7, v24
	v_cndmask_b32_e64 v23, v26, v25, s[0:1]
	v_lshl_add_u32 v23, v23, 10, v15
	v_and_or_b32 v2, v2, s44, v23
	v_cndmask_b32_e64 v22, v22, v24, s[0:1]
	v_lshlrev_b32_e32 v2, 16, v2
	v_lshl_or_b32 v22, v22, 23, v2
.LBB251_31:                             ;   in Loop: Header=BB251_9 Depth=1
	s_or_b64 exec, exec, s[38:39]
.LBB251_32:                             ;   in Loop: Header=BB251_9 Depth=1
	s_or_b64 exec, exec, s[36:37]
.LBB251_33:                             ;   in Loop: Header=BB251_9 Depth=1
	s_or_b64 exec, exec, s[34:35]
	global_load_ushort v23, v[8:9], off offset:256
	s_waitcnt vmcnt(0)
	v_and_b32_e32 v2, 0xffff, v23
	v_cmp_ne_u16_sdwa s[0:1], v23, v3 src0_sel:BYTE_0 src1_sel:DWORD
	s_and_saveexec_b64 s[34:35], s[0:1]
	s_cbranch_execz .LBB251_39
; %bb.34:                               ;   in Loop: Header=BB251_9 Depth=1
	v_cmp_ne_u16_sdwa s[0:1], v2, s42 src0_sel:BYTE_0 src1_sel:DWORD
	v_mov_b32_e32 v21, 0x8000
	s_and_saveexec_b64 s[36:37], s[0:1]
	s_cbranch_execz .LBB251_38
; %bb.35:                               ;   in Loop: Header=BB251_9 Depth=1
	v_and_b32_e32 v23, 0x7f, v2
	v_cmp_ne_u32_e64 s[0:1], s43, v23
	v_mov_b32_e32 v21, 0x7c01
	s_and_saveexec_b64 s[38:39], s[0:1]
	s_cbranch_execz .LBB251_37
; %bb.36:                               ;   in Loop: Header=BB251_9 Depth=1
	v_and_b32_e32 v21, 7, v2
	v_ffbh_u32_e32 v24, v21
	v_min_u32_e32 v27, 32, v24
	v_subrev_u32_e32 v24, 28, v27
	v_lshlrev_b64 v[24:25], v24, v[2:3]
	v_lshrrev_b32_e32 v26, 3, v23
	v_sub_u32_e32 v25, 29, v27
	v_cmp_gt_u32_e64 s[0:1], 8, v23
	v_and_b32_e32 v24, 7, v24
	s_nop 0
	v_cndmask_b32_e64 v23, v26, v25, s[0:1]
	v_lshl_add_u32 v23, v23, 10, v15
	v_lshlrev_b32_e32 v25, 8, v2
	v_and_b32_e32 v23, 0xfc00, v23
	v_cndmask_b32_e64 v21, v21, v24, s[0:1]
	v_and_or_b32 v23, v25, s44, v23
	v_lshl_or_b32 v21, v21, 7, v23
.LBB251_37:                             ;   in Loop: Header=BB251_9 Depth=1
	s_or_b64 exec, exec, s[38:39]
.LBB251_38:                             ;   in Loop: Header=BB251_9 Depth=1
	s_or_b64 exec, exec, s[36:37]
.LBB251_39:                             ;   in Loop: Header=BB251_9 Depth=1
	s_or_b64 exec, exec, s[34:35]
	v_lshrrev_b16_e32 v2, 8, v2
	v_cmp_ne_u16_e64 s[0:1], 0, v2
	v_mov_b32_e32 v23, 0
	v_mov_b32_e32 v24, 0
	s_and_saveexec_b64 s[34:35], s[0:1]
	s_cbranch_execz .LBB251_45
; %bb.40:                               ;   in Loop: Header=BB251_9 Depth=1
	v_cmp_ne_u16_e64 s[0:1], s42, v2
	v_bfrev_b32_e32 v24, 1
	s_and_saveexec_b64 s[36:37], s[0:1]
	s_cbranch_execz .LBB251_44
; %bb.41:                               ;   in Loop: Header=BB251_9 Depth=1
	v_and_b32_e32 v25, 0x7f, v2
	v_cmp_ne_u32_e64 s[0:1], s43, v25
	v_mov_b32_e32 v24, 0x7c010000
	s_and_saveexec_b64 s[38:39], s[0:1]
	s_cbranch_execz .LBB251_43
; %bb.42:                               ;   in Loop: Header=BB251_9 Depth=1
	v_and_b32_e32 v24, 7, v2
	v_ffbh_u32_e32 v26, v24
	v_min_u32_e32 v30, 32, v26
	v_subrev_u32_e32 v26, 28, v30
	v_lshlrev_b64 v[26:27], v26, v[2:3]
	v_lshrrev_b32_e32 v29, 3, v25
	v_sub_u32_e32 v27, 29, v30
	v_cmp_gt_u32_e64 s[0:1], 8, v25
	v_lshlrev_b32_e32 v2, 8, v2
	v_and_b32_e32 v26, 7, v26
	v_cndmask_b32_e64 v25, v29, v27, s[0:1]
	v_lshl_add_u32 v25, v25, 10, v15
	v_and_or_b32 v2, v2, s44, v25
	v_cndmask_b32_e64 v24, v24, v26, s[0:1]
	v_lshlrev_b32_e32 v2, 16, v2
	v_lshl_or_b32 v24, v24, 23, v2
.LBB251_43:                             ;   in Loop: Header=BB251_9 Depth=1
	s_or_b64 exec, exec, s[38:39]
.LBB251_44:                             ;   in Loop: Header=BB251_9 Depth=1
	s_or_b64 exec, exec, s[36:37]
.LBB251_45:                             ;   in Loop: Header=BB251_9 Depth=1
	s_or_b64 exec, exec, s[34:35]
	global_load_ushort v25, v[8:9], off offset:264
	s_waitcnt vmcnt(0)
	v_and_b32_e32 v2, 0xffff, v25
	v_cmp_ne_u16_sdwa s[0:1], v25, v3 src0_sel:BYTE_0 src1_sel:DWORD
	s_and_saveexec_b64 s[34:35], s[0:1]
	s_cbranch_execz .LBB251_51
; %bb.46:                               ;   in Loop: Header=BB251_9 Depth=1
	v_cmp_ne_u16_sdwa s[0:1], v2, s42 src0_sel:BYTE_0 src1_sel:DWORD
	v_mov_b32_e32 v23, 0x8000
	s_and_saveexec_b64 s[36:37], s[0:1]
	s_cbranch_execz .LBB251_50
; %bb.47:                               ;   in Loop: Header=BB251_9 Depth=1
	v_and_b32_e32 v25, 0x7f, v2
	v_cmp_ne_u32_e64 s[0:1], s43, v25
	v_mov_b32_e32 v23, 0x7c01
	s_and_saveexec_b64 s[38:39], s[0:1]
	s_cbranch_execz .LBB251_49
; %bb.48:                               ;   in Loop: Header=BB251_9 Depth=1
	v_and_b32_e32 v23, 7, v2
	v_ffbh_u32_e32 v26, v23
	v_min_u32_e32 v30, 32, v26
	v_subrev_u32_e32 v26, 28, v30
	v_lshlrev_b64 v[26:27], v26, v[2:3]
	v_lshrrev_b32_e32 v29, 3, v25
	v_sub_u32_e32 v27, 29, v30
	v_cmp_gt_u32_e64 s[0:1], 8, v25
	v_and_b32_e32 v26, 7, v26
	s_nop 0
	v_cndmask_b32_e64 v25, v29, v27, s[0:1]
	v_lshl_add_u32 v25, v25, 10, v15
	v_lshlrev_b32_e32 v27, 8, v2
	v_and_b32_e32 v25, 0xfc00, v25
	v_cndmask_b32_e64 v23, v23, v26, s[0:1]
	v_and_or_b32 v25, v27, s44, v25
	v_lshl_or_b32 v23, v23, 7, v25
.LBB251_49:                             ;   in Loop: Header=BB251_9 Depth=1
	s_or_b64 exec, exec, s[38:39]
.LBB251_50:                             ;   in Loop: Header=BB251_9 Depth=1
	s_or_b64 exec, exec, s[36:37]
.LBB251_51:                             ;   in Loop: Header=BB251_9 Depth=1
	s_or_b64 exec, exec, s[34:35]
	v_lshrrev_b16_e32 v2, 8, v2
	v_cmp_ne_u16_e64 s[0:1], 0, v2
	v_mov_b32_e32 v25, 0
	v_mov_b32_e32 v26, 0
	s_and_saveexec_b64 s[34:35], s[0:1]
	s_cbranch_execz .LBB251_57
; %bb.52:                               ;   in Loop: Header=BB251_9 Depth=1
	v_cmp_ne_u16_e64 s[0:1], s42, v2
	v_bfrev_b32_e32 v26, 1
	s_and_saveexec_b64 s[36:37], s[0:1]
	s_cbranch_execz .LBB251_56
; %bb.53:                               ;   in Loop: Header=BB251_9 Depth=1
	v_and_b32_e32 v27, 0x7f, v2
	v_cmp_ne_u32_e64 s[0:1], s43, v27
	v_mov_b32_e32 v26, 0x7c010000
	s_and_saveexec_b64 s[38:39], s[0:1]
	s_cbranch_execz .LBB251_55
; %bb.54:                               ;   in Loop: Header=BB251_9 Depth=1
	v_and_b32_e32 v26, 7, v2
	v_ffbh_u32_e32 v30, v26
	v_min_u32_e32 v32, 32, v30
	v_subrev_u32_e32 v30, 28, v32
	v_lshlrev_b64 v[30:31], v30, v[2:3]
	v_lshrrev_b32_e32 v29, 3, v27
	v_sub_u32_e32 v31, 29, v32
	v_cmp_gt_u32_e64 s[0:1], 8, v27
	v_lshlrev_b32_e32 v2, 8, v2
	s_nop 0
	v_cndmask_b32_e64 v27, v29, v31, s[0:1]
	v_lshl_add_u32 v27, v27, 10, v15
	v_and_b32_e32 v29, 7, v30
	v_and_or_b32 v2, v2, s44, v27
	v_cndmask_b32_e64 v26, v26, v29, s[0:1]
	v_lshlrev_b32_e32 v2, 16, v2
	v_lshl_or_b32 v26, v26, 23, v2
.LBB251_55:                             ;   in Loop: Header=BB251_9 Depth=1
	s_or_b64 exec, exec, s[38:39]
.LBB251_56:                             ;   in Loop: Header=BB251_9 Depth=1
	s_or_b64 exec, exec, s[36:37]
.LBB251_57:                             ;   in Loop: Header=BB251_9 Depth=1
	s_or_b64 exec, exec, s[34:35]
	global_load_ushort v27, v[8:9], off offset:512
	s_waitcnt vmcnt(0)
	v_and_b32_e32 v2, 0xffff, v27
	v_cmp_ne_u16_sdwa s[0:1], v27, v3 src0_sel:BYTE_0 src1_sel:DWORD
	s_and_saveexec_b64 s[34:35], s[0:1]
	s_cbranch_execz .LBB251_63
; %bb.58:                               ;   in Loop: Header=BB251_9 Depth=1
	v_cmp_ne_u16_sdwa s[0:1], v2, s42 src0_sel:BYTE_0 src1_sel:DWORD
	v_mov_b32_e32 v25, 0x8000
	s_and_saveexec_b64 s[36:37], s[0:1]
	s_cbranch_execz .LBB251_62
; %bb.59:                               ;   in Loop: Header=BB251_9 Depth=1
	v_and_b32_e32 v27, 0x7f, v2
	v_cmp_ne_u32_e64 s[0:1], s43, v27
	v_mov_b32_e32 v25, 0x7c01
	s_and_saveexec_b64 s[38:39], s[0:1]
	s_cbranch_execz .LBB251_61
; %bb.60:                               ;   in Loop: Header=BB251_9 Depth=1
	v_and_b32_e32 v25, 7, v2
	v_ffbh_u32_e32 v30, v25
	v_min_u32_e32 v32, 32, v30
	v_subrev_u32_e32 v30, 28, v32
	v_lshlrev_b64 v[30:31], v30, v[2:3]
	v_lshrrev_b32_e32 v29, 3, v27
	v_sub_u32_e32 v31, 29, v32
	v_cmp_gt_u32_e64 s[0:1], 8, v27
	v_and_b32_e32 v30, 7, v30
	s_nop 0
	v_cndmask_b32_e64 v27, v29, v31, s[0:1]
	v_lshl_add_u32 v27, v27, 10, v15
	v_lshlrev_b32_e32 v29, 8, v2
	v_and_b32_e32 v27, 0xfc00, v27
	v_cndmask_b32_e64 v25, v25, v30, s[0:1]
	v_and_or_b32 v27, v29, s44, v27
	v_lshl_or_b32 v25, v25, 7, v27
.LBB251_61:                             ;   in Loop: Header=BB251_9 Depth=1
	s_or_b64 exec, exec, s[38:39]
.LBB251_62:                             ;   in Loop: Header=BB251_9 Depth=1
	s_or_b64 exec, exec, s[36:37]
.LBB251_63:                             ;   in Loop: Header=BB251_9 Depth=1
	s_or_b64 exec, exec, s[34:35]
	v_lshrrev_b16_e32 v2, 8, v2
	v_cmp_ne_u16_e64 s[0:1], 0, v2
	v_mov_b32_e32 v27, 0
	v_mov_b32_e32 v29, 0
	s_and_saveexec_b64 s[34:35], s[0:1]
	s_cbranch_execz .LBB251_69
; %bb.64:                               ;   in Loop: Header=BB251_9 Depth=1
	v_cmp_ne_u16_e64 s[0:1], s42, v2
	v_bfrev_b32_e32 v29, 1
	s_and_saveexec_b64 s[36:37], s[0:1]
	s_cbranch_execz .LBB251_68
; %bb.65:                               ;   in Loop: Header=BB251_9 Depth=1
	v_and_b32_e32 v30, 0x7f, v2
	v_cmp_ne_u32_e64 s[0:1], s43, v30
	v_mov_b32_e32 v29, 0x7c010000
	s_and_saveexec_b64 s[38:39], s[0:1]
	s_cbranch_execz .LBB251_67
; %bb.66:                               ;   in Loop: Header=BB251_9 Depth=1
	v_and_b32_e32 v29, 7, v2
	v_ffbh_u32_e32 v32, v29
	v_min_u32_e32 v34, 32, v32
	v_subrev_u32_e32 v32, 28, v34
	v_lshlrev_b64 v[32:33], v32, v[2:3]
	v_lshrrev_b32_e32 v31, 3, v30
	v_sub_u32_e32 v33, 29, v34
	v_cmp_gt_u32_e64 s[0:1], 8, v30
	v_lshlrev_b32_e32 v2, 8, v2
	s_nop 0
	v_cndmask_b32_e64 v30, v31, v33, s[0:1]
	v_lshl_add_u32 v30, v30, 10, v15
	v_and_b32_e32 v31, 7, v32
	v_and_or_b32 v2, v2, s44, v30
	v_cndmask_b32_e64 v29, v29, v31, s[0:1]
	v_lshlrev_b32_e32 v2, 16, v2
	v_lshl_or_b32 v29, v29, 23, v2
.LBB251_67:                             ;   in Loop: Header=BB251_9 Depth=1
	s_or_b64 exec, exec, s[38:39]
.LBB251_68:                             ;   in Loop: Header=BB251_9 Depth=1
	s_or_b64 exec, exec, s[36:37]
.LBB251_69:                             ;   in Loop: Header=BB251_9 Depth=1
	s_or_b64 exec, exec, s[34:35]
	global_load_ushort v30, v[8:9], off offset:520
	s_waitcnt vmcnt(0)
	v_and_b32_e32 v2, 0xffff, v30
	v_cmp_ne_u16_sdwa s[0:1], v30, v3 src0_sel:BYTE_0 src1_sel:DWORD
	s_and_saveexec_b64 s[34:35], s[0:1]
	s_cbranch_execz .LBB251_75
; %bb.70:                               ;   in Loop: Header=BB251_9 Depth=1
	v_cmp_ne_u16_sdwa s[0:1], v2, s42 src0_sel:BYTE_0 src1_sel:DWORD
	v_mov_b32_e32 v27, 0x8000
	s_and_saveexec_b64 s[36:37], s[0:1]
	s_cbranch_execz .LBB251_74
; %bb.71:                               ;   in Loop: Header=BB251_9 Depth=1
	v_and_b32_e32 v30, 0x7f, v2
	v_cmp_ne_u32_e64 s[0:1], s43, v30
	v_mov_b32_e32 v27, 0x7c01
	s_and_saveexec_b64 s[38:39], s[0:1]
	s_cbranch_execz .LBB251_73
; %bb.72:                               ;   in Loop: Header=BB251_9 Depth=1
	v_and_b32_e32 v27, 7, v2
	v_ffbh_u32_e32 v32, v27
	v_min_u32_e32 v34, 32, v32
	v_subrev_u32_e32 v32, 28, v34
	v_lshlrev_b64 v[32:33], v32, v[2:3]
	v_lshrrev_b32_e32 v31, 3, v30
	v_sub_u32_e32 v33, 29, v34
	v_cmp_gt_u32_e64 s[0:1], 8, v30
	v_and_b32_e32 v32, 7, v32
	s_nop 0
	v_cndmask_b32_e64 v30, v31, v33, s[0:1]
	v_lshl_add_u32 v30, v30, 10, v15
	v_lshlrev_b32_e32 v31, 8, v2
	v_and_b32_e32 v30, 0xfc00, v30
	v_cndmask_b32_e64 v27, v27, v32, s[0:1]
	v_and_or_b32 v30, v31, s44, v30
	v_lshl_or_b32 v27, v27, 7, v30
.LBB251_73:                             ;   in Loop: Header=BB251_9 Depth=1
	s_or_b64 exec, exec, s[38:39]
.LBB251_74:                             ;   in Loop: Header=BB251_9 Depth=1
	s_or_b64 exec, exec, s[36:37]
.LBB251_75:                             ;   in Loop: Header=BB251_9 Depth=1
	s_or_b64 exec, exec, s[34:35]
	v_lshrrev_b16_e32 v2, 8, v2
	v_cmp_ne_u16_e64 s[0:1], 0, v2
	v_mov_b32_e32 v30, 0
	v_mov_b32_e32 v31, 0
	s_and_saveexec_b64 s[34:35], s[0:1]
	s_cbranch_execz .LBB251_81
; %bb.76:                               ;   in Loop: Header=BB251_9 Depth=1
	v_cmp_ne_u16_e64 s[0:1], s42, v2
	v_bfrev_b32_e32 v31, 1
	s_and_saveexec_b64 s[36:37], s[0:1]
	s_cbranch_execz .LBB251_80
; %bb.77:                               ;   in Loop: Header=BB251_9 Depth=1
	v_and_b32_e32 v32, 0x7f, v2
	v_cmp_ne_u32_e64 s[0:1], s43, v32
	v_mov_b32_e32 v31, 0x7c010000
	s_and_saveexec_b64 s[38:39], s[0:1]
	s_cbranch_execz .LBB251_79
; %bb.78:                               ;   in Loop: Header=BB251_9 Depth=1
	v_and_b32_e32 v31, 7, v2
	v_ffbh_u32_e32 v34, v31
	v_min_u32_e32 v36, 32, v34
	v_subrev_u32_e32 v34, 28, v36
	v_lshlrev_b64 v[34:35], v34, v[2:3]
	v_lshrrev_b32_e32 v33, 3, v32
	v_sub_u32_e32 v35, 29, v36
	v_cmp_gt_u32_e64 s[0:1], 8, v32
	v_lshlrev_b32_e32 v2, 8, v2
	s_nop 0
	v_cndmask_b32_e64 v32, v33, v35, s[0:1]
	v_lshl_add_u32 v32, v32, 10, v15
	v_and_b32_e32 v33, 7, v34
	v_and_or_b32 v2, v2, s44, v32
	v_cndmask_b32_e64 v31, v31, v33, s[0:1]
	v_lshlrev_b32_e32 v2, 16, v2
	v_lshl_or_b32 v31, v31, 23, v2
.LBB251_79:                             ;   in Loop: Header=BB251_9 Depth=1
	s_or_b64 exec, exec, s[38:39]
.LBB251_80:                             ;   in Loop: Header=BB251_9 Depth=1
	s_or_b64 exec, exec, s[36:37]
.LBB251_81:                             ;   in Loop: Header=BB251_9 Depth=1
	s_or_b64 exec, exec, s[34:35]
	global_load_ushort v32, v[8:9], off offset:768
	s_waitcnt vmcnt(0)
	v_and_b32_e32 v2, 0xffff, v32
	v_cmp_ne_u16_sdwa s[0:1], v32, v3 src0_sel:BYTE_0 src1_sel:DWORD
	s_and_saveexec_b64 s[34:35], s[0:1]
	s_cbranch_execz .LBB251_87
; %bb.82:                               ;   in Loop: Header=BB251_9 Depth=1
	v_cmp_ne_u16_sdwa s[0:1], v2, s42 src0_sel:BYTE_0 src1_sel:DWORD
	v_mov_b32_e32 v30, 0x8000
	s_and_saveexec_b64 s[36:37], s[0:1]
	s_cbranch_execz .LBB251_86
; %bb.83:                               ;   in Loop: Header=BB251_9 Depth=1
	v_and_b32_e32 v32, 0x7f, v2
	v_cmp_ne_u32_e64 s[0:1], s43, v32
	v_mov_b32_e32 v30, 0x7c01
	s_and_saveexec_b64 s[38:39], s[0:1]
	s_cbranch_execz .LBB251_85
; %bb.84:                               ;   in Loop: Header=BB251_9 Depth=1
	v_and_b32_e32 v30, 7, v2
	v_ffbh_u32_e32 v34, v30
	v_min_u32_e32 v36, 32, v34
	v_subrev_u32_e32 v34, 28, v36
	v_lshlrev_b64 v[34:35], v34, v[2:3]
	v_lshrrev_b32_e32 v33, 3, v32
	v_sub_u32_e32 v35, 29, v36
	v_cmp_gt_u32_e64 s[0:1], 8, v32
	v_and_b32_e32 v34, 7, v34
	s_nop 0
	v_cndmask_b32_e64 v32, v33, v35, s[0:1]
	v_lshl_add_u32 v32, v32, 10, v15
	v_lshlrev_b32_e32 v33, 8, v2
	v_and_b32_e32 v32, 0xfc00, v32
	v_cndmask_b32_e64 v30, v30, v34, s[0:1]
	v_and_or_b32 v32, v33, s44, v32
	v_lshl_or_b32 v30, v30, 7, v32
.LBB251_85:                             ;   in Loop: Header=BB251_9 Depth=1
	s_or_b64 exec, exec, s[38:39]
.LBB251_86:                             ;   in Loop: Header=BB251_9 Depth=1
	s_or_b64 exec, exec, s[36:37]
.LBB251_87:                             ;   in Loop: Header=BB251_9 Depth=1
	s_or_b64 exec, exec, s[34:35]
	v_lshrrev_b16_e32 v2, 8, v2
	v_cmp_ne_u16_e64 s[0:1], 0, v2
	v_mov_b32_e32 v32, 0
	v_mov_b32_e32 v33, 0
	s_and_saveexec_b64 s[34:35], s[0:1]
	s_cbranch_execz .LBB251_93
; %bb.88:                               ;   in Loop: Header=BB251_9 Depth=1
	v_cmp_ne_u16_e64 s[0:1], s42, v2
	v_bfrev_b32_e32 v33, 1
	s_and_saveexec_b64 s[36:37], s[0:1]
	s_cbranch_execz .LBB251_92
; %bb.89:                               ;   in Loop: Header=BB251_9 Depth=1
	v_and_b32_e32 v34, 0x7f, v2
	v_cmp_ne_u32_e64 s[0:1], s43, v34
	v_mov_b32_e32 v33, 0x7c010000
	s_and_saveexec_b64 s[38:39], s[0:1]
	s_cbranch_execz .LBB251_91
; %bb.90:                               ;   in Loop: Header=BB251_9 Depth=1
	v_and_b32_e32 v33, 7, v2
	v_ffbh_u32_e32 v36, v33
	v_min_u32_e32 v38, 32, v36
	v_subrev_u32_e32 v36, 28, v38
	v_lshlrev_b64 v[36:37], v36, v[2:3]
	v_lshrrev_b32_e32 v35, 3, v34
	v_sub_u32_e32 v37, 29, v38
	v_cmp_gt_u32_e64 s[0:1], 8, v34
	v_lshlrev_b32_e32 v2, 8, v2
	s_nop 0
	v_cndmask_b32_e64 v34, v35, v37, s[0:1]
	v_lshl_add_u32 v34, v34, 10, v15
	v_and_b32_e32 v35, 7, v36
	v_and_or_b32 v2, v2, s44, v34
	v_cndmask_b32_e64 v33, v33, v35, s[0:1]
	v_lshlrev_b32_e32 v2, 16, v2
	v_lshl_or_b32 v33, v33, 23, v2
.LBB251_91:                             ;   in Loop: Header=BB251_9 Depth=1
	s_or_b64 exec, exec, s[38:39]
.LBB251_92:                             ;   in Loop: Header=BB251_9 Depth=1
	s_or_b64 exec, exec, s[36:37]
.LBB251_93:                             ;   in Loop: Header=BB251_9 Depth=1
	s_or_b64 exec, exec, s[34:35]
	global_load_ushort v34, v[8:9], off offset:776
	s_waitcnt vmcnt(0)
	v_and_b32_e32 v2, 0xffff, v34
	v_cmp_ne_u16_sdwa s[0:1], v34, v3 src0_sel:BYTE_0 src1_sel:DWORD
	s_and_saveexec_b64 s[34:35], s[0:1]
	s_cbranch_execz .LBB251_99
; %bb.94:                               ;   in Loop: Header=BB251_9 Depth=1
	v_cmp_ne_u16_sdwa s[0:1], v2, s42 src0_sel:BYTE_0 src1_sel:DWORD
	v_mov_b32_e32 v32, 0x8000
	s_and_saveexec_b64 s[36:37], s[0:1]
	s_cbranch_execz .LBB251_98
; %bb.95:                               ;   in Loop: Header=BB251_9 Depth=1
	v_and_b32_e32 v34, 0x7f, v2
	v_cmp_ne_u32_e64 s[0:1], s43, v34
	v_mov_b32_e32 v32, 0x7c01
	s_and_saveexec_b64 s[38:39], s[0:1]
	s_cbranch_execz .LBB251_97
; %bb.96:                               ;   in Loop: Header=BB251_9 Depth=1
	v_and_b32_e32 v32, 7, v2
	v_ffbh_u32_e32 v36, v32
	v_min_u32_e32 v38, 32, v36
	v_subrev_u32_e32 v36, 28, v38
	v_lshlrev_b64 v[36:37], v36, v[2:3]
	v_lshrrev_b32_e32 v35, 3, v34
	v_sub_u32_e32 v37, 29, v38
	v_cmp_gt_u32_e64 s[0:1], 8, v34
	v_and_b32_e32 v36, 7, v36
	s_nop 0
	v_cndmask_b32_e64 v34, v35, v37, s[0:1]
	v_lshl_add_u32 v34, v34, 10, v15
	v_lshlrev_b32_e32 v35, 8, v2
	v_and_b32_e32 v34, 0xfc00, v34
	v_cndmask_b32_e64 v32, v32, v36, s[0:1]
	v_and_or_b32 v34, v35, s44, v34
	v_lshl_or_b32 v32, v32, 7, v34
.LBB251_97:                             ;   in Loop: Header=BB251_9 Depth=1
	s_or_b64 exec, exec, s[38:39]
.LBB251_98:                             ;   in Loop: Header=BB251_9 Depth=1
	s_or_b64 exec, exec, s[36:37]
.LBB251_99:                             ;   in Loop: Header=BB251_9 Depth=1
	s_or_b64 exec, exec, s[34:35]
	v_lshrrev_b16_e32 v2, 8, v2
	v_cmp_ne_u16_e64 s[0:1], 0, v2
	v_mov_b32_e32 v34, 0
	v_mov_b32_e32 v35, 0
	s_and_saveexec_b64 s[34:35], s[0:1]
	s_cbranch_execz .LBB251_105
; %bb.100:                              ;   in Loop: Header=BB251_9 Depth=1
	v_cmp_ne_u16_e64 s[0:1], s42, v2
	v_bfrev_b32_e32 v35, 1
	s_and_saveexec_b64 s[36:37], s[0:1]
	s_cbranch_execz .LBB251_104
; %bb.101:                              ;   in Loop: Header=BB251_9 Depth=1
	v_and_b32_e32 v36, 0x7f, v2
	v_cmp_ne_u32_e64 s[0:1], s43, v36
	v_mov_b32_e32 v35, 0x7c010000
	s_and_saveexec_b64 s[38:39], s[0:1]
	s_cbranch_execz .LBB251_103
; %bb.102:                              ;   in Loop: Header=BB251_9 Depth=1
	v_and_b32_e32 v35, 7, v2
	v_ffbh_u32_e32 v38, v35
	v_min_u32_e32 v40, 32, v38
	v_subrev_u32_e32 v38, 28, v40
	v_lshlrev_b64 v[38:39], v38, v[2:3]
	v_lshrrev_b32_e32 v37, 3, v36
	v_sub_u32_e32 v39, 29, v40
	v_cmp_gt_u32_e64 s[0:1], 8, v36
	v_lshlrev_b32_e32 v2, 8, v2
	s_nop 0
	v_cndmask_b32_e64 v36, v37, v39, s[0:1]
	v_lshl_add_u32 v36, v36, 10, v15
	v_and_b32_e32 v37, 7, v38
	v_and_or_b32 v2, v2, s44, v36
	v_cndmask_b32_e64 v35, v35, v37, s[0:1]
	v_lshlrev_b32_e32 v2, 16, v2
	v_lshl_or_b32 v35, v35, 23, v2
.LBB251_103:                            ;   in Loop: Header=BB251_9 Depth=1
	s_or_b64 exec, exec, s[38:39]
.LBB251_104:                            ;   in Loop: Header=BB251_9 Depth=1
	s_or_b64 exec, exec, s[36:37]
.LBB251_105:                            ;   in Loop: Header=BB251_9 Depth=1
	s_or_b64 exec, exec, s[34:35]
	global_load_ushort v36, v[8:9], off offset:1024
	s_waitcnt vmcnt(0)
	v_and_b32_e32 v2, 0xffff, v36
	v_cmp_ne_u16_sdwa s[0:1], v36, v3 src0_sel:BYTE_0 src1_sel:DWORD
	s_and_saveexec_b64 s[34:35], s[0:1]
	s_cbranch_execz .LBB251_111
; %bb.106:                              ;   in Loop: Header=BB251_9 Depth=1
	v_cmp_ne_u16_sdwa s[0:1], v2, s42 src0_sel:BYTE_0 src1_sel:DWORD
	v_mov_b32_e32 v34, 0x8000
	s_and_saveexec_b64 s[36:37], s[0:1]
	s_cbranch_execz .LBB251_110
; %bb.107:                              ;   in Loop: Header=BB251_9 Depth=1
	v_and_b32_e32 v36, 0x7f, v2
	v_cmp_ne_u32_e64 s[0:1], s43, v36
	v_mov_b32_e32 v34, 0x7c01
	s_and_saveexec_b64 s[38:39], s[0:1]
	s_cbranch_execz .LBB251_109
; %bb.108:                              ;   in Loop: Header=BB251_9 Depth=1
	v_and_b32_e32 v34, 7, v2
	v_ffbh_u32_e32 v38, v34
	v_min_u32_e32 v40, 32, v38
	v_subrev_u32_e32 v38, 28, v40
	v_lshlrev_b64 v[38:39], v38, v[2:3]
	v_lshrrev_b32_e32 v37, 3, v36
	v_sub_u32_e32 v39, 29, v40
	v_cmp_gt_u32_e64 s[0:1], 8, v36
	v_and_b32_e32 v38, 7, v38
	s_nop 0
	v_cndmask_b32_e64 v36, v37, v39, s[0:1]
	v_lshl_add_u32 v36, v36, 10, v15
	v_lshlrev_b32_e32 v37, 8, v2
	v_and_b32_e32 v36, 0xfc00, v36
	v_cndmask_b32_e64 v34, v34, v38, s[0:1]
	v_and_or_b32 v36, v37, s44, v36
	v_lshl_or_b32 v34, v34, 7, v36
.LBB251_109:                            ;   in Loop: Header=BB251_9 Depth=1
	s_or_b64 exec, exec, s[38:39]
.LBB251_110:                            ;   in Loop: Header=BB251_9 Depth=1
	s_or_b64 exec, exec, s[36:37]
.LBB251_111:                            ;   in Loop: Header=BB251_9 Depth=1
	s_or_b64 exec, exec, s[34:35]
	v_lshrrev_b16_e32 v2, 8, v2
	v_cmp_ne_u16_e64 s[0:1], 0, v2
	v_mov_b32_e32 v36, 0
	v_mov_b32_e32 v37, 0
	s_and_saveexec_b64 s[34:35], s[0:1]
	s_cbranch_execz .LBB251_117
; %bb.112:                              ;   in Loop: Header=BB251_9 Depth=1
	v_cmp_ne_u16_e64 s[0:1], s42, v2
	v_bfrev_b32_e32 v37, 1
	s_and_saveexec_b64 s[36:37], s[0:1]
	s_cbranch_execz .LBB251_116
; %bb.113:                              ;   in Loop: Header=BB251_9 Depth=1
	v_and_b32_e32 v38, 0x7f, v2
	v_cmp_ne_u32_e64 s[0:1], s43, v38
	v_mov_b32_e32 v37, 0x7c010000
	s_and_saveexec_b64 s[38:39], s[0:1]
	s_cbranch_execz .LBB251_115
; %bb.114:                              ;   in Loop: Header=BB251_9 Depth=1
	v_and_b32_e32 v37, 7, v2
	v_ffbh_u32_e32 v40, v37
	v_min_u32_e32 v42, 32, v40
	v_subrev_u32_e32 v40, 28, v42
	v_lshlrev_b64 v[40:41], v40, v[2:3]
	v_lshrrev_b32_e32 v39, 3, v38
	v_sub_u32_e32 v41, 29, v42
	v_cmp_gt_u32_e64 s[0:1], 8, v38
	v_lshlrev_b32_e32 v2, 8, v2
	s_nop 0
	v_cndmask_b32_e64 v38, v39, v41, s[0:1]
	v_lshl_add_u32 v38, v38, 10, v15
	v_and_b32_e32 v39, 7, v40
	v_and_or_b32 v2, v2, s44, v38
	v_cndmask_b32_e64 v37, v37, v39, s[0:1]
	v_lshlrev_b32_e32 v2, 16, v2
	v_lshl_or_b32 v37, v37, 23, v2
.LBB251_115:                            ;   in Loop: Header=BB251_9 Depth=1
	s_or_b64 exec, exec, s[38:39]
.LBB251_116:                            ;   in Loop: Header=BB251_9 Depth=1
	s_or_b64 exec, exec, s[36:37]
.LBB251_117:                            ;   in Loop: Header=BB251_9 Depth=1
	s_or_b64 exec, exec, s[34:35]
	global_load_ushort v38, v[8:9], off offset:1032
	s_waitcnt vmcnt(0)
	v_and_b32_e32 v2, 0xffff, v38
	v_cmp_ne_u16_sdwa s[0:1], v38, v3 src0_sel:BYTE_0 src1_sel:DWORD
	s_and_saveexec_b64 s[34:35], s[0:1]
	s_cbranch_execz .LBB251_123
; %bb.118:                              ;   in Loop: Header=BB251_9 Depth=1
	v_cmp_ne_u16_sdwa s[0:1], v2, s42 src0_sel:BYTE_0 src1_sel:DWORD
	v_mov_b32_e32 v36, 0x8000
	s_and_saveexec_b64 s[36:37], s[0:1]
	s_cbranch_execz .LBB251_122
; %bb.119:                              ;   in Loop: Header=BB251_9 Depth=1
	v_and_b32_e32 v38, 0x7f, v2
	v_cmp_ne_u32_e64 s[0:1], s43, v38
	v_mov_b32_e32 v36, 0x7c01
	s_and_saveexec_b64 s[38:39], s[0:1]
	s_cbranch_execz .LBB251_121
; %bb.120:                              ;   in Loop: Header=BB251_9 Depth=1
	v_and_b32_e32 v36, 7, v2
	v_ffbh_u32_e32 v40, v36
	v_min_u32_e32 v42, 32, v40
	v_subrev_u32_e32 v40, 28, v42
	v_lshlrev_b64 v[40:41], v40, v[2:3]
	v_lshrrev_b32_e32 v39, 3, v38
	v_sub_u32_e32 v41, 29, v42
	v_cmp_gt_u32_e64 s[0:1], 8, v38
	v_and_b32_e32 v40, 7, v40
	s_nop 0
	v_cndmask_b32_e64 v38, v39, v41, s[0:1]
	v_lshl_add_u32 v38, v38, 10, v15
	v_lshlrev_b32_e32 v39, 8, v2
	v_and_b32_e32 v38, 0xfc00, v38
	v_cndmask_b32_e64 v36, v36, v40, s[0:1]
	v_and_or_b32 v38, v39, s44, v38
	v_lshl_or_b32 v36, v36, 7, v38
.LBB251_121:                            ;   in Loop: Header=BB251_9 Depth=1
	s_or_b64 exec, exec, s[38:39]
.LBB251_122:                            ;   in Loop: Header=BB251_9 Depth=1
	s_or_b64 exec, exec, s[36:37]
.LBB251_123:                            ;   in Loop: Header=BB251_9 Depth=1
	s_or_b64 exec, exec, s[34:35]
	v_lshrrev_b16_e32 v2, 8, v2
	v_cmp_ne_u16_e64 s[0:1], 0, v2
	v_mov_b32_e32 v38, 0
	v_mov_b32_e32 v39, 0
	s_and_saveexec_b64 s[34:35], s[0:1]
	s_cbranch_execz .LBB251_129
; %bb.124:                              ;   in Loop: Header=BB251_9 Depth=1
	v_cmp_ne_u16_e64 s[0:1], s42, v2
	v_bfrev_b32_e32 v39, 1
	s_and_saveexec_b64 s[36:37], s[0:1]
	s_cbranch_execz .LBB251_128
; %bb.125:                              ;   in Loop: Header=BB251_9 Depth=1
	v_and_b32_e32 v40, 0x7f, v2
	v_cmp_ne_u32_e64 s[0:1], s43, v40
	v_mov_b32_e32 v39, 0x7c010000
	s_and_saveexec_b64 s[38:39], s[0:1]
	s_cbranch_execz .LBB251_127
; %bb.126:                              ;   in Loop: Header=BB251_9 Depth=1
	v_and_b32_e32 v39, 7, v2
	v_ffbh_u32_e32 v42, v39
	v_min_u32_e32 v44, 32, v42
	v_subrev_u32_e32 v42, 28, v44
	v_lshlrev_b64 v[42:43], v42, v[2:3]
	v_lshrrev_b32_e32 v41, 3, v40
	v_sub_u32_e32 v43, 29, v44
	v_cmp_gt_u32_e64 s[0:1], 8, v40
	v_lshlrev_b32_e32 v2, 8, v2
	s_nop 0
	v_cndmask_b32_e64 v40, v41, v43, s[0:1]
	v_lshl_add_u32 v40, v40, 10, v15
	v_and_b32_e32 v41, 7, v42
	v_and_or_b32 v2, v2, s44, v40
	v_cndmask_b32_e64 v39, v39, v41, s[0:1]
	v_lshlrev_b32_e32 v2, 16, v2
	v_lshl_or_b32 v39, v39, 23, v2
.LBB251_127:                            ;   in Loop: Header=BB251_9 Depth=1
	s_or_b64 exec, exec, s[38:39]
.LBB251_128:                            ;   in Loop: Header=BB251_9 Depth=1
	s_or_b64 exec, exec, s[36:37]
.LBB251_129:                            ;   in Loop: Header=BB251_9 Depth=1
	s_or_b64 exec, exec, s[34:35]
	global_load_ushort v40, v[8:9], off offset:1280
	s_waitcnt vmcnt(0)
	v_and_b32_e32 v2, 0xffff, v40
	v_cmp_ne_u16_sdwa s[0:1], v40, v3 src0_sel:BYTE_0 src1_sel:DWORD
	s_and_saveexec_b64 s[34:35], s[0:1]
	s_cbranch_execz .LBB251_135
; %bb.130:                              ;   in Loop: Header=BB251_9 Depth=1
	v_cmp_ne_u16_sdwa s[0:1], v2, s42 src0_sel:BYTE_0 src1_sel:DWORD
	v_mov_b32_e32 v38, 0x8000
	s_and_saveexec_b64 s[36:37], s[0:1]
	s_cbranch_execz .LBB251_134
; %bb.131:                              ;   in Loop: Header=BB251_9 Depth=1
	v_and_b32_e32 v40, 0x7f, v2
	v_cmp_ne_u32_e64 s[0:1], s43, v40
	v_mov_b32_e32 v38, 0x7c01
	s_and_saveexec_b64 s[38:39], s[0:1]
	s_cbranch_execz .LBB251_133
; %bb.132:                              ;   in Loop: Header=BB251_9 Depth=1
	v_and_b32_e32 v38, 7, v2
	v_ffbh_u32_e32 v42, v38
	v_min_u32_e32 v44, 32, v42
	v_subrev_u32_e32 v42, 28, v44
	v_lshlrev_b64 v[42:43], v42, v[2:3]
	v_lshrrev_b32_e32 v41, 3, v40
	v_sub_u32_e32 v43, 29, v44
	v_cmp_gt_u32_e64 s[0:1], 8, v40
	v_and_b32_e32 v42, 7, v42
	s_nop 0
	v_cndmask_b32_e64 v40, v41, v43, s[0:1]
	v_lshl_add_u32 v40, v40, 10, v15
	v_lshlrev_b32_e32 v41, 8, v2
	v_and_b32_e32 v40, 0xfc00, v40
	v_cndmask_b32_e64 v38, v38, v42, s[0:1]
	v_and_or_b32 v40, v41, s44, v40
	v_lshl_or_b32 v38, v38, 7, v40
.LBB251_133:                            ;   in Loop: Header=BB251_9 Depth=1
	s_or_b64 exec, exec, s[38:39]
.LBB251_134:                            ;   in Loop: Header=BB251_9 Depth=1
	s_or_b64 exec, exec, s[36:37]
.LBB251_135:                            ;   in Loop: Header=BB251_9 Depth=1
	s_or_b64 exec, exec, s[34:35]
	v_lshrrev_b16_e32 v2, 8, v2
	v_cmp_ne_u16_e64 s[0:1], 0, v2
	v_mov_b32_e32 v40, 0
	v_mov_b32_e32 v41, 0
	s_and_saveexec_b64 s[34:35], s[0:1]
	s_cbranch_execz .LBB251_141
; %bb.136:                              ;   in Loop: Header=BB251_9 Depth=1
	v_cmp_ne_u16_e64 s[0:1], s42, v2
	v_bfrev_b32_e32 v41, 1
	s_and_saveexec_b64 s[36:37], s[0:1]
	s_cbranch_execz .LBB251_140
; %bb.137:                              ;   in Loop: Header=BB251_9 Depth=1
	v_and_b32_e32 v42, 0x7f, v2
	v_cmp_ne_u32_e64 s[0:1], s43, v42
	v_mov_b32_e32 v41, 0x7c010000
	s_and_saveexec_b64 s[38:39], s[0:1]
	s_cbranch_execz .LBB251_139
; %bb.138:                              ;   in Loop: Header=BB251_9 Depth=1
	v_and_b32_e32 v41, 7, v2
	v_ffbh_u32_e32 v44, v41
	v_min_u32_e32 v46, 32, v44
	v_subrev_u32_e32 v44, 28, v46
	v_lshlrev_b64 v[44:45], v44, v[2:3]
	v_lshrrev_b32_e32 v43, 3, v42
	v_sub_u32_e32 v45, 29, v46
	v_cmp_gt_u32_e64 s[0:1], 8, v42
	v_lshlrev_b32_e32 v2, 8, v2
	s_nop 0
	v_cndmask_b32_e64 v42, v43, v45, s[0:1]
	v_lshl_add_u32 v42, v42, 10, v15
	v_and_b32_e32 v43, 7, v44
	v_and_or_b32 v2, v2, s44, v42
	v_cndmask_b32_e64 v41, v41, v43, s[0:1]
	v_lshlrev_b32_e32 v2, 16, v2
	v_lshl_or_b32 v41, v41, 23, v2
.LBB251_139:                            ;   in Loop: Header=BB251_9 Depth=1
	s_or_b64 exec, exec, s[38:39]
.LBB251_140:                            ;   in Loop: Header=BB251_9 Depth=1
	s_or_b64 exec, exec, s[36:37]
.LBB251_141:                            ;   in Loop: Header=BB251_9 Depth=1
	s_or_b64 exec, exec, s[34:35]
	global_load_ushort v42, v[8:9], off offset:1288
	s_waitcnt vmcnt(0)
	v_and_b32_e32 v2, 0xffff, v42
	v_cmp_ne_u16_sdwa s[0:1], v42, v3 src0_sel:BYTE_0 src1_sel:DWORD
	s_and_saveexec_b64 s[34:35], s[0:1]
	s_cbranch_execz .LBB251_147
; %bb.142:                              ;   in Loop: Header=BB251_9 Depth=1
	v_cmp_ne_u16_sdwa s[0:1], v2, s42 src0_sel:BYTE_0 src1_sel:DWORD
	v_mov_b32_e32 v40, 0x8000
	s_and_saveexec_b64 s[36:37], s[0:1]
	s_cbranch_execz .LBB251_146
; %bb.143:                              ;   in Loop: Header=BB251_9 Depth=1
	v_and_b32_e32 v42, 0x7f, v2
	v_cmp_ne_u32_e64 s[0:1], s43, v42
	v_mov_b32_e32 v40, 0x7c01
	s_and_saveexec_b64 s[38:39], s[0:1]
	s_cbranch_execz .LBB251_145
; %bb.144:                              ;   in Loop: Header=BB251_9 Depth=1
	v_and_b32_e32 v40, 7, v2
	v_ffbh_u32_e32 v44, v40
	v_min_u32_e32 v46, 32, v44
	v_subrev_u32_e32 v44, 28, v46
	v_lshlrev_b64 v[44:45], v44, v[2:3]
	v_lshrrev_b32_e32 v43, 3, v42
	v_sub_u32_e32 v45, 29, v46
	v_cmp_gt_u32_e64 s[0:1], 8, v42
	v_and_b32_e32 v44, 7, v44
	s_nop 0
	v_cndmask_b32_e64 v42, v43, v45, s[0:1]
	v_lshl_add_u32 v42, v42, 10, v15
	v_lshlrev_b32_e32 v43, 8, v2
	v_and_b32_e32 v42, 0xfc00, v42
	v_cndmask_b32_e64 v40, v40, v44, s[0:1]
	v_and_or_b32 v42, v43, s44, v42
	v_lshl_or_b32 v40, v40, 7, v42
.LBB251_145:                            ;   in Loop: Header=BB251_9 Depth=1
	s_or_b64 exec, exec, s[38:39]
.LBB251_146:                            ;   in Loop: Header=BB251_9 Depth=1
	s_or_b64 exec, exec, s[36:37]
.LBB251_147:                            ;   in Loop: Header=BB251_9 Depth=1
	s_or_b64 exec, exec, s[34:35]
	v_lshrrev_b16_e32 v2, 8, v2
	v_cmp_ne_u16_e64 s[0:1], 0, v2
	v_mov_b32_e32 v42, 0
	v_mov_b32_e32 v43, 0
	s_and_saveexec_b64 s[34:35], s[0:1]
	s_cbranch_execz .LBB251_153
; %bb.148:                              ;   in Loop: Header=BB251_9 Depth=1
	v_cmp_ne_u16_e64 s[0:1], s42, v2
	v_bfrev_b32_e32 v43, 1
	s_and_saveexec_b64 s[36:37], s[0:1]
	s_cbranch_execz .LBB251_152
; %bb.149:                              ;   in Loop: Header=BB251_9 Depth=1
	v_and_b32_e32 v44, 0x7f, v2
	v_cmp_ne_u32_e64 s[0:1], s43, v44
	v_mov_b32_e32 v43, 0x7c010000
	s_and_saveexec_b64 s[38:39], s[0:1]
	s_cbranch_execz .LBB251_151
; %bb.150:                              ;   in Loop: Header=BB251_9 Depth=1
	v_and_b32_e32 v43, 7, v2
	v_ffbh_u32_e32 v46, v43
	v_min_u32_e32 v48, 32, v46
	v_subrev_u32_e32 v46, 28, v48
	v_lshlrev_b64 v[46:47], v46, v[2:3]
	v_lshrrev_b32_e32 v45, 3, v44
	v_sub_u32_e32 v47, 29, v48
	v_cmp_gt_u32_e64 s[0:1], 8, v44
	v_lshlrev_b32_e32 v2, 8, v2
	s_nop 0
	v_cndmask_b32_e64 v44, v45, v47, s[0:1]
	v_lshl_add_u32 v44, v44, 10, v15
	v_and_b32_e32 v45, 7, v46
	v_and_or_b32 v2, v2, s44, v44
	v_cndmask_b32_e64 v43, v43, v45, s[0:1]
	v_lshlrev_b32_e32 v2, 16, v2
	v_lshl_or_b32 v43, v43, 23, v2
.LBB251_151:                            ;   in Loop: Header=BB251_9 Depth=1
	s_or_b64 exec, exec, s[38:39]
.LBB251_152:                            ;   in Loop: Header=BB251_9 Depth=1
	s_or_b64 exec, exec, s[36:37]
.LBB251_153:                            ;   in Loop: Header=BB251_9 Depth=1
	s_or_b64 exec, exec, s[34:35]
	global_load_ushort v44, v[8:9], off offset:1536
	s_waitcnt vmcnt(0)
	v_and_b32_e32 v2, 0xffff, v44
	v_cmp_ne_u16_sdwa s[0:1], v44, v3 src0_sel:BYTE_0 src1_sel:DWORD
	s_and_saveexec_b64 s[34:35], s[0:1]
	s_cbranch_execz .LBB251_159
; %bb.154:                              ;   in Loop: Header=BB251_9 Depth=1
	v_cmp_ne_u16_sdwa s[0:1], v2, s42 src0_sel:BYTE_0 src1_sel:DWORD
	v_mov_b32_e32 v42, 0x8000
	s_and_saveexec_b64 s[36:37], s[0:1]
	s_cbranch_execz .LBB251_158
; %bb.155:                              ;   in Loop: Header=BB251_9 Depth=1
	v_and_b32_e32 v44, 0x7f, v2
	v_cmp_ne_u32_e64 s[0:1], s43, v44
	v_mov_b32_e32 v42, 0x7c01
	s_and_saveexec_b64 s[38:39], s[0:1]
	s_cbranch_execz .LBB251_157
; %bb.156:                              ;   in Loop: Header=BB251_9 Depth=1
	v_and_b32_e32 v42, 7, v2
	v_ffbh_u32_e32 v46, v42
	v_min_u32_e32 v48, 32, v46
	v_subrev_u32_e32 v46, 28, v48
	v_lshlrev_b64 v[46:47], v46, v[2:3]
	v_lshrrev_b32_e32 v45, 3, v44
	v_sub_u32_e32 v47, 29, v48
	v_cmp_gt_u32_e64 s[0:1], 8, v44
	v_and_b32_e32 v46, 7, v46
	s_nop 0
	v_cndmask_b32_e64 v44, v45, v47, s[0:1]
	v_lshl_add_u32 v44, v44, 10, v15
	v_lshlrev_b32_e32 v45, 8, v2
	v_and_b32_e32 v44, 0xfc00, v44
	v_cndmask_b32_e64 v42, v42, v46, s[0:1]
	v_and_or_b32 v44, v45, s44, v44
	v_lshl_or_b32 v42, v42, 7, v44
.LBB251_157:                            ;   in Loop: Header=BB251_9 Depth=1
	s_or_b64 exec, exec, s[38:39]
.LBB251_158:                            ;   in Loop: Header=BB251_9 Depth=1
	s_or_b64 exec, exec, s[36:37]
.LBB251_159:                            ;   in Loop: Header=BB251_9 Depth=1
	s_or_b64 exec, exec, s[34:35]
	v_lshrrev_b16_e32 v2, 8, v2
	v_cmp_ne_u16_e64 s[0:1], 0, v2
	v_mov_b32_e32 v44, 0
	v_mov_b32_e32 v45, 0
	s_and_saveexec_b64 s[34:35], s[0:1]
	s_cbranch_execz .LBB251_165
; %bb.160:                              ;   in Loop: Header=BB251_9 Depth=1
	v_cmp_ne_u16_e64 s[0:1], s42, v2
	v_bfrev_b32_e32 v45, 1
	s_and_saveexec_b64 s[36:37], s[0:1]
	s_cbranch_execz .LBB251_164
; %bb.161:                              ;   in Loop: Header=BB251_9 Depth=1
	v_and_b32_e32 v46, 0x7f, v2
	v_cmp_ne_u32_e64 s[0:1], s43, v46
	v_mov_b32_e32 v45, 0x7c010000
	s_and_saveexec_b64 s[38:39], s[0:1]
	s_cbranch_execz .LBB251_163
; %bb.162:                              ;   in Loop: Header=BB251_9 Depth=1
	v_and_b32_e32 v45, 7, v2
	v_ffbh_u32_e32 v48, v45
	v_min_u32_e32 v50, 32, v48
	v_subrev_u32_e32 v48, 28, v50
	v_lshlrev_b64 v[48:49], v48, v[2:3]
	v_lshrrev_b32_e32 v47, 3, v46
	v_sub_u32_e32 v49, 29, v50
	v_cmp_gt_u32_e64 s[0:1], 8, v46
	v_lshlrev_b32_e32 v2, 8, v2
	s_nop 0
	v_cndmask_b32_e64 v46, v47, v49, s[0:1]
	v_lshl_add_u32 v46, v46, 10, v15
	v_and_b32_e32 v47, 7, v48
	v_and_or_b32 v2, v2, s44, v46
	v_cndmask_b32_e64 v45, v45, v47, s[0:1]
	v_lshlrev_b32_e32 v2, 16, v2
	v_lshl_or_b32 v45, v45, 23, v2
.LBB251_163:                            ;   in Loop: Header=BB251_9 Depth=1
	s_or_b64 exec, exec, s[38:39]
.LBB251_164:                            ;   in Loop: Header=BB251_9 Depth=1
	s_or_b64 exec, exec, s[36:37]
.LBB251_165:                            ;   in Loop: Header=BB251_9 Depth=1
	s_or_b64 exec, exec, s[34:35]
	global_load_ushort v46, v[8:9], off offset:1544
	s_waitcnt vmcnt(0)
	v_and_b32_e32 v2, 0xffff, v46
	v_cmp_ne_u16_sdwa s[0:1], v46, v3 src0_sel:BYTE_0 src1_sel:DWORD
	s_and_saveexec_b64 s[34:35], s[0:1]
	s_cbranch_execz .LBB251_171
; %bb.166:                              ;   in Loop: Header=BB251_9 Depth=1
	v_cmp_ne_u16_sdwa s[0:1], v2, s42 src0_sel:BYTE_0 src1_sel:DWORD
	v_mov_b32_e32 v44, 0x8000
	s_and_saveexec_b64 s[36:37], s[0:1]
	s_cbranch_execz .LBB251_170
; %bb.167:                              ;   in Loop: Header=BB251_9 Depth=1
	v_and_b32_e32 v46, 0x7f, v2
	v_cmp_ne_u32_e64 s[0:1], s43, v46
	v_mov_b32_e32 v44, 0x7c01
	s_and_saveexec_b64 s[38:39], s[0:1]
	s_cbranch_execz .LBB251_169
; %bb.168:                              ;   in Loop: Header=BB251_9 Depth=1
	v_and_b32_e32 v44, 7, v2
	v_ffbh_u32_e32 v48, v44
	v_min_u32_e32 v50, 32, v48
	v_subrev_u32_e32 v48, 28, v50
	v_lshlrev_b64 v[48:49], v48, v[2:3]
	v_lshrrev_b32_e32 v47, 3, v46
	v_sub_u32_e32 v49, 29, v50
	v_cmp_gt_u32_e64 s[0:1], 8, v46
	v_and_b32_e32 v48, 7, v48
	s_nop 0
	v_cndmask_b32_e64 v46, v47, v49, s[0:1]
	v_lshl_add_u32 v46, v46, 10, v15
	v_lshlrev_b32_e32 v47, 8, v2
	v_and_b32_e32 v46, 0xfc00, v46
	v_cndmask_b32_e64 v44, v44, v48, s[0:1]
	v_and_or_b32 v46, v47, s44, v46
	v_lshl_or_b32 v44, v44, 7, v46
.LBB251_169:                            ;   in Loop: Header=BB251_9 Depth=1
	s_or_b64 exec, exec, s[38:39]
.LBB251_170:                            ;   in Loop: Header=BB251_9 Depth=1
	s_or_b64 exec, exec, s[36:37]
.LBB251_171:                            ;   in Loop: Header=BB251_9 Depth=1
	s_or_b64 exec, exec, s[34:35]
	v_lshrrev_b16_e32 v2, 8, v2
	v_cmp_ne_u16_e64 s[0:1], 0, v2
	v_mov_b32_e32 v46, 0
	v_mov_b32_e32 v47, 0
	s_and_saveexec_b64 s[34:35], s[0:1]
	s_cbranch_execz .LBB251_177
; %bb.172:                              ;   in Loop: Header=BB251_9 Depth=1
	v_cmp_ne_u16_e64 s[0:1], s42, v2
	v_bfrev_b32_e32 v47, 1
	s_and_saveexec_b64 s[36:37], s[0:1]
	s_cbranch_execz .LBB251_176
; %bb.173:                              ;   in Loop: Header=BB251_9 Depth=1
	v_and_b32_e32 v48, 0x7f, v2
	v_cmp_ne_u32_e64 s[0:1], s43, v48
	v_mov_b32_e32 v47, 0x7c010000
	s_and_saveexec_b64 s[38:39], s[0:1]
	s_cbranch_execz .LBB251_175
; %bb.174:                              ;   in Loop: Header=BB251_9 Depth=1
	v_and_b32_e32 v47, 7, v2
	v_ffbh_u32_e32 v50, v47
	v_min_u32_e32 v52, 32, v50
	v_subrev_u32_e32 v50, 28, v52
	v_lshlrev_b64 v[50:51], v50, v[2:3]
	v_lshrrev_b32_e32 v49, 3, v48
	v_sub_u32_e32 v51, 29, v52
	v_cmp_gt_u32_e64 s[0:1], 8, v48
	v_lshlrev_b32_e32 v2, 8, v2
	s_nop 0
	v_cndmask_b32_e64 v48, v49, v51, s[0:1]
	v_lshl_add_u32 v48, v48, 10, v15
	v_and_b32_e32 v49, 7, v50
	v_and_or_b32 v2, v2, s44, v48
	v_cndmask_b32_e64 v47, v47, v49, s[0:1]
	v_lshlrev_b32_e32 v2, 16, v2
	v_lshl_or_b32 v47, v47, 23, v2
.LBB251_175:                            ;   in Loop: Header=BB251_9 Depth=1
	s_or_b64 exec, exec, s[38:39]
.LBB251_176:                            ;   in Loop: Header=BB251_9 Depth=1
	s_or_b64 exec, exec, s[36:37]
.LBB251_177:                            ;   in Loop: Header=BB251_9 Depth=1
	s_or_b64 exec, exec, s[34:35]
	global_load_ushort v48, v[8:9], off offset:1792
	s_waitcnt vmcnt(0)
	v_and_b32_e32 v2, 0xffff, v48
	v_cmp_ne_u16_sdwa s[0:1], v48, v3 src0_sel:BYTE_0 src1_sel:DWORD
	s_and_saveexec_b64 s[34:35], s[0:1]
	s_cbranch_execz .LBB251_183
; %bb.178:                              ;   in Loop: Header=BB251_9 Depth=1
	v_cmp_ne_u16_sdwa s[0:1], v2, s42 src0_sel:BYTE_0 src1_sel:DWORD
	v_mov_b32_e32 v46, 0x8000
	s_and_saveexec_b64 s[36:37], s[0:1]
	s_cbranch_execz .LBB251_182
; %bb.179:                              ;   in Loop: Header=BB251_9 Depth=1
	v_and_b32_e32 v48, 0x7f, v2
	v_cmp_ne_u32_e64 s[0:1], s43, v48
	v_mov_b32_e32 v46, 0x7c01
	s_and_saveexec_b64 s[38:39], s[0:1]
	s_cbranch_execz .LBB251_181
; %bb.180:                              ;   in Loop: Header=BB251_9 Depth=1
	v_and_b32_e32 v46, 7, v2
	v_ffbh_u32_e32 v50, v46
	v_min_u32_e32 v52, 32, v50
	v_subrev_u32_e32 v50, 28, v52
	v_lshlrev_b64 v[50:51], v50, v[2:3]
	v_lshrrev_b32_e32 v49, 3, v48
	v_sub_u32_e32 v51, 29, v52
	v_cmp_gt_u32_e64 s[0:1], 8, v48
	v_and_b32_e32 v50, 7, v50
	s_nop 0
	v_cndmask_b32_e64 v48, v49, v51, s[0:1]
	v_lshl_add_u32 v48, v48, 10, v15
	v_lshlrev_b32_e32 v49, 8, v2
	v_and_b32_e32 v48, 0xfc00, v48
	v_cndmask_b32_e64 v46, v46, v50, s[0:1]
	v_and_or_b32 v48, v49, s44, v48
	v_lshl_or_b32 v46, v46, 7, v48
.LBB251_181:                            ;   in Loop: Header=BB251_9 Depth=1
	s_or_b64 exec, exec, s[38:39]
.LBB251_182:                            ;   in Loop: Header=BB251_9 Depth=1
	s_or_b64 exec, exec, s[36:37]
.LBB251_183:                            ;   in Loop: Header=BB251_9 Depth=1
	s_or_b64 exec, exec, s[34:35]
	v_lshrrev_b16_e32 v2, 8, v2
	v_cmp_ne_u16_e64 s[0:1], 0, v2
	v_mov_b32_e32 v48, 0
	v_mov_b32_e32 v49, 0
	s_and_saveexec_b64 s[34:35], s[0:1]
	s_cbranch_execz .LBB251_189
; %bb.184:                              ;   in Loop: Header=BB251_9 Depth=1
	v_cmp_ne_u16_e64 s[0:1], s42, v2
	v_bfrev_b32_e32 v49, 1
	s_and_saveexec_b64 s[36:37], s[0:1]
	s_cbranch_execz .LBB251_188
; %bb.185:                              ;   in Loop: Header=BB251_9 Depth=1
	v_and_b32_e32 v50, 0x7f, v2
	v_cmp_ne_u32_e64 s[0:1], s43, v50
	v_mov_b32_e32 v49, 0x7c010000
	s_and_saveexec_b64 s[38:39], s[0:1]
	s_cbranch_execz .LBB251_187
; %bb.186:                              ;   in Loop: Header=BB251_9 Depth=1
	v_and_b32_e32 v49, 7, v2
	v_ffbh_u32_e32 v52, v49
	v_min_u32_e32 v54, 32, v52
	v_subrev_u32_e32 v52, 28, v54
	v_lshlrev_b64 v[52:53], v52, v[2:3]
	v_lshrrev_b32_e32 v51, 3, v50
	v_sub_u32_e32 v53, 29, v54
	v_cmp_gt_u32_e64 s[0:1], 8, v50
	v_lshlrev_b32_e32 v2, 8, v2
	s_nop 0
	v_cndmask_b32_e64 v50, v51, v53, s[0:1]
	v_lshl_add_u32 v50, v50, 10, v15
	v_and_b32_e32 v51, 7, v52
	v_and_or_b32 v2, v2, s44, v50
	v_cndmask_b32_e64 v49, v49, v51, s[0:1]
	v_lshlrev_b32_e32 v2, 16, v2
	v_lshl_or_b32 v49, v49, 23, v2
.LBB251_187:                            ;   in Loop: Header=BB251_9 Depth=1
	s_or_b64 exec, exec, s[38:39]
.LBB251_188:                            ;   in Loop: Header=BB251_9 Depth=1
	s_or_b64 exec, exec, s[36:37]
.LBB251_189:                            ;   in Loop: Header=BB251_9 Depth=1
	s_or_b64 exec, exec, s[34:35]
	global_load_ushort v50, v[8:9], off offset:1800
	s_waitcnt vmcnt(0)
	v_and_b32_e32 v2, 0xffff, v50
	v_cmp_ne_u16_sdwa s[0:1], v50, v3 src0_sel:BYTE_0 src1_sel:DWORD
	s_and_saveexec_b64 s[34:35], s[0:1]
	s_cbranch_execz .LBB251_195
; %bb.190:                              ;   in Loop: Header=BB251_9 Depth=1
	v_cmp_ne_u16_sdwa s[0:1], v2, s42 src0_sel:BYTE_0 src1_sel:DWORD
	v_mov_b32_e32 v48, 0x8000
	s_and_saveexec_b64 s[36:37], s[0:1]
	s_cbranch_execz .LBB251_194
; %bb.191:                              ;   in Loop: Header=BB251_9 Depth=1
	v_and_b32_e32 v50, 0x7f, v2
	v_cmp_ne_u32_e64 s[0:1], s43, v50
	v_mov_b32_e32 v48, 0x7c01
	s_and_saveexec_b64 s[38:39], s[0:1]
	s_cbranch_execz .LBB251_193
; %bb.192:                              ;   in Loop: Header=BB251_9 Depth=1
	v_and_b32_e32 v48, 7, v2
	v_ffbh_u32_e32 v52, v48
	v_min_u32_e32 v54, 32, v52
	v_subrev_u32_e32 v52, 28, v54
	v_lshlrev_b64 v[52:53], v52, v[2:3]
	v_lshrrev_b32_e32 v51, 3, v50
	v_sub_u32_e32 v53, 29, v54
	v_cmp_gt_u32_e64 s[0:1], 8, v50
	v_and_b32_e32 v52, 7, v52
	s_nop 0
	v_cndmask_b32_e64 v50, v51, v53, s[0:1]
	v_lshl_add_u32 v50, v50, 10, v15
	v_lshlrev_b32_e32 v51, 8, v2
	v_and_b32_e32 v50, 0xfc00, v50
	v_cndmask_b32_e64 v48, v48, v52, s[0:1]
	v_and_or_b32 v50, v51, s44, v50
	v_lshl_or_b32 v48, v48, 7, v50
.LBB251_193:                            ;   in Loop: Header=BB251_9 Depth=1
	s_or_b64 exec, exec, s[38:39]
.LBB251_194:                            ;   in Loop: Header=BB251_9 Depth=1
	s_or_b64 exec, exec, s[36:37]
.LBB251_195:                            ;   in Loop: Header=BB251_9 Depth=1
	s_or_b64 exec, exec, s[34:35]
	v_lshrrev_b16_e32 v2, 8, v2
	v_cmp_ne_u16_e64 s[0:1], 0, v2
	v_mov_b32_e32 v50, 0
	v_mov_b32_e32 v51, 0
	s_and_saveexec_b64 s[34:35], s[0:1]
	s_cbranch_execz .LBB251_201
; %bb.196:                              ;   in Loop: Header=BB251_9 Depth=1
	v_cmp_ne_u16_e64 s[0:1], s42, v2
	v_bfrev_b32_e32 v51, 1
	s_and_saveexec_b64 s[36:37], s[0:1]
	s_cbranch_execz .LBB251_200
; %bb.197:                              ;   in Loop: Header=BB251_9 Depth=1
	v_and_b32_e32 v52, 0x7f, v2
	v_cmp_ne_u32_e64 s[0:1], s43, v52
	v_mov_b32_e32 v51, 0x7c010000
	s_and_saveexec_b64 s[38:39], s[0:1]
	s_cbranch_execz .LBB251_199
; %bb.198:                              ;   in Loop: Header=BB251_9 Depth=1
	v_and_b32_e32 v51, 7, v2
	v_ffbh_u32_e32 v54, v51
	v_min_u32_e32 v56, 32, v54
	v_subrev_u32_e32 v54, 28, v56
	v_lshlrev_b64 v[54:55], v54, v[2:3]
	v_lshrrev_b32_e32 v53, 3, v52
	v_sub_u32_e32 v55, 29, v56
	v_cmp_gt_u32_e64 s[0:1], 8, v52
	v_lshlrev_b32_e32 v2, 8, v2
	s_nop 0
	v_cndmask_b32_e64 v52, v53, v55, s[0:1]
	v_lshl_add_u32 v52, v52, 10, v15
	v_and_b32_e32 v53, 7, v54
	v_and_or_b32 v2, v2, s44, v52
	v_cndmask_b32_e64 v51, v51, v53, s[0:1]
	v_lshlrev_b32_e32 v2, 16, v2
	v_lshl_or_b32 v51, v51, 23, v2
.LBB251_199:                            ;   in Loop: Header=BB251_9 Depth=1
	s_or_b64 exec, exec, s[38:39]
.LBB251_200:                            ;   in Loop: Header=BB251_9 Depth=1
	s_or_b64 exec, exec, s[36:37]
.LBB251_201:                            ;   in Loop: Header=BB251_9 Depth=1
	s_or_b64 exec, exec, s[34:35]
	global_load_ushort v52, v[8:9], off offset:2048
	s_waitcnt vmcnt(0)
	v_and_b32_e32 v2, 0xffff, v52
	v_cmp_ne_u16_sdwa s[0:1], v52, v3 src0_sel:BYTE_0 src1_sel:DWORD
	s_and_saveexec_b64 s[34:35], s[0:1]
	s_cbranch_execz .LBB251_207
; %bb.202:                              ;   in Loop: Header=BB251_9 Depth=1
	v_cmp_ne_u16_sdwa s[0:1], v2, s42 src0_sel:BYTE_0 src1_sel:DWORD
	v_mov_b32_e32 v50, 0x8000
	s_and_saveexec_b64 s[36:37], s[0:1]
	s_cbranch_execz .LBB251_206
; %bb.203:                              ;   in Loop: Header=BB251_9 Depth=1
	v_and_b32_e32 v52, 0x7f, v2
	v_cmp_ne_u32_e64 s[0:1], s43, v52
	v_mov_b32_e32 v50, 0x7c01
	s_and_saveexec_b64 s[38:39], s[0:1]
	s_cbranch_execz .LBB251_205
; %bb.204:                              ;   in Loop: Header=BB251_9 Depth=1
	v_and_b32_e32 v50, 7, v2
	v_ffbh_u32_e32 v54, v50
	v_min_u32_e32 v56, 32, v54
	v_subrev_u32_e32 v54, 28, v56
	v_lshlrev_b64 v[54:55], v54, v[2:3]
	v_lshrrev_b32_e32 v53, 3, v52
	v_sub_u32_e32 v55, 29, v56
	v_cmp_gt_u32_e64 s[0:1], 8, v52
	v_and_b32_e32 v54, 7, v54
	s_nop 0
	v_cndmask_b32_e64 v52, v53, v55, s[0:1]
	v_lshl_add_u32 v52, v52, 10, v15
	v_lshlrev_b32_e32 v53, 8, v2
	v_and_b32_e32 v52, 0xfc00, v52
	v_cndmask_b32_e64 v50, v50, v54, s[0:1]
	v_and_or_b32 v52, v53, s44, v52
	v_lshl_or_b32 v50, v50, 7, v52
.LBB251_205:                            ;   in Loop: Header=BB251_9 Depth=1
	s_or_b64 exec, exec, s[38:39]
.LBB251_206:                            ;   in Loop: Header=BB251_9 Depth=1
	s_or_b64 exec, exec, s[36:37]
.LBB251_207:                            ;   in Loop: Header=BB251_9 Depth=1
	s_or_b64 exec, exec, s[34:35]
	v_lshrrev_b16_e32 v2, 8, v2
	v_cmp_ne_u16_e64 s[0:1], 0, v2
	v_mov_b32_e32 v52, 0
	v_mov_b32_e32 v53, 0
	s_and_saveexec_b64 s[34:35], s[0:1]
	s_cbranch_execz .LBB251_213
; %bb.208:                              ;   in Loop: Header=BB251_9 Depth=1
	v_cmp_ne_u16_e64 s[0:1], s42, v2
	v_bfrev_b32_e32 v53, 1
	s_and_saveexec_b64 s[36:37], s[0:1]
	s_cbranch_execz .LBB251_212
; %bb.209:                              ;   in Loop: Header=BB251_9 Depth=1
	v_and_b32_e32 v54, 0x7f, v2
	v_cmp_ne_u32_e64 s[0:1], s43, v54
	v_mov_b32_e32 v53, 0x7c010000
	s_and_saveexec_b64 s[38:39], s[0:1]
	s_cbranch_execz .LBB251_211
; %bb.210:                              ;   in Loop: Header=BB251_9 Depth=1
	v_and_b32_e32 v53, 7, v2
	v_ffbh_u32_e32 v56, v53
	v_min_u32_e32 v58, 32, v56
	v_subrev_u32_e32 v56, 28, v58
	v_lshlrev_b64 v[56:57], v56, v[2:3]
	v_lshrrev_b32_e32 v55, 3, v54
	v_sub_u32_e32 v57, 29, v58
	v_cmp_gt_u32_e64 s[0:1], 8, v54
	v_lshlrev_b32_e32 v2, 8, v2
	s_nop 0
	v_cndmask_b32_e64 v54, v55, v57, s[0:1]
	v_lshl_add_u32 v54, v54, 10, v15
	v_and_b32_e32 v55, 7, v56
	v_and_or_b32 v2, v2, s44, v54
	v_cndmask_b32_e64 v53, v53, v55, s[0:1]
	v_lshlrev_b32_e32 v2, 16, v2
	v_lshl_or_b32 v53, v53, 23, v2
.LBB251_211:                            ;   in Loop: Header=BB251_9 Depth=1
	s_or_b64 exec, exec, s[38:39]
.LBB251_212:                            ;   in Loop: Header=BB251_9 Depth=1
	s_or_b64 exec, exec, s[36:37]
.LBB251_213:                            ;   in Loop: Header=BB251_9 Depth=1
	s_or_b64 exec, exec, s[34:35]
	global_load_ushort v54, v[8:9], off offset:2056
	s_waitcnt vmcnt(0)
	v_and_b32_e32 v2, 0xffff, v54
	v_cmp_ne_u16_sdwa s[0:1], v54, v3 src0_sel:BYTE_0 src1_sel:DWORD
	s_and_saveexec_b64 s[34:35], s[0:1]
	s_cbranch_execz .LBB251_219
; %bb.214:                              ;   in Loop: Header=BB251_9 Depth=1
	v_cmp_ne_u16_sdwa s[0:1], v2, s42 src0_sel:BYTE_0 src1_sel:DWORD
	v_mov_b32_e32 v52, 0x8000
	s_and_saveexec_b64 s[36:37], s[0:1]
	s_cbranch_execz .LBB251_218
; %bb.215:                              ;   in Loop: Header=BB251_9 Depth=1
	v_and_b32_e32 v54, 0x7f, v2
	v_cmp_ne_u32_e64 s[0:1], s43, v54
	v_mov_b32_e32 v52, 0x7c01
	s_and_saveexec_b64 s[38:39], s[0:1]
	s_cbranch_execz .LBB251_217
; %bb.216:                              ;   in Loop: Header=BB251_9 Depth=1
	v_and_b32_e32 v52, 7, v2
	v_ffbh_u32_e32 v56, v52
	v_min_u32_e32 v58, 32, v56
	v_subrev_u32_e32 v56, 28, v58
	v_lshlrev_b64 v[56:57], v56, v[2:3]
	v_lshrrev_b32_e32 v55, 3, v54
	v_sub_u32_e32 v57, 29, v58
	v_cmp_gt_u32_e64 s[0:1], 8, v54
	v_and_b32_e32 v56, 7, v56
	s_nop 0
	v_cndmask_b32_e64 v54, v55, v57, s[0:1]
	v_lshl_add_u32 v54, v54, 10, v15
	v_lshlrev_b32_e32 v55, 8, v2
	v_and_b32_e32 v54, 0xfc00, v54
	v_cndmask_b32_e64 v52, v52, v56, s[0:1]
	v_and_or_b32 v54, v55, s44, v54
	v_lshl_or_b32 v52, v52, 7, v54
.LBB251_217:                            ;   in Loop: Header=BB251_9 Depth=1
	s_or_b64 exec, exec, s[38:39]
.LBB251_218:                            ;   in Loop: Header=BB251_9 Depth=1
	s_or_b64 exec, exec, s[36:37]
.LBB251_219:                            ;   in Loop: Header=BB251_9 Depth=1
	s_or_b64 exec, exec, s[34:35]
	v_lshrrev_b16_e32 v2, 8, v2
	v_cmp_ne_u16_e64 s[0:1], 0, v2
	v_mov_b32_e32 v55, 0
	v_mov_b32_e32 v54, 0
	s_and_saveexec_b64 s[34:35], s[0:1]
	s_cbranch_execz .LBB251_225
; %bb.220:                              ;   in Loop: Header=BB251_9 Depth=1
	v_cmp_ne_u16_e64 s[0:1], s42, v2
	v_bfrev_b32_e32 v54, 1
	s_and_saveexec_b64 s[36:37], s[0:1]
	s_cbranch_execz .LBB251_224
; %bb.221:                              ;   in Loop: Header=BB251_9 Depth=1
	v_and_b32_e32 v56, 0x7f, v2
	v_cmp_ne_u32_e64 s[0:1], s43, v56
	v_mov_b32_e32 v54, 0x7c010000
	s_and_saveexec_b64 s[38:39], s[0:1]
	s_cbranch_execz .LBB251_223
; %bb.222:                              ;   in Loop: Header=BB251_9 Depth=1
	v_and_b32_e32 v54, 7, v2
	v_ffbh_u32_e32 v58, v54
	v_min_u32_e32 v60, 32, v58
	v_subrev_u32_e32 v58, 28, v60
	v_lshlrev_b64 v[58:59], v58, v[2:3]
	v_lshrrev_b32_e32 v57, 3, v56
	v_sub_u32_e32 v59, 29, v60
	v_cmp_gt_u32_e64 s[0:1], 8, v56
	v_lshlrev_b32_e32 v2, 8, v2
	s_nop 0
	v_cndmask_b32_e64 v56, v57, v59, s[0:1]
	v_lshl_add_u32 v56, v56, 10, v15
	v_and_b32_e32 v57, 7, v58
	v_and_or_b32 v2, v2, s44, v56
	v_cndmask_b32_e64 v54, v54, v57, s[0:1]
	v_lshlrev_b32_e32 v2, 16, v2
	v_lshl_or_b32 v54, v54, 23, v2
.LBB251_223:                            ;   in Loop: Header=BB251_9 Depth=1
	s_or_b64 exec, exec, s[38:39]
.LBB251_224:                            ;   in Loop: Header=BB251_9 Depth=1
	s_or_b64 exec, exec, s[36:37]
.LBB251_225:                            ;   in Loop: Header=BB251_9 Depth=1
	s_or_b64 exec, exec, s[34:35]
	global_load_ushort v56, v[8:9], off offset:2304
	s_waitcnt vmcnt(0)
	v_and_b32_e32 v2, 0xffff, v56
	v_cmp_ne_u16_sdwa s[0:1], v56, v3 src0_sel:BYTE_0 src1_sel:DWORD
	s_and_saveexec_b64 s[34:35], s[0:1]
	s_cbranch_execz .LBB251_231
; %bb.226:                              ;   in Loop: Header=BB251_9 Depth=1
	v_cmp_ne_u16_sdwa s[0:1], v2, s42 src0_sel:BYTE_0 src1_sel:DWORD
	v_mov_b32_e32 v55, 0x8000
	s_and_saveexec_b64 s[36:37], s[0:1]
	s_cbranch_execz .LBB251_230
; %bb.227:                              ;   in Loop: Header=BB251_9 Depth=1
	v_and_b32_e32 v56, 0x7f, v2
	v_cmp_ne_u32_e64 s[0:1], s43, v56
	v_mov_b32_e32 v55, 0x7c01
	s_and_saveexec_b64 s[38:39], s[0:1]
	s_cbranch_execz .LBB251_229
; %bb.228:                              ;   in Loop: Header=BB251_9 Depth=1
	v_and_b32_e32 v55, 7, v2
	v_ffbh_u32_e32 v58, v55
	v_min_u32_e32 v60, 32, v58
	v_subrev_u32_e32 v58, 28, v60
	v_lshlrev_b64 v[58:59], v58, v[2:3]
	v_lshrrev_b32_e32 v57, 3, v56
	v_sub_u32_e32 v59, 29, v60
	v_cmp_gt_u32_e64 s[0:1], 8, v56
	v_and_b32_e32 v58, 7, v58
	s_nop 0
	v_cndmask_b32_e64 v56, v57, v59, s[0:1]
	v_lshl_add_u32 v56, v56, 10, v15
	v_lshlrev_b32_e32 v57, 8, v2
	v_and_b32_e32 v56, 0xfc00, v56
	v_cndmask_b32_e64 v55, v55, v58, s[0:1]
	v_and_or_b32 v56, v57, s44, v56
	v_lshl_or_b32 v55, v55, 7, v56
.LBB251_229:                            ;   in Loop: Header=BB251_9 Depth=1
	s_or_b64 exec, exec, s[38:39]
.LBB251_230:                            ;   in Loop: Header=BB251_9 Depth=1
	s_or_b64 exec, exec, s[36:37]
.LBB251_231:                            ;   in Loop: Header=BB251_9 Depth=1
	s_or_b64 exec, exec, s[34:35]
	v_lshrrev_b16_e32 v2, 8, v2
	v_cmp_ne_u16_e64 s[0:1], 0, v2
	v_mov_b32_e32 v58, 0
	v_mov_b32_e32 v56, 0
	s_and_saveexec_b64 s[34:35], s[0:1]
	s_cbranch_execz .LBB251_237
; %bb.232:                              ;   in Loop: Header=BB251_9 Depth=1
	v_cmp_ne_u16_e64 s[0:1], s42, v2
	v_bfrev_b32_e32 v56, 1
	s_and_saveexec_b64 s[36:37], s[0:1]
	s_cbranch_execz .LBB251_236
; %bb.233:                              ;   in Loop: Header=BB251_9 Depth=1
	v_and_b32_e32 v57, 0x7f, v2
	v_cmp_ne_u32_e64 s[0:1], s43, v57
	v_mov_b32_e32 v56, 0x7c010000
	s_and_saveexec_b64 s[38:39], s[0:1]
	s_cbranch_execz .LBB251_235
; %bb.234:                              ;   in Loop: Header=BB251_9 Depth=1
	v_and_b32_e32 v56, 7, v2
	v_ffbh_u32_e32 v60, v56
	v_min_u32_e32 v62, 32, v60
	v_subrev_u32_e32 v60, 28, v62
	v_lshlrev_b64 v[60:61], v60, v[2:3]
	v_lshrrev_b32_e32 v59, 3, v57
	v_sub_u32_e32 v61, 29, v62
	v_cmp_gt_u32_e64 s[0:1], 8, v57
	v_lshlrev_b32_e32 v2, 8, v2
	s_nop 0
	v_cndmask_b32_e64 v57, v59, v61, s[0:1]
	v_lshl_add_u32 v57, v57, 10, v15
	v_and_b32_e32 v59, 7, v60
	v_and_or_b32 v2, v2, s44, v57
	v_cndmask_b32_e64 v56, v56, v59, s[0:1]
	v_lshlrev_b32_e32 v2, 16, v2
	v_lshl_or_b32 v56, v56, 23, v2
.LBB251_235:                            ;   in Loop: Header=BB251_9 Depth=1
	s_or_b64 exec, exec, s[38:39]
.LBB251_236:                            ;   in Loop: Header=BB251_9 Depth=1
	s_or_b64 exec, exec, s[36:37]
.LBB251_237:                            ;   in Loop: Header=BB251_9 Depth=1
	s_or_b64 exec, exec, s[34:35]
	global_load_ushort v57, v[8:9], off offset:2312
	s_waitcnt vmcnt(0)
	v_and_b32_e32 v2, 0xffff, v57
	v_cmp_ne_u16_sdwa s[0:1], v57, v3 src0_sel:BYTE_0 src1_sel:DWORD
	s_and_saveexec_b64 s[34:35], s[0:1]
	s_cbranch_execz .LBB251_243
; %bb.238:                              ;   in Loop: Header=BB251_9 Depth=1
	v_cmp_ne_u16_sdwa s[0:1], v2, s42 src0_sel:BYTE_0 src1_sel:DWORD
	v_mov_b32_e32 v58, 0x8000
	s_and_saveexec_b64 s[36:37], s[0:1]
	s_cbranch_execz .LBB251_242
; %bb.239:                              ;   in Loop: Header=BB251_9 Depth=1
	v_and_b32_e32 v57, 0x7f, v2
	v_cmp_ne_u32_e64 s[0:1], s43, v57
	v_mov_b32_e32 v58, 0x7c01
	s_and_saveexec_b64 s[38:39], s[0:1]
	s_cbranch_execz .LBB251_241
; %bb.240:                              ;   in Loop: Header=BB251_9 Depth=1
	v_and_b32_e32 v60, 7, v2
	v_ffbh_u32_e32 v58, v60
	v_min_u32_e32 v62, 32, v58
	v_subrev_u32_e32 v58, 28, v62
	v_lshlrev_b64 v[58:59], v58, v[2:3]
	v_lshrrev_b32_e32 v61, 3, v57
	v_sub_u32_e32 v59, 29, v62
	v_cmp_gt_u32_e64 s[0:1], 8, v57
	v_and_b32_e32 v58, 7, v58
	s_nop 0
	v_cndmask_b32_e64 v57, v61, v59, s[0:1]
	v_lshl_add_u32 v57, v57, 10, v15
	v_lshlrev_b32_e32 v59, 8, v2
	v_and_b32_e32 v57, 0xfc00, v57
	v_cndmask_b32_e64 v58, v60, v58, s[0:1]
	v_and_or_b32 v57, v59, s44, v57
	v_lshl_or_b32 v58, v58, 7, v57
.LBB251_241:                            ;   in Loop: Header=BB251_9 Depth=1
	s_or_b64 exec, exec, s[38:39]
.LBB251_242:                            ;   in Loop: Header=BB251_9 Depth=1
	s_or_b64 exec, exec, s[36:37]
.LBB251_243:                            ;   in Loop: Header=BB251_9 Depth=1
	s_or_b64 exec, exec, s[34:35]
	v_lshrrev_b16_e32 v2, 8, v2
	v_cmp_ne_u16_e64 s[0:1], 0, v2
	v_mov_b32_e32 v59, 0
	v_mov_b32_e32 v57, 0
	s_and_saveexec_b64 s[34:35], s[0:1]
	s_cbranch_execz .LBB251_249
; %bb.244:                              ;   in Loop: Header=BB251_9 Depth=1
	v_cmp_ne_u16_e64 s[0:1], s42, v2
	v_bfrev_b32_e32 v57, 1
	s_and_saveexec_b64 s[36:37], s[0:1]
	s_cbranch_execz .LBB251_248
; %bb.245:                              ;   in Loop: Header=BB251_9 Depth=1
	v_and_b32_e32 v60, 0x7f, v2
	v_cmp_ne_u32_e64 s[0:1], s43, v60
	v_mov_b32_e32 v57, 0x7c010000
	s_and_saveexec_b64 s[38:39], s[0:1]
	s_cbranch_execz .LBB251_247
; %bb.246:                              ;   in Loop: Header=BB251_9 Depth=1
	v_and_b32_e32 v57, 7, v2
	v_ffbh_u32_e32 v62, v57
	v_min_u32_e32 v64, 32, v62
	v_subrev_u32_e32 v62, 28, v64
	v_lshlrev_b64 v[62:63], v62, v[2:3]
	v_lshrrev_b32_e32 v61, 3, v60
	v_sub_u32_e32 v63, 29, v64
	v_cmp_gt_u32_e64 s[0:1], 8, v60
	v_lshlrev_b32_e32 v2, 8, v2
	s_nop 0
	v_cndmask_b32_e64 v60, v61, v63, s[0:1]
	v_lshl_add_u32 v60, v60, 10, v15
	v_and_b32_e32 v61, 7, v62
	v_and_or_b32 v2, v2, s44, v60
	v_cndmask_b32_e64 v57, v57, v61, s[0:1]
	v_lshlrev_b32_e32 v2, 16, v2
	v_lshl_or_b32 v57, v57, 23, v2
.LBB251_247:                            ;   in Loop: Header=BB251_9 Depth=1
	s_or_b64 exec, exec, s[38:39]
.LBB251_248:                            ;   in Loop: Header=BB251_9 Depth=1
	s_or_b64 exec, exec, s[36:37]
.LBB251_249:                            ;   in Loop: Header=BB251_9 Depth=1
	s_or_b64 exec, exec, s[34:35]
	global_load_ushort v60, v[8:9], off offset:2560
	s_waitcnt vmcnt(0)
	v_and_b32_e32 v2, 0xffff, v60
	v_cmp_ne_u16_sdwa s[0:1], v60, v3 src0_sel:BYTE_0 src1_sel:DWORD
	s_and_saveexec_b64 s[34:35], s[0:1]
	s_cbranch_execz .LBB251_255
; %bb.250:                              ;   in Loop: Header=BB251_9 Depth=1
	v_cmp_ne_u16_sdwa s[0:1], v2, s42 src0_sel:BYTE_0 src1_sel:DWORD
	v_mov_b32_e32 v59, 0x8000
	s_and_saveexec_b64 s[36:37], s[0:1]
	s_cbranch_execz .LBB251_254
; %bb.251:                              ;   in Loop: Header=BB251_9 Depth=1
	v_and_b32_e32 v60, 0x7f, v2
	v_cmp_ne_u32_e64 s[0:1], s43, v60
	v_mov_b32_e32 v59, 0x7c01
	s_and_saveexec_b64 s[38:39], s[0:1]
	s_cbranch_execz .LBB251_253
; %bb.252:                              ;   in Loop: Header=BB251_9 Depth=1
	v_and_b32_e32 v59, 7, v2
	v_ffbh_u32_e32 v62, v59
	v_min_u32_e32 v64, 32, v62
	v_subrev_u32_e32 v62, 28, v64
	v_lshlrev_b64 v[62:63], v62, v[2:3]
	v_lshrrev_b32_e32 v61, 3, v60
	v_sub_u32_e32 v63, 29, v64
	v_cmp_gt_u32_e64 s[0:1], 8, v60
	v_and_b32_e32 v62, 7, v62
	s_nop 0
	v_cndmask_b32_e64 v60, v61, v63, s[0:1]
	v_lshl_add_u32 v60, v60, 10, v15
	v_lshlrev_b32_e32 v61, 8, v2
	v_and_b32_e32 v60, 0xfc00, v60
	v_cndmask_b32_e64 v59, v59, v62, s[0:1]
	v_and_or_b32 v60, v61, s44, v60
	v_lshl_or_b32 v59, v59, 7, v60
.LBB251_253:                            ;   in Loop: Header=BB251_9 Depth=1
	s_or_b64 exec, exec, s[38:39]
.LBB251_254:                            ;   in Loop: Header=BB251_9 Depth=1
	s_or_b64 exec, exec, s[36:37]
.LBB251_255:                            ;   in Loop: Header=BB251_9 Depth=1
	s_or_b64 exec, exec, s[34:35]
	v_lshrrev_b16_e32 v2, 8, v2
	v_cmp_ne_u16_e64 s[0:1], 0, v2
	v_mov_b32_e32 v61, 0
	v_mov_b32_e32 v60, 0
	s_and_saveexec_b64 s[34:35], s[0:1]
	s_cbranch_execz .LBB251_261
; %bb.256:                              ;   in Loop: Header=BB251_9 Depth=1
	v_cmp_ne_u16_e64 s[0:1], s42, v2
	v_bfrev_b32_e32 v60, 1
	s_and_saveexec_b64 s[36:37], s[0:1]
	s_cbranch_execz .LBB251_260
; %bb.257:                              ;   in Loop: Header=BB251_9 Depth=1
	v_and_b32_e32 v62, 0x7f, v2
	v_cmp_ne_u32_e64 s[0:1], s43, v62
	v_mov_b32_e32 v60, 0x7c010000
	s_and_saveexec_b64 s[38:39], s[0:1]
	s_cbranch_execz .LBB251_259
; %bb.258:                              ;   in Loop: Header=BB251_9 Depth=1
	v_and_b32_e32 v60, 7, v2
	v_ffbh_u32_e32 v64, v60
	v_min_u32_e32 v66, 32, v64
	v_subrev_u32_e32 v64, 28, v66
	v_lshlrev_b64 v[64:65], v64, v[2:3]
	v_lshrrev_b32_e32 v63, 3, v62
	v_sub_u32_e32 v65, 29, v66
	v_cmp_gt_u32_e64 s[0:1], 8, v62
	v_lshlrev_b32_e32 v2, 8, v2
	s_nop 0
	v_cndmask_b32_e64 v62, v63, v65, s[0:1]
	v_lshl_add_u32 v62, v62, 10, v15
	v_and_b32_e32 v63, 7, v64
	v_and_or_b32 v2, v2, s44, v62
	v_cndmask_b32_e64 v60, v60, v63, s[0:1]
	v_lshlrev_b32_e32 v2, 16, v2
	v_lshl_or_b32 v60, v60, 23, v2
.LBB251_259:                            ;   in Loop: Header=BB251_9 Depth=1
	s_or_b64 exec, exec, s[38:39]
.LBB251_260:                            ;   in Loop: Header=BB251_9 Depth=1
	s_or_b64 exec, exec, s[36:37]
.LBB251_261:                            ;   in Loop: Header=BB251_9 Depth=1
	s_or_b64 exec, exec, s[34:35]
	global_load_ushort v62, v[8:9], off offset:2568
	s_waitcnt vmcnt(0)
	v_and_b32_e32 v2, 0xffff, v62
	v_cmp_ne_u16_sdwa s[0:1], v62, v3 src0_sel:BYTE_0 src1_sel:DWORD
	s_and_saveexec_b64 s[34:35], s[0:1]
	s_cbranch_execz .LBB251_267
; %bb.262:                              ;   in Loop: Header=BB251_9 Depth=1
	v_cmp_ne_u16_sdwa s[0:1], v2, s42 src0_sel:BYTE_0 src1_sel:DWORD
	v_mov_b32_e32 v61, 0x8000
	s_and_saveexec_b64 s[36:37], s[0:1]
	s_cbranch_execz .LBB251_266
; %bb.263:                              ;   in Loop: Header=BB251_9 Depth=1
	v_and_b32_e32 v62, 0x7f, v2
	v_cmp_ne_u32_e64 s[0:1], s43, v62
	v_mov_b32_e32 v61, 0x7c01
	s_and_saveexec_b64 s[38:39], s[0:1]
	s_cbranch_execz .LBB251_265
; %bb.264:                              ;   in Loop: Header=BB251_9 Depth=1
	v_and_b32_e32 v61, 7, v2
	v_ffbh_u32_e32 v64, v61
	v_min_u32_e32 v66, 32, v64
	v_subrev_u32_e32 v64, 28, v66
	v_lshlrev_b64 v[64:65], v64, v[2:3]
	v_lshrrev_b32_e32 v63, 3, v62
	v_sub_u32_e32 v65, 29, v66
	v_cmp_gt_u32_e64 s[0:1], 8, v62
	v_and_b32_e32 v64, 7, v64
	s_nop 0
	v_cndmask_b32_e64 v62, v63, v65, s[0:1]
	v_lshl_add_u32 v62, v62, 10, v15
	v_lshlrev_b32_e32 v63, 8, v2
	v_and_b32_e32 v62, 0xfc00, v62
	v_cndmask_b32_e64 v61, v61, v64, s[0:1]
	v_and_or_b32 v62, v63, s44, v62
	v_lshl_or_b32 v61, v61, 7, v62
.LBB251_265:                            ;   in Loop: Header=BB251_9 Depth=1
	s_or_b64 exec, exec, s[38:39]
.LBB251_266:                            ;   in Loop: Header=BB251_9 Depth=1
	s_or_b64 exec, exec, s[36:37]
.LBB251_267:                            ;   in Loop: Header=BB251_9 Depth=1
	s_or_b64 exec, exec, s[34:35]
	v_lshrrev_b16_e32 v2, 8, v2
	v_cmp_ne_u16_e64 s[0:1], 0, v2
	v_mov_b32_e32 v63, 0
	v_mov_b32_e32 v62, 0
	s_and_saveexec_b64 s[34:35], s[0:1]
	s_cbranch_execz .LBB251_273
; %bb.268:                              ;   in Loop: Header=BB251_9 Depth=1
	v_cmp_ne_u16_e64 s[0:1], s42, v2
	v_bfrev_b32_e32 v62, 1
	s_and_saveexec_b64 s[36:37], s[0:1]
	s_cbranch_execz .LBB251_272
; %bb.269:                              ;   in Loop: Header=BB251_9 Depth=1
	v_and_b32_e32 v64, 0x7f, v2
	v_cmp_ne_u32_e64 s[0:1], s43, v64
	v_mov_b32_e32 v62, 0x7c010000
	s_and_saveexec_b64 s[38:39], s[0:1]
	s_cbranch_execz .LBB251_271
; %bb.270:                              ;   in Loop: Header=BB251_9 Depth=1
	v_and_b32_e32 v62, 7, v2
	v_ffbh_u32_e32 v66, v62
	v_min_u32_e32 v68, 32, v66
	v_subrev_u32_e32 v66, 28, v68
	v_lshlrev_b64 v[66:67], v66, v[2:3]
	v_lshrrev_b32_e32 v65, 3, v64
	v_sub_u32_e32 v67, 29, v68
	v_cmp_gt_u32_e64 s[0:1], 8, v64
	v_lshlrev_b32_e32 v2, 8, v2
	s_nop 0
	v_cndmask_b32_e64 v64, v65, v67, s[0:1]
	v_lshl_add_u32 v64, v64, 10, v15
	v_and_b32_e32 v65, 7, v66
	v_and_or_b32 v2, v2, s44, v64
	v_cndmask_b32_e64 v62, v62, v65, s[0:1]
	v_lshlrev_b32_e32 v2, 16, v2
	v_lshl_or_b32 v62, v62, 23, v2
.LBB251_271:                            ;   in Loop: Header=BB251_9 Depth=1
	s_or_b64 exec, exec, s[38:39]
.LBB251_272:                            ;   in Loop: Header=BB251_9 Depth=1
	s_or_b64 exec, exec, s[36:37]
.LBB251_273:                            ;   in Loop: Header=BB251_9 Depth=1
	s_or_b64 exec, exec, s[34:35]
	global_load_ushort v64, v[8:9], off offset:2816
	s_waitcnt vmcnt(0)
	v_and_b32_e32 v2, 0xffff, v64
	v_cmp_ne_u16_sdwa s[0:1], v64, v3 src0_sel:BYTE_0 src1_sel:DWORD
	s_and_saveexec_b64 s[34:35], s[0:1]
	s_cbranch_execz .LBB251_279
; %bb.274:                              ;   in Loop: Header=BB251_9 Depth=1
	v_cmp_ne_u16_sdwa s[0:1], v2, s42 src0_sel:BYTE_0 src1_sel:DWORD
	v_mov_b32_e32 v63, 0x8000
	s_and_saveexec_b64 s[36:37], s[0:1]
	s_cbranch_execz .LBB251_278
; %bb.275:                              ;   in Loop: Header=BB251_9 Depth=1
	v_and_b32_e32 v64, 0x7f, v2
	v_cmp_ne_u32_e64 s[0:1], s43, v64
	v_mov_b32_e32 v63, 0x7c01
	s_and_saveexec_b64 s[38:39], s[0:1]
	s_cbranch_execz .LBB251_277
; %bb.276:                              ;   in Loop: Header=BB251_9 Depth=1
	v_and_b32_e32 v63, 7, v2
	v_ffbh_u32_e32 v66, v63
	v_min_u32_e32 v68, 32, v66
	v_subrev_u32_e32 v66, 28, v68
	v_lshlrev_b64 v[66:67], v66, v[2:3]
	v_lshrrev_b32_e32 v65, 3, v64
	v_sub_u32_e32 v67, 29, v68
	v_cmp_gt_u32_e64 s[0:1], 8, v64
	v_and_b32_e32 v66, 7, v66
	s_nop 0
	v_cndmask_b32_e64 v64, v65, v67, s[0:1]
	v_lshl_add_u32 v64, v64, 10, v15
	v_lshlrev_b32_e32 v65, 8, v2
	v_and_b32_e32 v64, 0xfc00, v64
	v_cndmask_b32_e64 v63, v63, v66, s[0:1]
	v_and_or_b32 v64, v65, s44, v64
	v_lshl_or_b32 v63, v63, 7, v64
.LBB251_277:                            ;   in Loop: Header=BB251_9 Depth=1
	s_or_b64 exec, exec, s[38:39]
.LBB251_278:                            ;   in Loop: Header=BB251_9 Depth=1
	s_or_b64 exec, exec, s[36:37]
.LBB251_279:                            ;   in Loop: Header=BB251_9 Depth=1
	s_or_b64 exec, exec, s[34:35]
	v_lshrrev_b16_e32 v2, 8, v2
	v_cmp_ne_u16_e64 s[0:1], 0, v2
	v_mov_b32_e32 v65, 0
	v_mov_b32_e32 v64, 0
	s_and_saveexec_b64 s[34:35], s[0:1]
	s_cbranch_execz .LBB251_285
; %bb.280:                              ;   in Loop: Header=BB251_9 Depth=1
	v_cmp_ne_u16_e64 s[0:1], s42, v2
	v_bfrev_b32_e32 v64, 1
	s_and_saveexec_b64 s[36:37], s[0:1]
	s_cbranch_execz .LBB251_284
; %bb.281:                              ;   in Loop: Header=BB251_9 Depth=1
	v_and_b32_e32 v66, 0x7f, v2
	v_cmp_ne_u32_e64 s[0:1], s43, v66
	v_mov_b32_e32 v64, 0x7c010000
	s_and_saveexec_b64 s[38:39], s[0:1]
	s_cbranch_execz .LBB251_283
; %bb.282:                              ;   in Loop: Header=BB251_9 Depth=1
	v_and_b32_e32 v64, 7, v2
	v_ffbh_u32_e32 v68, v64
	v_min_u32_e32 v70, 32, v68
	v_subrev_u32_e32 v68, 28, v70
	v_lshlrev_b64 v[68:69], v68, v[2:3]
	v_lshrrev_b32_e32 v67, 3, v66
	v_sub_u32_e32 v69, 29, v70
	v_cmp_gt_u32_e64 s[0:1], 8, v66
	v_lshlrev_b32_e32 v2, 8, v2
	s_nop 0
	v_cndmask_b32_e64 v66, v67, v69, s[0:1]
	v_lshl_add_u32 v66, v66, 10, v15
	v_and_b32_e32 v67, 7, v68
	v_and_or_b32 v2, v2, s44, v66
	v_cndmask_b32_e64 v64, v64, v67, s[0:1]
	v_lshlrev_b32_e32 v2, 16, v2
	v_lshl_or_b32 v64, v64, 23, v2
.LBB251_283:                            ;   in Loop: Header=BB251_9 Depth=1
	s_or_b64 exec, exec, s[38:39]
.LBB251_284:                            ;   in Loop: Header=BB251_9 Depth=1
	s_or_b64 exec, exec, s[36:37]
.LBB251_285:                            ;   in Loop: Header=BB251_9 Depth=1
	s_or_b64 exec, exec, s[34:35]
	global_load_ushort v66, v[8:9], off offset:2824
	s_waitcnt vmcnt(0)
	v_and_b32_e32 v2, 0xffff, v66
	v_cmp_ne_u16_sdwa s[0:1], v66, v3 src0_sel:BYTE_0 src1_sel:DWORD
	s_and_saveexec_b64 s[34:35], s[0:1]
	s_cbranch_execz .LBB251_291
; %bb.286:                              ;   in Loop: Header=BB251_9 Depth=1
	v_cmp_ne_u16_sdwa s[0:1], v2, s42 src0_sel:BYTE_0 src1_sel:DWORD
	v_mov_b32_e32 v65, 0x8000
	s_and_saveexec_b64 s[36:37], s[0:1]
	s_cbranch_execz .LBB251_290
; %bb.287:                              ;   in Loop: Header=BB251_9 Depth=1
	v_and_b32_e32 v66, 0x7f, v2
	v_cmp_ne_u32_e64 s[0:1], s43, v66
	v_mov_b32_e32 v65, 0x7c01
	s_and_saveexec_b64 s[38:39], s[0:1]
	s_cbranch_execz .LBB251_289
; %bb.288:                              ;   in Loop: Header=BB251_9 Depth=1
	v_and_b32_e32 v65, 7, v2
	v_ffbh_u32_e32 v68, v65
	v_min_u32_e32 v70, 32, v68
	v_subrev_u32_e32 v68, 28, v70
	v_lshlrev_b64 v[68:69], v68, v[2:3]
	v_lshrrev_b32_e32 v67, 3, v66
	v_sub_u32_e32 v69, 29, v70
	v_cmp_gt_u32_e64 s[0:1], 8, v66
	v_and_b32_e32 v68, 7, v68
	s_nop 0
	v_cndmask_b32_e64 v66, v67, v69, s[0:1]
	v_lshl_add_u32 v66, v66, 10, v15
	v_lshlrev_b32_e32 v67, 8, v2
	v_and_b32_e32 v66, 0xfc00, v66
	v_cndmask_b32_e64 v65, v65, v68, s[0:1]
	v_and_or_b32 v66, v67, s44, v66
	v_lshl_or_b32 v65, v65, 7, v66
.LBB251_289:                            ;   in Loop: Header=BB251_9 Depth=1
	s_or_b64 exec, exec, s[38:39]
.LBB251_290:                            ;   in Loop: Header=BB251_9 Depth=1
	s_or_b64 exec, exec, s[36:37]
.LBB251_291:                            ;   in Loop: Header=BB251_9 Depth=1
	s_or_b64 exec, exec, s[34:35]
	v_lshrrev_b16_e32 v2, 8, v2
	v_cmp_ne_u16_e64 s[0:1], 0, v2
	v_mov_b32_e32 v67, 0
	v_mov_b32_e32 v66, 0
	s_and_saveexec_b64 s[34:35], s[0:1]
	s_cbranch_execz .LBB251_297
; %bb.292:                              ;   in Loop: Header=BB251_9 Depth=1
	v_cmp_ne_u16_e64 s[0:1], s42, v2
	v_bfrev_b32_e32 v66, 1
	s_and_saveexec_b64 s[36:37], s[0:1]
	s_cbranch_execz .LBB251_296
; %bb.293:                              ;   in Loop: Header=BB251_9 Depth=1
	v_and_b32_e32 v68, 0x7f, v2
	v_cmp_ne_u32_e64 s[0:1], s43, v68
	v_mov_b32_e32 v66, 0x7c010000
	s_and_saveexec_b64 s[38:39], s[0:1]
	s_cbranch_execz .LBB251_295
; %bb.294:                              ;   in Loop: Header=BB251_9 Depth=1
	v_and_b32_e32 v66, 7, v2
	v_ffbh_u32_e32 v70, v66
	v_min_u32_e32 v72, 32, v70
	v_subrev_u32_e32 v70, 28, v72
	v_lshlrev_b64 v[70:71], v70, v[2:3]
	v_lshrrev_b32_e32 v69, 3, v68
	v_sub_u32_e32 v71, 29, v72
	v_cmp_gt_u32_e64 s[0:1], 8, v68
	v_lshlrev_b32_e32 v2, 8, v2
	s_nop 0
	v_cndmask_b32_e64 v68, v69, v71, s[0:1]
	v_lshl_add_u32 v68, v68, 10, v15
	v_and_b32_e32 v69, 7, v70
	v_and_or_b32 v2, v2, s44, v68
	v_cndmask_b32_e64 v66, v66, v69, s[0:1]
	v_lshlrev_b32_e32 v2, 16, v2
	v_lshl_or_b32 v66, v66, 23, v2
.LBB251_295:                            ;   in Loop: Header=BB251_9 Depth=1
	s_or_b64 exec, exec, s[38:39]
.LBB251_296:                            ;   in Loop: Header=BB251_9 Depth=1
	s_or_b64 exec, exec, s[36:37]
.LBB251_297:                            ;   in Loop: Header=BB251_9 Depth=1
	s_or_b64 exec, exec, s[34:35]
	global_load_ushort v68, v[8:9], off offset:3072
	s_waitcnt vmcnt(0)
	v_and_b32_e32 v2, 0xffff, v68
	v_cmp_ne_u16_sdwa s[0:1], v68, v3 src0_sel:BYTE_0 src1_sel:DWORD
	s_and_saveexec_b64 s[34:35], s[0:1]
	s_cbranch_execz .LBB251_303
; %bb.298:                              ;   in Loop: Header=BB251_9 Depth=1
	v_cmp_ne_u16_sdwa s[0:1], v2, s42 src0_sel:BYTE_0 src1_sel:DWORD
	v_mov_b32_e32 v67, 0x8000
	s_and_saveexec_b64 s[36:37], s[0:1]
	s_cbranch_execz .LBB251_302
; %bb.299:                              ;   in Loop: Header=BB251_9 Depth=1
	v_and_b32_e32 v68, 0x7f, v2
	v_cmp_ne_u32_e64 s[0:1], s43, v68
	v_mov_b32_e32 v67, 0x7c01
	s_and_saveexec_b64 s[38:39], s[0:1]
	s_cbranch_execz .LBB251_301
; %bb.300:                              ;   in Loop: Header=BB251_9 Depth=1
	v_and_b32_e32 v67, 7, v2
	v_ffbh_u32_e32 v70, v67
	v_min_u32_e32 v72, 32, v70
	v_subrev_u32_e32 v70, 28, v72
	v_lshlrev_b64 v[70:71], v70, v[2:3]
	v_lshrrev_b32_e32 v69, 3, v68
	v_sub_u32_e32 v71, 29, v72
	v_cmp_gt_u32_e64 s[0:1], 8, v68
	v_and_b32_e32 v70, 7, v70
	s_nop 0
	v_cndmask_b32_e64 v68, v69, v71, s[0:1]
	v_lshl_add_u32 v68, v68, 10, v15
	v_lshlrev_b32_e32 v69, 8, v2
	v_and_b32_e32 v68, 0xfc00, v68
	v_cndmask_b32_e64 v67, v67, v70, s[0:1]
	v_and_or_b32 v68, v69, s44, v68
	v_lshl_or_b32 v67, v67, 7, v68
.LBB251_301:                            ;   in Loop: Header=BB251_9 Depth=1
	s_or_b64 exec, exec, s[38:39]
.LBB251_302:                            ;   in Loop: Header=BB251_9 Depth=1
	s_or_b64 exec, exec, s[36:37]
.LBB251_303:                            ;   in Loop: Header=BB251_9 Depth=1
	s_or_b64 exec, exec, s[34:35]
	v_lshrrev_b16_e32 v2, 8, v2
	v_cmp_ne_u16_e64 s[0:1], 0, v2
	v_mov_b32_e32 v69, 0
	v_mov_b32_e32 v68, 0
	s_and_saveexec_b64 s[34:35], s[0:1]
	s_cbranch_execz .LBB251_309
; %bb.304:                              ;   in Loop: Header=BB251_9 Depth=1
	v_cmp_ne_u16_e64 s[0:1], s42, v2
	v_bfrev_b32_e32 v68, 1
	s_and_saveexec_b64 s[36:37], s[0:1]
	s_cbranch_execz .LBB251_308
; %bb.305:                              ;   in Loop: Header=BB251_9 Depth=1
	v_and_b32_e32 v70, 0x7f, v2
	v_cmp_ne_u32_e64 s[0:1], s43, v70
	v_mov_b32_e32 v68, 0x7c010000
	s_and_saveexec_b64 s[38:39], s[0:1]
	s_cbranch_execz .LBB251_307
; %bb.306:                              ;   in Loop: Header=BB251_9 Depth=1
	v_and_b32_e32 v68, 7, v2
	v_ffbh_u32_e32 v72, v68
	v_min_u32_e32 v74, 32, v72
	v_subrev_u32_e32 v72, 28, v74
	v_lshlrev_b64 v[72:73], v72, v[2:3]
	v_lshrrev_b32_e32 v71, 3, v70
	v_sub_u32_e32 v73, 29, v74
	v_cmp_gt_u32_e64 s[0:1], 8, v70
	v_lshlrev_b32_e32 v2, 8, v2
	s_nop 0
	v_cndmask_b32_e64 v70, v71, v73, s[0:1]
	v_lshl_add_u32 v70, v70, 10, v15
	v_and_b32_e32 v71, 7, v72
	v_and_or_b32 v2, v2, s44, v70
	v_cndmask_b32_e64 v68, v68, v71, s[0:1]
	v_lshlrev_b32_e32 v2, 16, v2
	v_lshl_or_b32 v68, v68, 23, v2
.LBB251_307:                            ;   in Loop: Header=BB251_9 Depth=1
	s_or_b64 exec, exec, s[38:39]
.LBB251_308:                            ;   in Loop: Header=BB251_9 Depth=1
	s_or_b64 exec, exec, s[36:37]
.LBB251_309:                            ;   in Loop: Header=BB251_9 Depth=1
	s_or_b64 exec, exec, s[34:35]
	global_load_ushort v70, v[8:9], off offset:3080
	s_waitcnt vmcnt(0)
	v_and_b32_e32 v2, 0xffff, v70
	v_cmp_ne_u16_sdwa s[0:1], v70, v3 src0_sel:BYTE_0 src1_sel:DWORD
	s_and_saveexec_b64 s[34:35], s[0:1]
	s_cbranch_execz .LBB251_315
; %bb.310:                              ;   in Loop: Header=BB251_9 Depth=1
	v_cmp_ne_u16_sdwa s[0:1], v2, s42 src0_sel:BYTE_0 src1_sel:DWORD
	v_mov_b32_e32 v69, 0x8000
	s_and_saveexec_b64 s[36:37], s[0:1]
	s_cbranch_execz .LBB251_314
; %bb.311:                              ;   in Loop: Header=BB251_9 Depth=1
	v_and_b32_e32 v70, 0x7f, v2
	v_cmp_ne_u32_e64 s[0:1], s43, v70
	v_mov_b32_e32 v69, 0x7c01
	s_and_saveexec_b64 s[38:39], s[0:1]
	s_cbranch_execz .LBB251_313
; %bb.312:                              ;   in Loop: Header=BB251_9 Depth=1
	v_and_b32_e32 v69, 7, v2
	v_ffbh_u32_e32 v72, v69
	v_min_u32_e32 v74, 32, v72
	v_subrev_u32_e32 v72, 28, v74
	v_lshlrev_b64 v[72:73], v72, v[2:3]
	v_lshrrev_b32_e32 v71, 3, v70
	v_sub_u32_e32 v73, 29, v74
	v_cmp_gt_u32_e64 s[0:1], 8, v70
	v_and_b32_e32 v72, 7, v72
	s_nop 0
	v_cndmask_b32_e64 v70, v71, v73, s[0:1]
	v_lshl_add_u32 v70, v70, 10, v15
	v_lshlrev_b32_e32 v71, 8, v2
	v_and_b32_e32 v70, 0xfc00, v70
	v_cndmask_b32_e64 v69, v69, v72, s[0:1]
	v_and_or_b32 v70, v71, s44, v70
	v_lshl_or_b32 v69, v69, 7, v70
.LBB251_313:                            ;   in Loop: Header=BB251_9 Depth=1
	s_or_b64 exec, exec, s[38:39]
.LBB251_314:                            ;   in Loop: Header=BB251_9 Depth=1
	s_or_b64 exec, exec, s[36:37]
.LBB251_315:                            ;   in Loop: Header=BB251_9 Depth=1
	s_or_b64 exec, exec, s[34:35]
	v_lshrrev_b16_e32 v2, 8, v2
	v_cmp_ne_u16_e64 s[0:1], 0, v2
	v_mov_b32_e32 v75, 0
	v_mov_b32_e32 v77, 0
	s_and_saveexec_b64 s[34:35], s[0:1]
	s_cbranch_execz .LBB251_321
; %bb.316:                              ;   in Loop: Header=BB251_9 Depth=1
	v_cmp_ne_u16_e64 s[0:1], s42, v2
	v_bfrev_b32_e32 v77, 1
	s_and_saveexec_b64 s[36:37], s[0:1]
	s_cbranch_execz .LBB251_320
; %bb.317:                              ;   in Loop: Header=BB251_9 Depth=1
	v_and_b32_e32 v70, 0x7f, v2
	v_cmp_ne_u32_e64 s[0:1], s43, v70
	v_mov_b32_e32 v77, 0x7c010000
	s_and_saveexec_b64 s[38:39], s[0:1]
	s_cbranch_execz .LBB251_319
; %bb.318:                              ;   in Loop: Header=BB251_9 Depth=1
	v_and_b32_e32 v71, 7, v2
	v_ffbh_u32_e32 v72, v71
	v_min_u32_e32 v76, 32, v72
	v_subrev_u32_e32 v72, 28, v76
	v_lshlrev_b64 v[72:73], v72, v[2:3]
	v_lshrrev_b32_e32 v74, 3, v70
	v_sub_u32_e32 v73, 29, v76
	v_cmp_gt_u32_e64 s[0:1], 8, v70
	v_lshlrev_b32_e32 v2, 8, v2
	v_and_b32_e32 v72, 7, v72
	v_cndmask_b32_e64 v70, v74, v73, s[0:1]
	v_lshl_add_u32 v70, v70, 10, v15
	v_and_or_b32 v2, v2, s44, v70
	v_cndmask_b32_e64 v71, v71, v72, s[0:1]
	v_lshlrev_b32_e32 v2, 16, v2
	v_lshl_or_b32 v77, v71, 23, v2
.LBB251_319:                            ;   in Loop: Header=BB251_9 Depth=1
	s_or_b64 exec, exec, s[38:39]
.LBB251_320:                            ;   in Loop: Header=BB251_9 Depth=1
	s_or_b64 exec, exec, s[36:37]
.LBB251_321:                            ;   in Loop: Header=BB251_9 Depth=1
	s_or_b64 exec, exec, s[34:35]
	global_load_ushort v70, v[8:9], off offset:3328
	s_waitcnt vmcnt(0)
	v_and_b32_e32 v2, 0xffff, v70
	v_cmp_ne_u16_sdwa s[0:1], v70, v3 src0_sel:BYTE_0 src1_sel:DWORD
	s_and_saveexec_b64 s[34:35], s[0:1]
	s_cbranch_execz .LBB251_327
; %bb.322:                              ;   in Loop: Header=BB251_9 Depth=1
	v_cmp_ne_u16_sdwa s[0:1], v2, s42 src0_sel:BYTE_0 src1_sel:DWORD
	v_mov_b32_e32 v75, 0x8000
	s_and_saveexec_b64 s[36:37], s[0:1]
	s_cbranch_execz .LBB251_326
; %bb.323:                              ;   in Loop: Header=BB251_9 Depth=1
	v_and_b32_e32 v70, 0x7f, v2
	v_cmp_ne_u32_e64 s[0:1], s43, v70
	v_mov_b32_e32 v75, 0x7c01
	s_and_saveexec_b64 s[38:39], s[0:1]
	s_cbranch_execz .LBB251_325
; %bb.324:                              ;   in Loop: Header=BB251_9 Depth=1
	v_and_b32_e32 v71, 7, v2
	v_ffbh_u32_e32 v72, v71
	v_min_u32_e32 v75, 32, v72
	v_subrev_u32_e32 v72, 28, v75
	v_lshlrev_b64 v[72:73], v72, v[2:3]
	v_lshrrev_b32_e32 v74, 3, v70
	v_sub_u32_e32 v73, 29, v75
	v_cmp_gt_u32_e64 s[0:1], 8, v70
	v_and_b32_e32 v72, 7, v72
	s_nop 0
	v_cndmask_b32_e64 v70, v74, v73, s[0:1]
	v_lshl_add_u32 v70, v70, 10, v15
	v_lshlrev_b32_e32 v73, 8, v2
	v_and_b32_e32 v70, 0xfc00, v70
	v_cndmask_b32_e64 v71, v71, v72, s[0:1]
	v_and_or_b32 v70, v73, s44, v70
	v_lshl_or_b32 v75, v71, 7, v70
.LBB251_325:                            ;   in Loop: Header=BB251_9 Depth=1
	s_or_b64 exec, exec, s[38:39]
.LBB251_326:                            ;   in Loop: Header=BB251_9 Depth=1
	s_or_b64 exec, exec, s[36:37]
.LBB251_327:                            ;   in Loop: Header=BB251_9 Depth=1
	s_or_b64 exec, exec, s[34:35]
	v_lshrrev_b16_e32 v2, 8, v2
	v_cmp_ne_u16_e64 s[0:1], 0, v2
	v_mov_b32_e32 v73, 0
	v_mov_b32_e32 v79, 0
	s_and_saveexec_b64 s[34:35], s[0:1]
	s_cbranch_execz .LBB251_333
; %bb.328:                              ;   in Loop: Header=BB251_9 Depth=1
	v_cmp_ne_u16_e64 s[0:1], s42, v2
	v_bfrev_b32_e32 v79, 1
	s_and_saveexec_b64 s[36:37], s[0:1]
	s_cbranch_execz .LBB251_332
; %bb.329:                              ;   in Loop: Header=BB251_9 Depth=1
	v_and_b32_e32 v70, 0x7f, v2
	v_cmp_ne_u32_e64 s[0:1], s43, v70
	v_mov_b32_e32 v79, 0x7c010000
	s_and_saveexec_b64 s[38:39], s[0:1]
	s_cbranch_execz .LBB251_331
; %bb.330:                              ;   in Loop: Header=BB251_9 Depth=1
	v_and_b32_e32 v71, 7, v2
	v_ffbh_u32_e32 v74, v71
	v_min_u32_e32 v74, 32, v74
	v_lshrrev_b32_e32 v72, 3, v70
	v_subrev_u32_e32 v76, 28, v74
	v_sub_u32_e32 v74, 29, v74
	v_cmp_gt_u32_e64 s[0:1], 8, v70
	v_lshlrev_b64 v[78:79], v76, v[2:3]
	v_lshlrev_b32_e32 v2, 8, v2
	v_cndmask_b32_e64 v70, v72, v74, s[0:1]
	v_lshl_add_u32 v70, v70, 10, v15
	v_and_b32_e32 v72, 7, v78
	v_and_or_b32 v2, v2, s44, v70
	v_cndmask_b32_e64 v71, v71, v72, s[0:1]
	v_lshlrev_b32_e32 v2, 16, v2
	v_lshl_or_b32 v79, v71, 23, v2
.LBB251_331:                            ;   in Loop: Header=BB251_9 Depth=1
	s_or_b64 exec, exec, s[38:39]
.LBB251_332:                            ;   in Loop: Header=BB251_9 Depth=1
	s_or_b64 exec, exec, s[36:37]
.LBB251_333:                            ;   in Loop: Header=BB251_9 Depth=1
	s_or_b64 exec, exec, s[34:35]
	global_load_ushort v70, v[8:9], off offset:3336
	s_waitcnt vmcnt(0)
	v_and_b32_e32 v2, 0xffff, v70
	v_cmp_ne_u16_sdwa s[0:1], v70, v3 src0_sel:BYTE_0 src1_sel:DWORD
	s_and_saveexec_b64 s[34:35], s[0:1]
	s_cbranch_execz .LBB251_339
; %bb.334:                              ;   in Loop: Header=BB251_9 Depth=1
	v_cmp_ne_u16_sdwa s[0:1], v2, s42 src0_sel:BYTE_0 src1_sel:DWORD
	v_mov_b32_e32 v73, 0x8000
	s_and_saveexec_b64 s[36:37], s[0:1]
	s_cbranch_execz .LBB251_338
; %bb.335:                              ;   in Loop: Header=BB251_9 Depth=1
	v_and_b32_e32 v70, 0x7f, v2
	v_cmp_ne_u32_e64 s[0:1], s43, v70
	v_mov_b32_e32 v73, 0x7c01
	s_and_saveexec_b64 s[38:39], s[0:1]
	s_cbranch_execz .LBB251_337
; %bb.336:                              ;   in Loop: Header=BB251_9 Depth=1
	v_and_b32_e32 v71, 7, v2
	v_ffbh_u32_e32 v72, v71
	v_min_u32_e32 v76, 32, v72
	v_subrev_u32_e32 v72, 28, v76
	v_lshlrev_b64 v[72:73], v72, v[2:3]
	v_lshrrev_b32_e32 v74, 3, v70
	v_sub_u32_e32 v73, 29, v76
	v_cmp_gt_u32_e64 s[0:1], 8, v70
	v_and_b32_e32 v72, 7, v72
	s_nop 0
	v_cndmask_b32_e64 v70, v74, v73, s[0:1]
	v_lshl_add_u32 v70, v70, 10, v15
	v_lshlrev_b32_e32 v73, 8, v2
	v_and_b32_e32 v70, 0xfc00, v70
	v_cndmask_b32_e64 v71, v71, v72, s[0:1]
	v_and_or_b32 v70, v73, s44, v70
	v_lshl_or_b32 v73, v71, 7, v70
.LBB251_337:                            ;   in Loop: Header=BB251_9 Depth=1
	s_or_b64 exec, exec, s[38:39]
.LBB251_338:                            ;   in Loop: Header=BB251_9 Depth=1
	s_or_b64 exec, exec, s[36:37]
.LBB251_339:                            ;   in Loop: Header=BB251_9 Depth=1
	s_or_b64 exec, exec, s[34:35]
	v_lshrrev_b16_e32 v2, 8, v2
	v_cmp_ne_u16_e64 s[0:1], 0, v2
	v_mov_b32_e32 v71, 0
	v_mov_b32_e32 v76, 0
	s_and_saveexec_b64 s[34:35], s[0:1]
	s_cbranch_execz .LBB251_345
; %bb.340:                              ;   in Loop: Header=BB251_9 Depth=1
	v_cmp_ne_u16_e64 s[0:1], s42, v2
	v_bfrev_b32_e32 v76, 1
	s_and_saveexec_b64 s[36:37], s[0:1]
	s_cbranch_execz .LBB251_344
; %bb.341:                              ;   in Loop: Header=BB251_9 Depth=1
	v_and_b32_e32 v70, 0x7f, v2
	v_cmp_ne_u32_e64 s[0:1], s43, v70
	v_mov_b32_e32 v76, 0x7c010000
	s_and_saveexec_b64 s[38:39], s[0:1]
	s_cbranch_execz .LBB251_343
; %bb.342:                              ;   in Loop: Header=BB251_9 Depth=1
	v_and_b32_e32 v72, 7, v2
	v_ffbh_u32_e32 v76, v72
	v_min_u32_e32 v76, 32, v76
	v_lshrrev_b32_e32 v74, 3, v70
	v_subrev_u32_e32 v78, 28, v76
	v_sub_u32_e32 v76, 29, v76
	v_cmp_gt_u32_e64 s[0:1], 8, v70
	v_lshlrev_b64 v[80:81], v78, v[2:3]
	v_lshlrev_b32_e32 v2, 8, v2
	v_cndmask_b32_e64 v70, v74, v76, s[0:1]
	v_lshl_add_u32 v70, v70, 10, v15
	v_and_b32_e32 v74, 7, v80
	v_and_or_b32 v2, v2, s44, v70
	v_cndmask_b32_e64 v72, v72, v74, s[0:1]
	v_lshlrev_b32_e32 v2, 16, v2
	v_lshl_or_b32 v76, v72, 23, v2
.LBB251_343:                            ;   in Loop: Header=BB251_9 Depth=1
	s_or_b64 exec, exec, s[38:39]
.LBB251_344:                            ;   in Loop: Header=BB251_9 Depth=1
	s_or_b64 exec, exec, s[36:37]
.LBB251_345:                            ;   in Loop: Header=BB251_9 Depth=1
	s_or_b64 exec, exec, s[34:35]
	global_load_ushort v70, v[8:9], off offset:3584
	s_waitcnt vmcnt(0)
	v_and_b32_e32 v2, 0xffff, v70
	v_cmp_ne_u16_sdwa s[0:1], v70, v3 src0_sel:BYTE_0 src1_sel:DWORD
	s_and_saveexec_b64 s[34:35], s[0:1]
	s_cbranch_execz .LBB251_351
; %bb.346:                              ;   in Loop: Header=BB251_9 Depth=1
	v_cmp_ne_u16_sdwa s[0:1], v2, s42 src0_sel:BYTE_0 src1_sel:DWORD
	v_mov_b32_e32 v71, 0x8000
	s_and_saveexec_b64 s[36:37], s[0:1]
	s_cbranch_execz .LBB251_350
; %bb.347:                              ;   in Loop: Header=BB251_9 Depth=1
	v_and_b32_e32 v70, 0x7f, v2
	v_cmp_ne_u32_e64 s[0:1], s43, v70
	v_mov_b32_e32 v71, 0x7c01
	s_and_saveexec_b64 s[38:39], s[0:1]
	s_cbranch_execz .LBB251_349
; %bb.348:                              ;   in Loop: Header=BB251_9 Depth=1
	v_and_b32_e32 v71, 7, v2
	v_ffbh_u32_e32 v74, v71
	v_min_u32_e32 v74, 32, v74
	v_lshrrev_b32_e32 v72, 3, v70
	v_subrev_u32_e32 v78, 28, v74
	v_sub_u32_e32 v74, 29, v74
	v_cmp_gt_u32_e64 s[0:1], 8, v70
	v_lshlrev_b64 v[80:81], v78, v[2:3]
	s_nop 0
	v_cndmask_b32_e64 v70, v72, v74, s[0:1]
	v_lshl_add_u32 v70, v70, 10, v15
	v_lshlrev_b32_e32 v72, 8, v2
	v_and_b32_e32 v74, 7, v80
	v_and_b32_e32 v70, 0xfc00, v70
	v_cndmask_b32_e64 v71, v71, v74, s[0:1]
	v_and_or_b32 v70, v72, s44, v70
	v_lshl_or_b32 v71, v71, 7, v70
.LBB251_349:                            ;   in Loop: Header=BB251_9 Depth=1
	s_or_b64 exec, exec, s[38:39]
.LBB251_350:                            ;   in Loop: Header=BB251_9 Depth=1
	s_or_b64 exec, exec, s[36:37]
.LBB251_351:                            ;   in Loop: Header=BB251_9 Depth=1
	s_or_b64 exec, exec, s[34:35]
	v_lshrrev_b16_e32 v2, 8, v2
	v_cmp_ne_u16_e64 s[0:1], 0, v2
	v_mov_b32_e32 v70, 0
	v_mov_b32_e32 v74, 0
	s_and_saveexec_b64 s[34:35], s[0:1]
	s_cbranch_execz .LBB251_357
; %bb.352:                              ;   in Loop: Header=BB251_9 Depth=1
	v_cmp_ne_u16_e64 s[0:1], s42, v2
	v_bfrev_b32_e32 v74, 1
	s_and_saveexec_b64 s[36:37], s[0:1]
	s_cbranch_execz .LBB251_356
; %bb.353:                              ;   in Loop: Header=BB251_9 Depth=1
	v_and_b32_e32 v72, 0x7f, v2
	v_cmp_ne_u32_e64 s[0:1], s43, v72
	v_mov_b32_e32 v74, 0x7c010000
	s_and_saveexec_b64 s[38:39], s[0:1]
	s_cbranch_execz .LBB251_355
; %bb.354:                              ;   in Loop: Header=BB251_9 Depth=1
	v_and_b32_e32 v74, 7, v2
	v_ffbh_u32_e32 v80, v74
	v_min_u32_e32 v82, 32, v80
	v_subrev_u32_e32 v80, 28, v82
	v_lshlrev_b64 v[80:81], v80, v[2:3]
	v_lshrrev_b32_e32 v78, 3, v72
	v_sub_u32_e32 v81, 29, v82
	v_cmp_gt_u32_e64 s[0:1], 8, v72
	v_lshlrev_b32_e32 v2, 8, v2
	s_nop 0
	v_cndmask_b32_e64 v72, v78, v81, s[0:1]
	v_lshl_add_u32 v72, v72, 10, v15
	v_and_b32_e32 v78, 7, v80
	v_and_or_b32 v2, v2, s44, v72
	v_cndmask_b32_e64 v74, v74, v78, s[0:1]
	v_lshlrev_b32_e32 v2, 16, v2
	v_lshl_or_b32 v74, v74, 23, v2
.LBB251_355:                            ;   in Loop: Header=BB251_9 Depth=1
	s_or_b64 exec, exec, s[38:39]
.LBB251_356:                            ;   in Loop: Header=BB251_9 Depth=1
	s_or_b64 exec, exec, s[36:37]
.LBB251_357:                            ;   in Loop: Header=BB251_9 Depth=1
	s_or_b64 exec, exec, s[34:35]
	global_load_ushort v72, v[8:9], off offset:3592
	s_waitcnt vmcnt(0)
	v_and_b32_e32 v2, 0xffff, v72
	v_cmp_ne_u16_sdwa s[0:1], v72, v3 src0_sel:BYTE_0 src1_sel:DWORD
	s_and_saveexec_b64 s[34:35], s[0:1]
	s_cbranch_execz .LBB251_363
; %bb.358:                              ;   in Loop: Header=BB251_9 Depth=1
	v_cmp_ne_u16_sdwa s[0:1], v2, s42 src0_sel:BYTE_0 src1_sel:DWORD
	v_mov_b32_e32 v70, 0x8000
	s_and_saveexec_b64 s[36:37], s[0:1]
	s_cbranch_execz .LBB251_362
; %bb.359:                              ;   in Loop: Header=BB251_9 Depth=1
	v_and_b32_e32 v72, 0x7f, v2
	v_cmp_ne_u32_e64 s[0:1], s43, v72
	v_mov_b32_e32 v70, 0x7c01
	s_and_saveexec_b64 s[38:39], s[0:1]
	s_cbranch_execz .LBB251_361
; %bb.360:                              ;   in Loop: Header=BB251_9 Depth=1
	v_and_b32_e32 v70, 7, v2
	v_ffbh_u32_e32 v80, v70
	v_min_u32_e32 v82, 32, v80
	v_subrev_u32_e32 v80, 28, v82
	v_lshlrev_b64 v[80:81], v80, v[2:3]
	v_lshrrev_b32_e32 v78, 3, v72
	v_sub_u32_e32 v81, 29, v82
	v_cmp_gt_u32_e64 s[0:1], 8, v72
	v_and_b32_e32 v80, 7, v80
	s_nop 0
	v_cndmask_b32_e64 v72, v78, v81, s[0:1]
	v_lshl_add_u32 v72, v72, 10, v15
	v_lshlrev_b32_e32 v78, 8, v2
	v_and_b32_e32 v72, 0xfc00, v72
	v_cndmask_b32_e64 v70, v70, v80, s[0:1]
	v_and_or_b32 v72, v78, s44, v72
	v_lshl_or_b32 v70, v70, 7, v72
.LBB251_361:                            ;   in Loop: Header=BB251_9 Depth=1
	s_or_b64 exec, exec, s[38:39]
.LBB251_362:                            ;   in Loop: Header=BB251_9 Depth=1
	s_or_b64 exec, exec, s[36:37]
.LBB251_363:                            ;   in Loop: Header=BB251_9 Depth=1
	s_or_b64 exec, exec, s[34:35]
	v_lshrrev_b16_e32 v2, 8, v2
	v_cmp_ne_u16_e64 s[0:1], 0, v2
	v_mov_b32_e32 v81, 0
	v_mov_b32_e32 v72, 0
	s_and_saveexec_b64 s[34:35], s[0:1]
	s_cbranch_execz .LBB251_369
; %bb.364:                              ;   in Loop: Header=BB251_9 Depth=1
	v_cmp_ne_u16_e64 s[0:1], s42, v2
	v_bfrev_b32_e32 v72, 1
	s_and_saveexec_b64 s[36:37], s[0:1]
	s_cbranch_execz .LBB251_368
; %bb.365:                              ;   in Loop: Header=BB251_9 Depth=1
	v_and_b32_e32 v78, 0x7f, v2
	v_cmp_ne_u32_e64 s[0:1], s43, v78
	v_mov_b32_e32 v72, 0x7c010000
	s_and_saveexec_b64 s[38:39], s[0:1]
	s_cbranch_execz .LBB251_367
; %bb.366:                              ;   in Loop: Header=BB251_9 Depth=1
	v_and_b32_e32 v72, 7, v2
	v_ffbh_u32_e32 v82, v72
	v_min_u32_e32 v84, 32, v82
	v_subrev_u32_e32 v82, 28, v84
	v_lshlrev_b64 v[82:83], v82, v[2:3]
	v_lshrrev_b32_e32 v80, 3, v78
	v_sub_u32_e32 v83, 29, v84
	v_cmp_gt_u32_e64 s[0:1], 8, v78
	v_lshlrev_b32_e32 v2, 8, v2
	s_nop 0
	v_cndmask_b32_e64 v78, v80, v83, s[0:1]
	v_lshl_add_u32 v78, v78, 10, v15
	v_and_b32_e32 v80, 7, v82
	v_and_or_b32 v2, v2, s44, v78
	v_cndmask_b32_e64 v72, v72, v80, s[0:1]
	v_lshlrev_b32_e32 v2, 16, v2
	v_lshl_or_b32 v72, v72, 23, v2
.LBB251_367:                            ;   in Loop: Header=BB251_9 Depth=1
	s_or_b64 exec, exec, s[38:39]
.LBB251_368:                            ;   in Loop: Header=BB251_9 Depth=1
	s_or_b64 exec, exec, s[36:37]
.LBB251_369:                            ;   in Loop: Header=BB251_9 Depth=1
	s_or_b64 exec, exec, s[34:35]
	global_load_ushort v78, v[8:9], off offset:3840
	s_waitcnt vmcnt(0)
	v_and_b32_e32 v2, 0xffff, v78
	v_cmp_ne_u16_sdwa s[0:1], v78, v3 src0_sel:BYTE_0 src1_sel:DWORD
	s_and_saveexec_b64 s[34:35], s[0:1]
	s_cbranch_execz .LBB251_375
; %bb.370:                              ;   in Loop: Header=BB251_9 Depth=1
	v_cmp_ne_u16_sdwa s[0:1], v2, s42 src0_sel:BYTE_0 src1_sel:DWORD
	v_mov_b32_e32 v81, 0x8000
	s_and_saveexec_b64 s[36:37], s[0:1]
	s_cbranch_execz .LBB251_374
; %bb.371:                              ;   in Loop: Header=BB251_9 Depth=1
	v_and_b32_e32 v78, 0x7f, v2
	v_cmp_ne_u32_e64 s[0:1], s43, v78
	v_mov_b32_e32 v81, 0x7c01
	s_and_saveexec_b64 s[38:39], s[0:1]
	s_cbranch_execz .LBB251_373
; %bb.372:                              ;   in Loop: Header=BB251_9 Depth=1
	v_and_b32_e32 v82, 7, v2
	v_ffbh_u32_e32 v80, v82
	v_min_u32_e32 v84, 32, v80
	v_subrev_u32_e32 v80, 28, v84
	v_lshlrev_b64 v[80:81], v80, v[2:3]
	v_lshrrev_b32_e32 v83, 3, v78
	v_sub_u32_e32 v81, 29, v84
	v_cmp_gt_u32_e64 s[0:1], 8, v78
	v_and_b32_e32 v80, 7, v80
	s_nop 0
	v_cndmask_b32_e64 v78, v83, v81, s[0:1]
	v_lshl_add_u32 v78, v78, 10, v15
	v_lshlrev_b32_e32 v81, 8, v2
	v_and_b32_e32 v78, 0xfc00, v78
	v_cndmask_b32_e64 v80, v82, v80, s[0:1]
	v_and_or_b32 v78, v81, s44, v78
	v_lshl_or_b32 v81, v80, 7, v78
.LBB251_373:                            ;   in Loop: Header=BB251_9 Depth=1
	s_or_b64 exec, exec, s[38:39]
.LBB251_374:                            ;   in Loop: Header=BB251_9 Depth=1
	s_or_b64 exec, exec, s[36:37]
.LBB251_375:                            ;   in Loop: Header=BB251_9 Depth=1
	s_or_b64 exec, exec, s[34:35]
	v_lshrrev_b16_e32 v2, 8, v2
	v_cmp_ne_u16_e64 s[0:1], 0, v2
	v_mov_b32_e32 v78, 0
	v_mov_b32_e32 v82, 0
	s_and_saveexec_b64 s[34:35], s[0:1]
	s_cbranch_execz .LBB251_381
; %bb.376:                              ;   in Loop: Header=BB251_9 Depth=1
	v_cmp_ne_u16_e64 s[0:1], s42, v2
	v_bfrev_b32_e32 v82, 1
	s_and_saveexec_b64 s[36:37], s[0:1]
	s_cbranch_execz .LBB251_380
; %bb.377:                              ;   in Loop: Header=BB251_9 Depth=1
	v_and_b32_e32 v80, 0x7f, v2
	v_cmp_ne_u32_e64 s[0:1], s43, v80
	v_mov_b32_e32 v82, 0x7c010000
	s_and_saveexec_b64 s[38:39], s[0:1]
	s_cbranch_execz .LBB251_379
; %bb.378:                              ;   in Loop: Header=BB251_9 Depth=1
	v_and_b32_e32 v84, 7, v2
	v_ffbh_u32_e32 v82, v84
	v_min_u32_e32 v86, 32, v82
	v_subrev_u32_e32 v82, 28, v86
	v_lshlrev_b64 v[82:83], v82, v[2:3]
	v_lshrrev_b32_e32 v85, 3, v80
	v_sub_u32_e32 v83, 29, v86
	v_cmp_gt_u32_e64 s[0:1], 8, v80
	v_lshlrev_b32_e32 v2, 8, v2
	v_and_b32_e32 v82, 7, v82
	v_cndmask_b32_e64 v80, v85, v83, s[0:1]
	v_lshl_add_u32 v80, v80, 10, v15
	v_and_or_b32 v2, v2, s44, v80
	v_cndmask_b32_e64 v82, v84, v82, s[0:1]
	v_lshlrev_b32_e32 v2, 16, v2
	v_lshl_or_b32 v82, v82, 23, v2
.LBB251_379:                            ;   in Loop: Header=BB251_9 Depth=1
	s_or_b64 exec, exec, s[38:39]
.LBB251_380:                            ;   in Loop: Header=BB251_9 Depth=1
	s_or_b64 exec, exec, s[36:37]
.LBB251_381:                            ;   in Loop: Header=BB251_9 Depth=1
	s_or_b64 exec, exec, s[34:35]
	global_load_ushort v8, v[8:9], off offset:3848
	s_waitcnt vmcnt(0)
	v_and_b32_e32 v2, 0xffff, v8
	v_cmp_ne_u16_sdwa s[0:1], v8, v3 src0_sel:BYTE_0 src1_sel:DWORD
	s_and_saveexec_b64 s[34:35], s[0:1]
	s_cbranch_execz .LBB251_387
; %bb.382:                              ;   in Loop: Header=BB251_9 Depth=1
	v_cmp_ne_u16_sdwa s[0:1], v2, s42 src0_sel:BYTE_0 src1_sel:DWORD
	v_mov_b32_e32 v78, 0x8000
	s_and_saveexec_b64 s[36:37], s[0:1]
	s_cbranch_execz .LBB251_386
; %bb.383:                              ;   in Loop: Header=BB251_9 Depth=1
	v_and_b32_e32 v8, 0x7f, v2
	v_cmp_ne_u32_e64 s[0:1], s43, v8
	v_mov_b32_e32 v78, 0x7c01
	s_and_saveexec_b64 s[38:39], s[0:1]
	s_cbranch_execz .LBB251_385
; %bb.384:                              ;   in Loop: Header=BB251_9 Depth=1
	v_and_b32_e32 v9, 7, v2
	v_ffbh_u32_e32 v80, v9
	v_min_u32_e32 v80, 32, v80
	v_lshrrev_b32_e32 v78, 3, v8
	v_subrev_u32_e32 v83, 28, v80
	v_sub_u32_e32 v80, 29, v80
	v_cmp_gt_u32_e64 s[0:1], 8, v8
	v_lshlrev_b64 v[84:85], v83, v[2:3]
	s_nop 0
	v_cndmask_b32_e64 v8, v78, v80, s[0:1]
	v_lshl_add_u32 v8, v8, 10, v15
	v_lshlrev_b32_e32 v78, 8, v2
	v_and_b32_e32 v80, 7, v84
	v_and_b32_e32 v8, 0xfc00, v8
	v_cndmask_b32_e64 v9, v9, v80, s[0:1]
	v_and_or_b32 v8, v78, s44, v8
	v_lshl_or_b32 v78, v9, 7, v8
.LBB251_385:                            ;   in Loop: Header=BB251_9 Depth=1
	s_or_b64 exec, exec, s[38:39]
.LBB251_386:                            ;   in Loop: Header=BB251_9 Depth=1
	s_or_b64 exec, exec, s[36:37]
.LBB251_387:                            ;   in Loop: Header=BB251_9 Depth=1
	s_or_b64 exec, exec, s[34:35]
	v_lshrrev_b16_e32 v2, 8, v2
	v_cmp_ne_u16_e64 s[0:1], 0, v2
	v_mov_b32_e32 v80, 0
	s_and_saveexec_b64 s[34:35], s[0:1]
	s_cbranch_execz .LBB251_393
; %bb.388:                              ;   in Loop: Header=BB251_9 Depth=1
	v_cmp_ne_u16_e64 s[0:1], s42, v2
	v_bfrev_b32_e32 v80, 1
	s_and_saveexec_b64 s[36:37], s[0:1]
	s_cbranch_execz .LBB251_392
; %bb.389:                              ;   in Loop: Header=BB251_9 Depth=1
	v_and_b32_e32 v8, 0x7f, v2
	v_cmp_ne_u32_e64 s[0:1], s43, v8
	v_mov_b32_e32 v80, 0x7c010000
	s_and_saveexec_b64 s[38:39], s[0:1]
	s_cbranch_execz .LBB251_391
; %bb.390:                              ;   in Loop: Header=BB251_9 Depth=1
	v_and_b32_e32 v9, 7, v2
	v_ffbh_u32_e32 v83, v9
	v_min_u32_e32 v83, 32, v83
	v_lshrrev_b32_e32 v80, 3, v8
	v_subrev_u32_e32 v84, 28, v83
	v_sub_u32_e32 v83, 29, v83
	v_cmp_gt_u32_e64 s[0:1], 8, v8
	v_lshlrev_b64 v[84:85], v84, v[2:3]
	v_lshlrev_b32_e32 v2, 8, v2
	v_cndmask_b32_e64 v8, v80, v83, s[0:1]
	v_lshl_add_u32 v8, v8, 10, v15
	v_and_b32_e32 v80, 7, v84
	v_and_or_b32 v2, v2, s44, v8
	v_cndmask_b32_e64 v9, v9, v80, s[0:1]
	v_lshlrev_b32_e32 v2, 16, v2
	v_lshl_or_b32 v80, v9, 23, v2
.LBB251_391:                            ;   in Loop: Header=BB251_9 Depth=1
	s_or_b64 exec, exec, s[38:39]
.LBB251_392:                            ;   in Loop: Header=BB251_9 Depth=1
	s_or_b64 exec, exec, s[36:37]
.LBB251_393:                            ;   in Loop: Header=BB251_9 Depth=1
	s_or_b64 exec, exec, s[34:35]
	v_or_b32_e32 v9, v72, v70
	v_or_b32_e32 v71, v74, v71
	;; [unrolled: 1-line block ×7, first 2 shown]
	v_fma_mixlo_f16 v70, v17, v9, 0 op_sel_hi:[0,1,0]
	v_fma_mixlo_f16 v9, v17, v72, 0 op_sel:[0,1,0] op_sel_hi:[0,1,0]
	v_fma_mixlo_f16 v72, v17, v71, 0 op_sel_hi:[0,1,0]
	v_fma_mixlo_f16 v71, v17, v74, 0 op_sel:[0,1,0] op_sel_hi:[0,1,0]
	;; [unrolled: 2-line block ×7, first 2 shown]
	ds_read_b32 v66, v12
	v_or_b32_e32 v18, v20, v18
	v_fma_mixlo_f16 v18, v17, v18, 0 op_sel_hi:[0,1,0]
	v_fma_mixlo_f16 v20, v17, v20, 0 op_sel:[0,1,0] op_sel_hi:[0,1,0]
	v_and_b32_e32 v18, 0xffff, v18
	v_or_b32_e32 v2, v82, v81
	s_waitcnt lgkmcnt(0)
	v_lshrrev_b32_e32 v81, 16, v66
	v_and_b32_e32 v66, 0xffff, v66
	;;#ASMSTART
	v_cvt_f32_f16 v92, v66;
	;;#ASMEND
	;;#ASMSTART
	v_cvt_f32_f16 v89, v81;
	;;#ASMEND
	;; [unrolled: 3-line block ×3, first 2 shown]
	v_and_b32_e32 v18, 0xffff, v20
	;;#ASMSTART
	v_cvt_f32_f16 v90, v18;
	;;#ASMEND
	ds_read_b32 v20, v12 offset:4
	v_or_b32_e32 v19, v22, v19
	v_or_b32_e32 v63, v64, v63
	v_fma_mixlo_f16 v18, v17, v64, 0 op_sel:[0,1,0] op_sel_hi:[0,1,0]
	v_fma_mixlo_f16 v19, v17, v19, 0 op_sel_hi:[0,1,0]
	v_fma_mixlo_f16 v22, v17, v22, 0 op_sel:[0,1,0] op_sel_hi:[0,1,0]
	s_waitcnt lgkmcnt(0)
	v_lshrrev_b32_e32 v64, 16, v20
	v_and_b32_e32 v20, 0xffff, v20
	;;#ASMSTART
	v_cvt_f32_f16 v97, v20;
	;;#ASMEND
	v_and_b32_e32 v19, 0xffff, v19
	v_and_b32_e32 v20, 0xffff, v22
	;;#ASMSTART
	v_cvt_f32_f16 v95, v64;
	;;#ASMEND
	;;#ASMSTART
	v_cvt_f32_f16 v19, v19;
	;;#ASMEND
	;; [unrolled: 3-line block ×3, first 2 shown]
	ds_read_b32 v20, v12 offset:8
	v_or_b32_e32 v21, v24, v21
	v_or_b32_e32 v22, v62, v61
	v_fma_mixlo_f16 v21, v17, v21, 0 op_sel_hi:[0,1,0]
	v_fma_mixlo_f16 v24, v17, v24, 0 op_sel:[0,1,0] op_sel_hi:[0,1,0]
	s_waitcnt lgkmcnt(0)
	v_lshrrev_b32_e32 v61, 16, v20
	v_and_b32_e32 v20, 0xffff, v20
	;;#ASMSTART
	v_cvt_f32_f16 v91, v20;
	;;#ASMEND
	v_and_b32_e32 v20, 0xffff, v21
	;;#ASMSTART
	v_cvt_f32_f16 v87, v61;
	;;#ASMEND
	;;#ASMSTART
	v_cvt_f32_f16 v94, v20;
	;;#ASMEND
	v_and_b32_e32 v20, 0xffff, v24
	;;#ASMSTART
	v_cvt_f32_f16 v88, v20;
	;;#ASMEND
	ds_read_b32 v21, v12 offset:12
	v_fma_mixlo_f16 v20, v17, v22, 0 op_sel_hi:[0,1,0]
	v_or_b32_e32 v22, v26, v23
	v_fma_mixlo_f16 v22, v17, v22, 0 op_sel_hi:[0,1,0]
	v_fma_mixlo_f16 v23, v17, v26, 0 op_sel:[0,1,0] op_sel_hi:[0,1,0]
	s_waitcnt lgkmcnt(0)
	v_lshrrev_b32_e32 v24, 16, v21
	v_and_b32_e32 v21, 0xffff, v21
	;;#ASMSTART
	v_cvt_f32_f16 v85, v21;
	;;#ASMEND
	v_and_b32_e32 v21, 0xffff, v22
	v_fma_mixlo_f16 v8, v17, v2, 0 op_sel_hi:[0,1,0]
	v_fma_mixlo_f16 v2, v17, v82, 0 op_sel:[0,1,0] op_sel_hi:[0,1,0]
	;;#ASMSTART
	v_cvt_f32_f16 v82, v24;
	;;#ASMEND
	;;#ASMSTART
	v_cvt_f32_f16 v86, v21;
	;;#ASMEND
	v_and_b32_e32 v21, 0xffff, v23
	;;#ASMSTART
	v_cvt_f32_f16 v83, v21;
	;;#ASMEND
	ds_read_b32 v21, v12 offset:16
	v_or_b32_e32 v23, v29, v25
	v_fma_mixlo_f16 v23, v17, v23, 0 op_sel_hi:[0,1,0]
	v_fma_mixlo_f16 v24, v17, v29, 0 op_sel:[0,1,0] op_sel_hi:[0,1,0]
	v_fma_mixlo_f16 v22, v17, v62, 0 op_sel:[0,1,0] op_sel_hi:[0,1,0]
	s_waitcnt lgkmcnt(0)
	v_lshrrev_b32_e32 v25, 16, v21
	v_and_b32_e32 v21, 0xffff, v21
	;;#ASMSTART
	v_cvt_f32_f16 v64, v21;
	;;#ASMEND
	v_and_b32_e32 v21, 0xffff, v23
	;;#ASMSTART
	v_cvt_f32_f16 v61, v25;
	;;#ASMEND
	;;#ASMSTART
	v_cvt_f32_f16 v81, v21;
	;;#ASMEND
	v_and_b32_e32 v21, 0xffff, v24
	;;#ASMSTART
	v_cvt_f32_f16 v62, v21;
	;;#ASMEND
	ds_read_b32 v21, v12 offset:20
	v_or_b32_e32 v24, v31, v27
	v_fma_mixlo_f16 v26, v17, v24, 0 op_sel_hi:[0,1,0]
	v_fma_mixlo_f16 v29, v17, v31, 0 op_sel:[0,1,0] op_sel_hi:[0,1,0]
	v_or_b32_e32 v23, v60, v59
	s_waitcnt lgkmcnt(0)
	v_lshrrev_b32_e32 v25, 16, v21
	v_and_b32_e32 v21, 0xffff, v21
	;;#ASMSTART
	v_cvt_f32_f16 v24, v21;
	;;#ASMEND
	v_and_b32_e32 v21, 0xffff, v26
	;;#ASMSTART
	v_cvt_f32_f16 v25, v25;
	;;#ASMEND
	;;#ASMSTART
	v_cvt_f32_f16 v27, v21;
	;;#ASMEND
	v_and_b32_e32 v21, 0xffff, v29
	;;#ASMSTART
	v_cvt_f32_f16 v29, v21;
	;;#ASMEND
	ds_read_b32 v21, v12 offset:24
	v_or_b32_e32 v26, v33, v30
	v_fma_mixlo_f16 v26, v17, v26, 0 op_sel_hi:[0,1,0]
	v_fma_mixlo_f16 v33, v17, v33, 0 op_sel:[0,1,0] op_sel_hi:[0,1,0]
	v_or_b32_e32 v32, v35, v32
	s_waitcnt lgkmcnt(0)
	v_lshrrev_b32_e32 v31, 16, v21
	v_and_b32_e32 v21, 0xffff, v21
	;;#ASMSTART
	v_cvt_f32_f16 v30, v21;
	;;#ASMEND
	v_and_b32_e32 v21, 0xffff, v26
	;;#ASMSTART
	v_cvt_f32_f16 v31, v31;
	;;#ASMEND
	;;#ASMSTART
	v_cvt_f32_f16 v59, v21;
	;;#ASMEND
	v_and_b32_e32 v21, 0xffff, v33
	;;#ASMSTART
	v_cvt_f32_f16 v66, v21;
	;;#ASMEND
	ds_read_b32 v21, v12 offset:28
	v_fma_mixlo_f16 v26, v17, v60, 0 op_sel:[0,1,0] op_sel_hi:[0,1,0]
	v_fma_mixlo_f16 v60, v17, v32, 0 op_sel_hi:[0,1,0]
	v_fma_mixlo_f16 v84, v17, v35, 0 op_sel:[0,1,0] op_sel_hi:[0,1,0]
	v_or_b32_e32 v34, v37, v34
	s_waitcnt lgkmcnt(0)
	v_lshrrev_b32_e32 v33, 16, v21
	v_and_b32_e32 v21, 0xffff, v21
	;;#ASMSTART
	v_cvt_f32_f16 v32, v21;
	;;#ASMEND
	v_and_b32_e32 v21, 0xffff, v60
	;;#ASMSTART
	v_cvt_f32_f16 v33, v33;
	;;#ASMEND
	;;#ASMSTART
	v_cvt_f32_f16 v35, v21;
	;;#ASMEND
	v_and_b32_e32 v21, 0xffff, v84
	;;#ASMSTART
	v_cvt_f32_f16 v60, v21;
	;;#ASMEND
	ds_read_b32 v21, v12 offset:32
	v_or_b32_e32 v98, v57, v58
	v_fma_mixlo_f16 v58, v17, v34, 0 op_sel_hi:[0,1,0]
	v_fma_mixlo_f16 v84, v17, v37, 0 op_sel:[0,1,0] op_sel_hi:[0,1,0]
	v_or_b32_e32 v36, v39, v36
	s_waitcnt lgkmcnt(0)
	v_lshrrev_b32_e32 v37, 16, v21
	v_and_b32_e32 v21, 0xffff, v21
	;;#ASMSTART
	v_cvt_f32_f16 v34, v21;
	;;#ASMEND
	v_and_b32_e32 v21, 0xffff, v58
	;;#ASMSTART
	v_cvt_f32_f16 v37, v37;
	;;#ASMEND
	;;#ASMSTART
	v_cvt_f32_f16 v58, v21;
	;;#ASMEND
	v_and_b32_e32 v21, 0xffff, v84
	;;#ASMSTART
	v_cvt_f32_f16 v84, v21;
	;;#ASMEND
	ds_read_b32 v21, v12 offset:36
	v_mul_f32_e32 v19, v97, v19
	v_fma_mixlo_f16 v97, v17, v36, 0 op_sel_hi:[0,1,0]
	v_fma_mixlo_f16 v99, v17, v39, 0 op_sel:[0,1,0] op_sel_hi:[0,1,0]
	v_fmac_f32_e32 v19, v92, v93
	s_waitcnt lgkmcnt(0)
	v_lshrrev_b32_e32 v39, 16, v21
	v_and_b32_e32 v21, 0xffff, v21
	;;#ASMSTART
	v_cvt_f32_f16 v36, v21;
	;;#ASMEND
	v_and_b32_e32 v21, 0xffff, v97
	;;#ASMSTART
	v_cvt_f32_f16 v39, v39;
	;;#ASMEND
	;;#ASMSTART
	v_cvt_f32_f16 v92, v21;
	;;#ASMEND
	v_and_b32_e32 v21, 0xffff, v99
	;;#ASMSTART
	v_cvt_f32_f16 v93, v21;
	;;#ASMEND
	ds_read_b32 v97, v12 offset:40
	v_or_b32_e32 v21, v41, v38
	v_fma_mixlo_f16 v38, v17, v21, 0 op_sel_hi:[0,1,0]
	v_fma_mixlo_f16 v99, v17, v41, 0 op_sel:[0,1,0] op_sel_hi:[0,1,0]
	v_mul_f32_e32 v21, v95, v96
	s_waitcnt lgkmcnt(0)
	v_lshrrev_b32_e32 v95, 16, v97
	v_and_b32_e32 v41, 0xffff, v97
	v_and_b32_e32 v38, 0xffff, v38
	;;#ASMSTART
	v_cvt_f32_f16 v41, v41;
	;;#ASMEND
	;;#ASMSTART
	v_cvt_f32_f16 v95, v95;
	;;#ASMEND
	;; [unrolled: 3-line block ×3, first 2 shown]
	v_and_b32_e32 v38, 0xffff, v99
	;;#ASMSTART
	v_cvt_f32_f16 v97, v38;
	;;#ASMEND
	ds_read_b32 v38, v12 offset:44
	v_or_b32_e32 v40, v43, v40
	v_fmac_f32_e32 v21, v89, v90
	v_fma_mixlo_f16 v89, v17, v40, 0 op_sel_hi:[0,1,0]
	v_fma_mixlo_f16 v90, v17, v43, 0 op_sel:[0,1,0] op_sel_hi:[0,1,0]
	s_waitcnt lgkmcnt(0)
	v_lshrrev_b32_e32 v43, 16, v38
	v_and_b32_e32 v38, 0xffff, v38
	;;#ASMSTART
	v_cvt_f32_f16 v40, v38;
	;;#ASMEND
	v_and_b32_e32 v38, 0xffff, v89
	;;#ASMSTART
	v_cvt_f32_f16 v43, v43;
	;;#ASMEND
	;;#ASMSTART
	v_cvt_f32_f16 v89, v38;
	;;#ASMEND
	v_and_b32_e32 v38, 0xffff, v90
	;;#ASMSTART
	v_cvt_f32_f16 v90, v38;
	;;#ASMEND
	ds_read_b32 v38, v12 offset:48
	v_or_b32_e32 v42, v45, v42
	v_fmac_f32_e32 v19, v91, v94
	v_fma_mixlo_f16 v42, v17, v42, 0 op_sel_hi:[0,1,0]
	v_fma_mixlo_f16 v45, v17, v45, 0 op_sel:[0,1,0] op_sel_hi:[0,1,0]
	s_waitcnt lgkmcnt(0)
	v_lshrrev_b32_e32 v94, 16, v38
	v_and_b32_e32 v38, 0xffff, v38
	;;#ASMSTART
	v_cvt_f32_f16 v91, v38;
	;;#ASMEND
	v_and_b32_e32 v38, 0xffff, v42
	;;#ASMSTART
	v_cvt_f32_f16 v94, v94;
	;;#ASMEND
	;;#ASMSTART
	v_cvt_f32_f16 v42, v38;
	;;#ASMEND
	;; [unrolled: 22-line block ×5, first 2 shown]
	v_and_b32_e32 v38, 0xffff, v51
	;;#ASMSTART
	v_cvt_f32_f16 v51, v38;
	;;#ASMEND
	ds_read_b32 v38, v12 offset:64
	v_or_b32_e32 v50, v53, v50
	v_fma_mixlo_f16 v50, v17, v50, 0 op_sel_hi:[0,1,0]
	v_fma_mixlo_f16 v53, v17, v53, 0 op_sel:[0,1,0] op_sel_hi:[0,1,0]
	v_or_b32_e32 v52, v54, v52
	s_waitcnt lgkmcnt(0)
	v_lshrrev_b32_e32 v100, 16, v38
	v_and_b32_e32 v38, 0xffff, v38
	;;#ASMSTART
	v_cvt_f32_f16 v99, v38;
	;;#ASMEND
	v_and_b32_e32 v38, 0xffff, v50
	;;#ASMSTART
	v_cvt_f32_f16 v100, v100;
	;;#ASMEND
	;;#ASMSTART
	v_cvt_f32_f16 v50, v38;
	;;#ASMEND
	v_and_b32_e32 v38, 0xffff, v53
	;;#ASMSTART
	v_cvt_f32_f16 v53, v38;
	;;#ASMEND
	ds_read_b32 v38, v12 offset:68
	v_fmac_f32_e32 v19, v64, v81
	v_fma_mixlo_f16 v52, v17, v52, 0 op_sel_hi:[0,1,0]
	v_fma_mixlo_f16 v54, v17, v54, 0 op_sel:[0,1,0] op_sel_hi:[0,1,0]
	v_or_b32_e32 v55, v56, v55
	s_waitcnt lgkmcnt(0)
	v_lshrrev_b32_e32 v81, 16, v38
	v_and_b32_e32 v38, 0xffff, v38
	;;#ASMSTART
	v_cvt_f32_f16 v64, v38;
	;;#ASMEND
	v_and_b32_e32 v38, 0xffff, v52
	;;#ASMSTART
	v_cvt_f32_f16 v81, v81;
	;;#ASMEND
	;;#ASMSTART
	v_cvt_f32_f16 v52, v38;
	;;#ASMEND
	v_and_b32_e32 v38, 0xffff, v54
	;;#ASMSTART
	v_cvt_f32_f16 v54, v38;
	;;#ASMEND
	ds_read_b32 v101, v12 offset:72
	v_fma_mixlo_f16 v55, v17, v55, 0 op_sel_hi:[0,1,0]
	v_fma_mixlo_f16 v56, v17, v56, 0 op_sel:[0,1,0] op_sel_hi:[0,1,0]
	v_fmac_f32_e32 v21, v61, v62
	v_and_b32_e32 v55, 0xffff, v55
	s_waitcnt lgkmcnt(0)
	v_lshrrev_b32_e32 v62, 16, v101
	v_and_b32_e32 v61, 0xffff, v101
	v_and_b32_e32 v56, 0xffff, v56
	v_or_b32_e32 v38, v80, v78
	;;#ASMSTART
	v_cvt_f32_f16 v61, v61;
	;;#ASMEND
	;;#ASMSTART
	v_cvt_f32_f16 v62, v62;
	;;#ASMEND
	;; [unrolled: 3-line block ×4, first 2 shown]
	ds_read_b32 v78, v12 offset:76
	v_fma_mixlo_f16 v98, v17, v98, 0 op_sel_hi:[0,1,0]
	v_fma_mixlo_f16 v57, v17, v57, 0 op_sel:[0,1,0] op_sel_hi:[0,1,0]
	v_fmac_f32_e32 v19, v24, v27
	v_fmac_f32_e32 v21, v25, v29
	s_waitcnt lgkmcnt(0)
	v_lshrrev_b32_e32 v25, 16, v78
	v_and_b32_e32 v24, 0xffff, v78
	v_and_b32_e32 v27, 0xffff, v98
	;; [unrolled: 1-line block ×3, first 2 shown]
	v_fmac_f32_e32 v19, v30, v59
	;;#ASMSTART
	v_cvt_f32_f16 v24, v24;
	;;#ASMEND
	;;#ASMSTART
	v_cvt_f32_f16 v25, v25;
	;;#ASMEND
	;;#ASMSTART
	v_cvt_f32_f16 v27, v27;
	;;#ASMEND
	;;#ASMSTART
	v_cvt_f32_f16 v29, v29;
	;;#ASMEND
	ds_read_b32 v30, v12 offset:80
	v_fma_mixlo_f16 v23, v17, v23, 0 op_sel_hi:[0,1,0]
	v_fmac_f32_e32 v21, v31, v66
	v_and_b32_e32 v23, 0xffff, v23
	v_and_b32_e32 v26, 0xffff, v26
	s_waitcnt lgkmcnt(0)
	v_lshrrev_b32_e32 v31, 16, v30
	v_and_b32_e32 v30, 0xffff, v30
	v_fmac_f32_e32 v19, v32, v35
	;;#ASMSTART
	v_cvt_f32_f16 v30, v30;
	;;#ASMEND
	;;#ASMSTART
	v_cvt_f32_f16 v31, v31;
	;;#ASMEND
	;; [unrolled: 3-line block ×4, first 2 shown]
	ds_read_b32 v32, v12 offset:84
	v_fmac_f32_e32 v21, v33, v60
	v_and_b32_e32 v20, 0xffff, v20
	v_and_b32_e32 v22, 0xffff, v22
	v_fmac_f32_e32 v19, v34, v58
	s_waitcnt lgkmcnt(0)
	v_lshrrev_b32_e32 v33, 16, v32
	v_and_b32_e32 v32, 0xffff, v32
	;;#ASMSTART
	v_cvt_f32_f16 v32, v32;
	;;#ASMEND
	;;#ASMSTART
	v_cvt_f32_f16 v33, v33;
	;;#ASMEND
	;; [unrolled: 3-line block ×4, first 2 shown]
	ds_read_b32 v34, v12 offset:88
	v_fma_mixlo_f16 v63, v17, v63, 0 op_sel_hi:[0,1,0]
	v_fmac_f32_e32 v19, v36, v92
	v_and_b32_e32 v36, 0xffff, v63
	v_and_b32_e32 v18, 0xffff, v18
	s_waitcnt lgkmcnt(0)
	v_lshrrev_b32_e32 v35, 16, v34
	v_and_b32_e32 v34, 0xffff, v34
	v_fmac_f32_e32 v21, v37, v84
	;;#ASMSTART
	v_cvt_f32_f16 v34, v34;
	;;#ASMEND
	;;#ASMSTART
	v_cvt_f32_f16 v35, v35;
	;;#ASMEND
	;; [unrolled: 3-line block ×4, first 2 shown]
	ds_read_b32 v37, v12 offset:92
	v_fmac_f32_e32 v19, v41, v96
	v_fmac_f32_e32 v21, v39, v93
	;; [unrolled: 1-line block ×3, first 2 shown]
	v_and_b32_e32 v40, 0xffff, v68
	s_waitcnt lgkmcnt(0)
	v_lshrrev_b32_e32 v39, 16, v37
	v_and_b32_e32 v37, 0xffff, v37
	v_and_b32_e32 v41, 0xffff, v65
	v_fmac_f32_e32 v19, v91, v42
	;;#ASMSTART
	v_cvt_f32_f16 v37, v37;
	;;#ASMEND
	;;#ASMSTART
	v_cvt_f32_f16 v39, v39;
	;;#ASMEND
	;; [unrolled: 3-line block ×4, first 2 shown]
	ds_read_b32 v42, v12 offset:96
	v_fmac_f32_e32 v21, v95, v97
	v_fmac_f32_e32 v21, v43, v90
	;; [unrolled: 1-line block ×4, first 2 shown]
	s_waitcnt lgkmcnt(0)
	v_lshrrev_b32_e32 v43, 16, v42
	v_and_b32_e32 v42, 0xffff, v42
	v_and_b32_e32 v44, 0xffff, v77
	;; [unrolled: 1-line block ×3, first 2 shown]
	v_fmac_f32_e32 v19, v85, v46
	;;#ASMSTART
	v_cvt_f32_f16 v42, v42;
	;;#ASMEND
	;;#ASMSTART
	v_cvt_f32_f16 v43, v43;
	;;#ASMEND
	;; [unrolled: 3-line block ×4, first 2 shown]
	ds_read_b32 v46, v12 offset:100
	v_fmac_f32_e32 v21, v88, v47
	v_fmac_f32_e32 v21, v86, v49
	;; [unrolled: 1-line block ×3, first 2 shown]
	v_and_b32_e32 v48, 0xffff, v79
	s_waitcnt lgkmcnt(0)
	v_lshrrev_b32_e32 v47, 16, v46
	v_and_b32_e32 v46, 0xffff, v46
	v_and_b32_e32 v49, 0xffff, v69
	v_fmac_f32_e32 v21, v83, v51
	v_fmac_f32_e32 v19, v99, v50
	;;#ASMSTART
	v_cvt_f32_f16 v46, v46;
	;;#ASMEND
	;;#ASMSTART
	v_cvt_f32_f16 v47, v47;
	;;#ASMEND
	;;#ASMSTART
	v_cvt_f32_f16 v48, v48;
	;;#ASMEND
	;;#ASMSTART
	v_cvt_f32_f16 v49, v49;
	;;#ASMEND
	ds_read_b32 v50, v12 offset:104
	v_fmac_f32_e32 v21, v100, v53
	v_fmac_f32_e32 v19, v64, v52
	;; [unrolled: 1-line block ×9, first 2 shown]
	s_waitcnt lgkmcnt(0)
	v_lshrrev_b32_e32 v24, 16, v50
	v_and_b32_e32 v23, 0xffff, v50
	v_and_b32_e32 v25, 0xffff, v76
	;; [unrolled: 1-line block ×3, first 2 shown]
	;;#ASMSTART
	v_cvt_f32_f16 v23, v23;
	;;#ASMEND
	;;#ASMSTART
	v_cvt_f32_f16 v24, v24;
	;;#ASMEND
	;; [unrolled: 3-line block ×4, first 2 shown]
	ds_read_b32 v27, v12 offset:108
	v_fmac_f32_e32 v21, v33, v22
	v_fmac_f32_e32 v19, v32, v20
	;; [unrolled: 1-line block ×3, first 2 shown]
	v_and_b32_e32 v22, 0xffff, v74
	s_waitcnt lgkmcnt(0)
	v_lshrrev_b32_e32 v20, 16, v27
	v_and_b32_e32 v18, 0xffff, v27
	v_and_b32_e32 v27, 0xffff, v73
	;;#ASMSTART
	v_cvt_f32_f16 v18, v18;
	;;#ASMEND
	;;#ASMSTART
	v_cvt_f32_f16 v20, v20;
	;;#ASMEND
	;;#ASMSTART
	v_cvt_f32_f16 v22, v22;
	;;#ASMEND
	;;#ASMSTART
	v_cvt_f32_f16 v27, v27;
	;;#ASMEND
	ds_read_b32 v29, v12 offset:112
	v_and_b32_e32 v31, 0xffff, v72
	v_and_b32_e32 v32, 0xffff, v71
	v_fmac_f32_e32 v19, v34, v36
	v_fmac_f32_e32 v19, v37, v40
	s_waitcnt lgkmcnt(0)
	v_lshrrev_b32_e32 v30, 16, v29
	v_and_b32_e32 v29, 0xffff, v29
	;;#ASMSTART
	v_cvt_f32_f16 v29, v29;
	;;#ASMEND
	;;#ASMSTART
	v_cvt_f32_f16 v30, v30;
	;;#ASMEND
	;; [unrolled: 3-line block ×4, first 2 shown]
	ds_read_b32 v33, v12 offset:116
	v_fmac_f32_e32 v21, v39, v41
	v_fmac_f32_e32 v19, v42, v44
	;; [unrolled: 1-line block ×7, first 2 shown]
	s_waitcnt lgkmcnt(0)
	v_lshrrev_b32_e32 v24, 16, v33
	v_and_b32_e32 v23, 0xffff, v33
	v_and_b32_e32 v25, 0xffff, v70
	;; [unrolled: 1-line block ×3, first 2 shown]
	;;#ASMSTART
	v_cvt_f32_f16 v23, v23;
	;;#ASMEND
	;;#ASMSTART
	v_cvt_f32_f16 v24, v24;
	;;#ASMEND
	;; [unrolled: 3-line block ×4, first 2 shown]
	ds_read_b32 v26, v12 offset:120
	v_fmac_f32_e32 v19, v18, v22
	v_fmac_f32_e32 v21, v20, v27
	v_and_b32_e32 v8, 0xffff, v8
	v_and_b32_e32 v2, 0xffff, v2
	s_waitcnt lgkmcnt(0)
	v_lshrrev_b32_e32 v20, 16, v26
	v_and_b32_e32 v18, 0xffff, v26
	;;#ASMSTART
	v_cvt_f32_f16 v18, v18;
	;;#ASMEND
	;;#ASMSTART
	v_cvt_f32_f16 v20, v20;
	;;#ASMEND
	;;#ASMSTART
	v_cvt_f32_f16 v8, v8;
	;;#ASMEND
	;;#ASMSTART
	v_cvt_f32_f16 v2, v2;
	;;#ASMEND
	ds_read_b32 v22, v12 offset:124
	v_fmac_f32_e32 v19, v29, v31
	v_fmac_f32_e32 v21, v30, v32
	;; [unrolled: 1-line block ×4, first 2 shown]
	v_fma_mixlo_f16 v38, v17, v38, 0 op_sel_hi:[0,1,0]
	v_fma_mixlo_f16 v17, v17, v80, 0 op_sel:[0,1,0] op_sel_hi:[0,1,0]
	v_fmac_f32_e32 v19, v18, v8
	v_fmac_f32_e32 v21, v20, v2
	s_waitcnt lgkmcnt(0)
	v_lshrrev_b32_e32 v8, 16, v22
	v_and_b32_e32 v2, 0xffff, v22
	;;#ASMSTART
	v_cvt_f32_f16 v2, v2;
	;;#ASMEND
	;;#ASMSTART
	v_cvt_f32_f16 v8, v8;
	;;#ASMEND
	v_and_b32_e32 v9, 0xffff, v38
	v_and_b32_e32 v17, 0xffff, v17
	;;#ASMSTART
	v_cvt_f32_f16 v9, v9;
	;;#ASMEND
	;;#ASMSTART
	v_cvt_f32_f16 v17, v17;
	;;#ASMEND
	s_nop 0
	v_fmac_f32_e32 v21, v8, v17
	v_and_b32_e32 v8, 64, v10
	v_fmac_f32_e32 v19, v2, v9
	v_add_u32_e32 v2, 64, v8
	v_xor_b32_e32 v17, 2, v10
	v_cmp_lt_i32_e64 s[0:1], v17, v2
	v_add_f32_e32 v9, v19, v21
	s_nop 0
	v_cndmask_b32_e64 v17, v10, v17, s[0:1]
	v_lshlrev_b32_e32 v17, 2, v17
	ds_bpermute_b32 v17, v17, v9
	s_waitcnt lgkmcnt(0)
	v_add_f32_e32 v9, v9, v17
	v_xor_b32_e32 v17, 1, v10
	v_cmp_lt_i32_e64 s[0:1], v17, v2
	s_nop 1
	v_cndmask_b32_e64 v17, v10, v17, s[0:1]
	v_lshlrev_b32_e32 v17, 2, v17
	ds_bpermute_b32 v17, v17, v9
	s_and_saveexec_b64 s[34:35], vcc
	s_cbranch_execz .LBB251_8
; %bb.394:                              ;   in Loop: Header=BB251_9 Depth=1
	v_add_u32_e32 v18, s41, v13
	v_cvt_f32_i32_e32 v18, v18
	s_waitcnt lgkmcnt(0)
	v_add_f32_e32 v9, v9, v17
	v_cmp_gt_i32_e64 s[0:1], s33, v13
	v_max_f32_e32 v17, v11, v11
	v_mul_f32_e32 v18, s28, v18
	v_cndmask_b32_e64 v18, 0, v18, s[2:3]
	v_fmac_f32_e32 v18, s29, v9
	v_cndmask_b32_e64 v9, 0, v18, s[0:1]
	ds_write_b32 v14, v9
	v_max_f32_e32 v9, v17, v18
	v_cndmask_b32_e64 v11, v11, v9, s[0:1]
	s_branch .LBB251_8
.LBB251_395:
	s_or_b64 exec, exec, s[14:15]
.LBB251_396:
	s_or_b64 exec, exec, s[30:31]
	v_xor_b32_e32 v3, 32, v10
	v_cmp_lt_i32_e32 vcc, v3, v2
	v_xor_b32_e32 v6, 16, v10
	v_max_f32_e32 v5, v11, v11
	v_cndmask_b32_e32 v3, v10, v3, vcc
	v_lshlrev_b32_e32 v3, 2, v3
	ds_bpermute_b32 v4, v3, v11
	v_cmp_lt_i32_e32 vcc, v6, v2
	v_xor_b32_e32 v7, 8, v10
	v_xor_b32_e32 v9, 4, v10
	v_and_b32_e32 v29, 63, v0
	s_waitcnt lgkmcnt(0)
	v_max_f32_e32 v4, v4, v4
	v_max_f32_e32 v5, v5, v4
	v_cndmask_b32_e32 v4, v10, v6, vcc
	v_lshlrev_b32_e32 v4, 2, v4
	ds_bpermute_b32 v6, v4, v5
	v_cmp_lt_i32_e32 vcc, v7, v2
	s_waitcnt lgkmcnt(0)
	v_max_f32_e32 v6, v6, v6
	v_max_f32_e32 v5, v5, v6
	v_cndmask_b32_e32 v6, v10, v7, vcc
	v_lshlrev_b32_e32 v7, 2, v6
	ds_bpermute_b32 v6, v7, v5
	v_cmp_lt_i32_e32 vcc, v9, v2
	s_waitcnt lgkmcnt(0)
	v_max_f32_e32 v6, v6, v6
	v_max_f32_e32 v6, v5, v6
	v_cndmask_b32_e32 v5, v10, v9, vcc
	v_lshlrev_b32_e32 v9, 2, v5
	ds_bpermute_b32 v11, v9, v6
	v_cmp_eq_u32_e32 vcc, 0, v29
	v_lshlrev_b32_e32 v5, 2, v28
	s_and_saveexec_b64 s[0:1], vcc
	s_cbranch_execz .LBB251_398
; %bb.397:
	s_waitcnt lgkmcnt(0)
	v_max_f32_e32 v11, v11, v11
	v_max_f32_e32 v6, v6, v6
	;; [unrolled: 1-line block ×3, first 2 shown]
	ds_write_b32 v5, v6 offset:512
.LBB251_398:
	s_or_b64 exec, exec, s[0:1]
	v_cmp_gt_u32_e64 s[0:1], 2, v29
	s_waitcnt lgkmcnt(0)
	v_mov_b32_e32 v11, 0xff7fffff
	v_lshlrev_b32_e32 v6, 2, v29
	s_barrier
	s_and_saveexec_b64 s[2:3], s[0:1]
; %bb.399:
	ds_read_b32 v11, v6 offset:512
; %bb.400:
	s_or_b64 exec, exec, s[2:3]
	v_xor_b32_e32 v12, 1, v10
	v_cmp_lt_i32_e64 s[2:3], v12, v2
	v_lshlrev_b32_e32 v8, 2, v8
	s_nop 0
	v_cndmask_b32_e64 v12, v10, v12, s[2:3]
	v_lshlrev_b32_e32 v30, 2, v12
	s_waitcnt lgkmcnt(0)
	ds_bpermute_b32 v12, v30, v11
	v_max_f32_e32 v11, v11, v11
	s_lshl_b32 s2, s19, 4
	s_min_i32 s30, s2, s33
	v_cmp_gt_i32_e64 s[2:3], s30, v0
	s_waitcnt lgkmcnt(0)
	v_max_f32_e32 v12, v12, v12
	v_max_f32_e32 v11, v11, v12
	ds_bpermute_b32 v11, v8, v11
	v_mov_b32_e32 v8, 0
	s_and_saveexec_b64 s[14:15], s[2:3]
	s_cbranch_execz .LBB251_404
; %bb.401:
	v_mov_b32_e32 v8, 0x210
	v_lshl_add_u32 v12, v0, 2, v8
	v_mov_b32_e32 v8, 0
	s_mov_b64 s[28:29], 0
	v_mov_b32_e32 v13, v0
.LBB251_402:                            ; =>This Inner Loop Header: Depth=1
	ds_read_b32 v14, v12
	v_add_u32_e32 v13, 0x80, v13
	v_cmp_le_i32_e64 s[8:9], s30, v13
	s_or_b64 s[28:29], s[8:9], s[28:29]
	s_waitcnt lgkmcnt(0)
	v_sub_f32_e32 v14, v14, v11
	v_mul_f32_e32 v14, 0x3fb8aa3b, v14
	v_exp_f32_e32 v14, v14
	ds_write_b32 v12, v14
	v_add_f32_e32 v8, v8, v14
	v_add_u32_e32 v12, 0x200, v12
	s_andn2_b64 exec, exec, s[28:29]
	s_cbranch_execnz .LBB251_402
; %bb.403:
	s_or_b64 exec, exec, s[28:29]
.LBB251_404:
	s_or_b64 exec, exec, s[14:15]
	ds_bpermute_b32 v3, v3, v8
	s_waitcnt lgkmcnt(0)
	v_add_f32_e32 v3, v8, v3
	ds_bpermute_b32 v4, v4, v3
	s_waitcnt lgkmcnt(0)
	v_add_f32_e32 v3, v3, v4
	ds_bpermute_b32 v4, v7, v3
	v_xor_b32_e32 v7, 2, v10
	v_cmp_lt_i32_e64 s[8:9], v7, v2
	s_waitcnt lgkmcnt(0)
	v_add_f32_e32 v3, v3, v4
	ds_bpermute_b32 v4, v9, v3
	v_cndmask_b32_e64 v2, v10, v7, s[8:9]
	v_lshlrev_b32_e32 v2, 2, v2
	s_waitcnt lgkmcnt(0)
	v_add_f32_e32 v3, v3, v4
	ds_bpermute_b32 v2, v2, v3
	s_waitcnt lgkmcnt(0)
	v_add_f32_e32 v2, v3, v2
	ds_bpermute_b32 v3, v30, v2
	s_waitcnt lgkmcnt(0)
	v_add_f32_e32 v2, v2, v3
	s_and_saveexec_b64 s[8:9], vcc
; %bb.405:
	ds_write_b32 v5, v2 offset:520
; %bb.406:
	s_or_b64 exec, exec, s[8:9]
	s_waitcnt lgkmcnt(0)
	s_barrier
	s_and_saveexec_b64 s[8:9], s[0:1]
; %bb.407:
	ds_read_b32 v2, v6 offset:520
; %bb.408:
	s_or_b64 exec, exec, s[8:9]
	s_waitcnt lgkmcnt(0)
	ds_bpermute_b32 v3, v30, v2
	v_lshlrev_b32_e32 v4, 2, v10
	s_waitcnt lgkmcnt(0)
	v_add_f32_e32 v2, v2, v3
	v_and_b32_e32 v3, 0xffffff00, v4
	ds_bpermute_b32 v2, v3, v2
	s_and_saveexec_b64 s[0:1], s[2:3]
	s_cbranch_execz .LBB251_421
; %bb.409:
	s_waitcnt lgkmcnt(0)
	v_add_f32_e32 v2, 0x358637bd, v2
	v_div_scale_f32 v3, s[2:3], v2, v2, 1.0
	v_rcp_f32_e32 v4, v3
	v_div_scale_f32 v5, vcc, 1.0, v2, 1.0
	s_movk_i32 s2, 0x7f
	v_fma_f32 v6, -v3, v4, 1.0
	v_fmac_f32_e32 v4, v6, v4
	v_mul_f32_e32 v6, v5, v4
	v_fma_f32 v7, -v3, v6, v5
	v_fmac_f32_e32 v6, v7, v4
	v_fma_f32 v3, -v3, v6, v5
	v_div_fmas_f32 v3, v3, v4, v6
	v_xad_u32 v4, v0, -1, s30
	v_div_fixup_f32 v2, v3, v2, 1.0
	v_cmp_lt_u32_e32 vcc, s2, v4
	s_mov_b64 s[8:9], -1
	v_mov_b32_e32 v3, v0
	s_and_saveexec_b64 s[2:3], vcc
	s_cbranch_execz .LBB251_418
; %bb.410:
	v_lshrrev_b32_e32 v4, 7, v4
	v_add_u32_e32 v6, -1, v4
	v_lshrrev_b32_e32 v5, 1, v6
	v_mov_b32_e32 v3, v2
	v_add_u32_e32 v5, 1, v5
	v_cmp_lt_u32_e32 vcc, 13, v6
	v_mov_b32_e32 v8, 0
	s_and_saveexec_b64 s[8:9], vcc
	s_cbranch_execz .LBB251_414
; %bb.411:
	v_mov_b32_e32 v7, 0x210
	v_and_b32_e32 v6, -8, v5
	v_lshl_add_u32 v7, v0, 2, v7
	s_mov_b32 s28, 0
	s_mov_b64 s[14:15], 0
.LBB251_412:                            ; =>This Inner Loop Header: Depth=1
	ds_read2st64_b32 v[8:9], v7 offset1:2
	ds_read2st64_b32 v[10:11], v7 offset0:4 offset1:6
	ds_read2st64_b32 v[12:13], v7 offset0:8 offset1:10
	;; [unrolled: 1-line block ×3, first 2 shown]
	v_add_u32_e32 v6, -8, v6
	s_waitcnt lgkmcnt(3)
	v_pk_mul_f32 v[8:9], v[2:3], v[8:9]
	s_waitcnt lgkmcnt(2)
	v_pk_mul_f32 v[10:11], v[2:3], v[10:11]
	ds_write2st64_b32 v7, v8, v9 offset1:2
	ds_write2st64_b32 v7, v10, v11 offset0:4 offset1:6
	ds_read2st64_b32 v[10:11], v7 offset0:16 offset1:18
	s_waitcnt lgkmcnt(4)
	v_pk_mul_f32 v[8:9], v[2:3], v[12:13]
	ds_write2st64_b32 v7, v8, v9 offset0:8 offset1:10
	s_waitcnt lgkmcnt(4)
	v_pk_mul_f32 v[8:9], v[2:3], v[14:15]
	ds_write2st64_b32 v7, v8, v9 offset0:12 offset1:14
	ds_read2st64_b32 v[8:9], v7 offset0:20 offset1:22
	s_waitcnt lgkmcnt(3)
	v_pk_mul_f32 v[10:11], v[2:3], v[10:11]
	ds_read2st64_b32 v[12:13], v7 offset0:24 offset1:26
	ds_write2st64_b32 v7, v10, v11 offset0:16 offset1:18
	ds_read2st64_b32 v[10:11], v7 offset0:28 offset1:30
	s_waitcnt lgkmcnt(3)
	v_pk_mul_f32 v[8:9], v[2:3], v[8:9]
	ds_write2st64_b32 v7, v8, v9 offset0:20 offset1:22
	s_waitcnt lgkmcnt(3)
	v_pk_mul_f32 v[8:9], v[2:3], v[12:13]
	ds_write2st64_b32 v7, v8, v9 offset0:24 offset1:26
	s_waitcnt lgkmcnt(2)
	v_pk_mul_f32 v[8:9], v[2:3], v[10:11]
	s_add_i32 s28, s28, 16
	v_cmp_eq_u32_e32 vcc, 0, v6
	ds_write2st64_b32 v7, v8, v9 offset0:28 offset1:30
	v_add_u32_e32 v7, 0x2000, v7
	s_or_b64 s[14:15], vcc, s[14:15]
	v_mov_b32_e32 v8, s28
	s_andn2_b64 exec, exec, s[14:15]
	s_cbranch_execnz .LBB251_412
; %bb.413:
	s_or_b64 exec, exec, s[14:15]
.LBB251_414:
	s_or_b64 exec, exec, s[8:9]
	v_and_b32_e32 v5, 7, v5
	v_cmp_ne_u32_e32 vcc, 0, v5
	s_and_saveexec_b64 s[8:9], vcc
	s_cbranch_execz .LBB251_417
; %bb.415:
	v_lshlrev_b32_e32 v6, 9, v8
	v_lshlrev_b32_e32 v7, 2, v0
	s_movk_i32 s14, 0x210
	v_add3_u32 v6, v6, v7, s14
	s_mov_b64 s[14:15], 0
.LBB251_416:                            ; =>This Inner Loop Header: Depth=1
	ds_read2st64_b32 v[8:9], v6 offset1:2
	v_add_u32_e32 v5, -1, v5
	v_cmp_eq_u32_e32 vcc, 0, v5
	s_or_b64 s[14:15], vcc, s[14:15]
	s_waitcnt lgkmcnt(0)
	v_pk_mul_f32 v[8:9], v[2:3], v[8:9]
	ds_write2st64_b32 v6, v8, v9 offset1:2
	v_add_u32_e32 v6, 0x400, v6
	s_andn2_b64 exec, exec, s[14:15]
	s_cbranch_execnz .LBB251_416
.LBB251_417:
	s_or_b64 exec, exec, s[8:9]
	v_add_u32_e32 v4, 1, v4
	v_and_b32_e32 v5, 0x3fffffe, v4
	v_cmp_ne_u32_e32 vcc, v4, v5
	v_lshl_add_u32 v3, v5, 7, v0
	s_orn2_b64 s[8:9], vcc, exec
.LBB251_418:
	s_or_b64 exec, exec, s[2:3]
	s_and_b64 exec, exec, s[8:9]
	s_cbranch_execz .LBB251_421
; %bb.419:
	v_mov_b32_e32 v4, 0x210
	v_lshl_add_u32 v4, v3, 2, v4
	s_mov_b64 s[2:3], 0
.LBB251_420:                            ; =>This Inner Loop Header: Depth=1
	ds_read_b32 v5, v4
	v_add_u32_e32 v3, 0x80, v3
	v_cmp_le_i32_e32 vcc, s30, v3
	s_or_b64 s[2:3], vcc, s[2:3]
	s_waitcnt lgkmcnt(0)
	v_mul_f32_e32 v5, v2, v5
	ds_write_b32 v4, v5
	v_add_u32_e32 v4, 0x200, v4
	s_andn2_b64 exec, exec, s[2:3]
	s_cbranch_execnz .LBB251_420
.LBB251_421:
	s_or_b64 exec, exec, s[0:1]
	v_mov_b32_e32 v3, 0
	v_and_b32_e32 v31, 1, v0
	s_waitcnt lgkmcnt(0)
	v_mov_b32_e32 v2, v3
	v_mov_b32_e32 v5, v3
	;; [unrolled: 1-line block ×7, first 2 shown]
	s_barrier
	s_and_saveexec_b64 s[2:3], s[6:7]
	s_cbranch_execz .LBB251_825
; %bb.422:
	s_ashr_i32 s1, s12, 31
	v_lshlrev_b32_e32 v2, 3, v0
	s_add_u32 s0, s26, s12
	s_addc_u32 s1, s27, s1
	v_and_b32_e32 v10, 0x1f8, v2
	v_mov_b32_e32 v11, 0
	s_add_i32 s26, s19, -1
	v_lshl_add_u64 v[12:13], s[0:1], 0, v[10:11]
	s_lshl_b64 s[0:1], s[24:25], 2
	v_and_b32_e32 v3, 8, v2
	v_lshlrev_b32_e32 v2, 5, v31
	s_add_u32 s0, s22, s0
	s_mov_b32 s6, -1
	v_lshl_or_b32 v2, v28, 6, v2
	v_and_b32_e32 v10, 60, v1
	s_addc_u32 s1, s23, s1
	s_mov_b32 s28, s13
	s_mov_b32 s7, 0xffffff
	;; [unrolled: 1-line block ×3, first 2 shown]
	v_lshl_or_b32 v32, v28, 4, v3
	v_add_u32_e32 v33, 0x210, v2
	v_lshl_add_u64 v[14:15], s[0:1], 0, v[10:11]
	s_mov_b64 s[8:9], 0
	s_movk_i32 s24, 0x80
	s_movk_i32 s25, 0x7f
	s_mov_b32 s29, 0x8000
	v_mov_b32_e32 v34, 0x2000
	v_mov_b32_e32 v3, 0
	;; [unrolled: 1-line block ×9, first 2 shown]
	s_branch .LBB251_424
.LBB251_423:                            ;   in Loop: Header=BB251_424 Depth=1
	s_or_b64 exec, exec, s[0:1]
	v_add_f32_e32 v17, v26, v27
	v_add_f32_e32 v2, v2, v17
	;; [unrolled: 1-line block ×13, first 2 shown]
	;;#ASMSTART
	v_pk_mul_f16 v1, v45, v1;

	;;#ASMEND
	v_add_f32_e32 v8, v8, v17
	;;#ASMSTART
	v_pk_mul_f16 v10, v44, v10;

	;;#ASMEND
	;;#ASMSTART
	v_pk_mul_f16 v17, v43, v21;

	;;#ASMEND
	;; [unrolled: 4-line block ×3, first 2 shown]
	v_add_u32_e32 v28, 2, v28
	;;#ASMSTART
	v_pk_add_f16 v1, v1, v10;

	;;#ASMEND
	v_cmp_le_i32_e32 vcc, s19, v28
	;;#ASMSTART
	v_pk_add_f16 v1, v1, v17;

	;;#ASMEND
	v_add_u32_e32 v32, 32, v32
	;;#ASMSTART
	v_pk_add_f16 v1, v1, v16;

	;;#ASMEND
	v_add_u32_e32 v33, 0x80, v33
	v_lshrrev_b32_e32 v10, 16, v1
	v_and_b32_e32 v1, 0xffff, v1
	;;#ASMSTART
	v_cvt_f32_f16 v1, v1;
	;;#ASMEND
	;;#ASMSTART
	v_cvt_f32_f16 v10, v10;
	;;#ASMEND
	s_or_b64 s[8:9], vcc, s[8:9]
	v_add_f32_e32 v1, v1, v10
	v_add_f32_e32 v3, v3, v1
	v_lshl_add_u64 v[14:15], v[14:15], 0, 8
	s_andn2_b64 exec, exec, s[8:9]
	s_cbranch_execz .LBB251_824
.LBB251_424:                            ; =>This Inner Loop Header: Depth=1
	global_load_dword v1, v[14:15], off
	ds_read2_b64 v[16:19], v33 offset1:1
	ds_read2_b64 v[20:23], v33 offset0:2 offset1:3
	s_waitcnt lgkmcnt(1)
	;;#ASMSTART
	v_cvt_f16_f32 v41, v16;

	;;#ASMEND
	;;#ASMSTART
	v_cvt_f16_f32 v43, v17;

	;;#ASMEND
	;; [unrolled: 4-line block ×4, first 2 shown]
	s_waitcnt lgkmcnt(0)
	;;#ASMSTART
	v_cvt_f16_f32 v47, v20;

	;;#ASMEND
	;;#ASMSTART
	v_cvt_f16_f32 v48, v21;

	;;#ASMEND
	;; [unrolled: 4-line block ×4, first 2 shown]
	s_waitcnt vmcnt(0)
	v_mad_i64_i32 v[16:17], s[0:1], v1, s28, v[12:13]
	global_load_dwordx2 v[20:21], v[16:17], off
	global_load_dword v18, v11, s[10:11]
	v_mov_b32_e32 v1, 0
	s_waitcnt vmcnt(1)
	v_cmp_ne_u16_sdwa s[12:13], v20, v11 src0_sel:BYTE_0 src1_sel:DWORD
	s_and_saveexec_b64 s[0:1], s[12:13]
	s_cbranch_execz .LBB251_430
; %bb.425:                              ;   in Loop: Header=BB251_424 Depth=1
	v_cmp_ne_u16_sdwa s[14:15], v20, s24 src0_sel:BYTE_0 src1_sel:DWORD
	v_mov_b32_e32 v1, 0x8000
	s_and_saveexec_b64 s[12:13], s[14:15]
	s_cbranch_execz .LBB251_429
; %bb.426:                              ;   in Loop: Header=BB251_424 Depth=1
	v_and_b32_e32 v10, 0x7f, v20
	v_cmp_ne_u32_e32 vcc, s25, v10
	v_mov_b32_e32 v1, 0x7c01
	s_and_saveexec_b64 s[14:15], vcc
	s_cbranch_execz .LBB251_428
; %bb.427:                              ;   in Loop: Header=BB251_424 Depth=1
	v_and_b32_e32 v1, 7, v20
	v_ffbh_u32_e32 v22, v1
	v_min_u32_e32 v24, 32, v22
	v_subrev_u32_e32 v22, 28, v24
	v_lshlrev_b64 v[22:23], v22, v[20:21]
	v_lshrrev_b32_e32 v19, 3, v10
	v_sub_u32_e32 v23, 29, v24
	v_cmp_gt_u32_e32 vcc, 8, v10
	v_and_b32_e32 v22, 7, v22
	s_nop 0
	v_cndmask_b32_e32 v10, v19, v23, vcc
	v_lshl_add_u32 v10, v10, 10, v34
	v_lshlrev_b32_e32 v19, 8, v20
	v_and_b32_e32 v10, 0xfc00, v10
	v_cndmask_b32_e32 v1, v1, v22, vcc
	v_and_or_b32 v10, v19, s29, v10
	v_lshl_or_b32 v1, v1, 7, v10
.LBB251_428:                            ;   in Loop: Header=BB251_424 Depth=1
	s_or_b64 exec, exec, s[14:15]
.LBB251_429:                            ;   in Loop: Header=BB251_424 Depth=1
	s_or_b64 exec, exec, s[12:13]
.LBB251_430:                            ;   in Loop: Header=BB251_424 Depth=1
	s_or_b64 exec, exec, s[0:1]
	v_lshrrev_b16_e32 v10, 8, v20
	v_cmp_ne_u16_e32 vcc, 0, v10
	v_mov_b32_e32 v19, 0
	v_mov_b32_e32 v22, 0
	s_and_saveexec_b64 s[0:1], vcc
	s_cbranch_execz .LBB251_436
; %bb.431:                              ;   in Loop: Header=BB251_424 Depth=1
	v_cmp_ne_u16_e32 vcc, s24, v10
	v_bfrev_b32_e32 v22, 1
	s_and_saveexec_b64 s[12:13], vcc
	s_cbranch_execz .LBB251_435
; %bb.432:                              ;   in Loop: Header=BB251_424 Depth=1
	v_and_b32_e32 v23, 0x7f, v10
	v_cmp_ne_u32_e32 vcc, s25, v23
	v_mov_b32_e32 v22, 0x7c010000
	s_and_saveexec_b64 s[14:15], vcc
	s_cbranch_execz .LBB251_434
; %bb.433:                              ;   in Loop: Header=BB251_424 Depth=1
	v_and_b32_e32 v22, 7, v10
	v_ffbh_u32_e32 v24, v22
	v_min_u32_e32 v27, 32, v24
	v_subrev_u32_e32 v24, 28, v27
	v_lshlrev_b64 v[24:25], v24, v[10:11]
	v_lshrrev_b32_e32 v26, 3, v23
	v_sub_u32_e32 v25, 29, v27
	v_cmp_gt_u32_e32 vcc, 8, v23
	v_lshlrev_b32_e32 v10, 8, v10
	v_and_b32_e32 v24, 7, v24
	v_cndmask_b32_e32 v23, v26, v25, vcc
	v_lshl_add_u32 v23, v23, 10, v34
	v_and_or_b32 v10, v10, s29, v23
	v_cndmask_b32_e32 v22, v22, v24, vcc
	v_lshlrev_b32_e32 v10, 16, v10
	v_lshl_or_b32 v22, v22, 23, v10
.LBB251_434:                            ;   in Loop: Header=BB251_424 Depth=1
	s_or_b64 exec, exec, s[14:15]
.LBB251_435:                            ;   in Loop: Header=BB251_424 Depth=1
	s_or_b64 exec, exec, s[12:13]
.LBB251_436:                            ;   in Loop: Header=BB251_424 Depth=1
	s_or_b64 exec, exec, s[0:1]
	v_lshrrev_b32_e32 v10, 16, v20
	v_cmp_ne_u16_sdwa s[12:13], v10, v11 src0_sel:BYTE_0 src1_sel:DWORD
	s_and_saveexec_b64 s[0:1], s[12:13]
	s_cbranch_execz .LBB251_442
; %bb.437:                              ;   in Loop: Header=BB251_424 Depth=1
	v_cmp_ne_u16_sdwa s[14:15], v10, s24 src0_sel:BYTE_0 src1_sel:DWORD
	v_mov_b32_e32 v19, 0x8000
	s_and_saveexec_b64 s[12:13], s[14:15]
	s_cbranch_execz .LBB251_441
; %bb.438:                              ;   in Loop: Header=BB251_424 Depth=1
	v_bfe_u32 v23, v20, 16, 7
	v_cmp_ne_u32_e32 vcc, s25, v23
	v_mov_b32_e32 v19, 0x7c01
	s_and_saveexec_b64 s[14:15], vcc
	s_cbranch_execz .LBB251_440
; %bb.439:                              ;   in Loop: Header=BB251_424 Depth=1
	v_and_b32_e32 v19, 7, v10
	v_ffbh_u32_e32 v24, v19
	v_min_u32_e32 v27, 32, v24
	v_subrev_u32_e32 v24, 28, v27
	v_lshlrev_b64 v[24:25], v24, v[10:11]
	v_lshrrev_b32_e32 v26, 3, v23
	v_sub_u32_e32 v25, 29, v27
	v_cmp_gt_u32_e32 vcc, 8, v23
	v_lshlrev_b32_e32 v10, 8, v10
	v_and_b32_e32 v24, 7, v24
	v_cndmask_b32_e32 v23, v26, v25, vcc
	v_lshl_add_u32 v23, v23, 10, v34
	v_and_b32_e32 v23, 0xfc00, v23
	v_cndmask_b32_e32 v19, v19, v24, vcc
	v_and_or_b32 v10, v10, s29, v23
	v_lshl_or_b32 v19, v19, 7, v10
.LBB251_440:                            ;   in Loop: Header=BB251_424 Depth=1
	s_or_b64 exec, exec, s[14:15]
.LBB251_441:                            ;   in Loop: Header=BB251_424 Depth=1
	s_or_b64 exec, exec, s[12:13]
.LBB251_442:                            ;   in Loop: Header=BB251_424 Depth=1
	s_or_b64 exec, exec, s[0:1]
	v_cmp_lt_u32_e32 vcc, s7, v20
	v_mov_b32_e32 v23, 0
	v_mov_b32_e32 v24, 0
	s_and_saveexec_b64 s[0:1], vcc
	s_cbranch_execz .LBB251_448
; %bb.443:                              ;   in Loop: Header=BB251_424 Depth=1
	v_lshrrev_b32_e32 v10, 24, v20
	v_cmp_ne_u32_e32 vcc, s24, v10
	v_bfrev_b32_e32 v24, 1
	s_and_saveexec_b64 s[12:13], vcc
	s_cbranch_execz .LBB251_447
; %bb.444:                              ;   in Loop: Header=BB251_424 Depth=1
	v_and_b32_e32 v25, 0x7f, v10
	v_cmp_ne_u32_e32 vcc, s25, v25
	v_mov_b32_e32 v24, 0x7c010000
	s_and_saveexec_b64 s[14:15], vcc
	s_cbranch_execz .LBB251_446
; %bb.445:                              ;   in Loop: Header=BB251_424 Depth=1
	v_and_b32_e32 v24, 7, v10
	v_ffbh_u32_e32 v26, v24
	v_min_u32_e32 v36, 32, v26
	v_subrev_u32_e32 v26, 28, v36
	v_lshlrev_b64 v[26:27], v26, v[10:11]
	v_lshrrev_b32_e32 v35, 3, v25
	v_sub_u32_e32 v27, 29, v36
	v_cmp_gt_u32_e32 vcc, 8, v25
	v_lshlrev_b32_e32 v10, 8, v10
	v_and_b32_e32 v26, 7, v26
	v_cndmask_b32_e32 v25, v35, v27, vcc
	v_lshl_add_u32 v25, v25, 10, v34
	v_and_or_b32 v10, v10, s29, v25
	v_cndmask_b32_e32 v24, v24, v26, vcc
	v_lshlrev_b32_e32 v10, 16, v10
	v_lshl_or_b32 v24, v24, 23, v10
.LBB251_446:                            ;   in Loop: Header=BB251_424 Depth=1
	s_or_b64 exec, exec, s[14:15]
.LBB251_447:                            ;   in Loop: Header=BB251_424 Depth=1
	s_or_b64 exec, exec, s[12:13]
.LBB251_448:                            ;   in Loop: Header=BB251_424 Depth=1
	s_or_b64 exec, exec, s[0:1]
	v_mov_b32_e32 v10, v21
	v_cmp_ne_u16_sdwa s[12:13], v21, v11 src0_sel:BYTE_0 src1_sel:DWORD
	s_and_saveexec_b64 s[0:1], s[12:13]
	s_cbranch_execz .LBB251_454
; %bb.449:                              ;   in Loop: Header=BB251_424 Depth=1
	v_cmp_ne_u16_sdwa s[14:15], v21, s24 src0_sel:BYTE_0 src1_sel:DWORD
	v_mov_b32_e32 v23, 0x8000
	s_and_saveexec_b64 s[12:13], s[14:15]
	s_cbranch_execz .LBB251_453
; %bb.450:                              ;   in Loop: Header=BB251_424 Depth=1
	v_and_b32_e32 v25, 0x7f, v21
	v_cmp_ne_u32_e32 vcc, s25, v25
	v_mov_b32_e32 v23, 0x7c01
	s_and_saveexec_b64 s[14:15], vcc
	s_cbranch_execz .LBB251_452
; %bb.451:                              ;   in Loop: Header=BB251_424 Depth=1
	v_and_b32_e32 v23, 7, v21
	v_ffbh_u32_e32 v26, v23
	v_min_u32_e32 v36, 32, v26
	v_subrev_u32_e32 v26, 28, v36
	v_lshlrev_b64 v[26:27], v26, v[10:11]
	v_lshrrev_b32_e32 v35, 3, v25
	v_sub_u32_e32 v27, 29, v36
	v_cmp_gt_u32_e32 vcc, 8, v25
	v_and_b32_e32 v26, 7, v26
	s_nop 0
	v_cndmask_b32_e32 v25, v35, v27, vcc
	v_lshl_add_u32 v25, v25, 10, v34
	v_lshlrev_b32_e32 v27, 8, v21
	v_and_b32_e32 v25, 0xfc00, v25
	v_cndmask_b32_e32 v23, v23, v26, vcc
	v_and_or_b32 v25, v27, s29, v25
	v_lshl_or_b32 v23, v23, 7, v25
.LBB251_452:                            ;   in Loop: Header=BB251_424 Depth=1
	s_or_b64 exec, exec, s[14:15]
.LBB251_453:                            ;   in Loop: Header=BB251_424 Depth=1
	s_or_b64 exec, exec, s[12:13]
.LBB251_454:                            ;   in Loop: Header=BB251_424 Depth=1
	s_or_b64 exec, exec, s[0:1]
	v_lshrrev_b16_e32 v10, 8, v10
	v_cmp_ne_u16_e32 vcc, 0, v10
	v_mov_b32_e32 v26, 0
	v_mov_b32_e32 v25, 0
	s_and_saveexec_b64 s[0:1], vcc
	s_cbranch_execz .LBB251_460
; %bb.455:                              ;   in Loop: Header=BB251_424 Depth=1
	v_cmp_ne_u16_e32 vcc, s24, v10
	v_bfrev_b32_e32 v25, 1
	s_and_saveexec_b64 s[12:13], vcc
	s_cbranch_execz .LBB251_459
; %bb.456:                              ;   in Loop: Header=BB251_424 Depth=1
	v_and_b32_e32 v27, 0x7f, v10
	v_cmp_ne_u32_e32 vcc, s25, v27
	v_mov_b32_e32 v25, 0x7c010000
	s_and_saveexec_b64 s[14:15], vcc
	s_cbranch_execz .LBB251_458
; %bb.457:                              ;   in Loop: Header=BB251_424 Depth=1
	v_and_b32_e32 v25, 7, v10
	v_ffbh_u32_e32 v36, v25
	v_min_u32_e32 v38, 32, v36
	v_subrev_u32_e32 v36, 28, v38
	v_lshlrev_b64 v[36:37], v36, v[10:11]
	v_lshrrev_b32_e32 v35, 3, v27
	v_sub_u32_e32 v37, 29, v38
	v_cmp_gt_u32_e32 vcc, 8, v27
	v_lshlrev_b32_e32 v10, 8, v10
	s_nop 0
	v_cndmask_b32_e32 v27, v35, v37, vcc
	v_lshl_add_u32 v27, v27, 10, v34
	v_and_b32_e32 v35, 7, v36
	v_and_or_b32 v10, v10, s29, v27
	v_cndmask_b32_e32 v25, v25, v35, vcc
	v_lshlrev_b32_e32 v10, 16, v10
	v_lshl_or_b32 v25, v25, 23, v10
.LBB251_458:                            ;   in Loop: Header=BB251_424 Depth=1
	s_or_b64 exec, exec, s[14:15]
.LBB251_459:                            ;   in Loop: Header=BB251_424 Depth=1
	s_or_b64 exec, exec, s[12:13]
.LBB251_460:                            ;   in Loop: Header=BB251_424 Depth=1
	s_or_b64 exec, exec, s[0:1]
	v_lshrrev_b32_e32 v10, 16, v21
	v_cmp_ne_u16_sdwa s[12:13], v10, v11 src0_sel:BYTE_0 src1_sel:DWORD
	s_and_saveexec_b64 s[0:1], s[12:13]
	s_cbranch_execz .LBB251_466
; %bb.461:                              ;   in Loop: Header=BB251_424 Depth=1
	v_cmp_ne_u16_sdwa s[14:15], v10, s24 src0_sel:BYTE_0 src1_sel:DWORD
	v_mov_b32_e32 v26, 0x8000
	s_and_saveexec_b64 s[12:13], s[14:15]
	s_cbranch_execz .LBB251_465
; %bb.462:                              ;   in Loop: Header=BB251_424 Depth=1
	v_bfe_u32 v27, v21, 16, 7
	v_cmp_ne_u32_e32 vcc, s25, v27
	v_mov_b32_e32 v26, 0x7c01
	s_and_saveexec_b64 s[14:15], vcc
	s_cbranch_execz .LBB251_464
; %bb.463:                              ;   in Loop: Header=BB251_424 Depth=1
	v_and_b32_e32 v26, 7, v10
	v_ffbh_u32_e32 v36, v26
	v_min_u32_e32 v38, 32, v36
	v_subrev_u32_e32 v36, 28, v38
	v_lshlrev_b64 v[36:37], v36, v[10:11]
	v_lshrrev_b32_e32 v35, 3, v27
	v_sub_u32_e32 v37, 29, v38
	v_cmp_gt_u32_e32 vcc, 8, v27
	v_lshlrev_b32_e32 v10, 8, v10
	s_nop 0
	v_cndmask_b32_e32 v27, v35, v37, vcc
	v_lshl_add_u32 v27, v27, 10, v34
	v_and_b32_e32 v35, 7, v36
	v_and_b32_e32 v27, 0xfc00, v27
	v_cndmask_b32_e32 v26, v26, v35, vcc
	v_and_or_b32 v10, v10, s29, v27
	v_lshl_or_b32 v26, v26, 7, v10
.LBB251_464:                            ;   in Loop: Header=BB251_424 Depth=1
	s_or_b64 exec, exec, s[14:15]
.LBB251_465:                            ;   in Loop: Header=BB251_424 Depth=1
	s_or_b64 exec, exec, s[12:13]
.LBB251_466:                            ;   in Loop: Header=BB251_424 Depth=1
	s_or_b64 exec, exec, s[0:1]
	v_cmp_lt_u64_e32 vcc, s[6:7], v[20:21]
	v_mov_b32_e32 v27, 0
	s_and_saveexec_b64 s[0:1], vcc
	s_cbranch_execz .LBB251_472
; %bb.467:                              ;   in Loop: Header=BB251_424 Depth=1
	v_lshrrev_b32_e32 v10, 24, v21
	v_cmp_ne_u32_e32 vcc, s24, v10
	v_bfrev_b32_e32 v27, 1
	s_and_saveexec_b64 s[12:13], vcc
	s_cbranch_execz .LBB251_471
; %bb.468:                              ;   in Loop: Header=BB251_424 Depth=1
	v_and_b32_e32 v20, 0x7f, v10
	v_cmp_ne_u32_e32 vcc, s25, v20
	v_mov_b32_e32 v27, 0x7c010000
	s_and_saveexec_b64 s[14:15], vcc
	s_cbranch_execz .LBB251_470
; %bb.469:                              ;   in Loop: Header=BB251_424 Depth=1
	v_and_b32_e32 v21, 7, v10
	v_ffbh_u32_e32 v35, v21
	v_min_u32_e32 v35, 32, v35
	v_lshrrev_b32_e32 v27, 3, v20
	v_subrev_u32_e32 v36, 28, v35
	v_sub_u32_e32 v35, 29, v35
	v_cmp_gt_u32_e32 vcc, 8, v20
	v_lshlrev_b64 v[36:37], v36, v[10:11]
	v_lshlrev_b32_e32 v10, 8, v10
	v_cndmask_b32_e32 v20, v27, v35, vcc
	v_lshl_add_u32 v20, v20, 10, v34
	v_and_b32_e32 v27, 7, v36
	v_and_or_b32 v10, v10, s29, v20
	v_cndmask_b32_e32 v21, v21, v27, vcc
	v_lshlrev_b32_e32 v10, 16, v10
	v_lshl_or_b32 v27, v21, 23, v10
.LBB251_470:                            ;   in Loop: Header=BB251_424 Depth=1
	s_or_b64 exec, exec, s[14:15]
.LBB251_471:                            ;   in Loop: Header=BB251_424 Depth=1
	s_or_b64 exec, exec, s[12:13]
.LBB251_472:                            ;   in Loop: Header=BB251_424 Depth=1
	s_or_b64 exec, exec, s[0:1]
	v_cvt_f32_f16_sdwa v21, v22 dst_sel:DWORD dst_unused:UNUSED_PAD src0_sel:WORD_1
	v_cvt_f32_f16_sdwa v20, v24 dst_sel:DWORD dst_unused:UNUSED_PAD src0_sel:WORD_1
	v_or_b32_e32 v1, v22, v1
	v_or_b32_e32 v10, v24, v19
	v_cvt_f32_f16_e32 v36, v10
	v_cvt_f32_f16_e32 v37, v1
	s_waitcnt vmcnt(0)
	v_pk_mul_f32 v[20:21], v[18:19], v[20:21] op_sel_hi:[0,1]
	v_cvt_pk_f16_f32 v1, v20, v21
	v_and_b32_e32 v19, 0xffff0000, v1
	v_pk_mul_f32 v[36:37], v[18:19], v[36:37] op_sel_hi:[0,1]
	v_or_b32_e32 v10, v25, v23
	v_or_b32_e32 v23, v27, v26
	v_lshlrev_b32_e32 v20, 16, v1
	v_cvt_pk_f16_f32 v1, v36, v37
	v_cvt_f32_f16_e32 v36, v23
	v_cvt_f32_f16_e32 v37, v10
	v_cvt_f32_f16_sdwa v25, v25 dst_sel:DWORD dst_unused:UNUSED_PAD src0_sel:WORD_1
	v_cvt_f32_f16_sdwa v24, v27 dst_sel:DWORD dst_unused:UNUSED_PAD src0_sel:WORD_1
	v_lshrrev_b32_e32 v21, 16, v1
	v_pk_mul_f32 v[26:27], v[18:19], v[36:37] op_sel_hi:[0,1]
	v_cvt_pk_f16_f32 v26, v26, v27
	v_pk_mul_f32 v[24:25], v[18:19], v[24:25] op_sel_hi:[0,1]
	v_cvt_pk_f16_f32 v18, v24, v25
	v_and_b32_e32 v22, 0xffff, v1
	v_and_b32_e32 v23, 0xffff0000, v18
	v_lshlrev_b32_e32 v18, 16, v18
	v_lshrrev_b32_e32 v27, 16, v26
	v_and_b32_e32 v26, 0xffff, v26
	v_cmp_eq_u32_e32 vcc, s26, v28
	v_or_b32_e32 v1, v19, v21
	v_or_b32_e32 v10, v20, v22
	;; [unrolled: 1-line block ×4, first 2 shown]
	v_add_u32_e32 v42, 2, v32
	v_or_b32_e32 v40, 1, v32
	v_or_b32_e32 v39, 3, v32
	;; [unrolled: 1-line block ×6, first 2 shown]
	s_and_saveexec_b64 s[12:13], vcc
	s_cbranch_execz .LBB251_474
; %bb.473:                              ;   in Loop: Header=BB251_424 Depth=1
	v_cmp_gt_i32_e64 s[0:1], s27, v32
	s_nop 1
	v_cndmask_b32_e64 v1, 0, v21, s[0:1]
	v_cmp_gt_i32_e64 s[0:1], s33, v42
	s_nop 1
	v_cndmask_b32_e64 v10, 0, v22, s[0:1]
	;; [unrolled: 3-line block ×3, first 2 shown]
	v_cmp_gt_i32_e64 s[0:1], s33, v39
	v_or_b32_e32 v1, v19, v1
	s_nop 0
	v_cndmask_b32_e64 v20, 0, v20, s[0:1]
	v_cmp_gt_i32_e64 s[0:1], s27, v38
	v_or_b32_e32 v10, v20, v10
	s_nop 0
	v_cndmask_b32_e64 v19, 0, v27, s[0:1]
	v_cmp_gt_i32_e64 s[0:1], s33, v37
	s_nop 1
	v_cndmask_b32_e64 v20, 0, v26, s[0:1]
	v_cmp_gt_i32_e64 s[0:1], s27, v36
	;; [unrolled: 3-line block ×3, first 2 shown]
	v_or_b32_e32 v25, v21, v19
	s_nop 0
	v_cndmask_b32_e64 v18, 0, v18, s[0:1]
	v_or_b32_e32 v24, v18, v20
.LBB251_474:                            ;   in Loop: Header=BB251_424 Depth=1
	s_or_b64 exec, exec, s[12:13]
	v_and_b32_e32 v18, 0xffff, v41
	v_lshl_or_b32 v45, v43, 16, v18
	v_and_b32_e32 v18, 0xffff, v44
	v_lshl_or_b32 v44, v46, 16, v18
	;; [unrolled: 2-line block ×3, first 2 shown]
	v_and_b32_e32 v18, 0xffff, v49
	;;#ASMSTART
	v_pk_mul_f16 v1, v45, v1;

	;;#ASMEND
	v_lshl_or_b32 v41, v50, 16, v18
	;;#ASMSTART
	v_pk_mul_f16 v10, v44, v10;

	;;#ASMEND
	;;#ASMSTART
	v_pk_mul_f16 v18, v43, v25;

	;;#ASMEND
	;; [unrolled: 4-line block ×3, first 2 shown]
	s_nop 0
	;;#ASMSTART
	v_pk_add_f16 v1, v1, v10;

	;;#ASMEND
	s_nop 0
	;;#ASMSTART
	v_pk_add_f16 v1, v1, v18;

	;;#ASMEND
	;; [unrolled: 5-line block ×3, first 2 shown]
	v_mov_b32_e32 v19, 0
	v_lshrrev_b32_e32 v10, 16, v1
	v_and_b32_e32 v1, 0xffff, v1
	;;#ASMSTART
	v_cvt_f32_f16 v46, v1;
	;;#ASMEND
	;;#ASMSTART
	v_cvt_f32_f16 v47, v10;
	;;#ASMEND
	global_load_dwordx2 v[20:21], v[16:17], off offset:512
	v_mov_b32_e32 v1, 0
	global_load_dword v18, v1, s[10:11]
	s_waitcnt vmcnt(1)
	v_cmp_ne_u16_sdwa s[0:1], v20, v11 src0_sel:BYTE_0 src1_sel:DWORD
	s_and_saveexec_b64 s[12:13], s[0:1]
	s_cbranch_execz .LBB251_480
; %bb.475:                              ;   in Loop: Header=BB251_424 Depth=1
	v_cmp_ne_u16_sdwa s[0:1], v20, s24 src0_sel:BYTE_0 src1_sel:DWORD
	v_mov_b32_e32 v19, 0x8000
	s_and_saveexec_b64 s[14:15], s[0:1]
	s_cbranch_execz .LBB251_479
; %bb.476:                              ;   in Loop: Header=BB251_424 Depth=1
	v_and_b32_e32 v10, 0x7f, v20
	v_cmp_ne_u32_e64 s[0:1], s25, v10
	v_mov_b32_e32 v19, 0x7c01
	s_and_saveexec_b64 s[22:23], s[0:1]
	s_cbranch_execz .LBB251_478
; %bb.477:                              ;   in Loop: Header=BB251_424 Depth=1
	v_and_b32_e32 v19, 7, v20
	v_ffbh_u32_e32 v22, v19
	v_min_u32_e32 v25, 32, v22
	v_subrev_u32_e32 v22, 28, v25
	v_lshlrev_b64 v[22:23], v22, v[20:21]
	v_lshrrev_b32_e32 v24, 3, v10
	v_sub_u32_e32 v23, 29, v25
	v_cmp_gt_u32_e64 s[0:1], 8, v10
	v_and_b32_e32 v22, 7, v22
	s_nop 0
	v_cndmask_b32_e64 v10, v24, v23, s[0:1]
	v_lshl_add_u32 v10, v10, 10, v34
	v_lshlrev_b32_e32 v23, 8, v20
	v_and_b32_e32 v10, 0xfc00, v10
	v_cndmask_b32_e64 v19, v19, v22, s[0:1]
	v_and_or_b32 v10, v23, s29, v10
	v_lshl_or_b32 v19, v19, 7, v10
.LBB251_478:                            ;   in Loop: Header=BB251_424 Depth=1
	s_or_b64 exec, exec, s[22:23]
.LBB251_479:                            ;   in Loop: Header=BB251_424 Depth=1
	s_or_b64 exec, exec, s[14:15]
.LBB251_480:                            ;   in Loop: Header=BB251_424 Depth=1
	s_or_b64 exec, exec, s[12:13]
	v_lshrrev_b16_e32 v10, 8, v20
	v_cmp_ne_u16_e64 s[0:1], 0, v10
	s_and_saveexec_b64 s[12:13], s[0:1]
	s_cbranch_execz .LBB251_486
; %bb.481:                              ;   in Loop: Header=BB251_424 Depth=1
	v_cmp_ne_u16_e64 s[0:1], s24, v10
	v_bfrev_b32_e32 v1, 1
	s_and_saveexec_b64 s[14:15], s[0:1]
	s_cbranch_execz .LBB251_485
; %bb.482:                              ;   in Loop: Header=BB251_424 Depth=1
	v_and_b32_e32 v22, 0x7f, v10
	v_cmp_ne_u32_e64 s[0:1], s25, v22
	v_mov_b32_e32 v1, 0x7c010000
	s_and_saveexec_b64 s[22:23], s[0:1]
	s_cbranch_execz .LBB251_484
; %bb.483:                              ;   in Loop: Header=BB251_424 Depth=1
	v_and_b32_e32 v1, 7, v10
	v_ffbh_u32_e32 v24, v1
	v_min_u32_e32 v26, 32, v24
	v_subrev_u32_e32 v24, 28, v26
	v_lshlrev_b64 v[24:25], v24, v[10:11]
	v_lshrrev_b32_e32 v23, 3, v22
	v_sub_u32_e32 v25, 29, v26
	v_cmp_gt_u32_e64 s[0:1], 8, v22
	v_lshlrev_b32_e32 v10, 8, v10
	s_nop 0
	v_cndmask_b32_e64 v22, v23, v25, s[0:1]
	v_lshl_add_u32 v22, v22, 10, v34
	v_and_b32_e32 v23, 7, v24
	v_and_or_b32 v10, v10, s29, v22
	v_cndmask_b32_e64 v1, v1, v23, s[0:1]
	v_lshlrev_b32_e32 v10, 16, v10
	v_lshl_or_b32 v1, v1, 23, v10
.LBB251_484:                            ;   in Loop: Header=BB251_424 Depth=1
	s_or_b64 exec, exec, s[22:23]
.LBB251_485:                            ;   in Loop: Header=BB251_424 Depth=1
	s_or_b64 exec, exec, s[14:15]
.LBB251_486:                            ;   in Loop: Header=BB251_424 Depth=1
	s_or_b64 exec, exec, s[12:13]
	v_lshrrev_b32_e32 v10, 16, v20
	v_cmp_ne_u16_sdwa s[0:1], v10, v11 src0_sel:BYTE_0 src1_sel:DWORD
	v_mov_b32_e32 v23, 0
	v_mov_b32_e32 v22, 0
	s_and_saveexec_b64 s[12:13], s[0:1]
	s_cbranch_execz .LBB251_492
; %bb.487:                              ;   in Loop: Header=BB251_424 Depth=1
	v_cmp_ne_u16_sdwa s[0:1], v10, s24 src0_sel:BYTE_0 src1_sel:DWORD
	v_mov_b32_e32 v22, 0x8000
	s_and_saveexec_b64 s[14:15], s[0:1]
	s_cbranch_execz .LBB251_491
; %bb.488:                              ;   in Loop: Header=BB251_424 Depth=1
	v_bfe_u32 v24, v20, 16, 7
	v_cmp_ne_u32_e64 s[0:1], s25, v24
	v_mov_b32_e32 v22, 0x7c01
	s_and_saveexec_b64 s[22:23], s[0:1]
	s_cbranch_execz .LBB251_490
; %bb.489:                              ;   in Loop: Header=BB251_424 Depth=1
	v_and_b32_e32 v22, 7, v10
	v_ffbh_u32_e32 v26, v22
	v_min_u32_e32 v48, 32, v26
	v_subrev_u32_e32 v26, 28, v48
	v_lshlrev_b64 v[26:27], v26, v[10:11]
	v_lshrrev_b32_e32 v25, 3, v24
	v_sub_u32_e32 v27, 29, v48
	v_cmp_gt_u32_e64 s[0:1], 8, v24
	v_lshlrev_b32_e32 v10, 8, v10
	s_nop 0
	v_cndmask_b32_e64 v24, v25, v27, s[0:1]
	v_lshl_add_u32 v24, v24, 10, v34
	v_and_b32_e32 v25, 7, v26
	v_and_b32_e32 v24, 0xfc00, v24
	v_cndmask_b32_e64 v22, v22, v25, s[0:1]
	v_and_or_b32 v10, v10, s29, v24
	v_lshl_or_b32 v22, v22, 7, v10
.LBB251_490:                            ;   in Loop: Header=BB251_424 Depth=1
	s_or_b64 exec, exec, s[22:23]
.LBB251_491:                            ;   in Loop: Header=BB251_424 Depth=1
	s_or_b64 exec, exec, s[14:15]
.LBB251_492:                            ;   in Loop: Header=BB251_424 Depth=1
	s_or_b64 exec, exec, s[12:13]
	v_cmp_lt_u32_e64 s[0:1], s7, v20
	s_and_saveexec_b64 s[12:13], s[0:1]
	s_cbranch_execz .LBB251_498
; %bb.493:                              ;   in Loop: Header=BB251_424 Depth=1
	v_lshrrev_b32_e32 v10, 24, v20
	v_cmp_ne_u32_e64 s[0:1], s24, v10
	v_bfrev_b32_e32 v23, 1
	s_and_saveexec_b64 s[14:15], s[0:1]
	s_cbranch_execz .LBB251_497
; %bb.494:                              ;   in Loop: Header=BB251_424 Depth=1
	v_and_b32_e32 v24, 0x7f, v10
	v_cmp_ne_u32_e64 s[0:1], s25, v24
	v_mov_b32_e32 v23, 0x7c010000
	s_and_saveexec_b64 s[22:23], s[0:1]
	s_cbranch_execz .LBB251_496
; %bb.495:                              ;   in Loop: Header=BB251_424 Depth=1
	v_and_b32_e32 v23, 7, v10
	v_ffbh_u32_e32 v26, v23
	v_min_u32_e32 v48, 32, v26
	v_subrev_u32_e32 v26, 28, v48
	v_lshlrev_b64 v[26:27], v26, v[10:11]
	v_lshrrev_b32_e32 v25, 3, v24
	v_sub_u32_e32 v27, 29, v48
	v_cmp_gt_u32_e64 s[0:1], 8, v24
	v_lshlrev_b32_e32 v10, 8, v10
	s_nop 0
	v_cndmask_b32_e64 v24, v25, v27, s[0:1]
	v_lshl_add_u32 v24, v24, 10, v34
	v_and_b32_e32 v25, 7, v26
	v_and_or_b32 v10, v10, s29, v24
	v_cndmask_b32_e64 v23, v23, v25, s[0:1]
	v_lshlrev_b32_e32 v10, 16, v10
	v_lshl_or_b32 v23, v23, 23, v10
.LBB251_496:                            ;   in Loop: Header=BB251_424 Depth=1
	s_or_b64 exec, exec, s[22:23]
.LBB251_497:                            ;   in Loop: Header=BB251_424 Depth=1
	s_or_b64 exec, exec, s[14:15]
.LBB251_498:                            ;   in Loop: Header=BB251_424 Depth=1
	s_or_b64 exec, exec, s[12:13]
	v_mov_b32_e32 v10, v21
	v_cmp_ne_u16_sdwa s[0:1], v21, v11 src0_sel:BYTE_0 src1_sel:DWORD
	v_mov_b32_e32 v24, 0
	v_mov_b32_e32 v25, 0
	s_and_saveexec_b64 s[12:13], s[0:1]
	s_cbranch_execz .LBB251_504
; %bb.499:                              ;   in Loop: Header=BB251_424 Depth=1
	v_cmp_ne_u16_sdwa s[0:1], v21, s24 src0_sel:BYTE_0 src1_sel:DWORD
	v_mov_b32_e32 v25, 0x8000
	s_and_saveexec_b64 s[14:15], s[0:1]
	s_cbranch_execz .LBB251_503
; %bb.500:                              ;   in Loop: Header=BB251_424 Depth=1
	v_and_b32_e32 v26, 0x7f, v21
	v_cmp_ne_u32_e64 s[0:1], s25, v26
	v_mov_b32_e32 v25, 0x7c01
	s_and_saveexec_b64 s[22:23], s[0:1]
	s_cbranch_execz .LBB251_502
; %bb.501:                              ;   in Loop: Header=BB251_424 Depth=1
	v_and_b32_e32 v25, 7, v21
	v_ffbh_u32_e32 v48, v25
	v_min_u32_e32 v50, 32, v48
	v_subrev_u32_e32 v48, 28, v50
	v_lshlrev_b64 v[48:49], v48, v[10:11]
	v_lshrrev_b32_e32 v27, 3, v26
	v_sub_u32_e32 v49, 29, v50
	v_cmp_gt_u32_e64 s[0:1], 8, v26
	v_and_b32_e32 v48, 7, v48
	s_nop 0
	v_cndmask_b32_e64 v26, v27, v49, s[0:1]
	v_lshl_add_u32 v26, v26, 10, v34
	v_lshlrev_b32_e32 v27, 8, v21
	v_and_b32_e32 v26, 0xfc00, v26
	v_cndmask_b32_e64 v25, v25, v48, s[0:1]
	v_and_or_b32 v26, v27, s29, v26
	v_lshl_or_b32 v25, v25, 7, v26
.LBB251_502:                            ;   in Loop: Header=BB251_424 Depth=1
	s_or_b64 exec, exec, s[22:23]
.LBB251_503:                            ;   in Loop: Header=BB251_424 Depth=1
	s_or_b64 exec, exec, s[14:15]
.LBB251_504:                            ;   in Loop: Header=BB251_424 Depth=1
	s_or_b64 exec, exec, s[12:13]
	v_lshrrev_b16_e32 v10, 8, v10
	v_cmp_ne_u16_e64 s[0:1], 0, v10
	v_mov_b32_e32 v26, 0
	s_and_saveexec_b64 s[12:13], s[0:1]
	s_cbranch_execz .LBB251_510
; %bb.505:                              ;   in Loop: Header=BB251_424 Depth=1
	v_cmp_ne_u16_e64 s[0:1], s24, v10
	v_bfrev_b32_e32 v26, 1
	s_and_saveexec_b64 s[14:15], s[0:1]
	s_cbranch_execz .LBB251_509
; %bb.506:                              ;   in Loop: Header=BB251_424 Depth=1
	v_and_b32_e32 v27, 0x7f, v10
	v_cmp_ne_u32_e64 s[0:1], s25, v27
	v_mov_b32_e32 v26, 0x7c010000
	s_and_saveexec_b64 s[22:23], s[0:1]
	s_cbranch_execz .LBB251_508
; %bb.507:                              ;   in Loop: Header=BB251_424 Depth=1
	v_and_b32_e32 v26, 7, v10
	v_ffbh_u32_e32 v48, v26
	v_min_u32_e32 v51, 32, v48
	v_subrev_u32_e32 v48, 28, v51
	v_lshlrev_b64 v[48:49], v48, v[10:11]
	v_lshrrev_b32_e32 v50, 3, v27
	v_sub_u32_e32 v49, 29, v51
	v_cmp_gt_u32_e64 s[0:1], 8, v27
	v_lshlrev_b32_e32 v10, 8, v10
	v_and_b32_e32 v48, 7, v48
	v_cndmask_b32_e64 v27, v50, v49, s[0:1]
	v_lshl_add_u32 v27, v27, 10, v34
	v_and_or_b32 v10, v10, s29, v27
	v_cndmask_b32_e64 v26, v26, v48, s[0:1]
	v_lshlrev_b32_e32 v10, 16, v10
	v_lshl_or_b32 v26, v26, 23, v10
.LBB251_508:                            ;   in Loop: Header=BB251_424 Depth=1
	s_or_b64 exec, exec, s[22:23]
.LBB251_509:                            ;   in Loop: Header=BB251_424 Depth=1
	s_or_b64 exec, exec, s[14:15]
.LBB251_510:                            ;   in Loop: Header=BB251_424 Depth=1
	s_or_b64 exec, exec, s[12:13]
	v_lshrrev_b32_e32 v10, 16, v21
	v_cmp_ne_u16_sdwa s[0:1], v10, v11 src0_sel:BYTE_0 src1_sel:DWORD
	s_and_saveexec_b64 s[12:13], s[0:1]
	s_cbranch_execz .LBB251_516
; %bb.511:                              ;   in Loop: Header=BB251_424 Depth=1
	v_cmp_ne_u16_sdwa s[0:1], v10, s24 src0_sel:BYTE_0 src1_sel:DWORD
	v_mov_b32_e32 v24, 0x8000
	s_and_saveexec_b64 s[14:15], s[0:1]
	s_cbranch_execz .LBB251_515
; %bb.512:                              ;   in Loop: Header=BB251_424 Depth=1
	v_bfe_u32 v27, v21, 16, 7
	v_cmp_ne_u32_e64 s[0:1], s25, v27
	v_mov_b32_e32 v24, 0x7c01
	s_and_saveexec_b64 s[22:23], s[0:1]
	s_cbranch_execz .LBB251_514
; %bb.513:                              ;   in Loop: Header=BB251_424 Depth=1
	v_and_b32_e32 v24, 7, v10
	v_ffbh_u32_e32 v48, v24
	v_min_u32_e32 v51, 32, v48
	v_subrev_u32_e32 v48, 28, v51
	v_lshlrev_b64 v[48:49], v48, v[10:11]
	v_lshrrev_b32_e32 v50, 3, v27
	v_sub_u32_e32 v49, 29, v51
	v_cmp_gt_u32_e64 s[0:1], 8, v27
	v_lshlrev_b32_e32 v10, 8, v10
	v_and_b32_e32 v48, 7, v48
	v_cndmask_b32_e64 v27, v50, v49, s[0:1]
	v_lshl_add_u32 v27, v27, 10, v34
	v_and_b32_e32 v27, 0xfc00, v27
	v_cndmask_b32_e64 v24, v24, v48, s[0:1]
	v_and_or_b32 v10, v10, s29, v27
	v_lshl_or_b32 v24, v24, 7, v10
.LBB251_514:                            ;   in Loop: Header=BB251_424 Depth=1
	s_or_b64 exec, exec, s[22:23]
.LBB251_515:                            ;   in Loop: Header=BB251_424 Depth=1
	s_or_b64 exec, exec, s[14:15]
.LBB251_516:                            ;   in Loop: Header=BB251_424 Depth=1
	s_or_b64 exec, exec, s[12:13]
	v_cmp_lt_u64_e64 s[0:1], s[6:7], v[20:21]
	v_mov_b32_e32 v20, 0
	s_and_saveexec_b64 s[12:13], s[0:1]
	s_cbranch_execz .LBB251_522
; %bb.517:                              ;   in Loop: Header=BB251_424 Depth=1
	v_lshrrev_b32_e32 v10, 24, v21
	v_cmp_ne_u32_e64 s[0:1], s24, v10
	v_bfrev_b32_e32 v20, 1
	s_and_saveexec_b64 s[14:15], s[0:1]
	s_cbranch_execz .LBB251_521
; %bb.518:                              ;   in Loop: Header=BB251_424 Depth=1
	v_and_b32_e32 v21, 0x7f, v10
	v_cmp_ne_u32_e64 s[0:1], s25, v21
	v_mov_b32_e32 v20, 0x7c010000
	s_and_saveexec_b64 s[22:23], s[0:1]
	s_cbranch_execz .LBB251_520
; %bb.519:                              ;   in Loop: Header=BB251_424 Depth=1
	v_and_b32_e32 v20, 7, v10
	v_ffbh_u32_e32 v48, v20
	v_min_u32_e32 v50, 32, v48
	v_subrev_u32_e32 v48, 28, v50
	v_lshlrev_b64 v[48:49], v48, v[10:11]
	v_lshrrev_b32_e32 v27, 3, v21
	v_sub_u32_e32 v49, 29, v50
	v_cmp_gt_u32_e64 s[0:1], 8, v21
	v_lshlrev_b32_e32 v10, 8, v10
	s_nop 0
	v_cndmask_b32_e64 v21, v27, v49, s[0:1]
	v_lshl_add_u32 v21, v21, 10, v34
	v_and_b32_e32 v27, 7, v48
	v_and_or_b32 v10, v10, s29, v21
	v_cndmask_b32_e64 v20, v20, v27, s[0:1]
	v_lshlrev_b32_e32 v10, 16, v10
	v_lshl_or_b32 v20, v20, 23, v10
.LBB251_520:                            ;   in Loop: Header=BB251_424 Depth=1
	s_or_b64 exec, exec, s[22:23]
.LBB251_521:                            ;   in Loop: Header=BB251_424 Depth=1
	s_or_b64 exec, exec, s[14:15]
.LBB251_522:                            ;   in Loop: Header=BB251_424 Depth=1
	s_or_b64 exec, exec, s[12:13]
	v_cvt_f32_f16_sdwa v49, v1 dst_sel:DWORD dst_unused:UNUSED_PAD src0_sel:WORD_1
	v_cvt_f32_f16_sdwa v48, v23 dst_sel:DWORD dst_unused:UNUSED_PAD src0_sel:WORD_1
	v_or_b32_e32 v1, v1, v19
	v_or_b32_e32 v10, v23, v22
	;; [unrolled: 1-line block ×3, first 2 shown]
	s_waitcnt vmcnt(0)
	v_pk_mul_f32 v[22:23], v[18:19], v[48:49] op_sel_hi:[0,1]
	v_cvt_f32_f16_e32 v48, v10
	v_cvt_f32_f16_e32 v49, v1
	v_cvt_pk_f16_f32 v1, v22, v23
	v_and_b32_e32 v19, 0xffff0000, v1
	v_lshlrev_b32_e32 v10, 16, v1
	v_pk_mul_f32 v[22:23], v[18:19], v[48:49] op_sel_hi:[0,1]
	v_cvt_pk_f16_f32 v1, v22, v23
	v_or_b32_e32 v23, v26, v25
	v_cvt_f32_f16_e32 v24, v24
	v_cvt_f32_f16_e32 v25, v23
	v_cvt_f32_f16_sdwa v27, v26 dst_sel:DWORD dst_unused:UNUSED_PAD src0_sel:WORD_1
	v_cvt_f32_f16_sdwa v26, v20 dst_sel:DWORD dst_unused:UNUSED_PAD src0_sel:WORD_1
	v_lshrrev_b32_e32 v21, 16, v1
	v_pk_mul_f32 v[24:25], v[18:19], v[24:25] op_sel_hi:[0,1]
	v_cvt_pk_f16_f32 v48, v24, v25
	v_pk_mul_f32 v[24:25], v[18:19], v[26:27] op_sel_hi:[0,1]
	v_cvt_pk_f16_f32 v18, v24, v25
	v_and_b32_e32 v22, 0xffff, v1
	v_and_b32_e32 v23, 0xffff0000, v18
	v_lshlrev_b32_e32 v18, 16, v18
	v_lshrrev_b32_e32 v25, 16, v48
	v_and_b32_e32 v24, 0xffff, v48
	v_or_b32_e32 v1, v19, v21
	v_or_b32_e32 v20, v10, v22
	;; [unrolled: 1-line block ×4, first 2 shown]
	s_and_saveexec_b64 s[12:13], vcc
	s_cbranch_execz .LBB251_524
; %bb.523:                              ;   in Loop: Header=BB251_424 Depth=1
	v_cmp_gt_i32_e64 s[0:1], s27, v32
	s_nop 1
	v_cndmask_b32_e64 v1, 0, v21, s[0:1]
	v_cmp_gt_i32_e64 s[0:1], s33, v42
	s_nop 1
	v_cndmask_b32_e64 v20, 0, v22, s[0:1]
	;; [unrolled: 3-line block ×3, first 2 shown]
	v_cmp_gt_i32_e64 s[0:1], s33, v39
	v_or_b32_e32 v1, v19, v1
	s_nop 0
	v_cndmask_b32_e64 v10, 0, v10, s[0:1]
	v_cmp_gt_i32_e64 s[0:1], s27, v38
	v_or_b32_e32 v20, v10, v20
	s_nop 0
	v_cndmask_b32_e64 v10, 0, v25, s[0:1]
	v_cmp_gt_i32_e64 s[0:1], s33, v37
	s_nop 1
	v_cndmask_b32_e64 v19, 0, v24, s[0:1]
	v_cmp_gt_i32_e64 s[0:1], s27, v36
	s_nop 1
	v_cndmask_b32_e64 v21, 0, v23, s[0:1]
	v_cmp_gt_i32_e64 s[0:1], s33, v35
	v_or_b32_e32 v27, v21, v10
	s_nop 0
	v_cndmask_b32_e64 v18, 0, v18, s[0:1]
	v_or_b32_e32 v26, v18, v19
.LBB251_524:                            ;   in Loop: Header=BB251_424 Depth=1
	s_or_b64 exec, exec, s[12:13]
	;;#ASMSTART
	v_pk_mul_f16 v1, v45, v1;

	;;#ASMEND
	;;#ASMSTART
	v_pk_mul_f16 v10, v44, v20;

	;;#ASMEND
	;; [unrolled: 4-line block ×4, first 2 shown]
	s_nop 0
	;;#ASMSTART
	v_pk_add_f16 v1, v1, v10;

	;;#ASMEND
	s_nop 0
	;;#ASMSTART
	v_pk_add_f16 v1, v1, v18;

	;;#ASMEND
	;; [unrolled: 5-line block ×3, first 2 shown]
	v_mov_b32_e32 v19, 0
	v_lshrrev_b32_e32 v10, 16, v1
	v_and_b32_e32 v1, 0xffff, v1
	;;#ASMSTART
	v_cvt_f32_f16 v48, v1;
	;;#ASMEND
	;;#ASMSTART
	v_cvt_f32_f16 v49, v10;
	;;#ASMEND
	global_load_dwordx2 v[20:21], v[16:17], off offset:1024
	v_mov_b32_e32 v1, 0
	global_load_dword v18, v1, s[10:11]
	s_waitcnt vmcnt(1)
	v_cmp_ne_u16_sdwa s[0:1], v20, v11 src0_sel:BYTE_0 src1_sel:DWORD
	s_and_saveexec_b64 s[12:13], s[0:1]
	s_cbranch_execz .LBB251_530
; %bb.525:                              ;   in Loop: Header=BB251_424 Depth=1
	v_cmp_ne_u16_sdwa s[0:1], v20, s24 src0_sel:BYTE_0 src1_sel:DWORD
	v_mov_b32_e32 v19, 0x8000
	s_and_saveexec_b64 s[14:15], s[0:1]
	s_cbranch_execz .LBB251_529
; %bb.526:                              ;   in Loop: Header=BB251_424 Depth=1
	v_and_b32_e32 v10, 0x7f, v20
	v_cmp_ne_u32_e64 s[0:1], s25, v10
	v_mov_b32_e32 v19, 0x7c01
	s_and_saveexec_b64 s[22:23], s[0:1]
	s_cbranch_execz .LBB251_528
; %bb.527:                              ;   in Loop: Header=BB251_424 Depth=1
	v_and_b32_e32 v19, 7, v20
	v_ffbh_u32_e32 v22, v19
	v_min_u32_e32 v25, 32, v22
	v_subrev_u32_e32 v22, 28, v25
	v_lshlrev_b64 v[22:23], v22, v[20:21]
	v_lshrrev_b32_e32 v24, 3, v10
	v_sub_u32_e32 v23, 29, v25
	v_cmp_gt_u32_e64 s[0:1], 8, v10
	v_and_b32_e32 v22, 7, v22
	s_nop 0
	v_cndmask_b32_e64 v10, v24, v23, s[0:1]
	v_lshl_add_u32 v10, v10, 10, v34
	v_lshlrev_b32_e32 v23, 8, v20
	v_and_b32_e32 v10, 0xfc00, v10
	v_cndmask_b32_e64 v19, v19, v22, s[0:1]
	v_and_or_b32 v10, v23, s29, v10
	v_lshl_or_b32 v19, v19, 7, v10
.LBB251_528:                            ;   in Loop: Header=BB251_424 Depth=1
	s_or_b64 exec, exec, s[22:23]
.LBB251_529:                            ;   in Loop: Header=BB251_424 Depth=1
	s_or_b64 exec, exec, s[14:15]
.LBB251_530:                            ;   in Loop: Header=BB251_424 Depth=1
	s_or_b64 exec, exec, s[12:13]
	v_lshrrev_b16_e32 v10, 8, v20
	v_cmp_ne_u16_e64 s[0:1], 0, v10
	s_and_saveexec_b64 s[12:13], s[0:1]
	s_cbranch_execz .LBB251_536
; %bb.531:                              ;   in Loop: Header=BB251_424 Depth=1
	v_cmp_ne_u16_e64 s[0:1], s24, v10
	v_bfrev_b32_e32 v1, 1
	s_and_saveexec_b64 s[14:15], s[0:1]
	s_cbranch_execz .LBB251_535
; %bb.532:                              ;   in Loop: Header=BB251_424 Depth=1
	v_and_b32_e32 v22, 0x7f, v10
	v_cmp_ne_u32_e64 s[0:1], s25, v22
	v_mov_b32_e32 v1, 0x7c010000
	s_and_saveexec_b64 s[22:23], s[0:1]
	s_cbranch_execz .LBB251_534
; %bb.533:                              ;   in Loop: Header=BB251_424 Depth=1
	v_and_b32_e32 v1, 7, v10
	v_ffbh_u32_e32 v24, v1
	v_min_u32_e32 v26, 32, v24
	v_subrev_u32_e32 v24, 28, v26
	v_lshlrev_b64 v[24:25], v24, v[10:11]
	v_lshrrev_b32_e32 v23, 3, v22
	v_sub_u32_e32 v25, 29, v26
	v_cmp_gt_u32_e64 s[0:1], 8, v22
	v_lshlrev_b32_e32 v10, 8, v10
	s_nop 0
	v_cndmask_b32_e64 v22, v23, v25, s[0:1]
	v_lshl_add_u32 v22, v22, 10, v34
	v_and_b32_e32 v23, 7, v24
	v_and_or_b32 v10, v10, s29, v22
	v_cndmask_b32_e64 v1, v1, v23, s[0:1]
	v_lshlrev_b32_e32 v10, 16, v10
	v_lshl_or_b32 v1, v1, 23, v10
.LBB251_534:                            ;   in Loop: Header=BB251_424 Depth=1
	s_or_b64 exec, exec, s[22:23]
.LBB251_535:                            ;   in Loop: Header=BB251_424 Depth=1
	s_or_b64 exec, exec, s[14:15]
.LBB251_536:                            ;   in Loop: Header=BB251_424 Depth=1
	s_or_b64 exec, exec, s[12:13]
	v_lshrrev_b32_e32 v10, 16, v20
	v_cmp_ne_u16_sdwa s[0:1], v10, v11 src0_sel:BYTE_0 src1_sel:DWORD
	v_mov_b32_e32 v23, 0
	v_mov_b32_e32 v22, 0
	s_and_saveexec_b64 s[12:13], s[0:1]
	s_cbranch_execz .LBB251_542
; %bb.537:                              ;   in Loop: Header=BB251_424 Depth=1
	v_cmp_ne_u16_sdwa s[0:1], v10, s24 src0_sel:BYTE_0 src1_sel:DWORD
	v_mov_b32_e32 v22, 0x8000
	s_and_saveexec_b64 s[14:15], s[0:1]
	s_cbranch_execz .LBB251_541
; %bb.538:                              ;   in Loop: Header=BB251_424 Depth=1
	v_bfe_u32 v24, v20, 16, 7
	v_cmp_ne_u32_e64 s[0:1], s25, v24
	v_mov_b32_e32 v22, 0x7c01
	s_and_saveexec_b64 s[22:23], s[0:1]
	s_cbranch_execz .LBB251_540
; %bb.539:                              ;   in Loop: Header=BB251_424 Depth=1
	v_and_b32_e32 v22, 7, v10
	v_ffbh_u32_e32 v26, v22
	v_min_u32_e32 v50, 32, v26
	v_subrev_u32_e32 v26, 28, v50
	v_lshlrev_b64 v[26:27], v26, v[10:11]
	v_lshrrev_b32_e32 v25, 3, v24
	v_sub_u32_e32 v27, 29, v50
	v_cmp_gt_u32_e64 s[0:1], 8, v24
	v_lshlrev_b32_e32 v10, 8, v10
	s_nop 0
	v_cndmask_b32_e64 v24, v25, v27, s[0:1]
	v_lshl_add_u32 v24, v24, 10, v34
	v_and_b32_e32 v25, 7, v26
	v_and_b32_e32 v24, 0xfc00, v24
	v_cndmask_b32_e64 v22, v22, v25, s[0:1]
	v_and_or_b32 v10, v10, s29, v24
	v_lshl_or_b32 v22, v22, 7, v10
.LBB251_540:                            ;   in Loop: Header=BB251_424 Depth=1
	s_or_b64 exec, exec, s[22:23]
.LBB251_541:                            ;   in Loop: Header=BB251_424 Depth=1
	s_or_b64 exec, exec, s[14:15]
.LBB251_542:                            ;   in Loop: Header=BB251_424 Depth=1
	s_or_b64 exec, exec, s[12:13]
	v_cmp_lt_u32_e64 s[0:1], s7, v20
	s_and_saveexec_b64 s[12:13], s[0:1]
	s_cbranch_execz .LBB251_548
; %bb.543:                              ;   in Loop: Header=BB251_424 Depth=1
	v_lshrrev_b32_e32 v10, 24, v20
	v_cmp_ne_u32_e64 s[0:1], s24, v10
	v_bfrev_b32_e32 v23, 1
	s_and_saveexec_b64 s[14:15], s[0:1]
	s_cbranch_execz .LBB251_547
; %bb.544:                              ;   in Loop: Header=BB251_424 Depth=1
	v_and_b32_e32 v24, 0x7f, v10
	v_cmp_ne_u32_e64 s[0:1], s25, v24
	v_mov_b32_e32 v23, 0x7c010000
	s_and_saveexec_b64 s[22:23], s[0:1]
	s_cbranch_execz .LBB251_546
; %bb.545:                              ;   in Loop: Header=BB251_424 Depth=1
	v_and_b32_e32 v23, 7, v10
	v_ffbh_u32_e32 v26, v23
	v_min_u32_e32 v50, 32, v26
	v_subrev_u32_e32 v26, 28, v50
	v_lshlrev_b64 v[26:27], v26, v[10:11]
	v_lshrrev_b32_e32 v25, 3, v24
	v_sub_u32_e32 v27, 29, v50
	v_cmp_gt_u32_e64 s[0:1], 8, v24
	v_lshlrev_b32_e32 v10, 8, v10
	s_nop 0
	v_cndmask_b32_e64 v24, v25, v27, s[0:1]
	v_lshl_add_u32 v24, v24, 10, v34
	v_and_b32_e32 v25, 7, v26
	v_and_or_b32 v10, v10, s29, v24
	v_cndmask_b32_e64 v23, v23, v25, s[0:1]
	v_lshlrev_b32_e32 v10, 16, v10
	v_lshl_or_b32 v23, v23, 23, v10
.LBB251_546:                            ;   in Loop: Header=BB251_424 Depth=1
	s_or_b64 exec, exec, s[22:23]
.LBB251_547:                            ;   in Loop: Header=BB251_424 Depth=1
	s_or_b64 exec, exec, s[14:15]
.LBB251_548:                            ;   in Loop: Header=BB251_424 Depth=1
	s_or_b64 exec, exec, s[12:13]
	v_mov_b32_e32 v10, v21
	v_cmp_ne_u16_sdwa s[0:1], v21, v11 src0_sel:BYTE_0 src1_sel:DWORD
	v_mov_b32_e32 v24, 0
	v_mov_b32_e32 v25, 0
	s_and_saveexec_b64 s[12:13], s[0:1]
	s_cbranch_execz .LBB251_554
; %bb.549:                              ;   in Loop: Header=BB251_424 Depth=1
	v_cmp_ne_u16_sdwa s[0:1], v21, s24 src0_sel:BYTE_0 src1_sel:DWORD
	v_mov_b32_e32 v25, 0x8000
	s_and_saveexec_b64 s[14:15], s[0:1]
	s_cbranch_execz .LBB251_553
; %bb.550:                              ;   in Loop: Header=BB251_424 Depth=1
	v_and_b32_e32 v26, 0x7f, v21
	v_cmp_ne_u32_e64 s[0:1], s25, v26
	v_mov_b32_e32 v25, 0x7c01
	s_and_saveexec_b64 s[22:23], s[0:1]
	s_cbranch_execz .LBB251_552
; %bb.551:                              ;   in Loop: Header=BB251_424 Depth=1
	v_and_b32_e32 v25, 7, v21
	v_ffbh_u32_e32 v50, v25
	v_min_u32_e32 v52, 32, v50
	v_subrev_u32_e32 v50, 28, v52
	v_lshlrev_b64 v[50:51], v50, v[10:11]
	v_lshrrev_b32_e32 v27, 3, v26
	v_sub_u32_e32 v51, 29, v52
	v_cmp_gt_u32_e64 s[0:1], 8, v26
	v_and_b32_e32 v50, 7, v50
	s_nop 0
	v_cndmask_b32_e64 v26, v27, v51, s[0:1]
	v_lshl_add_u32 v26, v26, 10, v34
	v_lshlrev_b32_e32 v27, 8, v21
	v_and_b32_e32 v26, 0xfc00, v26
	v_cndmask_b32_e64 v25, v25, v50, s[0:1]
	v_and_or_b32 v26, v27, s29, v26
	v_lshl_or_b32 v25, v25, 7, v26
.LBB251_552:                            ;   in Loop: Header=BB251_424 Depth=1
	s_or_b64 exec, exec, s[22:23]
.LBB251_553:                            ;   in Loop: Header=BB251_424 Depth=1
	s_or_b64 exec, exec, s[14:15]
.LBB251_554:                            ;   in Loop: Header=BB251_424 Depth=1
	s_or_b64 exec, exec, s[12:13]
	v_lshrrev_b16_e32 v10, 8, v10
	v_cmp_ne_u16_e64 s[0:1], 0, v10
	v_mov_b32_e32 v26, 0
	s_and_saveexec_b64 s[12:13], s[0:1]
	s_cbranch_execz .LBB251_560
; %bb.555:                              ;   in Loop: Header=BB251_424 Depth=1
	v_cmp_ne_u16_e64 s[0:1], s24, v10
	v_bfrev_b32_e32 v26, 1
	s_and_saveexec_b64 s[14:15], s[0:1]
	s_cbranch_execz .LBB251_559
; %bb.556:                              ;   in Loop: Header=BB251_424 Depth=1
	v_and_b32_e32 v27, 0x7f, v10
	v_cmp_ne_u32_e64 s[0:1], s25, v27
	v_mov_b32_e32 v26, 0x7c010000
	s_and_saveexec_b64 s[22:23], s[0:1]
	s_cbranch_execz .LBB251_558
; %bb.557:                              ;   in Loop: Header=BB251_424 Depth=1
	v_and_b32_e32 v26, 7, v10
	v_ffbh_u32_e32 v50, v26
	v_min_u32_e32 v53, 32, v50
	v_subrev_u32_e32 v50, 28, v53
	v_lshlrev_b64 v[50:51], v50, v[10:11]
	v_lshrrev_b32_e32 v52, 3, v27
	v_sub_u32_e32 v51, 29, v53
	v_cmp_gt_u32_e64 s[0:1], 8, v27
	v_lshlrev_b32_e32 v10, 8, v10
	v_and_b32_e32 v50, 7, v50
	v_cndmask_b32_e64 v27, v52, v51, s[0:1]
	v_lshl_add_u32 v27, v27, 10, v34
	v_and_or_b32 v10, v10, s29, v27
	v_cndmask_b32_e64 v26, v26, v50, s[0:1]
	v_lshlrev_b32_e32 v10, 16, v10
	v_lshl_or_b32 v26, v26, 23, v10
.LBB251_558:                            ;   in Loop: Header=BB251_424 Depth=1
	s_or_b64 exec, exec, s[22:23]
.LBB251_559:                            ;   in Loop: Header=BB251_424 Depth=1
	s_or_b64 exec, exec, s[14:15]
.LBB251_560:                            ;   in Loop: Header=BB251_424 Depth=1
	s_or_b64 exec, exec, s[12:13]
	v_lshrrev_b32_e32 v10, 16, v21
	v_cmp_ne_u16_sdwa s[0:1], v10, v11 src0_sel:BYTE_0 src1_sel:DWORD
	s_and_saveexec_b64 s[12:13], s[0:1]
	s_cbranch_execz .LBB251_566
; %bb.561:                              ;   in Loop: Header=BB251_424 Depth=1
	v_cmp_ne_u16_sdwa s[0:1], v10, s24 src0_sel:BYTE_0 src1_sel:DWORD
	v_mov_b32_e32 v24, 0x8000
	s_and_saveexec_b64 s[14:15], s[0:1]
	s_cbranch_execz .LBB251_565
; %bb.562:                              ;   in Loop: Header=BB251_424 Depth=1
	v_bfe_u32 v27, v21, 16, 7
	v_cmp_ne_u32_e64 s[0:1], s25, v27
	v_mov_b32_e32 v24, 0x7c01
	s_and_saveexec_b64 s[22:23], s[0:1]
	s_cbranch_execz .LBB251_564
; %bb.563:                              ;   in Loop: Header=BB251_424 Depth=1
	v_and_b32_e32 v24, 7, v10
	v_ffbh_u32_e32 v50, v24
	v_min_u32_e32 v53, 32, v50
	v_subrev_u32_e32 v50, 28, v53
	v_lshlrev_b64 v[50:51], v50, v[10:11]
	v_lshrrev_b32_e32 v52, 3, v27
	v_sub_u32_e32 v51, 29, v53
	v_cmp_gt_u32_e64 s[0:1], 8, v27
	v_lshlrev_b32_e32 v10, 8, v10
	v_and_b32_e32 v50, 7, v50
	v_cndmask_b32_e64 v27, v52, v51, s[0:1]
	v_lshl_add_u32 v27, v27, 10, v34
	v_and_b32_e32 v27, 0xfc00, v27
	v_cndmask_b32_e64 v24, v24, v50, s[0:1]
	v_and_or_b32 v10, v10, s29, v27
	v_lshl_or_b32 v24, v24, 7, v10
.LBB251_564:                            ;   in Loop: Header=BB251_424 Depth=1
	s_or_b64 exec, exec, s[22:23]
.LBB251_565:                            ;   in Loop: Header=BB251_424 Depth=1
	s_or_b64 exec, exec, s[14:15]
.LBB251_566:                            ;   in Loop: Header=BB251_424 Depth=1
	s_or_b64 exec, exec, s[12:13]
	v_cmp_lt_u64_e64 s[0:1], s[6:7], v[20:21]
	v_mov_b32_e32 v20, 0
	s_and_saveexec_b64 s[12:13], s[0:1]
	s_cbranch_execz .LBB251_572
; %bb.567:                              ;   in Loop: Header=BB251_424 Depth=1
	v_lshrrev_b32_e32 v10, 24, v21
	v_cmp_ne_u32_e64 s[0:1], s24, v10
	v_bfrev_b32_e32 v20, 1
	s_and_saveexec_b64 s[14:15], s[0:1]
	s_cbranch_execz .LBB251_571
; %bb.568:                              ;   in Loop: Header=BB251_424 Depth=1
	v_and_b32_e32 v21, 0x7f, v10
	v_cmp_ne_u32_e64 s[0:1], s25, v21
	v_mov_b32_e32 v20, 0x7c010000
	s_and_saveexec_b64 s[22:23], s[0:1]
	s_cbranch_execz .LBB251_570
; %bb.569:                              ;   in Loop: Header=BB251_424 Depth=1
	v_and_b32_e32 v20, 7, v10
	v_ffbh_u32_e32 v50, v20
	v_min_u32_e32 v52, 32, v50
	v_subrev_u32_e32 v50, 28, v52
	v_lshlrev_b64 v[50:51], v50, v[10:11]
	v_lshrrev_b32_e32 v27, 3, v21
	v_sub_u32_e32 v51, 29, v52
	v_cmp_gt_u32_e64 s[0:1], 8, v21
	v_lshlrev_b32_e32 v10, 8, v10
	s_nop 0
	v_cndmask_b32_e64 v21, v27, v51, s[0:1]
	v_lshl_add_u32 v21, v21, 10, v34
	v_and_b32_e32 v27, 7, v50
	v_and_or_b32 v10, v10, s29, v21
	v_cndmask_b32_e64 v20, v20, v27, s[0:1]
	v_lshlrev_b32_e32 v10, 16, v10
	v_lshl_or_b32 v20, v20, 23, v10
.LBB251_570:                            ;   in Loop: Header=BB251_424 Depth=1
	s_or_b64 exec, exec, s[22:23]
.LBB251_571:                            ;   in Loop: Header=BB251_424 Depth=1
	s_or_b64 exec, exec, s[14:15]
.LBB251_572:                            ;   in Loop: Header=BB251_424 Depth=1
	s_or_b64 exec, exec, s[12:13]
	v_cvt_f32_f16_sdwa v51, v1 dst_sel:DWORD dst_unused:UNUSED_PAD src0_sel:WORD_1
	v_cvt_f32_f16_sdwa v50, v23 dst_sel:DWORD dst_unused:UNUSED_PAD src0_sel:WORD_1
	v_or_b32_e32 v1, v1, v19
	v_or_b32_e32 v10, v23, v22
	;; [unrolled: 1-line block ×3, first 2 shown]
	s_waitcnt vmcnt(0)
	v_pk_mul_f32 v[22:23], v[18:19], v[50:51] op_sel_hi:[0,1]
	v_cvt_f32_f16_e32 v50, v10
	v_cvt_f32_f16_e32 v51, v1
	v_cvt_pk_f16_f32 v1, v22, v23
	v_and_b32_e32 v19, 0xffff0000, v1
	v_lshlrev_b32_e32 v10, 16, v1
	v_pk_mul_f32 v[22:23], v[18:19], v[50:51] op_sel_hi:[0,1]
	v_cvt_pk_f16_f32 v1, v22, v23
	v_or_b32_e32 v23, v26, v25
	v_cvt_f32_f16_e32 v24, v24
	v_cvt_f32_f16_e32 v25, v23
	v_cvt_f32_f16_sdwa v27, v26 dst_sel:DWORD dst_unused:UNUSED_PAD src0_sel:WORD_1
	v_cvt_f32_f16_sdwa v26, v20 dst_sel:DWORD dst_unused:UNUSED_PAD src0_sel:WORD_1
	v_lshrrev_b32_e32 v21, 16, v1
	v_pk_mul_f32 v[24:25], v[18:19], v[24:25] op_sel_hi:[0,1]
	v_cvt_pk_f16_f32 v50, v24, v25
	v_pk_mul_f32 v[24:25], v[18:19], v[26:27] op_sel_hi:[0,1]
	v_cvt_pk_f16_f32 v18, v24, v25
	v_and_b32_e32 v22, 0xffff, v1
	v_and_b32_e32 v23, 0xffff0000, v18
	v_lshlrev_b32_e32 v18, 16, v18
	v_lshrrev_b32_e32 v25, 16, v50
	v_and_b32_e32 v24, 0xffff, v50
	v_or_b32_e32 v1, v19, v21
	v_or_b32_e32 v20, v10, v22
	;; [unrolled: 1-line block ×4, first 2 shown]
	s_and_saveexec_b64 s[12:13], vcc
	s_cbranch_execz .LBB251_574
; %bb.573:                              ;   in Loop: Header=BB251_424 Depth=1
	v_cmp_gt_i32_e64 s[0:1], s27, v32
	s_nop 1
	v_cndmask_b32_e64 v1, 0, v21, s[0:1]
	v_cmp_gt_i32_e64 s[0:1], s33, v42
	s_nop 1
	v_cndmask_b32_e64 v20, 0, v22, s[0:1]
	;; [unrolled: 3-line block ×3, first 2 shown]
	v_cmp_gt_i32_e64 s[0:1], s33, v39
	v_or_b32_e32 v1, v19, v1
	s_nop 0
	v_cndmask_b32_e64 v10, 0, v10, s[0:1]
	v_cmp_gt_i32_e64 s[0:1], s27, v38
	v_or_b32_e32 v20, v10, v20
	s_nop 0
	v_cndmask_b32_e64 v10, 0, v25, s[0:1]
	v_cmp_gt_i32_e64 s[0:1], s33, v37
	s_nop 1
	v_cndmask_b32_e64 v19, 0, v24, s[0:1]
	v_cmp_gt_i32_e64 s[0:1], s27, v36
	;; [unrolled: 3-line block ×3, first 2 shown]
	v_or_b32_e32 v27, v21, v10
	s_nop 0
	v_cndmask_b32_e64 v18, 0, v18, s[0:1]
	v_or_b32_e32 v26, v18, v19
.LBB251_574:                            ;   in Loop: Header=BB251_424 Depth=1
	s_or_b64 exec, exec, s[12:13]
	;;#ASMSTART
	v_pk_mul_f16 v1, v45, v1;

	;;#ASMEND
	;;#ASMSTART
	v_pk_mul_f16 v10, v44, v20;

	;;#ASMEND
	;; [unrolled: 4-line block ×4, first 2 shown]
	s_nop 0
	;;#ASMSTART
	v_pk_add_f16 v1, v1, v10;

	;;#ASMEND
	s_nop 0
	;;#ASMSTART
	v_pk_add_f16 v1, v1, v18;

	;;#ASMEND
	;; [unrolled: 5-line block ×3, first 2 shown]
	v_mov_b32_e32 v19, 0
	v_lshrrev_b32_e32 v10, 16, v1
	v_and_b32_e32 v1, 0xffff, v1
	;;#ASMSTART
	v_cvt_f32_f16 v50, v1;
	;;#ASMEND
	;;#ASMSTART
	v_cvt_f32_f16 v51, v10;
	;;#ASMEND
	global_load_dwordx2 v[20:21], v[16:17], off offset:1536
	v_mov_b32_e32 v1, 0
	global_load_dword v18, v1, s[10:11]
	s_waitcnt vmcnt(1)
	v_cmp_ne_u16_sdwa s[0:1], v20, v11 src0_sel:BYTE_0 src1_sel:DWORD
	s_and_saveexec_b64 s[12:13], s[0:1]
	s_cbranch_execz .LBB251_580
; %bb.575:                              ;   in Loop: Header=BB251_424 Depth=1
	v_cmp_ne_u16_sdwa s[0:1], v20, s24 src0_sel:BYTE_0 src1_sel:DWORD
	v_mov_b32_e32 v19, 0x8000
	s_and_saveexec_b64 s[14:15], s[0:1]
	s_cbranch_execz .LBB251_579
; %bb.576:                              ;   in Loop: Header=BB251_424 Depth=1
	v_and_b32_e32 v10, 0x7f, v20
	v_cmp_ne_u32_e64 s[0:1], s25, v10
	v_mov_b32_e32 v19, 0x7c01
	s_and_saveexec_b64 s[22:23], s[0:1]
	s_cbranch_execz .LBB251_578
; %bb.577:                              ;   in Loop: Header=BB251_424 Depth=1
	v_and_b32_e32 v19, 7, v20
	v_ffbh_u32_e32 v22, v19
	v_min_u32_e32 v25, 32, v22
	v_subrev_u32_e32 v22, 28, v25
	v_lshlrev_b64 v[22:23], v22, v[20:21]
	v_lshrrev_b32_e32 v24, 3, v10
	v_sub_u32_e32 v23, 29, v25
	v_cmp_gt_u32_e64 s[0:1], 8, v10
	v_and_b32_e32 v22, 7, v22
	s_nop 0
	v_cndmask_b32_e64 v10, v24, v23, s[0:1]
	v_lshl_add_u32 v10, v10, 10, v34
	v_lshlrev_b32_e32 v23, 8, v20
	v_and_b32_e32 v10, 0xfc00, v10
	v_cndmask_b32_e64 v19, v19, v22, s[0:1]
	v_and_or_b32 v10, v23, s29, v10
	v_lshl_or_b32 v19, v19, 7, v10
.LBB251_578:                            ;   in Loop: Header=BB251_424 Depth=1
	s_or_b64 exec, exec, s[22:23]
.LBB251_579:                            ;   in Loop: Header=BB251_424 Depth=1
	s_or_b64 exec, exec, s[14:15]
.LBB251_580:                            ;   in Loop: Header=BB251_424 Depth=1
	s_or_b64 exec, exec, s[12:13]
	v_lshrrev_b16_e32 v10, 8, v20
	v_cmp_ne_u16_e64 s[0:1], 0, v10
	s_and_saveexec_b64 s[12:13], s[0:1]
	s_cbranch_execz .LBB251_586
; %bb.581:                              ;   in Loop: Header=BB251_424 Depth=1
	v_cmp_ne_u16_e64 s[0:1], s24, v10
	v_bfrev_b32_e32 v1, 1
	s_and_saveexec_b64 s[14:15], s[0:1]
	s_cbranch_execz .LBB251_585
; %bb.582:                              ;   in Loop: Header=BB251_424 Depth=1
	v_and_b32_e32 v22, 0x7f, v10
	v_cmp_ne_u32_e64 s[0:1], s25, v22
	v_mov_b32_e32 v1, 0x7c010000
	s_and_saveexec_b64 s[22:23], s[0:1]
	s_cbranch_execz .LBB251_584
; %bb.583:                              ;   in Loop: Header=BB251_424 Depth=1
	v_and_b32_e32 v1, 7, v10
	v_ffbh_u32_e32 v24, v1
	v_min_u32_e32 v26, 32, v24
	v_subrev_u32_e32 v24, 28, v26
	v_lshlrev_b64 v[24:25], v24, v[10:11]
	v_lshrrev_b32_e32 v23, 3, v22
	v_sub_u32_e32 v25, 29, v26
	v_cmp_gt_u32_e64 s[0:1], 8, v22
	v_lshlrev_b32_e32 v10, 8, v10
	s_nop 0
	v_cndmask_b32_e64 v22, v23, v25, s[0:1]
	v_lshl_add_u32 v22, v22, 10, v34
	v_and_b32_e32 v23, 7, v24
	v_and_or_b32 v10, v10, s29, v22
	v_cndmask_b32_e64 v1, v1, v23, s[0:1]
	v_lshlrev_b32_e32 v10, 16, v10
	v_lshl_or_b32 v1, v1, 23, v10
.LBB251_584:                            ;   in Loop: Header=BB251_424 Depth=1
	s_or_b64 exec, exec, s[22:23]
.LBB251_585:                            ;   in Loop: Header=BB251_424 Depth=1
	s_or_b64 exec, exec, s[14:15]
.LBB251_586:                            ;   in Loop: Header=BB251_424 Depth=1
	s_or_b64 exec, exec, s[12:13]
	v_lshrrev_b32_e32 v10, 16, v20
	v_cmp_ne_u16_sdwa s[0:1], v10, v11 src0_sel:BYTE_0 src1_sel:DWORD
	v_mov_b32_e32 v23, 0
	v_mov_b32_e32 v22, 0
	s_and_saveexec_b64 s[12:13], s[0:1]
	s_cbranch_execz .LBB251_592
; %bb.587:                              ;   in Loop: Header=BB251_424 Depth=1
	v_cmp_ne_u16_sdwa s[0:1], v10, s24 src0_sel:BYTE_0 src1_sel:DWORD
	v_mov_b32_e32 v22, 0x8000
	s_and_saveexec_b64 s[14:15], s[0:1]
	s_cbranch_execz .LBB251_591
; %bb.588:                              ;   in Loop: Header=BB251_424 Depth=1
	v_bfe_u32 v24, v20, 16, 7
	v_cmp_ne_u32_e64 s[0:1], s25, v24
	v_mov_b32_e32 v22, 0x7c01
	s_and_saveexec_b64 s[22:23], s[0:1]
	s_cbranch_execz .LBB251_590
; %bb.589:                              ;   in Loop: Header=BB251_424 Depth=1
	v_and_b32_e32 v22, 7, v10
	v_ffbh_u32_e32 v26, v22
	v_min_u32_e32 v52, 32, v26
	v_subrev_u32_e32 v26, 28, v52
	v_lshlrev_b64 v[26:27], v26, v[10:11]
	v_lshrrev_b32_e32 v25, 3, v24
	v_sub_u32_e32 v27, 29, v52
	v_cmp_gt_u32_e64 s[0:1], 8, v24
	v_lshlrev_b32_e32 v10, 8, v10
	s_nop 0
	v_cndmask_b32_e64 v24, v25, v27, s[0:1]
	v_lshl_add_u32 v24, v24, 10, v34
	v_and_b32_e32 v25, 7, v26
	v_and_b32_e32 v24, 0xfc00, v24
	v_cndmask_b32_e64 v22, v22, v25, s[0:1]
	v_and_or_b32 v10, v10, s29, v24
	v_lshl_or_b32 v22, v22, 7, v10
.LBB251_590:                            ;   in Loop: Header=BB251_424 Depth=1
	s_or_b64 exec, exec, s[22:23]
.LBB251_591:                            ;   in Loop: Header=BB251_424 Depth=1
	s_or_b64 exec, exec, s[14:15]
.LBB251_592:                            ;   in Loop: Header=BB251_424 Depth=1
	s_or_b64 exec, exec, s[12:13]
	v_cmp_lt_u32_e64 s[0:1], s7, v20
	s_and_saveexec_b64 s[12:13], s[0:1]
	s_cbranch_execz .LBB251_598
; %bb.593:                              ;   in Loop: Header=BB251_424 Depth=1
	v_lshrrev_b32_e32 v10, 24, v20
	v_cmp_ne_u32_e64 s[0:1], s24, v10
	v_bfrev_b32_e32 v23, 1
	s_and_saveexec_b64 s[14:15], s[0:1]
	s_cbranch_execz .LBB251_597
; %bb.594:                              ;   in Loop: Header=BB251_424 Depth=1
	v_and_b32_e32 v24, 0x7f, v10
	v_cmp_ne_u32_e64 s[0:1], s25, v24
	v_mov_b32_e32 v23, 0x7c010000
	s_and_saveexec_b64 s[22:23], s[0:1]
	s_cbranch_execz .LBB251_596
; %bb.595:                              ;   in Loop: Header=BB251_424 Depth=1
	v_and_b32_e32 v23, 7, v10
	v_ffbh_u32_e32 v26, v23
	v_min_u32_e32 v52, 32, v26
	v_subrev_u32_e32 v26, 28, v52
	v_lshlrev_b64 v[26:27], v26, v[10:11]
	v_lshrrev_b32_e32 v25, 3, v24
	v_sub_u32_e32 v27, 29, v52
	v_cmp_gt_u32_e64 s[0:1], 8, v24
	v_lshlrev_b32_e32 v10, 8, v10
	s_nop 0
	v_cndmask_b32_e64 v24, v25, v27, s[0:1]
	v_lshl_add_u32 v24, v24, 10, v34
	v_and_b32_e32 v25, 7, v26
	v_and_or_b32 v10, v10, s29, v24
	v_cndmask_b32_e64 v23, v23, v25, s[0:1]
	v_lshlrev_b32_e32 v10, 16, v10
	v_lshl_or_b32 v23, v23, 23, v10
.LBB251_596:                            ;   in Loop: Header=BB251_424 Depth=1
	s_or_b64 exec, exec, s[22:23]
.LBB251_597:                            ;   in Loop: Header=BB251_424 Depth=1
	s_or_b64 exec, exec, s[14:15]
.LBB251_598:                            ;   in Loop: Header=BB251_424 Depth=1
	s_or_b64 exec, exec, s[12:13]
	v_mov_b32_e32 v10, v21
	v_cmp_ne_u16_sdwa s[0:1], v21, v11 src0_sel:BYTE_0 src1_sel:DWORD
	v_mov_b32_e32 v24, 0
	v_mov_b32_e32 v25, 0
	s_and_saveexec_b64 s[12:13], s[0:1]
	s_cbranch_execz .LBB251_604
; %bb.599:                              ;   in Loop: Header=BB251_424 Depth=1
	v_cmp_ne_u16_sdwa s[0:1], v21, s24 src0_sel:BYTE_0 src1_sel:DWORD
	v_mov_b32_e32 v25, 0x8000
	s_and_saveexec_b64 s[14:15], s[0:1]
	s_cbranch_execz .LBB251_603
; %bb.600:                              ;   in Loop: Header=BB251_424 Depth=1
	v_and_b32_e32 v26, 0x7f, v21
	v_cmp_ne_u32_e64 s[0:1], s25, v26
	v_mov_b32_e32 v25, 0x7c01
	s_and_saveexec_b64 s[22:23], s[0:1]
	s_cbranch_execz .LBB251_602
; %bb.601:                              ;   in Loop: Header=BB251_424 Depth=1
	v_and_b32_e32 v25, 7, v21
	v_ffbh_u32_e32 v52, v25
	v_min_u32_e32 v54, 32, v52
	v_subrev_u32_e32 v52, 28, v54
	v_lshlrev_b64 v[52:53], v52, v[10:11]
	v_lshrrev_b32_e32 v27, 3, v26
	v_sub_u32_e32 v53, 29, v54
	v_cmp_gt_u32_e64 s[0:1], 8, v26
	v_and_b32_e32 v52, 7, v52
	s_nop 0
	v_cndmask_b32_e64 v26, v27, v53, s[0:1]
	v_lshl_add_u32 v26, v26, 10, v34
	v_lshlrev_b32_e32 v27, 8, v21
	v_and_b32_e32 v26, 0xfc00, v26
	v_cndmask_b32_e64 v25, v25, v52, s[0:1]
	v_and_or_b32 v26, v27, s29, v26
	v_lshl_or_b32 v25, v25, 7, v26
.LBB251_602:                            ;   in Loop: Header=BB251_424 Depth=1
	s_or_b64 exec, exec, s[22:23]
.LBB251_603:                            ;   in Loop: Header=BB251_424 Depth=1
	s_or_b64 exec, exec, s[14:15]
.LBB251_604:                            ;   in Loop: Header=BB251_424 Depth=1
	s_or_b64 exec, exec, s[12:13]
	v_lshrrev_b16_e32 v10, 8, v10
	v_cmp_ne_u16_e64 s[0:1], 0, v10
	v_mov_b32_e32 v26, 0
	s_and_saveexec_b64 s[12:13], s[0:1]
	s_cbranch_execz .LBB251_610
; %bb.605:                              ;   in Loop: Header=BB251_424 Depth=1
	v_cmp_ne_u16_e64 s[0:1], s24, v10
	v_bfrev_b32_e32 v26, 1
	s_and_saveexec_b64 s[14:15], s[0:1]
	s_cbranch_execz .LBB251_609
; %bb.606:                              ;   in Loop: Header=BB251_424 Depth=1
	v_and_b32_e32 v27, 0x7f, v10
	v_cmp_ne_u32_e64 s[0:1], s25, v27
	v_mov_b32_e32 v26, 0x7c010000
	s_and_saveexec_b64 s[22:23], s[0:1]
	s_cbranch_execz .LBB251_608
; %bb.607:                              ;   in Loop: Header=BB251_424 Depth=1
	v_and_b32_e32 v26, 7, v10
	v_ffbh_u32_e32 v52, v26
	v_min_u32_e32 v55, 32, v52
	v_subrev_u32_e32 v52, 28, v55
	v_lshlrev_b64 v[52:53], v52, v[10:11]
	v_lshrrev_b32_e32 v54, 3, v27
	v_sub_u32_e32 v53, 29, v55
	v_cmp_gt_u32_e64 s[0:1], 8, v27
	v_lshlrev_b32_e32 v10, 8, v10
	v_and_b32_e32 v52, 7, v52
	v_cndmask_b32_e64 v27, v54, v53, s[0:1]
	v_lshl_add_u32 v27, v27, 10, v34
	v_and_or_b32 v10, v10, s29, v27
	v_cndmask_b32_e64 v26, v26, v52, s[0:1]
	v_lshlrev_b32_e32 v10, 16, v10
	v_lshl_or_b32 v26, v26, 23, v10
.LBB251_608:                            ;   in Loop: Header=BB251_424 Depth=1
	s_or_b64 exec, exec, s[22:23]
.LBB251_609:                            ;   in Loop: Header=BB251_424 Depth=1
	s_or_b64 exec, exec, s[14:15]
.LBB251_610:                            ;   in Loop: Header=BB251_424 Depth=1
	s_or_b64 exec, exec, s[12:13]
	v_lshrrev_b32_e32 v10, 16, v21
	v_cmp_ne_u16_sdwa s[0:1], v10, v11 src0_sel:BYTE_0 src1_sel:DWORD
	s_and_saveexec_b64 s[12:13], s[0:1]
	s_cbranch_execz .LBB251_616
; %bb.611:                              ;   in Loop: Header=BB251_424 Depth=1
	v_cmp_ne_u16_sdwa s[0:1], v10, s24 src0_sel:BYTE_0 src1_sel:DWORD
	v_mov_b32_e32 v24, 0x8000
	s_and_saveexec_b64 s[14:15], s[0:1]
	s_cbranch_execz .LBB251_615
; %bb.612:                              ;   in Loop: Header=BB251_424 Depth=1
	v_bfe_u32 v27, v21, 16, 7
	v_cmp_ne_u32_e64 s[0:1], s25, v27
	v_mov_b32_e32 v24, 0x7c01
	s_and_saveexec_b64 s[22:23], s[0:1]
	s_cbranch_execz .LBB251_614
; %bb.613:                              ;   in Loop: Header=BB251_424 Depth=1
	v_and_b32_e32 v24, 7, v10
	v_ffbh_u32_e32 v52, v24
	v_min_u32_e32 v55, 32, v52
	v_subrev_u32_e32 v52, 28, v55
	v_lshlrev_b64 v[52:53], v52, v[10:11]
	v_lshrrev_b32_e32 v54, 3, v27
	v_sub_u32_e32 v53, 29, v55
	v_cmp_gt_u32_e64 s[0:1], 8, v27
	v_lshlrev_b32_e32 v10, 8, v10
	v_and_b32_e32 v52, 7, v52
	v_cndmask_b32_e64 v27, v54, v53, s[0:1]
	v_lshl_add_u32 v27, v27, 10, v34
	v_and_b32_e32 v27, 0xfc00, v27
	v_cndmask_b32_e64 v24, v24, v52, s[0:1]
	v_and_or_b32 v10, v10, s29, v27
	v_lshl_or_b32 v24, v24, 7, v10
.LBB251_614:                            ;   in Loop: Header=BB251_424 Depth=1
	s_or_b64 exec, exec, s[22:23]
.LBB251_615:                            ;   in Loop: Header=BB251_424 Depth=1
	s_or_b64 exec, exec, s[14:15]
.LBB251_616:                            ;   in Loop: Header=BB251_424 Depth=1
	s_or_b64 exec, exec, s[12:13]
	v_cmp_lt_u64_e64 s[0:1], s[6:7], v[20:21]
	v_mov_b32_e32 v20, 0
	s_and_saveexec_b64 s[12:13], s[0:1]
	s_cbranch_execz .LBB251_622
; %bb.617:                              ;   in Loop: Header=BB251_424 Depth=1
	v_lshrrev_b32_e32 v10, 24, v21
	v_cmp_ne_u32_e64 s[0:1], s24, v10
	v_bfrev_b32_e32 v20, 1
	s_and_saveexec_b64 s[14:15], s[0:1]
	s_cbranch_execz .LBB251_621
; %bb.618:                              ;   in Loop: Header=BB251_424 Depth=1
	v_and_b32_e32 v21, 0x7f, v10
	v_cmp_ne_u32_e64 s[0:1], s25, v21
	v_mov_b32_e32 v20, 0x7c010000
	s_and_saveexec_b64 s[22:23], s[0:1]
	s_cbranch_execz .LBB251_620
; %bb.619:                              ;   in Loop: Header=BB251_424 Depth=1
	v_and_b32_e32 v20, 7, v10
	v_ffbh_u32_e32 v52, v20
	v_min_u32_e32 v54, 32, v52
	v_subrev_u32_e32 v52, 28, v54
	v_lshlrev_b64 v[52:53], v52, v[10:11]
	v_lshrrev_b32_e32 v27, 3, v21
	v_sub_u32_e32 v53, 29, v54
	v_cmp_gt_u32_e64 s[0:1], 8, v21
	v_lshlrev_b32_e32 v10, 8, v10
	s_nop 0
	v_cndmask_b32_e64 v21, v27, v53, s[0:1]
	v_lshl_add_u32 v21, v21, 10, v34
	v_and_b32_e32 v27, 7, v52
	v_and_or_b32 v10, v10, s29, v21
	v_cndmask_b32_e64 v20, v20, v27, s[0:1]
	v_lshlrev_b32_e32 v10, 16, v10
	v_lshl_or_b32 v20, v20, 23, v10
.LBB251_620:                            ;   in Loop: Header=BB251_424 Depth=1
	s_or_b64 exec, exec, s[22:23]
.LBB251_621:                            ;   in Loop: Header=BB251_424 Depth=1
	s_or_b64 exec, exec, s[14:15]
.LBB251_622:                            ;   in Loop: Header=BB251_424 Depth=1
	s_or_b64 exec, exec, s[12:13]
	v_cvt_f32_f16_sdwa v53, v1 dst_sel:DWORD dst_unused:UNUSED_PAD src0_sel:WORD_1
	v_cvt_f32_f16_sdwa v52, v23 dst_sel:DWORD dst_unused:UNUSED_PAD src0_sel:WORD_1
	v_or_b32_e32 v1, v1, v19
	v_or_b32_e32 v10, v23, v22
	v_or_b32_e32 v24, v20, v24
	s_waitcnt vmcnt(0)
	v_pk_mul_f32 v[22:23], v[18:19], v[52:53] op_sel_hi:[0,1]
	v_cvt_f32_f16_e32 v52, v10
	v_cvt_f32_f16_e32 v53, v1
	v_cvt_pk_f16_f32 v1, v22, v23
	v_and_b32_e32 v19, 0xffff0000, v1
	v_lshlrev_b32_e32 v10, 16, v1
	v_pk_mul_f32 v[22:23], v[18:19], v[52:53] op_sel_hi:[0,1]
	v_cvt_pk_f16_f32 v1, v22, v23
	v_or_b32_e32 v23, v26, v25
	v_cvt_f32_f16_e32 v24, v24
	v_cvt_f32_f16_e32 v25, v23
	v_cvt_f32_f16_sdwa v27, v26 dst_sel:DWORD dst_unused:UNUSED_PAD src0_sel:WORD_1
	v_cvt_f32_f16_sdwa v26, v20 dst_sel:DWORD dst_unused:UNUSED_PAD src0_sel:WORD_1
	v_lshrrev_b32_e32 v21, 16, v1
	v_pk_mul_f32 v[24:25], v[18:19], v[24:25] op_sel_hi:[0,1]
	v_cvt_pk_f16_f32 v52, v24, v25
	v_pk_mul_f32 v[24:25], v[18:19], v[26:27] op_sel_hi:[0,1]
	v_cvt_pk_f16_f32 v18, v24, v25
	v_and_b32_e32 v22, 0xffff, v1
	v_and_b32_e32 v23, 0xffff0000, v18
	v_lshlrev_b32_e32 v18, 16, v18
	v_lshrrev_b32_e32 v25, 16, v52
	v_and_b32_e32 v24, 0xffff, v52
	v_or_b32_e32 v1, v19, v21
	v_or_b32_e32 v20, v10, v22
	;; [unrolled: 1-line block ×4, first 2 shown]
	s_and_saveexec_b64 s[12:13], vcc
	s_cbranch_execz .LBB251_624
; %bb.623:                              ;   in Loop: Header=BB251_424 Depth=1
	v_cmp_gt_i32_e64 s[0:1], s27, v32
	s_nop 1
	v_cndmask_b32_e64 v1, 0, v21, s[0:1]
	v_cmp_gt_i32_e64 s[0:1], s33, v42
	s_nop 1
	v_cndmask_b32_e64 v20, 0, v22, s[0:1]
	;; [unrolled: 3-line block ×3, first 2 shown]
	v_cmp_gt_i32_e64 s[0:1], s33, v39
	v_or_b32_e32 v1, v19, v1
	s_nop 0
	v_cndmask_b32_e64 v10, 0, v10, s[0:1]
	v_cmp_gt_i32_e64 s[0:1], s27, v38
	v_or_b32_e32 v20, v10, v20
	s_nop 0
	v_cndmask_b32_e64 v10, 0, v25, s[0:1]
	v_cmp_gt_i32_e64 s[0:1], s33, v37
	s_nop 1
	v_cndmask_b32_e64 v19, 0, v24, s[0:1]
	v_cmp_gt_i32_e64 s[0:1], s27, v36
	;; [unrolled: 3-line block ×3, first 2 shown]
	v_or_b32_e32 v27, v21, v10
	s_nop 0
	v_cndmask_b32_e64 v18, 0, v18, s[0:1]
	v_or_b32_e32 v26, v18, v19
.LBB251_624:                            ;   in Loop: Header=BB251_424 Depth=1
	s_or_b64 exec, exec, s[12:13]
	;;#ASMSTART
	v_pk_mul_f16 v1, v45, v1;

	;;#ASMEND
	;;#ASMSTART
	v_pk_mul_f16 v10, v44, v20;

	;;#ASMEND
	;;#ASMSTART
	v_pk_mul_f16 v18, v43, v27;

	;;#ASMEND
	;;#ASMSTART
	v_pk_mul_f16 v19, v41, v26;

	;;#ASMEND
	s_nop 0
	;;#ASMSTART
	v_pk_add_f16 v1, v1, v10;

	;;#ASMEND
	s_nop 0
	;;#ASMSTART
	v_pk_add_f16 v1, v1, v18;

	;;#ASMEND
	;; [unrolled: 5-line block ×3, first 2 shown]
	v_mov_b32_e32 v19, 0
	v_lshrrev_b32_e32 v10, 16, v1
	v_and_b32_e32 v1, 0xffff, v1
	;;#ASMSTART
	v_cvt_f32_f16 v52, v1;
	;;#ASMEND
	;;#ASMSTART
	v_cvt_f32_f16 v53, v10;
	;;#ASMEND
	global_load_dwordx2 v[20:21], v[16:17], off offset:2048
	v_mov_b32_e32 v1, 0
	global_load_dword v18, v1, s[10:11]
	s_waitcnt vmcnt(1)
	v_cmp_ne_u16_sdwa s[0:1], v20, v11 src0_sel:BYTE_0 src1_sel:DWORD
	s_and_saveexec_b64 s[12:13], s[0:1]
	s_cbranch_execz .LBB251_630
; %bb.625:                              ;   in Loop: Header=BB251_424 Depth=1
	v_cmp_ne_u16_sdwa s[0:1], v20, s24 src0_sel:BYTE_0 src1_sel:DWORD
	v_mov_b32_e32 v19, 0x8000
	s_and_saveexec_b64 s[14:15], s[0:1]
	s_cbranch_execz .LBB251_629
; %bb.626:                              ;   in Loop: Header=BB251_424 Depth=1
	v_and_b32_e32 v10, 0x7f, v20
	v_cmp_ne_u32_e64 s[0:1], s25, v10
	v_mov_b32_e32 v19, 0x7c01
	s_and_saveexec_b64 s[22:23], s[0:1]
	s_cbranch_execz .LBB251_628
; %bb.627:                              ;   in Loop: Header=BB251_424 Depth=1
	v_and_b32_e32 v19, 7, v20
	v_ffbh_u32_e32 v22, v19
	v_min_u32_e32 v25, 32, v22
	v_subrev_u32_e32 v22, 28, v25
	v_lshlrev_b64 v[22:23], v22, v[20:21]
	v_lshrrev_b32_e32 v24, 3, v10
	v_sub_u32_e32 v23, 29, v25
	v_cmp_gt_u32_e64 s[0:1], 8, v10
	v_and_b32_e32 v22, 7, v22
	s_nop 0
	v_cndmask_b32_e64 v10, v24, v23, s[0:1]
	v_lshl_add_u32 v10, v10, 10, v34
	v_lshlrev_b32_e32 v23, 8, v20
	v_and_b32_e32 v10, 0xfc00, v10
	v_cndmask_b32_e64 v19, v19, v22, s[0:1]
	v_and_or_b32 v10, v23, s29, v10
	v_lshl_or_b32 v19, v19, 7, v10
.LBB251_628:                            ;   in Loop: Header=BB251_424 Depth=1
	s_or_b64 exec, exec, s[22:23]
.LBB251_629:                            ;   in Loop: Header=BB251_424 Depth=1
	s_or_b64 exec, exec, s[14:15]
.LBB251_630:                            ;   in Loop: Header=BB251_424 Depth=1
	s_or_b64 exec, exec, s[12:13]
	v_lshrrev_b16_e32 v10, 8, v20
	v_cmp_ne_u16_e64 s[0:1], 0, v10
	s_and_saveexec_b64 s[12:13], s[0:1]
	s_cbranch_execz .LBB251_636
; %bb.631:                              ;   in Loop: Header=BB251_424 Depth=1
	v_cmp_ne_u16_e64 s[0:1], s24, v10
	v_bfrev_b32_e32 v1, 1
	s_and_saveexec_b64 s[14:15], s[0:1]
	s_cbranch_execz .LBB251_635
; %bb.632:                              ;   in Loop: Header=BB251_424 Depth=1
	v_and_b32_e32 v22, 0x7f, v10
	v_cmp_ne_u32_e64 s[0:1], s25, v22
	v_mov_b32_e32 v1, 0x7c010000
	s_and_saveexec_b64 s[22:23], s[0:1]
	s_cbranch_execz .LBB251_634
; %bb.633:                              ;   in Loop: Header=BB251_424 Depth=1
	v_and_b32_e32 v1, 7, v10
	v_ffbh_u32_e32 v24, v1
	v_min_u32_e32 v26, 32, v24
	v_subrev_u32_e32 v24, 28, v26
	v_lshlrev_b64 v[24:25], v24, v[10:11]
	v_lshrrev_b32_e32 v23, 3, v22
	v_sub_u32_e32 v25, 29, v26
	v_cmp_gt_u32_e64 s[0:1], 8, v22
	v_lshlrev_b32_e32 v10, 8, v10
	s_nop 0
	v_cndmask_b32_e64 v22, v23, v25, s[0:1]
	v_lshl_add_u32 v22, v22, 10, v34
	v_and_b32_e32 v23, 7, v24
	v_and_or_b32 v10, v10, s29, v22
	v_cndmask_b32_e64 v1, v1, v23, s[0:1]
	v_lshlrev_b32_e32 v10, 16, v10
	v_lshl_or_b32 v1, v1, 23, v10
.LBB251_634:                            ;   in Loop: Header=BB251_424 Depth=1
	s_or_b64 exec, exec, s[22:23]
.LBB251_635:                            ;   in Loop: Header=BB251_424 Depth=1
	s_or_b64 exec, exec, s[14:15]
.LBB251_636:                            ;   in Loop: Header=BB251_424 Depth=1
	s_or_b64 exec, exec, s[12:13]
	v_lshrrev_b32_e32 v10, 16, v20
	v_cmp_ne_u16_sdwa s[0:1], v10, v11 src0_sel:BYTE_0 src1_sel:DWORD
	v_mov_b32_e32 v23, 0
	v_mov_b32_e32 v22, 0
	s_and_saveexec_b64 s[12:13], s[0:1]
	s_cbranch_execz .LBB251_642
; %bb.637:                              ;   in Loop: Header=BB251_424 Depth=1
	v_cmp_ne_u16_sdwa s[0:1], v10, s24 src0_sel:BYTE_0 src1_sel:DWORD
	v_mov_b32_e32 v22, 0x8000
	s_and_saveexec_b64 s[14:15], s[0:1]
	s_cbranch_execz .LBB251_641
; %bb.638:                              ;   in Loop: Header=BB251_424 Depth=1
	v_bfe_u32 v24, v20, 16, 7
	v_cmp_ne_u32_e64 s[0:1], s25, v24
	v_mov_b32_e32 v22, 0x7c01
	s_and_saveexec_b64 s[22:23], s[0:1]
	s_cbranch_execz .LBB251_640
; %bb.639:                              ;   in Loop: Header=BB251_424 Depth=1
	v_and_b32_e32 v22, 7, v10
	v_ffbh_u32_e32 v26, v22
	v_min_u32_e32 v54, 32, v26
	v_subrev_u32_e32 v26, 28, v54
	v_lshlrev_b64 v[26:27], v26, v[10:11]
	v_lshrrev_b32_e32 v25, 3, v24
	v_sub_u32_e32 v27, 29, v54
	v_cmp_gt_u32_e64 s[0:1], 8, v24
	v_lshlrev_b32_e32 v10, 8, v10
	s_nop 0
	v_cndmask_b32_e64 v24, v25, v27, s[0:1]
	v_lshl_add_u32 v24, v24, 10, v34
	v_and_b32_e32 v25, 7, v26
	v_and_b32_e32 v24, 0xfc00, v24
	v_cndmask_b32_e64 v22, v22, v25, s[0:1]
	v_and_or_b32 v10, v10, s29, v24
	v_lshl_or_b32 v22, v22, 7, v10
.LBB251_640:                            ;   in Loop: Header=BB251_424 Depth=1
	s_or_b64 exec, exec, s[22:23]
.LBB251_641:                            ;   in Loop: Header=BB251_424 Depth=1
	s_or_b64 exec, exec, s[14:15]
.LBB251_642:                            ;   in Loop: Header=BB251_424 Depth=1
	s_or_b64 exec, exec, s[12:13]
	v_cmp_lt_u32_e64 s[0:1], s7, v20
	s_and_saveexec_b64 s[12:13], s[0:1]
	s_cbranch_execz .LBB251_648
; %bb.643:                              ;   in Loop: Header=BB251_424 Depth=1
	v_lshrrev_b32_e32 v10, 24, v20
	v_cmp_ne_u32_e64 s[0:1], s24, v10
	v_bfrev_b32_e32 v23, 1
	s_and_saveexec_b64 s[14:15], s[0:1]
	s_cbranch_execz .LBB251_647
; %bb.644:                              ;   in Loop: Header=BB251_424 Depth=1
	v_and_b32_e32 v24, 0x7f, v10
	v_cmp_ne_u32_e64 s[0:1], s25, v24
	v_mov_b32_e32 v23, 0x7c010000
	s_and_saveexec_b64 s[22:23], s[0:1]
	s_cbranch_execz .LBB251_646
; %bb.645:                              ;   in Loop: Header=BB251_424 Depth=1
	v_and_b32_e32 v23, 7, v10
	v_ffbh_u32_e32 v26, v23
	v_min_u32_e32 v54, 32, v26
	v_subrev_u32_e32 v26, 28, v54
	v_lshlrev_b64 v[26:27], v26, v[10:11]
	v_lshrrev_b32_e32 v25, 3, v24
	v_sub_u32_e32 v27, 29, v54
	v_cmp_gt_u32_e64 s[0:1], 8, v24
	v_lshlrev_b32_e32 v10, 8, v10
	s_nop 0
	v_cndmask_b32_e64 v24, v25, v27, s[0:1]
	v_lshl_add_u32 v24, v24, 10, v34
	v_and_b32_e32 v25, 7, v26
	v_and_or_b32 v10, v10, s29, v24
	v_cndmask_b32_e64 v23, v23, v25, s[0:1]
	v_lshlrev_b32_e32 v10, 16, v10
	v_lshl_or_b32 v23, v23, 23, v10
.LBB251_646:                            ;   in Loop: Header=BB251_424 Depth=1
	s_or_b64 exec, exec, s[22:23]
.LBB251_647:                            ;   in Loop: Header=BB251_424 Depth=1
	s_or_b64 exec, exec, s[14:15]
.LBB251_648:                            ;   in Loop: Header=BB251_424 Depth=1
	s_or_b64 exec, exec, s[12:13]
	v_mov_b32_e32 v10, v21
	v_cmp_ne_u16_sdwa s[0:1], v21, v11 src0_sel:BYTE_0 src1_sel:DWORD
	v_mov_b32_e32 v24, 0
	v_mov_b32_e32 v25, 0
	s_and_saveexec_b64 s[12:13], s[0:1]
	s_cbranch_execz .LBB251_654
; %bb.649:                              ;   in Loop: Header=BB251_424 Depth=1
	v_cmp_ne_u16_sdwa s[0:1], v21, s24 src0_sel:BYTE_0 src1_sel:DWORD
	v_mov_b32_e32 v25, 0x8000
	s_and_saveexec_b64 s[14:15], s[0:1]
	s_cbranch_execz .LBB251_653
; %bb.650:                              ;   in Loop: Header=BB251_424 Depth=1
	v_and_b32_e32 v26, 0x7f, v21
	v_cmp_ne_u32_e64 s[0:1], s25, v26
	v_mov_b32_e32 v25, 0x7c01
	s_and_saveexec_b64 s[22:23], s[0:1]
	s_cbranch_execz .LBB251_652
; %bb.651:                              ;   in Loop: Header=BB251_424 Depth=1
	v_and_b32_e32 v25, 7, v21
	v_ffbh_u32_e32 v54, v25
	v_min_u32_e32 v56, 32, v54
	v_subrev_u32_e32 v54, 28, v56
	v_lshlrev_b64 v[54:55], v54, v[10:11]
	v_lshrrev_b32_e32 v27, 3, v26
	v_sub_u32_e32 v55, 29, v56
	v_cmp_gt_u32_e64 s[0:1], 8, v26
	v_and_b32_e32 v54, 7, v54
	s_nop 0
	v_cndmask_b32_e64 v26, v27, v55, s[0:1]
	v_lshl_add_u32 v26, v26, 10, v34
	v_lshlrev_b32_e32 v27, 8, v21
	v_and_b32_e32 v26, 0xfc00, v26
	v_cndmask_b32_e64 v25, v25, v54, s[0:1]
	v_and_or_b32 v26, v27, s29, v26
	v_lshl_or_b32 v25, v25, 7, v26
.LBB251_652:                            ;   in Loop: Header=BB251_424 Depth=1
	s_or_b64 exec, exec, s[22:23]
.LBB251_653:                            ;   in Loop: Header=BB251_424 Depth=1
	s_or_b64 exec, exec, s[14:15]
.LBB251_654:                            ;   in Loop: Header=BB251_424 Depth=1
	s_or_b64 exec, exec, s[12:13]
	v_lshrrev_b16_e32 v10, 8, v10
	v_cmp_ne_u16_e64 s[0:1], 0, v10
	v_mov_b32_e32 v26, 0
	s_and_saveexec_b64 s[12:13], s[0:1]
	s_cbranch_execz .LBB251_660
; %bb.655:                              ;   in Loop: Header=BB251_424 Depth=1
	v_cmp_ne_u16_e64 s[0:1], s24, v10
	v_bfrev_b32_e32 v26, 1
	s_and_saveexec_b64 s[14:15], s[0:1]
	s_cbranch_execz .LBB251_659
; %bb.656:                              ;   in Loop: Header=BB251_424 Depth=1
	v_and_b32_e32 v27, 0x7f, v10
	v_cmp_ne_u32_e64 s[0:1], s25, v27
	v_mov_b32_e32 v26, 0x7c010000
	s_and_saveexec_b64 s[22:23], s[0:1]
	s_cbranch_execz .LBB251_658
; %bb.657:                              ;   in Loop: Header=BB251_424 Depth=1
	v_and_b32_e32 v26, 7, v10
	v_ffbh_u32_e32 v54, v26
	v_min_u32_e32 v57, 32, v54
	v_subrev_u32_e32 v54, 28, v57
	v_lshlrev_b64 v[54:55], v54, v[10:11]
	v_lshrrev_b32_e32 v56, 3, v27
	v_sub_u32_e32 v55, 29, v57
	v_cmp_gt_u32_e64 s[0:1], 8, v27
	v_lshlrev_b32_e32 v10, 8, v10
	v_and_b32_e32 v54, 7, v54
	v_cndmask_b32_e64 v27, v56, v55, s[0:1]
	v_lshl_add_u32 v27, v27, 10, v34
	v_and_or_b32 v10, v10, s29, v27
	v_cndmask_b32_e64 v26, v26, v54, s[0:1]
	v_lshlrev_b32_e32 v10, 16, v10
	v_lshl_or_b32 v26, v26, 23, v10
.LBB251_658:                            ;   in Loop: Header=BB251_424 Depth=1
	s_or_b64 exec, exec, s[22:23]
.LBB251_659:                            ;   in Loop: Header=BB251_424 Depth=1
	s_or_b64 exec, exec, s[14:15]
.LBB251_660:                            ;   in Loop: Header=BB251_424 Depth=1
	s_or_b64 exec, exec, s[12:13]
	v_lshrrev_b32_e32 v10, 16, v21
	v_cmp_ne_u16_sdwa s[0:1], v10, v11 src0_sel:BYTE_0 src1_sel:DWORD
	s_and_saveexec_b64 s[12:13], s[0:1]
	s_cbranch_execz .LBB251_666
; %bb.661:                              ;   in Loop: Header=BB251_424 Depth=1
	v_cmp_ne_u16_sdwa s[0:1], v10, s24 src0_sel:BYTE_0 src1_sel:DWORD
	v_mov_b32_e32 v24, 0x8000
	s_and_saveexec_b64 s[14:15], s[0:1]
	s_cbranch_execz .LBB251_665
; %bb.662:                              ;   in Loop: Header=BB251_424 Depth=1
	v_bfe_u32 v27, v21, 16, 7
	v_cmp_ne_u32_e64 s[0:1], s25, v27
	v_mov_b32_e32 v24, 0x7c01
	s_and_saveexec_b64 s[22:23], s[0:1]
	s_cbranch_execz .LBB251_664
; %bb.663:                              ;   in Loop: Header=BB251_424 Depth=1
	v_and_b32_e32 v24, 7, v10
	v_ffbh_u32_e32 v54, v24
	v_min_u32_e32 v57, 32, v54
	v_subrev_u32_e32 v54, 28, v57
	v_lshlrev_b64 v[54:55], v54, v[10:11]
	v_lshrrev_b32_e32 v56, 3, v27
	v_sub_u32_e32 v55, 29, v57
	v_cmp_gt_u32_e64 s[0:1], 8, v27
	v_lshlrev_b32_e32 v10, 8, v10
	v_and_b32_e32 v54, 7, v54
	v_cndmask_b32_e64 v27, v56, v55, s[0:1]
	v_lshl_add_u32 v27, v27, 10, v34
	v_and_b32_e32 v27, 0xfc00, v27
	v_cndmask_b32_e64 v24, v24, v54, s[0:1]
	v_and_or_b32 v10, v10, s29, v27
	v_lshl_or_b32 v24, v24, 7, v10
.LBB251_664:                            ;   in Loop: Header=BB251_424 Depth=1
	s_or_b64 exec, exec, s[22:23]
.LBB251_665:                            ;   in Loop: Header=BB251_424 Depth=1
	s_or_b64 exec, exec, s[14:15]
.LBB251_666:                            ;   in Loop: Header=BB251_424 Depth=1
	s_or_b64 exec, exec, s[12:13]
	v_cmp_lt_u64_e64 s[0:1], s[6:7], v[20:21]
	v_mov_b32_e32 v20, 0
	s_and_saveexec_b64 s[12:13], s[0:1]
	s_cbranch_execz .LBB251_672
; %bb.667:                              ;   in Loop: Header=BB251_424 Depth=1
	v_lshrrev_b32_e32 v10, 24, v21
	v_cmp_ne_u32_e64 s[0:1], s24, v10
	v_bfrev_b32_e32 v20, 1
	s_and_saveexec_b64 s[14:15], s[0:1]
	s_cbranch_execz .LBB251_671
; %bb.668:                              ;   in Loop: Header=BB251_424 Depth=1
	v_and_b32_e32 v21, 0x7f, v10
	v_cmp_ne_u32_e64 s[0:1], s25, v21
	v_mov_b32_e32 v20, 0x7c010000
	s_and_saveexec_b64 s[22:23], s[0:1]
	s_cbranch_execz .LBB251_670
; %bb.669:                              ;   in Loop: Header=BB251_424 Depth=1
	v_and_b32_e32 v20, 7, v10
	v_ffbh_u32_e32 v54, v20
	v_min_u32_e32 v56, 32, v54
	v_subrev_u32_e32 v54, 28, v56
	v_lshlrev_b64 v[54:55], v54, v[10:11]
	v_lshrrev_b32_e32 v27, 3, v21
	v_sub_u32_e32 v55, 29, v56
	v_cmp_gt_u32_e64 s[0:1], 8, v21
	v_lshlrev_b32_e32 v10, 8, v10
	s_nop 0
	v_cndmask_b32_e64 v21, v27, v55, s[0:1]
	v_lshl_add_u32 v21, v21, 10, v34
	v_and_b32_e32 v27, 7, v54
	v_and_or_b32 v10, v10, s29, v21
	v_cndmask_b32_e64 v20, v20, v27, s[0:1]
	v_lshlrev_b32_e32 v10, 16, v10
	v_lshl_or_b32 v20, v20, 23, v10
.LBB251_670:                            ;   in Loop: Header=BB251_424 Depth=1
	s_or_b64 exec, exec, s[22:23]
.LBB251_671:                            ;   in Loop: Header=BB251_424 Depth=1
	s_or_b64 exec, exec, s[14:15]
.LBB251_672:                            ;   in Loop: Header=BB251_424 Depth=1
	s_or_b64 exec, exec, s[12:13]
	v_cvt_f32_f16_sdwa v55, v1 dst_sel:DWORD dst_unused:UNUSED_PAD src0_sel:WORD_1
	v_cvt_f32_f16_sdwa v54, v23 dst_sel:DWORD dst_unused:UNUSED_PAD src0_sel:WORD_1
	v_or_b32_e32 v1, v1, v19
	v_or_b32_e32 v10, v23, v22
	;; [unrolled: 1-line block ×3, first 2 shown]
	s_waitcnt vmcnt(0)
	v_pk_mul_f32 v[22:23], v[18:19], v[54:55] op_sel_hi:[0,1]
	v_cvt_f32_f16_e32 v54, v10
	v_cvt_f32_f16_e32 v55, v1
	v_cvt_pk_f16_f32 v1, v22, v23
	v_and_b32_e32 v19, 0xffff0000, v1
	v_lshlrev_b32_e32 v10, 16, v1
	v_pk_mul_f32 v[22:23], v[18:19], v[54:55] op_sel_hi:[0,1]
	v_cvt_pk_f16_f32 v1, v22, v23
	v_or_b32_e32 v23, v26, v25
	v_cvt_f32_f16_e32 v24, v24
	v_cvt_f32_f16_e32 v25, v23
	v_cvt_f32_f16_sdwa v27, v26 dst_sel:DWORD dst_unused:UNUSED_PAD src0_sel:WORD_1
	v_cvt_f32_f16_sdwa v26, v20 dst_sel:DWORD dst_unused:UNUSED_PAD src0_sel:WORD_1
	v_lshrrev_b32_e32 v21, 16, v1
	v_pk_mul_f32 v[24:25], v[18:19], v[24:25] op_sel_hi:[0,1]
	v_cvt_pk_f16_f32 v54, v24, v25
	v_pk_mul_f32 v[24:25], v[18:19], v[26:27] op_sel_hi:[0,1]
	v_cvt_pk_f16_f32 v18, v24, v25
	v_and_b32_e32 v22, 0xffff, v1
	v_and_b32_e32 v23, 0xffff0000, v18
	v_lshlrev_b32_e32 v18, 16, v18
	v_lshrrev_b32_e32 v25, 16, v54
	v_and_b32_e32 v24, 0xffff, v54
	v_or_b32_e32 v1, v19, v21
	v_or_b32_e32 v20, v10, v22
	;; [unrolled: 1-line block ×4, first 2 shown]
	s_and_saveexec_b64 s[12:13], vcc
	s_cbranch_execz .LBB251_674
; %bb.673:                              ;   in Loop: Header=BB251_424 Depth=1
	v_cmp_gt_i32_e64 s[0:1], s27, v32
	s_nop 1
	v_cndmask_b32_e64 v1, 0, v21, s[0:1]
	v_cmp_gt_i32_e64 s[0:1], s33, v42
	s_nop 1
	v_cndmask_b32_e64 v20, 0, v22, s[0:1]
	;; [unrolled: 3-line block ×3, first 2 shown]
	v_cmp_gt_i32_e64 s[0:1], s33, v39
	v_or_b32_e32 v1, v19, v1
	s_nop 0
	v_cndmask_b32_e64 v10, 0, v10, s[0:1]
	v_cmp_gt_i32_e64 s[0:1], s27, v38
	v_or_b32_e32 v20, v10, v20
	s_nop 0
	v_cndmask_b32_e64 v10, 0, v25, s[0:1]
	v_cmp_gt_i32_e64 s[0:1], s33, v37
	s_nop 1
	v_cndmask_b32_e64 v19, 0, v24, s[0:1]
	v_cmp_gt_i32_e64 s[0:1], s27, v36
	;; [unrolled: 3-line block ×3, first 2 shown]
	v_or_b32_e32 v27, v21, v10
	s_nop 0
	v_cndmask_b32_e64 v18, 0, v18, s[0:1]
	v_or_b32_e32 v26, v18, v19
.LBB251_674:                            ;   in Loop: Header=BB251_424 Depth=1
	s_or_b64 exec, exec, s[12:13]
	;;#ASMSTART
	v_pk_mul_f16 v1, v45, v1;

	;;#ASMEND
	;;#ASMSTART
	v_pk_mul_f16 v10, v44, v20;

	;;#ASMEND
	;; [unrolled: 4-line block ×4, first 2 shown]
	s_nop 0
	;;#ASMSTART
	v_pk_add_f16 v1, v1, v10;

	;;#ASMEND
	s_nop 0
	;;#ASMSTART
	v_pk_add_f16 v1, v1, v18;

	;;#ASMEND
	;; [unrolled: 5-line block ×3, first 2 shown]
	v_mov_b32_e32 v19, 0
	v_lshrrev_b32_e32 v10, 16, v1
	v_and_b32_e32 v1, 0xffff, v1
	;;#ASMSTART
	v_cvt_f32_f16 v54, v1;
	;;#ASMEND
	;;#ASMSTART
	v_cvt_f32_f16 v55, v10;
	;;#ASMEND
	global_load_dwordx2 v[20:21], v[16:17], off offset:2560
	v_mov_b32_e32 v1, 0
	global_load_dword v18, v1, s[10:11]
	s_waitcnt vmcnt(1)
	v_cmp_ne_u16_sdwa s[0:1], v20, v11 src0_sel:BYTE_0 src1_sel:DWORD
	s_and_saveexec_b64 s[12:13], s[0:1]
	s_cbranch_execz .LBB251_680
; %bb.675:                              ;   in Loop: Header=BB251_424 Depth=1
	v_cmp_ne_u16_sdwa s[0:1], v20, s24 src0_sel:BYTE_0 src1_sel:DWORD
	v_mov_b32_e32 v19, 0x8000
	s_and_saveexec_b64 s[14:15], s[0:1]
	s_cbranch_execz .LBB251_679
; %bb.676:                              ;   in Loop: Header=BB251_424 Depth=1
	v_and_b32_e32 v10, 0x7f, v20
	v_cmp_ne_u32_e64 s[0:1], s25, v10
	v_mov_b32_e32 v19, 0x7c01
	s_and_saveexec_b64 s[22:23], s[0:1]
	s_cbranch_execz .LBB251_678
; %bb.677:                              ;   in Loop: Header=BB251_424 Depth=1
	v_and_b32_e32 v19, 7, v20
	v_ffbh_u32_e32 v22, v19
	v_min_u32_e32 v25, 32, v22
	v_subrev_u32_e32 v22, 28, v25
	v_lshlrev_b64 v[22:23], v22, v[20:21]
	v_lshrrev_b32_e32 v24, 3, v10
	v_sub_u32_e32 v23, 29, v25
	v_cmp_gt_u32_e64 s[0:1], 8, v10
	v_and_b32_e32 v22, 7, v22
	s_nop 0
	v_cndmask_b32_e64 v10, v24, v23, s[0:1]
	v_lshl_add_u32 v10, v10, 10, v34
	v_lshlrev_b32_e32 v23, 8, v20
	v_and_b32_e32 v10, 0xfc00, v10
	v_cndmask_b32_e64 v19, v19, v22, s[0:1]
	v_and_or_b32 v10, v23, s29, v10
	v_lshl_or_b32 v19, v19, 7, v10
.LBB251_678:                            ;   in Loop: Header=BB251_424 Depth=1
	s_or_b64 exec, exec, s[22:23]
.LBB251_679:                            ;   in Loop: Header=BB251_424 Depth=1
	s_or_b64 exec, exec, s[14:15]
.LBB251_680:                            ;   in Loop: Header=BB251_424 Depth=1
	s_or_b64 exec, exec, s[12:13]
	v_lshrrev_b16_e32 v10, 8, v20
	v_cmp_ne_u16_e64 s[0:1], 0, v10
	s_and_saveexec_b64 s[12:13], s[0:1]
	s_cbranch_execz .LBB251_686
; %bb.681:                              ;   in Loop: Header=BB251_424 Depth=1
	v_cmp_ne_u16_e64 s[0:1], s24, v10
	v_bfrev_b32_e32 v1, 1
	s_and_saveexec_b64 s[14:15], s[0:1]
	s_cbranch_execz .LBB251_685
; %bb.682:                              ;   in Loop: Header=BB251_424 Depth=1
	v_and_b32_e32 v22, 0x7f, v10
	v_cmp_ne_u32_e64 s[0:1], s25, v22
	v_mov_b32_e32 v1, 0x7c010000
	s_and_saveexec_b64 s[22:23], s[0:1]
	s_cbranch_execz .LBB251_684
; %bb.683:                              ;   in Loop: Header=BB251_424 Depth=1
	v_and_b32_e32 v1, 7, v10
	v_ffbh_u32_e32 v24, v1
	v_min_u32_e32 v26, 32, v24
	v_subrev_u32_e32 v24, 28, v26
	v_lshlrev_b64 v[24:25], v24, v[10:11]
	v_lshrrev_b32_e32 v23, 3, v22
	v_sub_u32_e32 v25, 29, v26
	v_cmp_gt_u32_e64 s[0:1], 8, v22
	v_lshlrev_b32_e32 v10, 8, v10
	s_nop 0
	v_cndmask_b32_e64 v22, v23, v25, s[0:1]
	v_lshl_add_u32 v22, v22, 10, v34
	v_and_b32_e32 v23, 7, v24
	v_and_or_b32 v10, v10, s29, v22
	v_cndmask_b32_e64 v1, v1, v23, s[0:1]
	v_lshlrev_b32_e32 v10, 16, v10
	v_lshl_or_b32 v1, v1, 23, v10
.LBB251_684:                            ;   in Loop: Header=BB251_424 Depth=1
	s_or_b64 exec, exec, s[22:23]
.LBB251_685:                            ;   in Loop: Header=BB251_424 Depth=1
	s_or_b64 exec, exec, s[14:15]
.LBB251_686:                            ;   in Loop: Header=BB251_424 Depth=1
	s_or_b64 exec, exec, s[12:13]
	v_lshrrev_b32_e32 v10, 16, v20
	v_cmp_ne_u16_sdwa s[0:1], v10, v11 src0_sel:BYTE_0 src1_sel:DWORD
	v_mov_b32_e32 v23, 0
	v_mov_b32_e32 v22, 0
	s_and_saveexec_b64 s[12:13], s[0:1]
	s_cbranch_execz .LBB251_692
; %bb.687:                              ;   in Loop: Header=BB251_424 Depth=1
	v_cmp_ne_u16_sdwa s[0:1], v10, s24 src0_sel:BYTE_0 src1_sel:DWORD
	v_mov_b32_e32 v22, 0x8000
	s_and_saveexec_b64 s[14:15], s[0:1]
	s_cbranch_execz .LBB251_691
; %bb.688:                              ;   in Loop: Header=BB251_424 Depth=1
	v_bfe_u32 v24, v20, 16, 7
	v_cmp_ne_u32_e64 s[0:1], s25, v24
	v_mov_b32_e32 v22, 0x7c01
	s_and_saveexec_b64 s[22:23], s[0:1]
	s_cbranch_execz .LBB251_690
; %bb.689:                              ;   in Loop: Header=BB251_424 Depth=1
	v_and_b32_e32 v22, 7, v10
	v_ffbh_u32_e32 v26, v22
	v_min_u32_e32 v56, 32, v26
	v_subrev_u32_e32 v26, 28, v56
	v_lshlrev_b64 v[26:27], v26, v[10:11]
	v_lshrrev_b32_e32 v25, 3, v24
	v_sub_u32_e32 v27, 29, v56
	v_cmp_gt_u32_e64 s[0:1], 8, v24
	v_lshlrev_b32_e32 v10, 8, v10
	s_nop 0
	v_cndmask_b32_e64 v24, v25, v27, s[0:1]
	v_lshl_add_u32 v24, v24, 10, v34
	v_and_b32_e32 v25, 7, v26
	v_and_b32_e32 v24, 0xfc00, v24
	v_cndmask_b32_e64 v22, v22, v25, s[0:1]
	v_and_or_b32 v10, v10, s29, v24
	v_lshl_or_b32 v22, v22, 7, v10
.LBB251_690:                            ;   in Loop: Header=BB251_424 Depth=1
	s_or_b64 exec, exec, s[22:23]
.LBB251_691:                            ;   in Loop: Header=BB251_424 Depth=1
	s_or_b64 exec, exec, s[14:15]
.LBB251_692:                            ;   in Loop: Header=BB251_424 Depth=1
	s_or_b64 exec, exec, s[12:13]
	v_cmp_lt_u32_e64 s[0:1], s7, v20
	s_and_saveexec_b64 s[12:13], s[0:1]
	s_cbranch_execz .LBB251_698
; %bb.693:                              ;   in Loop: Header=BB251_424 Depth=1
	v_lshrrev_b32_e32 v10, 24, v20
	v_cmp_ne_u32_e64 s[0:1], s24, v10
	v_bfrev_b32_e32 v23, 1
	s_and_saveexec_b64 s[14:15], s[0:1]
	s_cbranch_execz .LBB251_697
; %bb.694:                              ;   in Loop: Header=BB251_424 Depth=1
	v_and_b32_e32 v24, 0x7f, v10
	v_cmp_ne_u32_e64 s[0:1], s25, v24
	v_mov_b32_e32 v23, 0x7c010000
	s_and_saveexec_b64 s[22:23], s[0:1]
	s_cbranch_execz .LBB251_696
; %bb.695:                              ;   in Loop: Header=BB251_424 Depth=1
	v_and_b32_e32 v23, 7, v10
	v_ffbh_u32_e32 v26, v23
	v_min_u32_e32 v56, 32, v26
	v_subrev_u32_e32 v26, 28, v56
	v_lshlrev_b64 v[26:27], v26, v[10:11]
	v_lshrrev_b32_e32 v25, 3, v24
	v_sub_u32_e32 v27, 29, v56
	v_cmp_gt_u32_e64 s[0:1], 8, v24
	v_lshlrev_b32_e32 v10, 8, v10
	s_nop 0
	v_cndmask_b32_e64 v24, v25, v27, s[0:1]
	v_lshl_add_u32 v24, v24, 10, v34
	v_and_b32_e32 v25, 7, v26
	v_and_or_b32 v10, v10, s29, v24
	v_cndmask_b32_e64 v23, v23, v25, s[0:1]
	v_lshlrev_b32_e32 v10, 16, v10
	v_lshl_or_b32 v23, v23, 23, v10
.LBB251_696:                            ;   in Loop: Header=BB251_424 Depth=1
	s_or_b64 exec, exec, s[22:23]
.LBB251_697:                            ;   in Loop: Header=BB251_424 Depth=1
	s_or_b64 exec, exec, s[14:15]
.LBB251_698:                            ;   in Loop: Header=BB251_424 Depth=1
	s_or_b64 exec, exec, s[12:13]
	v_mov_b32_e32 v10, v21
	v_cmp_ne_u16_sdwa s[0:1], v21, v11 src0_sel:BYTE_0 src1_sel:DWORD
	v_mov_b32_e32 v24, 0
	v_mov_b32_e32 v25, 0
	s_and_saveexec_b64 s[12:13], s[0:1]
	s_cbranch_execz .LBB251_704
; %bb.699:                              ;   in Loop: Header=BB251_424 Depth=1
	v_cmp_ne_u16_sdwa s[0:1], v21, s24 src0_sel:BYTE_0 src1_sel:DWORD
	v_mov_b32_e32 v25, 0x8000
	s_and_saveexec_b64 s[14:15], s[0:1]
	s_cbranch_execz .LBB251_703
; %bb.700:                              ;   in Loop: Header=BB251_424 Depth=1
	v_and_b32_e32 v26, 0x7f, v21
	v_cmp_ne_u32_e64 s[0:1], s25, v26
	v_mov_b32_e32 v25, 0x7c01
	s_and_saveexec_b64 s[22:23], s[0:1]
	s_cbranch_execz .LBB251_702
; %bb.701:                              ;   in Loop: Header=BB251_424 Depth=1
	v_and_b32_e32 v25, 7, v21
	v_ffbh_u32_e32 v56, v25
	v_min_u32_e32 v58, 32, v56
	v_subrev_u32_e32 v56, 28, v58
	v_lshlrev_b64 v[56:57], v56, v[10:11]
	v_lshrrev_b32_e32 v27, 3, v26
	v_sub_u32_e32 v57, 29, v58
	v_cmp_gt_u32_e64 s[0:1], 8, v26
	v_and_b32_e32 v56, 7, v56
	s_nop 0
	v_cndmask_b32_e64 v26, v27, v57, s[0:1]
	v_lshl_add_u32 v26, v26, 10, v34
	v_lshlrev_b32_e32 v27, 8, v21
	v_and_b32_e32 v26, 0xfc00, v26
	v_cndmask_b32_e64 v25, v25, v56, s[0:1]
	v_and_or_b32 v26, v27, s29, v26
	v_lshl_or_b32 v25, v25, 7, v26
.LBB251_702:                            ;   in Loop: Header=BB251_424 Depth=1
	s_or_b64 exec, exec, s[22:23]
.LBB251_703:                            ;   in Loop: Header=BB251_424 Depth=1
	s_or_b64 exec, exec, s[14:15]
.LBB251_704:                            ;   in Loop: Header=BB251_424 Depth=1
	s_or_b64 exec, exec, s[12:13]
	v_lshrrev_b16_e32 v10, 8, v10
	v_cmp_ne_u16_e64 s[0:1], 0, v10
	v_mov_b32_e32 v26, 0
	s_and_saveexec_b64 s[12:13], s[0:1]
	s_cbranch_execz .LBB251_710
; %bb.705:                              ;   in Loop: Header=BB251_424 Depth=1
	v_cmp_ne_u16_e64 s[0:1], s24, v10
	v_bfrev_b32_e32 v26, 1
	s_and_saveexec_b64 s[14:15], s[0:1]
	s_cbranch_execz .LBB251_709
; %bb.706:                              ;   in Loop: Header=BB251_424 Depth=1
	v_and_b32_e32 v27, 0x7f, v10
	v_cmp_ne_u32_e64 s[0:1], s25, v27
	v_mov_b32_e32 v26, 0x7c010000
	s_and_saveexec_b64 s[22:23], s[0:1]
	s_cbranch_execz .LBB251_708
; %bb.707:                              ;   in Loop: Header=BB251_424 Depth=1
	v_and_b32_e32 v26, 7, v10
	v_ffbh_u32_e32 v56, v26
	v_min_u32_e32 v59, 32, v56
	v_subrev_u32_e32 v56, 28, v59
	v_lshlrev_b64 v[56:57], v56, v[10:11]
	v_lshrrev_b32_e32 v58, 3, v27
	v_sub_u32_e32 v57, 29, v59
	v_cmp_gt_u32_e64 s[0:1], 8, v27
	v_lshlrev_b32_e32 v10, 8, v10
	v_and_b32_e32 v56, 7, v56
	v_cndmask_b32_e64 v27, v58, v57, s[0:1]
	v_lshl_add_u32 v27, v27, 10, v34
	v_and_or_b32 v10, v10, s29, v27
	v_cndmask_b32_e64 v26, v26, v56, s[0:1]
	v_lshlrev_b32_e32 v10, 16, v10
	v_lshl_or_b32 v26, v26, 23, v10
.LBB251_708:                            ;   in Loop: Header=BB251_424 Depth=1
	s_or_b64 exec, exec, s[22:23]
.LBB251_709:                            ;   in Loop: Header=BB251_424 Depth=1
	s_or_b64 exec, exec, s[14:15]
.LBB251_710:                            ;   in Loop: Header=BB251_424 Depth=1
	s_or_b64 exec, exec, s[12:13]
	v_lshrrev_b32_e32 v10, 16, v21
	v_cmp_ne_u16_sdwa s[0:1], v10, v11 src0_sel:BYTE_0 src1_sel:DWORD
	s_and_saveexec_b64 s[12:13], s[0:1]
	s_cbranch_execz .LBB251_716
; %bb.711:                              ;   in Loop: Header=BB251_424 Depth=1
	v_cmp_ne_u16_sdwa s[0:1], v10, s24 src0_sel:BYTE_0 src1_sel:DWORD
	v_mov_b32_e32 v24, 0x8000
	s_and_saveexec_b64 s[14:15], s[0:1]
	s_cbranch_execz .LBB251_715
; %bb.712:                              ;   in Loop: Header=BB251_424 Depth=1
	v_bfe_u32 v27, v21, 16, 7
	v_cmp_ne_u32_e64 s[0:1], s25, v27
	v_mov_b32_e32 v24, 0x7c01
	s_and_saveexec_b64 s[22:23], s[0:1]
	s_cbranch_execz .LBB251_714
; %bb.713:                              ;   in Loop: Header=BB251_424 Depth=1
	v_and_b32_e32 v24, 7, v10
	v_ffbh_u32_e32 v56, v24
	v_min_u32_e32 v59, 32, v56
	v_subrev_u32_e32 v56, 28, v59
	v_lshlrev_b64 v[56:57], v56, v[10:11]
	v_lshrrev_b32_e32 v58, 3, v27
	v_sub_u32_e32 v57, 29, v59
	v_cmp_gt_u32_e64 s[0:1], 8, v27
	v_lshlrev_b32_e32 v10, 8, v10
	v_and_b32_e32 v56, 7, v56
	v_cndmask_b32_e64 v27, v58, v57, s[0:1]
	v_lshl_add_u32 v27, v27, 10, v34
	v_and_b32_e32 v27, 0xfc00, v27
	v_cndmask_b32_e64 v24, v24, v56, s[0:1]
	v_and_or_b32 v10, v10, s29, v27
	v_lshl_or_b32 v24, v24, 7, v10
.LBB251_714:                            ;   in Loop: Header=BB251_424 Depth=1
	s_or_b64 exec, exec, s[22:23]
.LBB251_715:                            ;   in Loop: Header=BB251_424 Depth=1
	s_or_b64 exec, exec, s[14:15]
.LBB251_716:                            ;   in Loop: Header=BB251_424 Depth=1
	s_or_b64 exec, exec, s[12:13]
	v_cmp_lt_u64_e64 s[0:1], s[6:7], v[20:21]
	v_mov_b32_e32 v20, 0
	s_and_saveexec_b64 s[12:13], s[0:1]
	s_cbranch_execz .LBB251_722
; %bb.717:                              ;   in Loop: Header=BB251_424 Depth=1
	v_lshrrev_b32_e32 v10, 24, v21
	v_cmp_ne_u32_e64 s[0:1], s24, v10
	v_bfrev_b32_e32 v20, 1
	s_and_saveexec_b64 s[14:15], s[0:1]
	s_cbranch_execz .LBB251_721
; %bb.718:                              ;   in Loop: Header=BB251_424 Depth=1
	v_and_b32_e32 v21, 0x7f, v10
	v_cmp_ne_u32_e64 s[0:1], s25, v21
	v_mov_b32_e32 v20, 0x7c010000
	s_and_saveexec_b64 s[22:23], s[0:1]
	s_cbranch_execz .LBB251_720
; %bb.719:                              ;   in Loop: Header=BB251_424 Depth=1
	v_and_b32_e32 v20, 7, v10
	v_ffbh_u32_e32 v56, v20
	v_min_u32_e32 v58, 32, v56
	v_subrev_u32_e32 v56, 28, v58
	v_lshlrev_b64 v[56:57], v56, v[10:11]
	v_lshrrev_b32_e32 v27, 3, v21
	v_sub_u32_e32 v57, 29, v58
	v_cmp_gt_u32_e64 s[0:1], 8, v21
	v_lshlrev_b32_e32 v10, 8, v10
	s_nop 0
	v_cndmask_b32_e64 v21, v27, v57, s[0:1]
	v_lshl_add_u32 v21, v21, 10, v34
	v_and_b32_e32 v27, 7, v56
	v_and_or_b32 v10, v10, s29, v21
	v_cndmask_b32_e64 v20, v20, v27, s[0:1]
	v_lshlrev_b32_e32 v10, 16, v10
	v_lshl_or_b32 v20, v20, 23, v10
.LBB251_720:                            ;   in Loop: Header=BB251_424 Depth=1
	s_or_b64 exec, exec, s[22:23]
.LBB251_721:                            ;   in Loop: Header=BB251_424 Depth=1
	s_or_b64 exec, exec, s[14:15]
.LBB251_722:                            ;   in Loop: Header=BB251_424 Depth=1
	s_or_b64 exec, exec, s[12:13]
	v_cvt_f32_f16_sdwa v57, v1 dst_sel:DWORD dst_unused:UNUSED_PAD src0_sel:WORD_1
	v_cvt_f32_f16_sdwa v56, v23 dst_sel:DWORD dst_unused:UNUSED_PAD src0_sel:WORD_1
	v_or_b32_e32 v1, v1, v19
	v_or_b32_e32 v10, v23, v22
	;; [unrolled: 1-line block ×3, first 2 shown]
	s_waitcnt vmcnt(0)
	v_pk_mul_f32 v[22:23], v[18:19], v[56:57] op_sel_hi:[0,1]
	v_cvt_f32_f16_e32 v56, v10
	v_cvt_f32_f16_e32 v57, v1
	v_cvt_pk_f16_f32 v1, v22, v23
	v_and_b32_e32 v19, 0xffff0000, v1
	v_lshlrev_b32_e32 v10, 16, v1
	v_pk_mul_f32 v[22:23], v[18:19], v[56:57] op_sel_hi:[0,1]
	v_cvt_pk_f16_f32 v1, v22, v23
	v_or_b32_e32 v23, v26, v25
	v_cvt_f32_f16_e32 v24, v24
	v_cvt_f32_f16_e32 v25, v23
	v_cvt_f32_f16_sdwa v27, v26 dst_sel:DWORD dst_unused:UNUSED_PAD src0_sel:WORD_1
	v_cvt_f32_f16_sdwa v26, v20 dst_sel:DWORD dst_unused:UNUSED_PAD src0_sel:WORD_1
	v_lshrrev_b32_e32 v21, 16, v1
	v_pk_mul_f32 v[24:25], v[18:19], v[24:25] op_sel_hi:[0,1]
	v_cvt_pk_f16_f32 v56, v24, v25
	v_pk_mul_f32 v[24:25], v[18:19], v[26:27] op_sel_hi:[0,1]
	v_cvt_pk_f16_f32 v18, v24, v25
	v_and_b32_e32 v22, 0xffff, v1
	v_and_b32_e32 v23, 0xffff0000, v18
	v_lshlrev_b32_e32 v18, 16, v18
	v_lshrrev_b32_e32 v25, 16, v56
	v_and_b32_e32 v24, 0xffff, v56
	v_or_b32_e32 v1, v19, v21
	v_or_b32_e32 v20, v10, v22
	;; [unrolled: 1-line block ×4, first 2 shown]
	s_and_saveexec_b64 s[12:13], vcc
	s_cbranch_execz .LBB251_724
; %bb.723:                              ;   in Loop: Header=BB251_424 Depth=1
	v_cmp_gt_i32_e64 s[0:1], s27, v32
	s_nop 1
	v_cndmask_b32_e64 v1, 0, v21, s[0:1]
	v_cmp_gt_i32_e64 s[0:1], s33, v42
	s_nop 1
	v_cndmask_b32_e64 v20, 0, v22, s[0:1]
	v_cmp_gt_i32_e64 s[0:1], s27, v40
	s_nop 1
	v_cndmask_b32_e64 v19, 0, v19, s[0:1]
	v_cmp_gt_i32_e64 s[0:1], s33, v39
	v_or_b32_e32 v1, v19, v1
	s_nop 0
	v_cndmask_b32_e64 v10, 0, v10, s[0:1]
	v_cmp_gt_i32_e64 s[0:1], s27, v38
	v_or_b32_e32 v20, v10, v20
	s_nop 0
	v_cndmask_b32_e64 v10, 0, v25, s[0:1]
	v_cmp_gt_i32_e64 s[0:1], s33, v37
	s_nop 1
	v_cndmask_b32_e64 v19, 0, v24, s[0:1]
	v_cmp_gt_i32_e64 s[0:1], s27, v36
	;; [unrolled: 3-line block ×3, first 2 shown]
	v_or_b32_e32 v27, v21, v10
	s_nop 0
	v_cndmask_b32_e64 v18, 0, v18, s[0:1]
	v_or_b32_e32 v26, v18, v19
.LBB251_724:                            ;   in Loop: Header=BB251_424 Depth=1
	s_or_b64 exec, exec, s[12:13]
	;;#ASMSTART
	v_pk_mul_f16 v1, v45, v1;

	;;#ASMEND
	;;#ASMSTART
	v_pk_mul_f16 v10, v44, v20;

	;;#ASMEND
	;; [unrolled: 4-line block ×4, first 2 shown]
	s_nop 0
	;;#ASMSTART
	v_pk_add_f16 v1, v1, v10;

	;;#ASMEND
	s_nop 0
	;;#ASMSTART
	v_pk_add_f16 v1, v1, v18;

	;;#ASMEND
	;; [unrolled: 5-line block ×3, first 2 shown]
	v_mov_b32_e32 v19, 0
	v_lshrrev_b32_e32 v10, 16, v1
	v_and_b32_e32 v1, 0xffff, v1
	;;#ASMSTART
	v_cvt_f32_f16 v56, v1;
	;;#ASMEND
	;;#ASMSTART
	v_cvt_f32_f16 v57, v10;
	;;#ASMEND
	global_load_dwordx2 v[20:21], v[16:17], off offset:3072
	v_mov_b32_e32 v1, 0
	global_load_dword v18, v1, s[10:11]
	s_waitcnt vmcnt(1)
	v_cmp_ne_u16_sdwa s[0:1], v20, v11 src0_sel:BYTE_0 src1_sel:DWORD
	s_and_saveexec_b64 s[12:13], s[0:1]
	s_cbranch_execz .LBB251_730
; %bb.725:                              ;   in Loop: Header=BB251_424 Depth=1
	v_cmp_ne_u16_sdwa s[0:1], v20, s24 src0_sel:BYTE_0 src1_sel:DWORD
	v_mov_b32_e32 v19, 0x8000
	s_and_saveexec_b64 s[14:15], s[0:1]
	s_cbranch_execz .LBB251_729
; %bb.726:                              ;   in Loop: Header=BB251_424 Depth=1
	v_and_b32_e32 v10, 0x7f, v20
	v_cmp_ne_u32_e64 s[0:1], s25, v10
	v_mov_b32_e32 v19, 0x7c01
	s_and_saveexec_b64 s[22:23], s[0:1]
	s_cbranch_execz .LBB251_728
; %bb.727:                              ;   in Loop: Header=BB251_424 Depth=1
	v_and_b32_e32 v19, 7, v20
	v_ffbh_u32_e32 v22, v19
	v_min_u32_e32 v25, 32, v22
	v_subrev_u32_e32 v22, 28, v25
	v_lshlrev_b64 v[22:23], v22, v[20:21]
	v_lshrrev_b32_e32 v24, 3, v10
	v_sub_u32_e32 v23, 29, v25
	v_cmp_gt_u32_e64 s[0:1], 8, v10
	v_and_b32_e32 v22, 7, v22
	s_nop 0
	v_cndmask_b32_e64 v10, v24, v23, s[0:1]
	v_lshl_add_u32 v10, v10, 10, v34
	v_lshlrev_b32_e32 v23, 8, v20
	v_and_b32_e32 v10, 0xfc00, v10
	v_cndmask_b32_e64 v19, v19, v22, s[0:1]
	v_and_or_b32 v10, v23, s29, v10
	v_lshl_or_b32 v19, v19, 7, v10
.LBB251_728:                            ;   in Loop: Header=BB251_424 Depth=1
	s_or_b64 exec, exec, s[22:23]
.LBB251_729:                            ;   in Loop: Header=BB251_424 Depth=1
	s_or_b64 exec, exec, s[14:15]
.LBB251_730:                            ;   in Loop: Header=BB251_424 Depth=1
	s_or_b64 exec, exec, s[12:13]
	v_lshrrev_b16_e32 v10, 8, v20
	v_cmp_ne_u16_e64 s[0:1], 0, v10
	s_and_saveexec_b64 s[12:13], s[0:1]
	s_cbranch_execz .LBB251_736
; %bb.731:                              ;   in Loop: Header=BB251_424 Depth=1
	v_cmp_ne_u16_e64 s[0:1], s24, v10
	v_bfrev_b32_e32 v1, 1
	s_and_saveexec_b64 s[14:15], s[0:1]
	s_cbranch_execz .LBB251_735
; %bb.732:                              ;   in Loop: Header=BB251_424 Depth=1
	v_and_b32_e32 v22, 0x7f, v10
	v_cmp_ne_u32_e64 s[0:1], s25, v22
	v_mov_b32_e32 v1, 0x7c010000
	s_and_saveexec_b64 s[22:23], s[0:1]
	s_cbranch_execz .LBB251_734
; %bb.733:                              ;   in Loop: Header=BB251_424 Depth=1
	v_and_b32_e32 v1, 7, v10
	v_ffbh_u32_e32 v24, v1
	v_min_u32_e32 v26, 32, v24
	v_subrev_u32_e32 v24, 28, v26
	v_lshlrev_b64 v[24:25], v24, v[10:11]
	v_lshrrev_b32_e32 v23, 3, v22
	v_sub_u32_e32 v25, 29, v26
	v_cmp_gt_u32_e64 s[0:1], 8, v22
	v_lshlrev_b32_e32 v10, 8, v10
	s_nop 0
	v_cndmask_b32_e64 v22, v23, v25, s[0:1]
	v_lshl_add_u32 v22, v22, 10, v34
	v_and_b32_e32 v23, 7, v24
	v_and_or_b32 v10, v10, s29, v22
	v_cndmask_b32_e64 v1, v1, v23, s[0:1]
	v_lshlrev_b32_e32 v10, 16, v10
	v_lshl_or_b32 v1, v1, 23, v10
.LBB251_734:                            ;   in Loop: Header=BB251_424 Depth=1
	s_or_b64 exec, exec, s[22:23]
.LBB251_735:                            ;   in Loop: Header=BB251_424 Depth=1
	s_or_b64 exec, exec, s[14:15]
.LBB251_736:                            ;   in Loop: Header=BB251_424 Depth=1
	s_or_b64 exec, exec, s[12:13]
	v_lshrrev_b32_e32 v10, 16, v20
	v_cmp_ne_u16_sdwa s[0:1], v10, v11 src0_sel:BYTE_0 src1_sel:DWORD
	v_mov_b32_e32 v23, 0
	v_mov_b32_e32 v22, 0
	s_and_saveexec_b64 s[12:13], s[0:1]
	s_cbranch_execz .LBB251_742
; %bb.737:                              ;   in Loop: Header=BB251_424 Depth=1
	v_cmp_ne_u16_sdwa s[0:1], v10, s24 src0_sel:BYTE_0 src1_sel:DWORD
	v_mov_b32_e32 v22, 0x8000
	s_and_saveexec_b64 s[14:15], s[0:1]
	s_cbranch_execz .LBB251_741
; %bb.738:                              ;   in Loop: Header=BB251_424 Depth=1
	v_bfe_u32 v24, v20, 16, 7
	v_cmp_ne_u32_e64 s[0:1], s25, v24
	v_mov_b32_e32 v22, 0x7c01
	s_and_saveexec_b64 s[22:23], s[0:1]
	s_cbranch_execz .LBB251_740
; %bb.739:                              ;   in Loop: Header=BB251_424 Depth=1
	v_and_b32_e32 v22, 7, v10
	v_ffbh_u32_e32 v26, v22
	v_min_u32_e32 v58, 32, v26
	v_subrev_u32_e32 v26, 28, v58
	v_lshlrev_b64 v[26:27], v26, v[10:11]
	v_lshrrev_b32_e32 v25, 3, v24
	v_sub_u32_e32 v27, 29, v58
	v_cmp_gt_u32_e64 s[0:1], 8, v24
	v_lshlrev_b32_e32 v10, 8, v10
	s_nop 0
	v_cndmask_b32_e64 v24, v25, v27, s[0:1]
	v_lshl_add_u32 v24, v24, 10, v34
	v_and_b32_e32 v25, 7, v26
	v_and_b32_e32 v24, 0xfc00, v24
	v_cndmask_b32_e64 v22, v22, v25, s[0:1]
	v_and_or_b32 v10, v10, s29, v24
	v_lshl_or_b32 v22, v22, 7, v10
.LBB251_740:                            ;   in Loop: Header=BB251_424 Depth=1
	s_or_b64 exec, exec, s[22:23]
.LBB251_741:                            ;   in Loop: Header=BB251_424 Depth=1
	s_or_b64 exec, exec, s[14:15]
.LBB251_742:                            ;   in Loop: Header=BB251_424 Depth=1
	s_or_b64 exec, exec, s[12:13]
	v_cmp_lt_u32_e64 s[0:1], s7, v20
	s_and_saveexec_b64 s[12:13], s[0:1]
	s_cbranch_execz .LBB251_748
; %bb.743:                              ;   in Loop: Header=BB251_424 Depth=1
	v_lshrrev_b32_e32 v10, 24, v20
	v_cmp_ne_u32_e64 s[0:1], s24, v10
	v_bfrev_b32_e32 v23, 1
	s_and_saveexec_b64 s[14:15], s[0:1]
	s_cbranch_execz .LBB251_747
; %bb.744:                              ;   in Loop: Header=BB251_424 Depth=1
	v_and_b32_e32 v24, 0x7f, v10
	v_cmp_ne_u32_e64 s[0:1], s25, v24
	v_mov_b32_e32 v23, 0x7c010000
	s_and_saveexec_b64 s[22:23], s[0:1]
	s_cbranch_execz .LBB251_746
; %bb.745:                              ;   in Loop: Header=BB251_424 Depth=1
	v_and_b32_e32 v23, 7, v10
	v_ffbh_u32_e32 v26, v23
	v_min_u32_e32 v58, 32, v26
	v_subrev_u32_e32 v26, 28, v58
	v_lshlrev_b64 v[26:27], v26, v[10:11]
	v_lshrrev_b32_e32 v25, 3, v24
	v_sub_u32_e32 v27, 29, v58
	v_cmp_gt_u32_e64 s[0:1], 8, v24
	v_lshlrev_b32_e32 v10, 8, v10
	s_nop 0
	v_cndmask_b32_e64 v24, v25, v27, s[0:1]
	v_lshl_add_u32 v24, v24, 10, v34
	v_and_b32_e32 v25, 7, v26
	v_and_or_b32 v10, v10, s29, v24
	v_cndmask_b32_e64 v23, v23, v25, s[0:1]
	v_lshlrev_b32_e32 v10, 16, v10
	v_lshl_or_b32 v23, v23, 23, v10
.LBB251_746:                            ;   in Loop: Header=BB251_424 Depth=1
	s_or_b64 exec, exec, s[22:23]
.LBB251_747:                            ;   in Loop: Header=BB251_424 Depth=1
	s_or_b64 exec, exec, s[14:15]
.LBB251_748:                            ;   in Loop: Header=BB251_424 Depth=1
	s_or_b64 exec, exec, s[12:13]
	v_mov_b32_e32 v10, v21
	v_cmp_ne_u16_sdwa s[0:1], v21, v11 src0_sel:BYTE_0 src1_sel:DWORD
	v_mov_b32_e32 v24, 0
	v_mov_b32_e32 v25, 0
	s_and_saveexec_b64 s[12:13], s[0:1]
	s_cbranch_execz .LBB251_754
; %bb.749:                              ;   in Loop: Header=BB251_424 Depth=1
	v_cmp_ne_u16_sdwa s[0:1], v21, s24 src0_sel:BYTE_0 src1_sel:DWORD
	v_mov_b32_e32 v25, 0x8000
	s_and_saveexec_b64 s[14:15], s[0:1]
	s_cbranch_execz .LBB251_753
; %bb.750:                              ;   in Loop: Header=BB251_424 Depth=1
	v_and_b32_e32 v26, 0x7f, v21
	v_cmp_ne_u32_e64 s[0:1], s25, v26
	v_mov_b32_e32 v25, 0x7c01
	s_and_saveexec_b64 s[22:23], s[0:1]
	s_cbranch_execz .LBB251_752
; %bb.751:                              ;   in Loop: Header=BB251_424 Depth=1
	v_and_b32_e32 v25, 7, v21
	v_ffbh_u32_e32 v58, v25
	v_min_u32_e32 v60, 32, v58
	v_subrev_u32_e32 v58, 28, v60
	v_lshlrev_b64 v[58:59], v58, v[10:11]
	v_lshrrev_b32_e32 v27, 3, v26
	v_sub_u32_e32 v59, 29, v60
	v_cmp_gt_u32_e64 s[0:1], 8, v26
	v_and_b32_e32 v58, 7, v58
	s_nop 0
	v_cndmask_b32_e64 v26, v27, v59, s[0:1]
	v_lshl_add_u32 v26, v26, 10, v34
	v_lshlrev_b32_e32 v27, 8, v21
	v_and_b32_e32 v26, 0xfc00, v26
	v_cndmask_b32_e64 v25, v25, v58, s[0:1]
	v_and_or_b32 v26, v27, s29, v26
	v_lshl_or_b32 v25, v25, 7, v26
.LBB251_752:                            ;   in Loop: Header=BB251_424 Depth=1
	s_or_b64 exec, exec, s[22:23]
.LBB251_753:                            ;   in Loop: Header=BB251_424 Depth=1
	s_or_b64 exec, exec, s[14:15]
.LBB251_754:                            ;   in Loop: Header=BB251_424 Depth=1
	s_or_b64 exec, exec, s[12:13]
	v_lshrrev_b16_e32 v10, 8, v10
	v_cmp_ne_u16_e64 s[0:1], 0, v10
	v_mov_b32_e32 v26, 0
	s_and_saveexec_b64 s[12:13], s[0:1]
	s_cbranch_execz .LBB251_760
; %bb.755:                              ;   in Loop: Header=BB251_424 Depth=1
	v_cmp_ne_u16_e64 s[0:1], s24, v10
	v_bfrev_b32_e32 v26, 1
	s_and_saveexec_b64 s[14:15], s[0:1]
	s_cbranch_execz .LBB251_759
; %bb.756:                              ;   in Loop: Header=BB251_424 Depth=1
	v_and_b32_e32 v27, 0x7f, v10
	v_cmp_ne_u32_e64 s[0:1], s25, v27
	v_mov_b32_e32 v26, 0x7c010000
	s_and_saveexec_b64 s[22:23], s[0:1]
	s_cbranch_execz .LBB251_758
; %bb.757:                              ;   in Loop: Header=BB251_424 Depth=1
	v_and_b32_e32 v26, 7, v10
	v_ffbh_u32_e32 v58, v26
	v_min_u32_e32 v61, 32, v58
	v_subrev_u32_e32 v58, 28, v61
	v_lshlrev_b64 v[58:59], v58, v[10:11]
	v_lshrrev_b32_e32 v60, 3, v27
	v_sub_u32_e32 v59, 29, v61
	v_cmp_gt_u32_e64 s[0:1], 8, v27
	v_lshlrev_b32_e32 v10, 8, v10
	v_and_b32_e32 v58, 7, v58
	v_cndmask_b32_e64 v27, v60, v59, s[0:1]
	v_lshl_add_u32 v27, v27, 10, v34
	v_and_or_b32 v10, v10, s29, v27
	v_cndmask_b32_e64 v26, v26, v58, s[0:1]
	v_lshlrev_b32_e32 v10, 16, v10
	v_lshl_or_b32 v26, v26, 23, v10
.LBB251_758:                            ;   in Loop: Header=BB251_424 Depth=1
	s_or_b64 exec, exec, s[22:23]
.LBB251_759:                            ;   in Loop: Header=BB251_424 Depth=1
	s_or_b64 exec, exec, s[14:15]
.LBB251_760:                            ;   in Loop: Header=BB251_424 Depth=1
	s_or_b64 exec, exec, s[12:13]
	v_lshrrev_b32_e32 v10, 16, v21
	v_cmp_ne_u16_sdwa s[0:1], v10, v11 src0_sel:BYTE_0 src1_sel:DWORD
	s_and_saveexec_b64 s[12:13], s[0:1]
	s_cbranch_execz .LBB251_766
; %bb.761:                              ;   in Loop: Header=BB251_424 Depth=1
	v_cmp_ne_u16_sdwa s[0:1], v10, s24 src0_sel:BYTE_0 src1_sel:DWORD
	v_mov_b32_e32 v24, 0x8000
	s_and_saveexec_b64 s[14:15], s[0:1]
	s_cbranch_execz .LBB251_765
; %bb.762:                              ;   in Loop: Header=BB251_424 Depth=1
	v_bfe_u32 v27, v21, 16, 7
	v_cmp_ne_u32_e64 s[0:1], s25, v27
	v_mov_b32_e32 v24, 0x7c01
	s_and_saveexec_b64 s[22:23], s[0:1]
	s_cbranch_execz .LBB251_764
; %bb.763:                              ;   in Loop: Header=BB251_424 Depth=1
	v_and_b32_e32 v24, 7, v10
	v_ffbh_u32_e32 v58, v24
	v_min_u32_e32 v61, 32, v58
	v_subrev_u32_e32 v58, 28, v61
	v_lshlrev_b64 v[58:59], v58, v[10:11]
	v_lshrrev_b32_e32 v60, 3, v27
	v_sub_u32_e32 v59, 29, v61
	v_cmp_gt_u32_e64 s[0:1], 8, v27
	v_lshlrev_b32_e32 v10, 8, v10
	v_and_b32_e32 v58, 7, v58
	v_cndmask_b32_e64 v27, v60, v59, s[0:1]
	v_lshl_add_u32 v27, v27, 10, v34
	v_and_b32_e32 v27, 0xfc00, v27
	v_cndmask_b32_e64 v24, v24, v58, s[0:1]
	v_and_or_b32 v10, v10, s29, v27
	v_lshl_or_b32 v24, v24, 7, v10
.LBB251_764:                            ;   in Loop: Header=BB251_424 Depth=1
	s_or_b64 exec, exec, s[22:23]
.LBB251_765:                            ;   in Loop: Header=BB251_424 Depth=1
	s_or_b64 exec, exec, s[14:15]
.LBB251_766:                            ;   in Loop: Header=BB251_424 Depth=1
	s_or_b64 exec, exec, s[12:13]
	v_cmp_lt_u64_e64 s[0:1], s[6:7], v[20:21]
	v_mov_b32_e32 v20, 0
	s_and_saveexec_b64 s[12:13], s[0:1]
	s_cbranch_execz .LBB251_772
; %bb.767:                              ;   in Loop: Header=BB251_424 Depth=1
	v_lshrrev_b32_e32 v10, 24, v21
	v_cmp_ne_u32_e64 s[0:1], s24, v10
	v_bfrev_b32_e32 v20, 1
	s_and_saveexec_b64 s[14:15], s[0:1]
	s_cbranch_execz .LBB251_771
; %bb.768:                              ;   in Loop: Header=BB251_424 Depth=1
	v_and_b32_e32 v21, 0x7f, v10
	v_cmp_ne_u32_e64 s[0:1], s25, v21
	v_mov_b32_e32 v20, 0x7c010000
	s_and_saveexec_b64 s[22:23], s[0:1]
	s_cbranch_execz .LBB251_770
; %bb.769:                              ;   in Loop: Header=BB251_424 Depth=1
	v_and_b32_e32 v20, 7, v10
	v_ffbh_u32_e32 v58, v20
	v_min_u32_e32 v60, 32, v58
	v_subrev_u32_e32 v58, 28, v60
	v_lshlrev_b64 v[58:59], v58, v[10:11]
	v_lshrrev_b32_e32 v27, 3, v21
	v_sub_u32_e32 v59, 29, v60
	v_cmp_gt_u32_e64 s[0:1], 8, v21
	v_lshlrev_b32_e32 v10, 8, v10
	s_nop 0
	v_cndmask_b32_e64 v21, v27, v59, s[0:1]
	v_lshl_add_u32 v21, v21, 10, v34
	v_and_b32_e32 v27, 7, v58
	v_and_or_b32 v10, v10, s29, v21
	v_cndmask_b32_e64 v20, v20, v27, s[0:1]
	v_lshlrev_b32_e32 v10, 16, v10
	v_lshl_or_b32 v20, v20, 23, v10
.LBB251_770:                            ;   in Loop: Header=BB251_424 Depth=1
	s_or_b64 exec, exec, s[22:23]
.LBB251_771:                            ;   in Loop: Header=BB251_424 Depth=1
	s_or_b64 exec, exec, s[14:15]
.LBB251_772:                            ;   in Loop: Header=BB251_424 Depth=1
	s_or_b64 exec, exec, s[12:13]
	v_cvt_f32_f16_sdwa v59, v1 dst_sel:DWORD dst_unused:UNUSED_PAD src0_sel:WORD_1
	v_cvt_f32_f16_sdwa v58, v23 dst_sel:DWORD dst_unused:UNUSED_PAD src0_sel:WORD_1
	v_or_b32_e32 v1, v1, v19
	v_or_b32_e32 v10, v23, v22
	;; [unrolled: 1-line block ×3, first 2 shown]
	s_waitcnt vmcnt(0)
	v_pk_mul_f32 v[22:23], v[18:19], v[58:59] op_sel_hi:[0,1]
	v_cvt_f32_f16_e32 v58, v10
	v_cvt_f32_f16_e32 v59, v1
	v_cvt_pk_f16_f32 v1, v22, v23
	v_and_b32_e32 v19, 0xffff0000, v1
	v_lshlrev_b32_e32 v10, 16, v1
	v_pk_mul_f32 v[22:23], v[18:19], v[58:59] op_sel_hi:[0,1]
	v_cvt_pk_f16_f32 v1, v22, v23
	v_or_b32_e32 v23, v26, v25
	v_cvt_f32_f16_e32 v24, v24
	v_cvt_f32_f16_e32 v25, v23
	v_cvt_f32_f16_sdwa v27, v26 dst_sel:DWORD dst_unused:UNUSED_PAD src0_sel:WORD_1
	v_cvt_f32_f16_sdwa v26, v20 dst_sel:DWORD dst_unused:UNUSED_PAD src0_sel:WORD_1
	v_lshrrev_b32_e32 v21, 16, v1
	v_pk_mul_f32 v[24:25], v[18:19], v[24:25] op_sel_hi:[0,1]
	v_cvt_pk_f16_f32 v58, v24, v25
	v_pk_mul_f32 v[24:25], v[18:19], v[26:27] op_sel_hi:[0,1]
	v_cvt_pk_f16_f32 v18, v24, v25
	v_and_b32_e32 v22, 0xffff, v1
	v_and_b32_e32 v23, 0xffff0000, v18
	v_lshlrev_b32_e32 v18, 16, v18
	v_lshrrev_b32_e32 v25, 16, v58
	v_and_b32_e32 v24, 0xffff, v58
	v_or_b32_e32 v1, v19, v21
	v_or_b32_e32 v20, v10, v22
	;; [unrolled: 1-line block ×4, first 2 shown]
	s_and_saveexec_b64 s[12:13], vcc
	s_cbranch_execz .LBB251_774
; %bb.773:                              ;   in Loop: Header=BB251_424 Depth=1
	v_cmp_gt_i32_e64 s[0:1], s27, v32
	s_nop 1
	v_cndmask_b32_e64 v1, 0, v21, s[0:1]
	v_cmp_gt_i32_e64 s[0:1], s33, v42
	s_nop 1
	v_cndmask_b32_e64 v20, 0, v22, s[0:1]
	v_cmp_gt_i32_e64 s[0:1], s27, v40
	s_nop 1
	v_cndmask_b32_e64 v19, 0, v19, s[0:1]
	v_cmp_gt_i32_e64 s[0:1], s33, v39
	v_or_b32_e32 v1, v19, v1
	s_nop 0
	v_cndmask_b32_e64 v10, 0, v10, s[0:1]
	v_cmp_gt_i32_e64 s[0:1], s27, v38
	v_or_b32_e32 v20, v10, v20
	s_nop 0
	v_cndmask_b32_e64 v10, 0, v25, s[0:1]
	v_cmp_gt_i32_e64 s[0:1], s33, v37
	s_nop 1
	v_cndmask_b32_e64 v19, 0, v24, s[0:1]
	v_cmp_gt_i32_e64 s[0:1], s27, v36
	;; [unrolled: 3-line block ×3, first 2 shown]
	v_or_b32_e32 v27, v21, v10
	s_nop 0
	v_cndmask_b32_e64 v18, 0, v18, s[0:1]
	v_or_b32_e32 v26, v18, v19
.LBB251_774:                            ;   in Loop: Header=BB251_424 Depth=1
	s_or_b64 exec, exec, s[12:13]
	;;#ASMSTART
	v_pk_mul_f16 v1, v45, v1;

	;;#ASMEND
	;;#ASMSTART
	v_pk_mul_f16 v10, v44, v20;

	;;#ASMEND
	;; [unrolled: 4-line block ×4, first 2 shown]
	s_nop 0
	;;#ASMSTART
	v_pk_add_f16 v1, v1, v10;

	;;#ASMEND
	s_nop 0
	;;#ASMSTART
	v_pk_add_f16 v1, v1, v18;

	;;#ASMEND
	;; [unrolled: 5-line block ×3, first 2 shown]
	s_nop 0
	v_lshrrev_b32_e32 v10, 16, v1
	v_and_b32_e32 v1, 0xffff, v1
	;;#ASMSTART
	v_cvt_f32_f16 v26, v1;
	;;#ASMEND
	;;#ASMSTART
	v_cvt_f32_f16 v27, v10;
	;;#ASMEND
	global_load_dwordx2 v[18:19], v[16:17], off offset:3584
	v_mov_b32_e32 v1, 0
	global_load_dword v16, v1, s[10:11]
	v_mov_b32_e32 v17, 0
	s_waitcnt vmcnt(1)
	v_cmp_ne_u16_sdwa s[0:1], v18, v11 src0_sel:BYTE_0 src1_sel:DWORD
	s_and_saveexec_b64 s[12:13], s[0:1]
	s_cbranch_execz .LBB251_780
; %bb.775:                              ;   in Loop: Header=BB251_424 Depth=1
	v_cmp_ne_u16_sdwa s[0:1], v18, s24 src0_sel:BYTE_0 src1_sel:DWORD
	v_mov_b32_e32 v17, 0x8000
	s_and_saveexec_b64 s[14:15], s[0:1]
	s_cbranch_execz .LBB251_779
; %bb.776:                              ;   in Loop: Header=BB251_424 Depth=1
	v_and_b32_e32 v10, 0x7f, v18
	v_cmp_ne_u32_e64 s[0:1], s25, v10
	v_mov_b32_e32 v17, 0x7c01
	s_and_saveexec_b64 s[22:23], s[0:1]
	s_cbranch_execz .LBB251_778
; %bb.777:                              ;   in Loop: Header=BB251_424 Depth=1
	v_and_b32_e32 v17, 7, v18
	v_ffbh_u32_e32 v20, v17
	v_min_u32_e32 v23, 32, v20
	v_subrev_u32_e32 v20, 28, v23
	v_lshlrev_b64 v[20:21], v20, v[18:19]
	v_lshrrev_b32_e32 v22, 3, v10
	v_sub_u32_e32 v21, 29, v23
	v_cmp_gt_u32_e64 s[0:1], 8, v10
	v_and_b32_e32 v20, 7, v20
	s_nop 0
	v_cndmask_b32_e64 v10, v22, v21, s[0:1]
	v_lshl_add_u32 v10, v10, 10, v34
	v_lshlrev_b32_e32 v21, 8, v18
	v_and_b32_e32 v10, 0xfc00, v10
	v_cndmask_b32_e64 v17, v17, v20, s[0:1]
	v_and_or_b32 v10, v21, s29, v10
	v_lshl_or_b32 v17, v17, 7, v10
.LBB251_778:                            ;   in Loop: Header=BB251_424 Depth=1
	s_or_b64 exec, exec, s[22:23]
.LBB251_779:                            ;   in Loop: Header=BB251_424 Depth=1
	s_or_b64 exec, exec, s[14:15]
.LBB251_780:                            ;   in Loop: Header=BB251_424 Depth=1
	s_or_b64 exec, exec, s[12:13]
	v_lshrrev_b16_e32 v10, 8, v18
	v_cmp_ne_u16_e64 s[0:1], 0, v10
	s_and_saveexec_b64 s[12:13], s[0:1]
	s_cbranch_execz .LBB251_786
; %bb.781:                              ;   in Loop: Header=BB251_424 Depth=1
	v_cmp_ne_u16_e64 s[0:1], s24, v10
	v_bfrev_b32_e32 v1, 1
	s_and_saveexec_b64 s[14:15], s[0:1]
	s_cbranch_execz .LBB251_785
; %bb.782:                              ;   in Loop: Header=BB251_424 Depth=1
	v_and_b32_e32 v20, 0x7f, v10
	v_cmp_ne_u32_e64 s[0:1], s25, v20
	v_mov_b32_e32 v1, 0x7c010000
	s_and_saveexec_b64 s[22:23], s[0:1]
	s_cbranch_execz .LBB251_784
; %bb.783:                              ;   in Loop: Header=BB251_424 Depth=1
	v_and_b32_e32 v1, 7, v10
	v_ffbh_u32_e32 v22, v1
	v_min_u32_e32 v24, 32, v22
	v_subrev_u32_e32 v22, 28, v24
	v_lshlrev_b64 v[22:23], v22, v[10:11]
	v_lshrrev_b32_e32 v21, 3, v20
	v_sub_u32_e32 v23, 29, v24
	v_cmp_gt_u32_e64 s[0:1], 8, v20
	v_lshlrev_b32_e32 v10, 8, v10
	s_nop 0
	v_cndmask_b32_e64 v20, v21, v23, s[0:1]
	v_lshl_add_u32 v20, v20, 10, v34
	v_and_b32_e32 v21, 7, v22
	v_and_or_b32 v10, v10, s29, v20
	v_cndmask_b32_e64 v1, v1, v21, s[0:1]
	v_lshlrev_b32_e32 v10, 16, v10
	v_lshl_or_b32 v1, v1, 23, v10
.LBB251_784:                            ;   in Loop: Header=BB251_424 Depth=1
	s_or_b64 exec, exec, s[22:23]
.LBB251_785:                            ;   in Loop: Header=BB251_424 Depth=1
	s_or_b64 exec, exec, s[14:15]
.LBB251_786:                            ;   in Loop: Header=BB251_424 Depth=1
	s_or_b64 exec, exec, s[12:13]
	v_lshrrev_b32_e32 v10, 16, v18
	v_cmp_ne_u16_sdwa s[0:1], v10, v11 src0_sel:BYTE_0 src1_sel:DWORD
	v_mov_b32_e32 v21, 0
	v_mov_b32_e32 v20, 0
	s_and_saveexec_b64 s[12:13], s[0:1]
	s_cbranch_execz .LBB251_792
; %bb.787:                              ;   in Loop: Header=BB251_424 Depth=1
	v_cmp_ne_u16_sdwa s[0:1], v10, s24 src0_sel:BYTE_0 src1_sel:DWORD
	v_mov_b32_e32 v20, 0x8000
	s_and_saveexec_b64 s[14:15], s[0:1]
	s_cbranch_execz .LBB251_791
; %bb.788:                              ;   in Loop: Header=BB251_424 Depth=1
	v_bfe_u32 v22, v18, 16, 7
	v_cmp_ne_u32_e64 s[0:1], s25, v22
	v_mov_b32_e32 v20, 0x7c01
	s_and_saveexec_b64 s[22:23], s[0:1]
	s_cbranch_execz .LBB251_790
; %bb.789:                              ;   in Loop: Header=BB251_424 Depth=1
	v_and_b32_e32 v20, 7, v10
	v_ffbh_u32_e32 v24, v20
	v_min_u32_e32 v58, 32, v24
	v_subrev_u32_e32 v24, 28, v58
	v_lshlrev_b64 v[24:25], v24, v[10:11]
	v_lshrrev_b32_e32 v23, 3, v22
	v_sub_u32_e32 v25, 29, v58
	v_cmp_gt_u32_e64 s[0:1], 8, v22
	v_lshlrev_b32_e32 v10, 8, v10
	s_nop 0
	v_cndmask_b32_e64 v22, v23, v25, s[0:1]
	v_lshl_add_u32 v22, v22, 10, v34
	v_and_b32_e32 v23, 7, v24
	v_and_b32_e32 v22, 0xfc00, v22
	v_cndmask_b32_e64 v20, v20, v23, s[0:1]
	v_and_or_b32 v10, v10, s29, v22
	v_lshl_or_b32 v20, v20, 7, v10
.LBB251_790:                            ;   in Loop: Header=BB251_424 Depth=1
	s_or_b64 exec, exec, s[22:23]
.LBB251_791:                            ;   in Loop: Header=BB251_424 Depth=1
	s_or_b64 exec, exec, s[14:15]
.LBB251_792:                            ;   in Loop: Header=BB251_424 Depth=1
	s_or_b64 exec, exec, s[12:13]
	v_cmp_lt_u32_e64 s[0:1], s7, v18
	s_and_saveexec_b64 s[12:13], s[0:1]
	s_cbranch_execz .LBB251_798
; %bb.793:                              ;   in Loop: Header=BB251_424 Depth=1
	v_lshrrev_b32_e32 v10, 24, v18
	v_cmp_ne_u32_e64 s[0:1], s24, v10
	v_bfrev_b32_e32 v21, 1
	s_and_saveexec_b64 s[14:15], s[0:1]
	s_cbranch_execz .LBB251_797
; %bb.794:                              ;   in Loop: Header=BB251_424 Depth=1
	v_and_b32_e32 v22, 0x7f, v10
	v_cmp_ne_u32_e64 s[0:1], s25, v22
	v_mov_b32_e32 v21, 0x7c010000
	s_and_saveexec_b64 s[22:23], s[0:1]
	s_cbranch_execz .LBB251_796
; %bb.795:                              ;   in Loop: Header=BB251_424 Depth=1
	v_and_b32_e32 v21, 7, v10
	v_ffbh_u32_e32 v24, v21
	v_min_u32_e32 v58, 32, v24
	v_subrev_u32_e32 v24, 28, v58
	v_lshlrev_b64 v[24:25], v24, v[10:11]
	v_lshrrev_b32_e32 v23, 3, v22
	v_sub_u32_e32 v25, 29, v58
	v_cmp_gt_u32_e64 s[0:1], 8, v22
	v_lshlrev_b32_e32 v10, 8, v10
	s_nop 0
	v_cndmask_b32_e64 v22, v23, v25, s[0:1]
	v_lshl_add_u32 v22, v22, 10, v34
	v_and_b32_e32 v23, 7, v24
	v_and_or_b32 v10, v10, s29, v22
	v_cndmask_b32_e64 v21, v21, v23, s[0:1]
	v_lshlrev_b32_e32 v10, 16, v10
	v_lshl_or_b32 v21, v21, 23, v10
.LBB251_796:                            ;   in Loop: Header=BB251_424 Depth=1
	s_or_b64 exec, exec, s[22:23]
.LBB251_797:                            ;   in Loop: Header=BB251_424 Depth=1
	s_or_b64 exec, exec, s[14:15]
.LBB251_798:                            ;   in Loop: Header=BB251_424 Depth=1
	s_or_b64 exec, exec, s[12:13]
	v_mov_b32_e32 v10, v19
	v_cmp_ne_u16_sdwa s[0:1], v19, v11 src0_sel:BYTE_0 src1_sel:DWORD
	v_mov_b32_e32 v22, 0
	v_mov_b32_e32 v23, 0
	s_and_saveexec_b64 s[12:13], s[0:1]
	s_cbranch_execz .LBB251_804
; %bb.799:                              ;   in Loop: Header=BB251_424 Depth=1
	v_cmp_ne_u16_sdwa s[0:1], v19, s24 src0_sel:BYTE_0 src1_sel:DWORD
	v_mov_b32_e32 v23, 0x8000
	s_and_saveexec_b64 s[14:15], s[0:1]
	s_cbranch_execz .LBB251_803
; %bb.800:                              ;   in Loop: Header=BB251_424 Depth=1
	v_and_b32_e32 v24, 0x7f, v19
	v_cmp_ne_u32_e64 s[0:1], s25, v24
	v_mov_b32_e32 v23, 0x7c01
	s_and_saveexec_b64 s[22:23], s[0:1]
	s_cbranch_execz .LBB251_802
; %bb.801:                              ;   in Loop: Header=BB251_424 Depth=1
	v_and_b32_e32 v23, 7, v19
	v_ffbh_u32_e32 v58, v23
	v_min_u32_e32 v60, 32, v58
	v_subrev_u32_e32 v58, 28, v60
	v_lshlrev_b64 v[58:59], v58, v[10:11]
	v_lshrrev_b32_e32 v25, 3, v24
	v_sub_u32_e32 v59, 29, v60
	v_cmp_gt_u32_e64 s[0:1], 8, v24
	v_and_b32_e32 v58, 7, v58
	s_nop 0
	v_cndmask_b32_e64 v24, v25, v59, s[0:1]
	v_lshl_add_u32 v24, v24, 10, v34
	v_lshlrev_b32_e32 v25, 8, v19
	v_and_b32_e32 v24, 0xfc00, v24
	v_cndmask_b32_e64 v23, v23, v58, s[0:1]
	v_and_or_b32 v24, v25, s29, v24
	v_lshl_or_b32 v23, v23, 7, v24
.LBB251_802:                            ;   in Loop: Header=BB251_424 Depth=1
	s_or_b64 exec, exec, s[22:23]
.LBB251_803:                            ;   in Loop: Header=BB251_424 Depth=1
	s_or_b64 exec, exec, s[14:15]
.LBB251_804:                            ;   in Loop: Header=BB251_424 Depth=1
	s_or_b64 exec, exec, s[12:13]
	v_lshrrev_b16_e32 v10, 8, v10
	v_cmp_ne_u16_e64 s[0:1], 0, v10
	v_mov_b32_e32 v24, 0
	s_and_saveexec_b64 s[12:13], s[0:1]
	s_cbranch_execz .LBB251_810
; %bb.805:                              ;   in Loop: Header=BB251_424 Depth=1
	v_cmp_ne_u16_e64 s[0:1], s24, v10
	v_bfrev_b32_e32 v24, 1
	s_and_saveexec_b64 s[14:15], s[0:1]
	s_cbranch_execz .LBB251_809
; %bb.806:                              ;   in Loop: Header=BB251_424 Depth=1
	v_and_b32_e32 v25, 0x7f, v10
	v_cmp_ne_u32_e64 s[0:1], s25, v25
	v_mov_b32_e32 v24, 0x7c010000
	s_and_saveexec_b64 s[22:23], s[0:1]
	s_cbranch_execz .LBB251_808
; %bb.807:                              ;   in Loop: Header=BB251_424 Depth=1
	v_and_b32_e32 v24, 7, v10
	v_ffbh_u32_e32 v58, v24
	v_min_u32_e32 v61, 32, v58
	v_subrev_u32_e32 v58, 28, v61
	v_lshlrev_b64 v[58:59], v58, v[10:11]
	v_lshrrev_b32_e32 v60, 3, v25
	v_sub_u32_e32 v59, 29, v61
	v_cmp_gt_u32_e64 s[0:1], 8, v25
	v_lshlrev_b32_e32 v10, 8, v10
	v_and_b32_e32 v58, 7, v58
	v_cndmask_b32_e64 v25, v60, v59, s[0:1]
	v_lshl_add_u32 v25, v25, 10, v34
	v_and_or_b32 v10, v10, s29, v25
	v_cndmask_b32_e64 v24, v24, v58, s[0:1]
	v_lshlrev_b32_e32 v10, 16, v10
	v_lshl_or_b32 v24, v24, 23, v10
.LBB251_808:                            ;   in Loop: Header=BB251_424 Depth=1
	s_or_b64 exec, exec, s[22:23]
.LBB251_809:                            ;   in Loop: Header=BB251_424 Depth=1
	s_or_b64 exec, exec, s[14:15]
.LBB251_810:                            ;   in Loop: Header=BB251_424 Depth=1
	s_or_b64 exec, exec, s[12:13]
	v_lshrrev_b32_e32 v10, 16, v19
	v_cmp_ne_u16_sdwa s[0:1], v10, v11 src0_sel:BYTE_0 src1_sel:DWORD
	s_and_saveexec_b64 s[12:13], s[0:1]
	s_cbranch_execz .LBB251_816
; %bb.811:                              ;   in Loop: Header=BB251_424 Depth=1
	v_cmp_ne_u16_sdwa s[0:1], v10, s24 src0_sel:BYTE_0 src1_sel:DWORD
	v_mov_b32_e32 v22, 0x8000
	s_and_saveexec_b64 s[14:15], s[0:1]
	s_cbranch_execz .LBB251_815
; %bb.812:                              ;   in Loop: Header=BB251_424 Depth=1
	v_bfe_u32 v25, v19, 16, 7
	v_cmp_ne_u32_e64 s[0:1], s25, v25
	v_mov_b32_e32 v22, 0x7c01
	s_and_saveexec_b64 s[22:23], s[0:1]
	s_cbranch_execz .LBB251_814
; %bb.813:                              ;   in Loop: Header=BB251_424 Depth=1
	v_and_b32_e32 v22, 7, v10
	v_ffbh_u32_e32 v58, v22
	v_min_u32_e32 v61, 32, v58
	v_subrev_u32_e32 v58, 28, v61
	v_lshlrev_b64 v[58:59], v58, v[10:11]
	v_lshrrev_b32_e32 v60, 3, v25
	v_sub_u32_e32 v59, 29, v61
	v_cmp_gt_u32_e64 s[0:1], 8, v25
	v_lshlrev_b32_e32 v10, 8, v10
	v_and_b32_e32 v58, 7, v58
	v_cndmask_b32_e64 v25, v60, v59, s[0:1]
	v_lshl_add_u32 v25, v25, 10, v34
	v_and_b32_e32 v25, 0xfc00, v25
	v_cndmask_b32_e64 v22, v22, v58, s[0:1]
	v_and_or_b32 v10, v10, s29, v25
	v_lshl_or_b32 v22, v22, 7, v10
.LBB251_814:                            ;   in Loop: Header=BB251_424 Depth=1
	s_or_b64 exec, exec, s[22:23]
.LBB251_815:                            ;   in Loop: Header=BB251_424 Depth=1
	s_or_b64 exec, exec, s[14:15]
.LBB251_816:                            ;   in Loop: Header=BB251_424 Depth=1
	s_or_b64 exec, exec, s[12:13]
	v_cmp_lt_u64_e64 s[0:1], s[6:7], v[18:19]
	v_mov_b32_e32 v25, 0
	s_and_saveexec_b64 s[12:13], s[0:1]
	s_cbranch_execz .LBB251_822
; %bb.817:                              ;   in Loop: Header=BB251_424 Depth=1
	v_lshrrev_b32_e32 v10, 24, v19
	v_cmp_ne_u32_e64 s[0:1], s24, v10
	v_bfrev_b32_e32 v25, 1
	s_and_saveexec_b64 s[14:15], s[0:1]
	s_cbranch_execz .LBB251_821
; %bb.818:                              ;   in Loop: Header=BB251_424 Depth=1
	v_and_b32_e32 v18, 0x7f, v10
	v_cmp_ne_u32_e64 s[0:1], s25, v18
	v_mov_b32_e32 v25, 0x7c010000
	s_and_saveexec_b64 s[22:23], s[0:1]
	s_cbranch_execz .LBB251_820
; %bb.819:                              ;   in Loop: Header=BB251_424 Depth=1
	v_and_b32_e32 v19, 7, v10
	v_ffbh_u32_e32 v58, v19
	v_min_u32_e32 v60, 32, v58
	v_subrev_u32_e32 v58, 28, v60
	v_lshlrev_b64 v[58:59], v58, v[10:11]
	v_lshrrev_b32_e32 v25, 3, v18
	v_sub_u32_e32 v59, 29, v60
	v_cmp_gt_u32_e64 s[0:1], 8, v18
	v_lshlrev_b32_e32 v10, 8, v10
	s_nop 0
	v_cndmask_b32_e64 v18, v25, v59, s[0:1]
	v_lshl_add_u32 v18, v18, 10, v34
	v_and_b32_e32 v25, 7, v58
	v_and_or_b32 v10, v10, s29, v18
	v_cndmask_b32_e64 v19, v19, v25, s[0:1]
	v_lshlrev_b32_e32 v10, 16, v10
	v_lshl_or_b32 v25, v19, 23, v10
.LBB251_820:                            ;   in Loop: Header=BB251_424 Depth=1
	s_or_b64 exec, exec, s[22:23]
.LBB251_821:                            ;   in Loop: Header=BB251_424 Depth=1
	s_or_b64 exec, exec, s[14:15]
.LBB251_822:                            ;   in Loop: Header=BB251_424 Depth=1
	s_or_b64 exec, exec, s[12:13]
	v_cvt_f32_f16_sdwa v19, v1 dst_sel:DWORD dst_unused:UNUSED_PAD src0_sel:WORD_1
	v_cvt_f32_f16_sdwa v18, v21 dst_sel:DWORD dst_unused:UNUSED_PAD src0_sel:WORD_1
	v_or_b32_e32 v1, v1, v17
	v_or_b32_e32 v10, v21, v20
	v_cvt_f32_f16_e32 v20, v10
	v_cvt_f32_f16_e32 v21, v1
	s_waitcnt vmcnt(0)
	v_pk_mul_f32 v[18:19], v[16:17], v[18:19] op_sel_hi:[0,1]
	v_cvt_pk_f16_f32 v1, v18, v19
	v_and_b32_e32 v17, 0xffff0000, v1
	v_pk_mul_f32 v[20:21], v[16:17], v[20:21] op_sel_hi:[0,1]
	v_lshlrev_b32_e32 v18, 16, v1
	v_cvt_pk_f16_f32 v1, v20, v21
	v_or_b32_e32 v10, v24, v23
	v_or_b32_e32 v21, v25, v22
	v_cvt_f32_f16_e32 v22, v21
	v_cvt_f32_f16_e32 v23, v10
	v_cvt_f32_f16_sdwa v59, v24 dst_sel:DWORD dst_unused:UNUSED_PAD src0_sel:WORD_1
	v_cvt_f32_f16_sdwa v58, v25 dst_sel:DWORD dst_unused:UNUSED_PAD src0_sel:WORD_1
	v_lshrrev_b32_e32 v19, 16, v1
	v_pk_mul_f32 v[22:23], v[16:17], v[22:23] op_sel_hi:[0,1]
	v_cvt_pk_f16_f32 v21, v22, v23
	v_pk_mul_f32 v[22:23], v[16:17], v[58:59] op_sel_hi:[0,1]
	v_cvt_pk_f16_f32 v16, v22, v23
	v_and_b32_e32 v20, 0xffff, v1
	v_and_b32_e32 v23, 0xffff0000, v16
	v_lshlrev_b32_e32 v22, 16, v16
	v_lshrrev_b32_e32 v25, 16, v21
	v_and_b32_e32 v24, 0xffff, v21
	v_or_b32_e32 v1, v17, v19
	v_or_b32_e32 v10, v18, v20
	;; [unrolled: 1-line block ×4, first 2 shown]
	s_and_saveexec_b64 s[0:1], vcc
	s_cbranch_execz .LBB251_423
; %bb.823:                              ;   in Loop: Header=BB251_424 Depth=1
	v_cmp_gt_i32_e32 vcc, s27, v32
	s_nop 1
	v_cndmask_b32_e32 v1, 0, v19, vcc
	v_cmp_gt_i32_e32 vcc, s33, v42
	s_nop 1
	v_cndmask_b32_e32 v10, 0, v20, vcc
	;; [unrolled: 3-line block ×3, first 2 shown]
	v_cmp_gt_i32_e32 vcc, s33, v39
	v_or_b32_e32 v1, v16, v1
	s_nop 0
	v_cndmask_b32_e32 v17, 0, v18, vcc
	v_cmp_gt_i32_e32 vcc, s27, v38
	v_or_b32_e32 v10, v17, v10
	s_nop 0
	v_cndmask_b32_e32 v16, 0, v25, vcc
	v_cmp_gt_i32_e32 vcc, s33, v37
	s_nop 1
	v_cndmask_b32_e32 v17, 0, v24, vcc
	v_cmp_gt_i32_e32 vcc, s27, v36
	s_nop 1
	v_cndmask_b32_e32 v18, 0, v23, vcc
	v_cmp_gt_i32_e32 vcc, s33, v35
	v_or_b32_e32 v21, v18, v16
	s_nop 0
	v_cndmask_b32_e32 v19, 0, v22, vcc
	v_or_b32_e32 v16, v19, v17
	s_branch .LBB251_423
.LBB251_824:
	s_or_b64 exec, exec, s[8:9]
.LBB251_825:
	s_or_b64 exec, exec, s[2:3]
	ds_bpermute_b32 v10, v30, v8
	ds_bpermute_b32 v11, v30, v9
	;; [unrolled: 1-line block ×6, first 2 shown]
	s_waitcnt lgkmcnt(4)
	v_pk_add_f32 v[8:9], v[8:9], v[10:11]
	ds_bpermute_b32 v10, v30, v2
	ds_bpermute_b32 v11, v30, v3
	v_and_b32_e32 v1, 0x3c1, v0
	s_waitcnt lgkmcnt(4)
	v_pk_add_f32 v[6:7], v[6:7], v[12:13]
	s_waitcnt lgkmcnt(2)
	v_pk_add_f32 v[4:5], v[4:5], v[14:15]
	v_cmp_ne_u32_e32 vcc, 64, v1
	s_waitcnt lgkmcnt(0)
	s_barrier
	s_and_saveexec_b64 s[0:1], vcc
	s_xor_b64 s[0:1], exec, s[0:1]
; %bb.826:
                                        ; implicit-def: $vgpr29
; %bb.827:
	s_or_saveexec_b64 s[0:1], s[0:1]
	v_pk_add_f32 v[2:3], v[2:3], v[10:11]
	s_xor_b64 exec, exec, s[0:1]
	s_cbranch_execz .LBB251_829
; %bb.828:
	v_mov_b32_e32 v10, 0x210
	v_lshl_add_u32 v10, v29, 1, v10
	ds_write2_b32 v10, v8, v9 offset1:32
	ds_write2_b32 v10, v6, v7 offset0:64 offset1:96
	ds_write2_b32 v10, v4, v5 offset0:128 offset1:160
	;; [unrolled: 1-line block ×3, first 2 shown]
.LBB251_829:
	s_or_b64 exec, exec, s[0:1]
	v_cmp_gt_u32_e32 vcc, 64, v0
	v_lshrrev_b32_e32 v0, 1, v0
	s_waitcnt lgkmcnt(0)
	s_barrier
	s_and_saveexec_b64 s[0:1], vcc
	s_cbranch_execz .LBB251_840
; %bb.830:
	v_mov_b32_e32 v10, 0x210
	v_cmp_eq_u32_e32 vcc, 0, v31
	v_lshl_add_u32 v10, v0, 2, v10
	s_and_saveexec_b64 s[2:3], vcc
	s_cbranch_execnz .LBB251_843
; %bb.831:
	s_or_b64 exec, exec, s[2:3]
	s_and_saveexec_b64 s[2:3], vcc
	s_cbranch_execnz .LBB251_844
.LBB251_832:
	s_or_b64 exec, exec, s[2:3]
	s_and_saveexec_b64 s[2:3], vcc
	s_cbranch_execnz .LBB251_845
.LBB251_833:
	s_or_b64 exec, exec, s[2:3]
	s_and_saveexec_b64 s[2:3], vcc
	s_cbranch_execnz .LBB251_846
.LBB251_834:
	s_or_b64 exec, exec, s[2:3]
	s_and_saveexec_b64 s[2:3], vcc
	s_cbranch_execnz .LBB251_847
.LBB251_835:
	s_or_b64 exec, exec, s[2:3]
	s_and_saveexec_b64 s[2:3], vcc
	s_cbranch_execnz .LBB251_848
.LBB251_836:
	s_or_b64 exec, exec, s[2:3]
	s_and_saveexec_b64 s[2:3], vcc
	s_cbranch_execnz .LBB251_849
.LBB251_837:
	s_or_b64 exec, exec, s[2:3]
	s_and_saveexec_b64 s[2:3], vcc
	s_cbranch_execz .LBB251_839
.LBB251_838:
	ds_read_b32 v10, v10 offset:896
	s_waitcnt lgkmcnt(0)
	v_add_f32_e32 v3, v3, v10
.LBB251_839:
	s_or_b64 exec, exec, s[2:3]
.LBB251_840:
	s_or_b64 exec, exec, s[0:1]
	v_cmp_eq_u32_e32 vcc, 0, v1
	s_barrier
	s_and_saveexec_b64 s[0:1], vcc
	s_cbranch_execz .LBB251_842
; %bb.841:
	s_mul_i32 s0, s16, s17
	s_mul_i32 s0, s0, s5
	s_lshl_b32 s0, s0, 8
	s_ashr_i32 s1, s0, 31
	s_lshl_b64 s[0:1], s[0:1], 1
	s_add_u32 s2, s20, s0
	s_mul_i32 s0, s17, s18
	s_addc_u32 s3, s21, s1
	s_ashr_i32 s1, s0, 31
	s_lshl_b64 s[0:1], s[0:1], 1
	s_add_u32 s2, s2, s0
	s_addc_u32 s3, s3, s1
	s_lshl_b32 s0, s4, 8
	s_ashr_i32 s1, s0, 31
	s_lshl_b64 s[0:1], s[0:1], 1
	s_add_u32 s0, s2, s0
	s_addc_u32 s1, s3, s1
	v_lshlrev_b32_e32 v0, 1, v0
	;;#ASMSTART
	v_cvt_f16_f32 v1, v8;

	;;#ASMEND
	global_store_short v0, v1, s[0:1]
	;;#ASMSTART
	v_cvt_f16_f32 v1, v9;

	;;#ASMEND
	global_store_short v0, v1, s[0:1] offset:64
	;;#ASMSTART
	v_cvt_f16_f32 v1, v6;

	;;#ASMEND
	global_store_short v0, v1, s[0:1] offset:128
	;; [unrolled: 5-line block ×7, first 2 shown]
.LBB251_842:
	s_endpgm
.LBB251_843:
	ds_read_b32 v11, v10
	s_waitcnt lgkmcnt(0)
	v_add_f32_e32 v8, v8, v11
	s_or_b64 exec, exec, s[2:3]
	s_and_saveexec_b64 s[2:3], vcc
	s_cbranch_execz .LBB251_832
.LBB251_844:
	ds_read_b32 v11, v10 offset:128
	s_waitcnt lgkmcnt(0)
	v_add_f32_e32 v9, v9, v11
	s_or_b64 exec, exec, s[2:3]
	s_and_saveexec_b64 s[2:3], vcc
	s_cbranch_execz .LBB251_833
.LBB251_845:
	ds_read_b32 v11, v10 offset:256
	s_waitcnt lgkmcnt(0)
	v_add_f32_e32 v6, v6, v11
	s_or_b64 exec, exec, s[2:3]
	s_and_saveexec_b64 s[2:3], vcc
	s_cbranch_execz .LBB251_834
.LBB251_846:
	ds_read_b32 v11, v10 offset:384
	s_waitcnt lgkmcnt(0)
	v_add_f32_e32 v7, v7, v11
	s_or_b64 exec, exec, s[2:3]
	s_and_saveexec_b64 s[2:3], vcc
	s_cbranch_execz .LBB251_835
.LBB251_847:
	ds_read_b32 v11, v10 offset:512
	s_waitcnt lgkmcnt(0)
	v_add_f32_e32 v4, v4, v11
	s_or_b64 exec, exec, s[2:3]
	s_and_saveexec_b64 s[2:3], vcc
	s_cbranch_execz .LBB251_836
.LBB251_848:
	ds_read_b32 v11, v10 offset:640
	s_waitcnt lgkmcnt(0)
	v_add_f32_e32 v5, v5, v11
	s_or_b64 exec, exec, s[2:3]
	s_and_saveexec_b64 s[2:3], vcc
	s_cbranch_execz .LBB251_837
.LBB251_849:
	ds_read_b32 v11, v10 offset:768
	s_waitcnt lgkmcnt(0)
	v_add_f32_e32 v2, v2, v11
	s_or_b64 exec, exec, s[2:3]
	s_and_saveexec_b64 s[2:3], vcc
	s_cbranch_execnz .LBB251_838
	s_branch .LBB251_839
	.section	.rodata,"a",@progbits
	.p2align	6, 0x0
	.amdhsa_kernel _ZN4vllm25paged_attention_v1_kernelIthLi256ELi16ELi128ELNS_18Fp8KVCacheDataTypeE1ELb0EEEvPT_PKS2_PKT0_S8_ifPKiSA_iPKfiiiSC_SC_iiiii
		.amdhsa_group_segment_fixed_size 528
		.amdhsa_private_segment_fixed_size 0
		.amdhsa_kernarg_size 384
		.amdhsa_user_sgpr_count 2
		.amdhsa_user_sgpr_dispatch_ptr 0
		.amdhsa_user_sgpr_queue_ptr 0
		.amdhsa_user_sgpr_kernarg_segment_ptr 1
		.amdhsa_user_sgpr_dispatch_id 0
		.amdhsa_user_sgpr_kernarg_preload_length 0
		.amdhsa_user_sgpr_kernarg_preload_offset 0
		.amdhsa_user_sgpr_private_segment_size 0
		.amdhsa_uses_dynamic_stack 0
		.amdhsa_enable_private_segment 0
		.amdhsa_system_sgpr_workgroup_id_x 1
		.amdhsa_system_sgpr_workgroup_id_y 1
		.amdhsa_system_sgpr_workgroup_id_z 1
		.amdhsa_system_sgpr_workgroup_info 0
		.amdhsa_system_vgpr_workitem_id 0
		.amdhsa_next_free_vgpr 102
		.amdhsa_next_free_sgpr 45
		.amdhsa_accum_offset 104
		.amdhsa_reserve_vcc 1
		.amdhsa_float_round_mode_32 0
		.amdhsa_float_round_mode_16_64 0
		.amdhsa_float_denorm_mode_32 3
		.amdhsa_float_denorm_mode_16_64 3
		.amdhsa_dx10_clamp 1
		.amdhsa_ieee_mode 1
		.amdhsa_fp16_overflow 0
		.amdhsa_tg_split 0
		.amdhsa_exception_fp_ieee_invalid_op 0
		.amdhsa_exception_fp_denorm_src 0
		.amdhsa_exception_fp_ieee_div_zero 0
		.amdhsa_exception_fp_ieee_overflow 0
		.amdhsa_exception_fp_ieee_underflow 0
		.amdhsa_exception_fp_ieee_inexact 0
		.amdhsa_exception_int_div_zero 0
	.end_amdhsa_kernel
	.section	.text._ZN4vllm25paged_attention_v1_kernelIthLi256ELi16ELi128ELNS_18Fp8KVCacheDataTypeE1ELb0EEEvPT_PKS2_PKT0_S8_ifPKiSA_iPKfiiiSC_SC_iiiii,"axG",@progbits,_ZN4vllm25paged_attention_v1_kernelIthLi256ELi16ELi128ELNS_18Fp8KVCacheDataTypeE1ELb0EEEvPT_PKS2_PKT0_S8_ifPKiSA_iPKfiiiSC_SC_iiiii,comdat
.Lfunc_end251:
	.size	_ZN4vllm25paged_attention_v1_kernelIthLi256ELi16ELi128ELNS_18Fp8KVCacheDataTypeE1ELb0EEEvPT_PKS2_PKT0_S8_ifPKiSA_iPKfiiiSC_SC_iiiii, .Lfunc_end251-_ZN4vllm25paged_attention_v1_kernelIthLi256ELi16ELi128ELNS_18Fp8KVCacheDataTypeE1ELb0EEEvPT_PKS2_PKT0_S8_ifPKiSA_iPKfiiiSC_SC_iiiii
                                        ; -- End function
	.set _ZN4vllm25paged_attention_v1_kernelIthLi256ELi16ELi128ELNS_18Fp8KVCacheDataTypeE1ELb0EEEvPT_PKS2_PKT0_S8_ifPKiSA_iPKfiiiSC_SC_iiiii.num_vgpr, 102
	.set _ZN4vllm25paged_attention_v1_kernelIthLi256ELi16ELi128ELNS_18Fp8KVCacheDataTypeE1ELb0EEEvPT_PKS2_PKT0_S8_ifPKiSA_iPKfiiiSC_SC_iiiii.num_agpr, 0
	.set _ZN4vllm25paged_attention_v1_kernelIthLi256ELi16ELi128ELNS_18Fp8KVCacheDataTypeE1ELb0EEEvPT_PKS2_PKT0_S8_ifPKiSA_iPKfiiiSC_SC_iiiii.numbered_sgpr, 45
	.set _ZN4vllm25paged_attention_v1_kernelIthLi256ELi16ELi128ELNS_18Fp8KVCacheDataTypeE1ELb0EEEvPT_PKS2_PKT0_S8_ifPKiSA_iPKfiiiSC_SC_iiiii.num_named_barrier, 0
	.set _ZN4vllm25paged_attention_v1_kernelIthLi256ELi16ELi128ELNS_18Fp8KVCacheDataTypeE1ELb0EEEvPT_PKS2_PKT0_S8_ifPKiSA_iPKfiiiSC_SC_iiiii.private_seg_size, 0
	.set _ZN4vllm25paged_attention_v1_kernelIthLi256ELi16ELi128ELNS_18Fp8KVCacheDataTypeE1ELb0EEEvPT_PKS2_PKT0_S8_ifPKiSA_iPKfiiiSC_SC_iiiii.uses_vcc, 1
	.set _ZN4vllm25paged_attention_v1_kernelIthLi256ELi16ELi128ELNS_18Fp8KVCacheDataTypeE1ELb0EEEvPT_PKS2_PKT0_S8_ifPKiSA_iPKfiiiSC_SC_iiiii.uses_flat_scratch, 0
	.set _ZN4vllm25paged_attention_v1_kernelIthLi256ELi16ELi128ELNS_18Fp8KVCacheDataTypeE1ELb0EEEvPT_PKS2_PKT0_S8_ifPKiSA_iPKfiiiSC_SC_iiiii.has_dyn_sized_stack, 0
	.set _ZN4vllm25paged_attention_v1_kernelIthLi256ELi16ELi128ELNS_18Fp8KVCacheDataTypeE1ELb0EEEvPT_PKS2_PKT0_S8_ifPKiSA_iPKfiiiSC_SC_iiiii.has_recursion, 0
	.set _ZN4vllm25paged_attention_v1_kernelIthLi256ELi16ELi128ELNS_18Fp8KVCacheDataTypeE1ELb0EEEvPT_PKS2_PKT0_S8_ifPKiSA_iPKfiiiSC_SC_iiiii.has_indirect_call, 0
	.section	.AMDGPU.csdata,"",@progbits
; Kernel info:
; codeLenInByte = 36860
; TotalNumSgprs: 51
; NumVgprs: 102
; NumAgprs: 0
; TotalNumVgprs: 102
; ScratchSize: 0
; MemoryBound: 0
; FloatMode: 240
; IeeeMode: 1
; LDSByteSize: 528 bytes/workgroup (compile time only)
; SGPRBlocks: 6
; VGPRBlocks: 12
; NumSGPRsForWavesPerEU: 51
; NumVGPRsForWavesPerEU: 102
; AccumOffset: 104
; Occupancy: 4
; WaveLimiterHint : 1
; COMPUTE_PGM_RSRC2:SCRATCH_EN: 0
; COMPUTE_PGM_RSRC2:USER_SGPR: 2
; COMPUTE_PGM_RSRC2:TRAP_HANDLER: 0
; COMPUTE_PGM_RSRC2:TGID_X_EN: 1
; COMPUTE_PGM_RSRC2:TGID_Y_EN: 1
; COMPUTE_PGM_RSRC2:TGID_Z_EN: 1
; COMPUTE_PGM_RSRC2:TIDIG_COMP_CNT: 0
; COMPUTE_PGM_RSRC3_GFX90A:ACCUM_OFFSET: 25
; COMPUTE_PGM_RSRC3_GFX90A:TG_SPLIT: 0
	.section	.text._ZN4vllm25paged_attention_v1_kernelIthLi32ELi32ELi128ELNS_18Fp8KVCacheDataTypeE1ELb1EEEvPT_PKS2_PKT0_S8_ifPKiSA_iPKfiiiSC_SC_iiiii,"axG",@progbits,_ZN4vllm25paged_attention_v1_kernelIthLi32ELi32ELi128ELNS_18Fp8KVCacheDataTypeE1ELb1EEEvPT_PKS2_PKT0_S8_ifPKiSA_iPKfiiiSC_SC_iiiii,comdat
	.protected	_ZN4vllm25paged_attention_v1_kernelIthLi32ELi32ELi128ELNS_18Fp8KVCacheDataTypeE1ELb1EEEvPT_PKS2_PKT0_S8_ifPKiSA_iPKfiiiSC_SC_iiiii ; -- Begin function _ZN4vllm25paged_attention_v1_kernelIthLi32ELi32ELi128ELNS_18Fp8KVCacheDataTypeE1ELb1EEEvPT_PKS2_PKT0_S8_ifPKiSA_iPKfiiiSC_SC_iiiii
	.globl	_ZN4vllm25paged_attention_v1_kernelIthLi32ELi32ELi128ELNS_18Fp8KVCacheDataTypeE1ELb1EEEvPT_PKS2_PKT0_S8_ifPKiSA_iPKfiiiSC_SC_iiiii
	.p2align	8
	.type	_ZN4vllm25paged_attention_v1_kernelIthLi32ELi32ELi128ELNS_18Fp8KVCacheDataTypeE1ELb1EEEvPT_PKS2_PKT0_S8_ifPKiSA_iPKfiiiSC_SC_iiiii,@function
_ZN4vllm25paged_attention_v1_kernelIthLi32ELi32ELi128ELNS_18Fp8KVCacheDataTypeE1ELb1EEEvPT_PKS2_PKT0_S8_ifPKiSA_iPKfiiiSC_SC_iiiii: ; @_ZN4vllm25paged_attention_v1_kernelIthLi32ELi32ELi128ELNS_18Fp8KVCacheDataTypeE1ELb1EEEvPT_PKS2_PKT0_S8_ifPKiSA_iPKfiiiSC_SC_iiiii
; %bb.0:
	s_load_dword s5, s[0:1], 0x80
	s_load_dwordx2 s[6:7], s[0:1], 0x30
	s_load_dwordx2 s[36:37], s[0:1], 0x20
	s_mov_b32 s10, s3
	s_ashr_i32 s11, s3, 31
	s_lshl_b64 s[8:9], s[10:11], 2
	s_waitcnt lgkmcnt(0)
	s_add_u32 s6, s6, s8
	s_addc_u32 s7, s7, s9
	s_abs_i32 s3, s36
	v_cvt_f32_u32_e32 v1, s3
	s_sub_i32 s11, 0, s3
	s_abs_i32 s9, s5
	s_xor_b32 s8, s5, s36
	v_rcp_iflag_f32_e32 v1, v1
	s_ashr_i32 s8, s8, 31
	s_mov_b32 s48, 0
	v_mul_f32_e32 v1, 0x4f7ffffe, v1
	v_cvt_u32_f32_e32 v1, v1
	s_nop 0
	v_readfirstlane_b32 s12, v1
	s_mul_i32 s11, s11, s12
	s_mul_hi_u32 s11, s12, s11
	s_add_i32 s12, s12, s11
	s_mul_hi_u32 s11, s9, s12
	s_mul_i32 s12, s11, s3
	s_sub_i32 s9, s9, s12
	s_add_i32 s12, s11, 1
	s_sub_i32 s13, s9, s3
	s_cmp_ge_u32 s9, s3
	s_cselect_b32 s11, s12, s11
	s_cselect_b32 s9, s13, s9
	s_add_i32 s12, s11, 1
	s_cmp_ge_u32 s9, s3
	s_cselect_b32 s3, s12, s11
	s_xor_b32 s3, s3, s8
	s_sub_i32 s15, s3, s8
	s_abs_i32 s12, s15
	v_cvt_f32_u32_e32 v1, s12
	s_load_dwordx2 s[8:9], s[0:1], 0x40
	s_sub_i32 s3, 0, s12
	s_abs_i32 s13, s2
	v_rcp_iflag_f32_e32 v1, v1
	s_nop 0
	v_mul_f32_e32 v1, 0x4f7ffffe, v1
	v_cvt_u32_f32_e32 v1, v1
	s_nop 0
	v_readfirstlane_b32 s11, v1
	s_mul_i32 s3, s3, s11
	s_mul_hi_u32 s3, s11, s3
	s_add_i32 s11, s11, s3
	s_waitcnt lgkmcnt(0)
	s_cmp_eq_u64 s[8:9], 0
	s_mul_hi_u32 s14, s13, s11
	s_cbranch_scc1 .LBB252_2
; %bb.1:
	s_ashr_i32 s3, s2, 31
	s_lshl_b64 s[16:17], s[2:3], 2
	s_add_u32 s8, s8, s16
	s_addc_u32 s9, s9, s17
	s_load_dword s48, s[8:9], 0x0
.LBB252_2:
	s_load_dword s11, s[6:7], 0x0
	s_load_dwordx4 s[16:19], s[0:1], 0x48
	s_ashr_i32 s3, s2, 31
	s_ashr_i32 s9, s15, 31
	v_and_b32_e32 v4, 1, v0
	s_lshl_b32 s24, s2, 5
	v_cmp_gt_u32_e32 vcc, 8, v0
	v_lshlrev_b32_e32 v1, 3, v0
	s_and_saveexec_b64 s[6:7], vcc
	s_cbranch_execz .LBB252_4
; %bb.3:
	s_load_dwordx2 s[20:21], s[0:1], 0x8
	s_waitcnt lgkmcnt(0)
	s_mul_i32 s22, s16, s10
	s_ashr_i32 s23, s22, 31
	s_lshl_b64 s[22:23], s[22:23], 1
	v_lshlrev_b32_e32 v5, 2, v0
	s_add_u32 s8, s20, s22
	s_addc_u32 s15, s21, s23
	s_ashr_i32 s25, s24, 31
	s_lshl_b64 s[20:21], s[24:25], 1
	s_add_u32 s20, s8, s20
	s_addc_u32 s21, s15, s21
	global_load_dwordx2 v[2:3], v1, s[20:21]
	v_and_b32_e32 v5, 0xff8, v5
	v_lshl_add_u32 v5, v4, 5, v5
	s_waitcnt vmcnt(0)
	ds_write_b64 v5, v[2:3]
.LBB252_4:
	s_or_b64 exec, exec, s[6:7]
	s_mul_i32 s6, s14, s12
	s_sub_i32 s6, s13, s6
	s_xor_b32 s3, s3, s9
	s_add_i32 s7, s14, 1
	s_sub_i32 s9, s6, s12
	s_load_dwordx4 s[20:23], s[0:1], 0x68
	s_load_dword s8, s[0:1], 0x78
	s_cmp_ge_u32 s6, s12
	s_cselect_b32 s7, s7, s14
	s_cselect_b32 s6, s9, s6
	s_add_i32 s9, s7, 1
	s_cmp_ge_u32 s6, s12
	s_cselect_b32 s6, s9, s7
	s_waitcnt lgkmcnt(0)
	s_abs_i32 s25, s23
	v_cvt_f32_u32_e32 v2, s25
	s_xor_b32 s6, s6, s3
	s_sub_i32 s3, s6, s3
	s_sub_i32 s6, 0, s25
	v_rcp_iflag_f32_e32 v2, v2
	s_add_i32 s12, s11, -1
	s_abs_i32 s9, s12
	v_mul_f32_e32 v2, 0x4f7ffffe, v2
	v_cvt_u32_f32_e32 v2, v2
	s_barrier
	v_readfirstlane_b32 s33, v2
	s_mul_i32 s6, s6, s33
	s_mul_hi_u32 s6, s33, s6
	s_add_i32 s33, s33, s6
	s_cmp_lt_i32 s8, 0
	s_mul_hi_u32 s16, s9, s33
	s_cbranch_scc0 .LBB252_6
; %bb.5:
	s_mul_i32 s6, s20, s36
	s_add_i32 s6, s3, s6
	s_mul_i32 s6, s6, s8
	s_sub_i32 s36, 1, s6
	s_mov_b64 s[6:7], 0
	s_branch .LBB252_7
.LBB252_6:
	s_mov_b64 s[6:7], -1
                                        ; implicit-def: $sgpr36
.LBB252_7:
	s_load_dwordx2 s[28:29], s[0:1], 0x28
	s_ashr_i32 s19, s12, 31
	s_andn2_b64 vcc, exec, s[6:7]
	s_ashr_i32 s46, s23, 31
	s_cbranch_vccnz .LBB252_9
; %bb.8:
	s_mul_i32 s6, s5, s20
	s_add_i32 s2, s6, s2
	s_mul_i32 s2, s2, s8
	s_add_i32 s36, s2, 1
.LBB252_9:
	s_load_dword s2, s[0:1], 0x38
	s_load_dwordx2 s[26:27], s[0:1], 0x0
	s_load_dwordx2 s[34:35], s[0:1], 0x18
	s_load_dword s23, s[0:1], 0x88
	s_load_dwordx4 s[12:15], s[0:1], 0x58
	s_mul_i32 s6, s16, s25
	s_waitcnt lgkmcnt(0)
	s_mul_i32 s30, s2, s10
	s_sub_i32 s6, s9, s6
	s_ashr_i32 s31, s30, 31
	s_xor_b32 s2, s19, s46
	s_add_i32 s7, s16, 1
	s_sub_i32 s8, s6, s25
	s_cmp_ge_u32 s6, s25
	s_cselect_b32 s7, s7, s16
	s_cselect_b32 s6, s8, s6
	s_add_i32 s8, s7, 1
	s_cmp_ge_u32 s6, s25
	s_cselect_b32 s6, s8, s7
	s_xor_b32 s6, s6, s2
	s_sub_i32 s16, s6, s2
	s_add_i32 s2, s11, 31
	s_ashr_i32 s6, s2, 31
	s_lshr_b32 s6, s6, 27
	s_add_i32 s2, s2, s6
	s_ashr_i32 s47, s2, 5
	v_lshrrev_b32_e32 v22, 6, v0
	v_cmp_gt_i32_e64 s[6:7], s47, v22
	v_mov_b32_e32 v15, 0xff7fffff
	s_mul_i32 s20, s3, s18
	v_lshrrev_b32_e32 v11, 4, v0
	v_lshlrev_b32_e32 v23, 5, v22
	v_mbcnt_lo_u32_b32 v12, -1, 0
	s_and_saveexec_b64 s[18:19], s[6:7]
	s_cbranch_execz .LBB252_117
; %bb.10:
	s_load_dwordx2 s[0:1], s[0:1], 0x10
	s_sub_i32 s49, s16, s21
	s_ashr_i32 s2, s20, 31
	v_bfe_u32 v13, v0, 1, 5
	v_mov_b32_e32 v3, 0
	s_waitcnt lgkmcnt(0)
	s_add_u32 s0, s0, s20
	s_addc_u32 s1, s1, s2
	s_abs_i32 s50, s22
	v_cvt_f32_u32_e32 v2, s50
	v_cmp_eq_u32_e32 vcc, 0, v4
	v_lshlrev_b32_e32 v14, 5, v4
	s_mov_b32 s51, s17
	v_rcp_iflag_f32_e32 v5, v2
	v_lshlrev_b32_e32 v2, 4, v13
	v_lshl_add_u64 v[6:7], s[0:1], 0, v[2:3]
	s_sub_i32 s0, 0, s50
	v_mul_f32_e32 v5, 0x4f7ffffe, v5
	v_cvt_u32_f32_e32 v5, v5
	v_lshlrev_b32_e32 v2, 2, v4
	v_cmp_neq_f32_e64 s[2:3], s48, 0
	v_lshlrev_b32_e32 v17, 5, v22
	v_mul_lo_u32 v4, s0, v5
	s_lshl_b64 s[0:1], s[30:31], 2
	v_mul_hi_u32 v4, v5, v4
	s_add_u32 s0, s28, s0
	v_add_u32_e32 v16, v5, v4
	v_lshl_add_u64 v[4:5], v[6:7], 0, v[2:3]
	v_and_b32_e32 v2, 60, v11
	s_addc_u32 s1, s29, s1
	v_lshl_add_u64 v[6:7], s[0:1], 0, v[2:3]
	v_subrev_u32_e32 v2, s11, v13
	v_add_u32_e32 v18, 1, v2
	v_lshlrev_b32_e32 v2, 2, v13
	v_lshl_or_b32 v2, v22, 7, v2
	v_add_u32_e32 v19, 0x50, v2
	v_mov_b32_e32 v20, 0xff7fffff
	s_mov_b64 s[38:39], 0
	s_movk_i32 s52, 0x80
	s_movk_i32 s53, 0x7f
	s_mov_b32 s54, 0x8000
	s_mov_b32 s55, 0xffffff
	v_mov_b32_e32 v21, 0x2000
	v_mbcnt_hi_u32_b32 v24, -1, v12
	v_mov_b32_e32 v15, 0xff7fffff
	v_mov_b32_e32 v25, v22
	s_branch .LBB252_13
.LBB252_11:                             ;   in Loop: Header=BB252_13 Depth=1
	s_or_b64 exec, exec, s[40:41]
.LBB252_12:                             ;   in Loop: Header=BB252_13 Depth=1
	s_or_b64 exec, exec, s[8:9]
	v_add_u32_e32 v25, 2, v25
	v_cmp_le_i32_e64 s[0:1], s47, v25
	v_lshl_add_u64 v[6:7], v[6:7], 0, 8
	v_add_u32_e32 v17, 64, v17
	s_or_b64 s[38:39], s[0:1], s[38:39]
	v_add_u32_e32 v19, 0x100, v19
	s_andn2_b64 exec, exec, s[38:39]
	s_cbranch_execz .LBB252_116
.LBB252_13:                             ; =>This Inner Loop Header: Depth=1
	v_mul_hi_u32 v2, v17, s33
	s_waitcnt lgkmcnt(0)
	v_mul_lo_u32 v8, v2, s25
	v_sub_u32_e32 v8, v17, v8
	v_add_u32_e32 v9, 1, v2
	v_cmp_le_u32_e64 s[0:1], s25, v8
	s_nop 1
	v_cndmask_b32_e64 v2, v2, v9, s[0:1]
	v_subrev_u32_e32 v9, s25, v8
	v_cndmask_b32_e64 v8, v8, v9, s[0:1]
	v_add_u32_e32 v9, 1, v2
	v_cmp_le_u32_e64 s[0:1], s25, v8
	s_nop 1
	v_cndmask_b32_e64 v2, v2, v9, s[0:1]
	v_xor_b32_e32 v2, s46, v2
	v_subrev_u32_e32 v2, s46, v2
	v_add_u32_e32 v8, s36, v2
	v_sub_u32_e32 v10, 0, v8
	v_ashrrev_i32_e32 v9, 31, v8
	v_max_i32_e32 v8, v8, v10
	v_mul_hi_u32 v10, v8, v16
	v_mul_lo_u32 v10, v10, s50
	v_sub_u32_e32 v8, v8, v10
	v_subrev_u32_e32 v10, s50, v8
	v_cmp_le_u32_e64 s[0:1], s50, v8
	v_cmp_ge_i32_e64 s[8:9], s49, v2
	s_nop 0
	v_cndmask_b32_e64 v8, v8, v10, s[0:1]
	v_subrev_u32_e32 v10, s50, v8
	v_cmp_le_u32_e64 s[0:1], s50, v8
	s_nop 1
	v_cndmask_b32_e64 v8, v8, v10, s[0:1]
	v_xor_b32_e32 v8, v8, v9
	v_sub_u32_e32 v8, v8, v9
	v_cmp_ne_u32_e64 s[0:1], 0, v8
	s_and_b64 s[0:1], s[0:1], s[8:9]
	s_and_saveexec_b64 s[8:9], s[0:1]
	s_xor_b64 s[0:1], exec, s[8:9]
	s_cbranch_execz .LBB252_17
; %bb.14:                               ;   in Loop: Header=BB252_13 Depth=1
	s_and_saveexec_b64 s[8:9], vcc
; %bb.15:                               ;   in Loop: Header=BB252_13 Depth=1
	ds_write_b32 v19, v20
; %bb.16:                               ;   in Loop: Header=BB252_13 Depth=1
	s_or_b64 exec, exec, s[8:9]
.LBB252_17:                             ;   in Loop: Header=BB252_13 Depth=1
	s_andn2_saveexec_b64 s[8:9], s[0:1]
	s_cbranch_execz .LBB252_12
; %bb.18:                               ;   in Loop: Header=BB252_13 Depth=1
	global_load_dword v2, v[6:7], off
	v_mov_b32_e32 v27, 0
	global_load_dword v26, v27, s[12:13]
	v_mov_b32_e32 v28, 0
	s_waitcnt vmcnt(1)
	v_mad_i64_i32 v[8:9], s[0:1], v2, s51, v[4:5]
	global_load_dword v10, v[8:9], off
	s_waitcnt vmcnt(0)
	v_cmp_ne_u16_sdwa s[0:1], v10, v3 src0_sel:BYTE_0 src1_sel:DWORD
	s_and_saveexec_b64 s[40:41], s[0:1]
	s_cbranch_execz .LBB252_24
; %bb.19:                               ;   in Loop: Header=BB252_13 Depth=1
	v_cmp_ne_u16_sdwa s[0:1], v10, s52 src0_sel:BYTE_0 src1_sel:DWORD
	v_mov_b32_e32 v28, 0x8000
	s_and_saveexec_b64 s[42:43], s[0:1]
	s_cbranch_execz .LBB252_23
; %bb.20:                               ;   in Loop: Header=BB252_13 Depth=1
	v_and_b32_e32 v2, 0x7f, v10
	v_cmp_ne_u32_e64 s[0:1], s53, v2
	v_mov_b32_e32 v28, 0x7c01
	s_and_saveexec_b64 s[44:45], s[0:1]
	s_cbranch_execz .LBB252_22
; %bb.21:                               ;   in Loop: Header=BB252_13 Depth=1
	v_and_b32_e32 v30, 7, v10
	v_ffbh_u32_e32 v28, v30
	v_min_u32_e32 v32, 32, v28
	v_subrev_u32_e32 v28, 28, v32
	v_lshlrev_b64 v[28:29], v28, v[10:11]
	v_lshrrev_b32_e32 v31, 3, v2
	v_sub_u32_e32 v29, 29, v32
	v_cmp_gt_u32_e64 s[0:1], 8, v2
	v_and_b32_e32 v28, 7, v28
	s_nop 0
	v_cndmask_b32_e64 v2, v31, v29, s[0:1]
	v_lshl_add_u32 v2, v2, 10, v21
	v_lshlrev_b32_e32 v29, 8, v10
	v_and_b32_e32 v2, 0xfc00, v2
	v_cndmask_b32_e64 v28, v30, v28, s[0:1]
	v_and_or_b32 v2, v29, s54, v2
	v_lshl_or_b32 v28, v28, 7, v2
.LBB252_22:                             ;   in Loop: Header=BB252_13 Depth=1
	s_or_b64 exec, exec, s[44:45]
.LBB252_23:                             ;   in Loop: Header=BB252_13 Depth=1
	s_or_b64 exec, exec, s[42:43]
.LBB252_24:                             ;   in Loop: Header=BB252_13 Depth=1
	s_or_b64 exec, exec, s[40:41]
	v_lshrrev_b16_e32 v2, 8, v10
	v_cmp_ne_u16_e64 s[0:1], 0, v2
	s_and_saveexec_b64 s[40:41], s[0:1]
	s_cbranch_execz .LBB252_30
; %bb.25:                               ;   in Loop: Header=BB252_13 Depth=1
	v_cmp_ne_u16_e64 s[0:1], s52, v2
	v_bfrev_b32_e32 v27, 1
	s_and_saveexec_b64 s[42:43], s[0:1]
	s_cbranch_execz .LBB252_29
; %bb.26:                               ;   in Loop: Header=BB252_13 Depth=1
	v_and_b32_e32 v29, 0x7f, v2
	v_cmp_ne_u32_e64 s[0:1], s53, v29
	v_mov_b32_e32 v27, 0x7c010000
	s_and_saveexec_b64 s[44:45], s[0:1]
	s_cbranch_execz .LBB252_28
; %bb.27:                               ;   in Loop: Header=BB252_13 Depth=1
	v_and_b32_e32 v27, 7, v2
	v_ffbh_u32_e32 v30, v27
	v_min_u32_e32 v33, 32, v30
	v_subrev_u32_e32 v30, 28, v33
	v_lshlrev_b64 v[30:31], v30, v[2:3]
	v_lshrrev_b32_e32 v32, 3, v29
	v_sub_u32_e32 v31, 29, v33
	v_cmp_gt_u32_e64 s[0:1], 8, v29
	v_lshlrev_b32_e32 v2, 8, v2
	v_and_b32_e32 v30, 7, v30
	v_cndmask_b32_e64 v29, v32, v31, s[0:1]
	v_lshl_add_u32 v29, v29, 10, v21
	v_and_or_b32 v2, v2, s54, v29
	v_cndmask_b32_e64 v27, v27, v30, s[0:1]
	v_lshlrev_b32_e32 v2, 16, v2
	v_lshl_or_b32 v27, v27, 23, v2
.LBB252_28:                             ;   in Loop: Header=BB252_13 Depth=1
	s_or_b64 exec, exec, s[44:45]
.LBB252_29:                             ;   in Loop: Header=BB252_13 Depth=1
	s_or_b64 exec, exec, s[42:43]
.LBB252_30:                             ;   in Loop: Header=BB252_13 Depth=1
	s_or_b64 exec, exec, s[40:41]
	v_lshrrev_b32_e32 v2, 16, v10
	v_cmp_ne_u16_sdwa s[0:1], v2, v3 src0_sel:BYTE_0 src1_sel:DWORD
	v_mov_b32_e32 v29, 0
	v_mov_b32_e32 v30, 0
	s_and_saveexec_b64 s[40:41], s[0:1]
	s_cbranch_execz .LBB252_36
; %bb.31:                               ;   in Loop: Header=BB252_13 Depth=1
	v_cmp_ne_u16_sdwa s[0:1], v2, s52 src0_sel:BYTE_0 src1_sel:DWORD
	v_mov_b32_e32 v30, 0x8000
	s_and_saveexec_b64 s[42:43], s[0:1]
	s_cbranch_execz .LBB252_35
; %bb.32:                               ;   in Loop: Header=BB252_13 Depth=1
	v_bfe_u32 v31, v10, 16, 7
	v_cmp_ne_u32_e64 s[0:1], s53, v31
	v_mov_b32_e32 v30, 0x7c01
	s_and_saveexec_b64 s[44:45], s[0:1]
	s_cbranch_execz .LBB252_34
; %bb.33:                               ;   in Loop: Header=BB252_13 Depth=1
	v_and_b32_e32 v30, 7, v2
	v_ffbh_u32_e32 v32, v30
	v_min_u32_e32 v35, 32, v32
	v_subrev_u32_e32 v32, 28, v35
	v_lshlrev_b64 v[32:33], v32, v[2:3]
	v_lshrrev_b32_e32 v34, 3, v31
	v_sub_u32_e32 v33, 29, v35
	v_cmp_gt_u32_e64 s[0:1], 8, v31
	v_lshlrev_b32_e32 v2, 8, v2
	v_and_b32_e32 v32, 7, v32
	v_cndmask_b32_e64 v31, v34, v33, s[0:1]
	v_lshl_add_u32 v31, v31, 10, v21
	v_and_b32_e32 v31, 0xfc00, v31
	v_cndmask_b32_e64 v30, v30, v32, s[0:1]
	v_and_or_b32 v2, v2, s54, v31
	v_lshl_or_b32 v30, v30, 7, v2
.LBB252_34:                             ;   in Loop: Header=BB252_13 Depth=1
	s_or_b64 exec, exec, s[44:45]
.LBB252_35:                             ;   in Loop: Header=BB252_13 Depth=1
	s_or_b64 exec, exec, s[42:43]
.LBB252_36:                             ;   in Loop: Header=BB252_13 Depth=1
	s_or_b64 exec, exec, s[40:41]
	v_cmp_lt_u32_e64 s[0:1], s55, v10
	s_and_saveexec_b64 s[40:41], s[0:1]
	s_cbranch_execz .LBB252_42
; %bb.37:                               ;   in Loop: Header=BB252_13 Depth=1
	v_lshrrev_b32_e32 v2, 24, v10
	v_cmp_ne_u32_e64 s[0:1], s52, v2
	v_bfrev_b32_e32 v29, 1
	s_and_saveexec_b64 s[42:43], s[0:1]
	s_cbranch_execz .LBB252_41
; %bb.38:                               ;   in Loop: Header=BB252_13 Depth=1
	v_and_b32_e32 v10, 0x7f, v2
	v_cmp_ne_u32_e64 s[0:1], s53, v10
	v_mov_b32_e32 v29, 0x7c010000
	s_and_saveexec_b64 s[44:45], s[0:1]
	s_cbranch_execz .LBB252_40
; %bb.39:                               ;   in Loop: Header=BB252_13 Depth=1
	v_and_b32_e32 v29, 7, v2
	v_ffbh_u32_e32 v32, v29
	v_min_u32_e32 v34, 32, v32
	v_subrev_u32_e32 v32, 28, v34
	v_lshlrev_b64 v[32:33], v32, v[2:3]
	v_lshrrev_b32_e32 v31, 3, v10
	v_sub_u32_e32 v33, 29, v34
	v_cmp_gt_u32_e64 s[0:1], 8, v10
	v_lshlrev_b32_e32 v2, 8, v2
	s_nop 0
	v_cndmask_b32_e64 v10, v31, v33, s[0:1]
	v_lshl_add_u32 v10, v10, 10, v21
	v_and_b32_e32 v31, 7, v32
	v_and_or_b32 v2, v2, s54, v10
	v_cndmask_b32_e64 v29, v29, v31, s[0:1]
	v_lshlrev_b32_e32 v2, 16, v2
	v_lshl_or_b32 v29, v29, 23, v2
.LBB252_40:                             ;   in Loop: Header=BB252_13 Depth=1
	s_or_b64 exec, exec, s[44:45]
.LBB252_41:                             ;   in Loop: Header=BB252_13 Depth=1
	s_or_b64 exec, exec, s[42:43]
.LBB252_42:                             ;   in Loop: Header=BB252_13 Depth=1
	s_or_b64 exec, exec, s[40:41]
	global_load_dword v10, v[8:9], off offset:8
	v_mov_b32_e32 v31, 0
	v_mov_b32_e32 v32, 0
	s_waitcnt vmcnt(0)
	v_cmp_ne_u16_sdwa s[0:1], v10, v3 src0_sel:BYTE_0 src1_sel:DWORD
	s_and_saveexec_b64 s[40:41], s[0:1]
	s_cbranch_execz .LBB252_48
; %bb.43:                               ;   in Loop: Header=BB252_13 Depth=1
	v_cmp_ne_u16_sdwa s[0:1], v10, s52 src0_sel:BYTE_0 src1_sel:DWORD
	v_mov_b32_e32 v32, 0x8000
	s_and_saveexec_b64 s[42:43], s[0:1]
	s_cbranch_execz .LBB252_47
; %bb.44:                               ;   in Loop: Header=BB252_13 Depth=1
	v_and_b32_e32 v2, 0x7f, v10
	v_cmp_ne_u32_e64 s[0:1], s53, v2
	v_mov_b32_e32 v32, 0x7c01
	s_and_saveexec_b64 s[44:45], s[0:1]
	s_cbranch_execz .LBB252_46
; %bb.45:                               ;   in Loop: Header=BB252_13 Depth=1
	v_and_b32_e32 v34, 7, v10
	v_ffbh_u32_e32 v32, v34
	v_min_u32_e32 v36, 32, v32
	v_subrev_u32_e32 v32, 28, v36
	v_lshlrev_b64 v[32:33], v32, v[10:11]
	v_lshrrev_b32_e32 v35, 3, v2
	v_sub_u32_e32 v33, 29, v36
	v_cmp_gt_u32_e64 s[0:1], 8, v2
	v_and_b32_e32 v32, 7, v32
	s_nop 0
	v_cndmask_b32_e64 v2, v35, v33, s[0:1]
	v_lshl_add_u32 v2, v2, 10, v21
	v_lshlrev_b32_e32 v33, 8, v10
	v_and_b32_e32 v2, 0xfc00, v2
	v_cndmask_b32_e64 v32, v34, v32, s[0:1]
	v_and_or_b32 v2, v33, s54, v2
	v_lshl_or_b32 v32, v32, 7, v2
.LBB252_46:                             ;   in Loop: Header=BB252_13 Depth=1
	s_or_b64 exec, exec, s[44:45]
.LBB252_47:                             ;   in Loop: Header=BB252_13 Depth=1
	s_or_b64 exec, exec, s[42:43]
.LBB252_48:                             ;   in Loop: Header=BB252_13 Depth=1
	s_or_b64 exec, exec, s[40:41]
	v_lshrrev_b16_e32 v2, 8, v10
	v_cmp_ne_u16_e64 s[0:1], 0, v2
	s_and_saveexec_b64 s[40:41], s[0:1]
	s_cbranch_execz .LBB252_54
; %bb.49:                               ;   in Loop: Header=BB252_13 Depth=1
	v_cmp_ne_u16_e64 s[0:1], s52, v2
	v_bfrev_b32_e32 v31, 1
	s_and_saveexec_b64 s[42:43], s[0:1]
	s_cbranch_execz .LBB252_53
; %bb.50:                               ;   in Loop: Header=BB252_13 Depth=1
	v_and_b32_e32 v33, 0x7f, v2
	v_cmp_ne_u32_e64 s[0:1], s53, v33
	v_mov_b32_e32 v31, 0x7c010000
	s_and_saveexec_b64 s[44:45], s[0:1]
	s_cbranch_execz .LBB252_52
; %bb.51:                               ;   in Loop: Header=BB252_13 Depth=1
	v_and_b32_e32 v31, 7, v2
	v_ffbh_u32_e32 v34, v31
	v_min_u32_e32 v37, 32, v34
	v_subrev_u32_e32 v34, 28, v37
	v_lshlrev_b64 v[34:35], v34, v[2:3]
	v_lshrrev_b32_e32 v36, 3, v33
	v_sub_u32_e32 v35, 29, v37
	v_cmp_gt_u32_e64 s[0:1], 8, v33
	v_lshlrev_b32_e32 v2, 8, v2
	v_and_b32_e32 v34, 7, v34
	v_cndmask_b32_e64 v33, v36, v35, s[0:1]
	v_lshl_add_u32 v33, v33, 10, v21
	v_and_or_b32 v2, v2, s54, v33
	v_cndmask_b32_e64 v31, v31, v34, s[0:1]
	v_lshlrev_b32_e32 v2, 16, v2
	v_lshl_or_b32 v31, v31, 23, v2
.LBB252_52:                             ;   in Loop: Header=BB252_13 Depth=1
	s_or_b64 exec, exec, s[44:45]
.LBB252_53:                             ;   in Loop: Header=BB252_13 Depth=1
	s_or_b64 exec, exec, s[42:43]
.LBB252_54:                             ;   in Loop: Header=BB252_13 Depth=1
	s_or_b64 exec, exec, s[40:41]
	v_lshrrev_b32_e32 v2, 16, v10
	v_cmp_ne_u16_sdwa s[0:1], v2, v3 src0_sel:BYTE_0 src1_sel:DWORD
	v_mov_b32_e32 v33, 0
	v_mov_b32_e32 v34, 0
	s_and_saveexec_b64 s[40:41], s[0:1]
	s_cbranch_execz .LBB252_60
; %bb.55:                               ;   in Loop: Header=BB252_13 Depth=1
	v_cmp_ne_u16_sdwa s[0:1], v2, s52 src0_sel:BYTE_0 src1_sel:DWORD
	v_mov_b32_e32 v34, 0x8000
	s_and_saveexec_b64 s[42:43], s[0:1]
	s_cbranch_execz .LBB252_59
; %bb.56:                               ;   in Loop: Header=BB252_13 Depth=1
	v_bfe_u32 v35, v10, 16, 7
	v_cmp_ne_u32_e64 s[0:1], s53, v35
	v_mov_b32_e32 v34, 0x7c01
	s_and_saveexec_b64 s[44:45], s[0:1]
	s_cbranch_execz .LBB252_58
; %bb.57:                               ;   in Loop: Header=BB252_13 Depth=1
	v_and_b32_e32 v34, 7, v2
	v_ffbh_u32_e32 v36, v34
	v_min_u32_e32 v39, 32, v36
	v_subrev_u32_e32 v36, 28, v39
	v_lshlrev_b64 v[36:37], v36, v[2:3]
	v_lshrrev_b32_e32 v38, 3, v35
	v_sub_u32_e32 v37, 29, v39
	v_cmp_gt_u32_e64 s[0:1], 8, v35
	v_lshlrev_b32_e32 v2, 8, v2
	v_and_b32_e32 v36, 7, v36
	v_cndmask_b32_e64 v35, v38, v37, s[0:1]
	v_lshl_add_u32 v35, v35, 10, v21
	v_and_b32_e32 v35, 0xfc00, v35
	v_cndmask_b32_e64 v34, v34, v36, s[0:1]
	v_and_or_b32 v2, v2, s54, v35
	v_lshl_or_b32 v34, v34, 7, v2
.LBB252_58:                             ;   in Loop: Header=BB252_13 Depth=1
	s_or_b64 exec, exec, s[44:45]
.LBB252_59:                             ;   in Loop: Header=BB252_13 Depth=1
	s_or_b64 exec, exec, s[42:43]
.LBB252_60:                             ;   in Loop: Header=BB252_13 Depth=1
	s_or_b64 exec, exec, s[40:41]
	v_cmp_lt_u32_e64 s[0:1], s55, v10
	s_and_saveexec_b64 s[40:41], s[0:1]
	s_cbranch_execz .LBB252_66
; %bb.61:                               ;   in Loop: Header=BB252_13 Depth=1
	v_lshrrev_b32_e32 v2, 24, v10
	v_cmp_ne_u32_e64 s[0:1], s52, v2
	v_bfrev_b32_e32 v33, 1
	s_and_saveexec_b64 s[42:43], s[0:1]
	s_cbranch_execz .LBB252_65
; %bb.62:                               ;   in Loop: Header=BB252_13 Depth=1
	v_and_b32_e32 v10, 0x7f, v2
	v_cmp_ne_u32_e64 s[0:1], s53, v10
	v_mov_b32_e32 v33, 0x7c010000
	s_and_saveexec_b64 s[44:45], s[0:1]
	s_cbranch_execz .LBB252_64
; %bb.63:                               ;   in Loop: Header=BB252_13 Depth=1
	v_and_b32_e32 v33, 7, v2
	v_ffbh_u32_e32 v36, v33
	v_min_u32_e32 v38, 32, v36
	v_subrev_u32_e32 v36, 28, v38
	v_lshlrev_b64 v[36:37], v36, v[2:3]
	v_lshrrev_b32_e32 v35, 3, v10
	v_sub_u32_e32 v37, 29, v38
	v_cmp_gt_u32_e64 s[0:1], 8, v10
	v_lshlrev_b32_e32 v2, 8, v2
	s_nop 0
	v_cndmask_b32_e64 v10, v35, v37, s[0:1]
	v_lshl_add_u32 v10, v10, 10, v21
	v_and_b32_e32 v35, 7, v36
	v_and_or_b32 v2, v2, s54, v10
	v_cndmask_b32_e64 v33, v33, v35, s[0:1]
	v_lshlrev_b32_e32 v2, 16, v2
	v_lshl_or_b32 v33, v33, 23, v2
.LBB252_64:                             ;   in Loop: Header=BB252_13 Depth=1
	s_or_b64 exec, exec, s[44:45]
.LBB252_65:                             ;   in Loop: Header=BB252_13 Depth=1
	s_or_b64 exec, exec, s[42:43]
.LBB252_66:                             ;   in Loop: Header=BB252_13 Depth=1
	s_or_b64 exec, exec, s[40:41]
	global_load_dword v10, v[8:9], off offset:512
	v_mov_b32_e32 v35, 0
	v_mov_b32_e32 v36, 0
	s_waitcnt vmcnt(0)
	v_cmp_ne_u16_sdwa s[0:1], v10, v3 src0_sel:BYTE_0 src1_sel:DWORD
	s_and_saveexec_b64 s[40:41], s[0:1]
	s_cbranch_execz .LBB252_72
; %bb.67:                               ;   in Loop: Header=BB252_13 Depth=1
	v_cmp_ne_u16_sdwa s[0:1], v10, s52 src0_sel:BYTE_0 src1_sel:DWORD
	v_mov_b32_e32 v36, 0x8000
	s_and_saveexec_b64 s[42:43], s[0:1]
	s_cbranch_execz .LBB252_71
; %bb.68:                               ;   in Loop: Header=BB252_13 Depth=1
	v_and_b32_e32 v2, 0x7f, v10
	v_cmp_ne_u32_e64 s[0:1], s53, v2
	v_mov_b32_e32 v36, 0x7c01
	s_and_saveexec_b64 s[44:45], s[0:1]
	s_cbranch_execz .LBB252_70
; %bb.69:                               ;   in Loop: Header=BB252_13 Depth=1
	v_and_b32_e32 v38, 7, v10
	v_ffbh_u32_e32 v36, v38
	v_min_u32_e32 v40, 32, v36
	v_subrev_u32_e32 v36, 28, v40
	v_lshlrev_b64 v[36:37], v36, v[10:11]
	v_lshrrev_b32_e32 v39, 3, v2
	v_sub_u32_e32 v37, 29, v40
	v_cmp_gt_u32_e64 s[0:1], 8, v2
	v_and_b32_e32 v36, 7, v36
	s_nop 0
	v_cndmask_b32_e64 v2, v39, v37, s[0:1]
	v_lshl_add_u32 v2, v2, 10, v21
	v_lshlrev_b32_e32 v37, 8, v10
	v_and_b32_e32 v2, 0xfc00, v2
	v_cndmask_b32_e64 v36, v38, v36, s[0:1]
	v_and_or_b32 v2, v37, s54, v2
	v_lshl_or_b32 v36, v36, 7, v2
.LBB252_70:                             ;   in Loop: Header=BB252_13 Depth=1
	s_or_b64 exec, exec, s[44:45]
.LBB252_71:                             ;   in Loop: Header=BB252_13 Depth=1
	s_or_b64 exec, exec, s[42:43]
.LBB252_72:                             ;   in Loop: Header=BB252_13 Depth=1
	s_or_b64 exec, exec, s[40:41]
	v_lshrrev_b16_e32 v2, 8, v10
	v_cmp_ne_u16_e64 s[0:1], 0, v2
	s_and_saveexec_b64 s[40:41], s[0:1]
	s_cbranch_execz .LBB252_78
; %bb.73:                               ;   in Loop: Header=BB252_13 Depth=1
	v_cmp_ne_u16_e64 s[0:1], s52, v2
	v_bfrev_b32_e32 v35, 1
	s_and_saveexec_b64 s[42:43], s[0:1]
	s_cbranch_execz .LBB252_77
; %bb.74:                               ;   in Loop: Header=BB252_13 Depth=1
	v_and_b32_e32 v37, 0x7f, v2
	v_cmp_ne_u32_e64 s[0:1], s53, v37
	v_mov_b32_e32 v35, 0x7c010000
	s_and_saveexec_b64 s[44:45], s[0:1]
	s_cbranch_execz .LBB252_76
; %bb.75:                               ;   in Loop: Header=BB252_13 Depth=1
	v_and_b32_e32 v35, 7, v2
	v_ffbh_u32_e32 v38, v35
	v_min_u32_e32 v41, 32, v38
	v_subrev_u32_e32 v38, 28, v41
	v_lshlrev_b64 v[38:39], v38, v[2:3]
	v_lshrrev_b32_e32 v40, 3, v37
	v_sub_u32_e32 v39, 29, v41
	v_cmp_gt_u32_e64 s[0:1], 8, v37
	v_lshlrev_b32_e32 v2, 8, v2
	v_and_b32_e32 v38, 7, v38
	v_cndmask_b32_e64 v37, v40, v39, s[0:1]
	v_lshl_add_u32 v37, v37, 10, v21
	v_and_or_b32 v2, v2, s54, v37
	v_cndmask_b32_e64 v35, v35, v38, s[0:1]
	v_lshlrev_b32_e32 v2, 16, v2
	v_lshl_or_b32 v35, v35, 23, v2
.LBB252_76:                             ;   in Loop: Header=BB252_13 Depth=1
	s_or_b64 exec, exec, s[44:45]
.LBB252_77:                             ;   in Loop: Header=BB252_13 Depth=1
	s_or_b64 exec, exec, s[42:43]
.LBB252_78:                             ;   in Loop: Header=BB252_13 Depth=1
	s_or_b64 exec, exec, s[40:41]
	v_lshrrev_b32_e32 v2, 16, v10
	v_cmp_ne_u16_sdwa s[0:1], v2, v3 src0_sel:BYTE_0 src1_sel:DWORD
	v_mov_b32_e32 v37, 0
	v_mov_b32_e32 v38, 0
	s_and_saveexec_b64 s[40:41], s[0:1]
	s_cbranch_execz .LBB252_84
; %bb.79:                               ;   in Loop: Header=BB252_13 Depth=1
	v_cmp_ne_u16_sdwa s[0:1], v2, s52 src0_sel:BYTE_0 src1_sel:DWORD
	v_mov_b32_e32 v38, 0x8000
	s_and_saveexec_b64 s[42:43], s[0:1]
	s_cbranch_execz .LBB252_83
; %bb.80:                               ;   in Loop: Header=BB252_13 Depth=1
	v_bfe_u32 v39, v10, 16, 7
	v_cmp_ne_u32_e64 s[0:1], s53, v39
	v_mov_b32_e32 v38, 0x7c01
	s_and_saveexec_b64 s[44:45], s[0:1]
	s_cbranch_execz .LBB252_82
; %bb.81:                               ;   in Loop: Header=BB252_13 Depth=1
	v_and_b32_e32 v38, 7, v2
	v_ffbh_u32_e32 v40, v38
	v_min_u32_e32 v43, 32, v40
	v_subrev_u32_e32 v40, 28, v43
	v_lshlrev_b64 v[40:41], v40, v[2:3]
	v_lshrrev_b32_e32 v42, 3, v39
	v_sub_u32_e32 v41, 29, v43
	v_cmp_gt_u32_e64 s[0:1], 8, v39
	v_lshlrev_b32_e32 v2, 8, v2
	v_and_b32_e32 v40, 7, v40
	v_cndmask_b32_e64 v39, v42, v41, s[0:1]
	v_lshl_add_u32 v39, v39, 10, v21
	v_and_b32_e32 v39, 0xfc00, v39
	v_cndmask_b32_e64 v38, v38, v40, s[0:1]
	v_and_or_b32 v2, v2, s54, v39
	v_lshl_or_b32 v38, v38, 7, v2
.LBB252_82:                             ;   in Loop: Header=BB252_13 Depth=1
	s_or_b64 exec, exec, s[44:45]
.LBB252_83:                             ;   in Loop: Header=BB252_13 Depth=1
	s_or_b64 exec, exec, s[42:43]
.LBB252_84:                             ;   in Loop: Header=BB252_13 Depth=1
	s_or_b64 exec, exec, s[40:41]
	v_cmp_lt_u32_e64 s[0:1], s55, v10
	s_and_saveexec_b64 s[40:41], s[0:1]
	s_cbranch_execz .LBB252_90
; %bb.85:                               ;   in Loop: Header=BB252_13 Depth=1
	v_lshrrev_b32_e32 v2, 24, v10
	v_cmp_ne_u32_e64 s[0:1], s52, v2
	v_bfrev_b32_e32 v37, 1
	s_and_saveexec_b64 s[42:43], s[0:1]
	s_cbranch_execz .LBB252_89
; %bb.86:                               ;   in Loop: Header=BB252_13 Depth=1
	v_and_b32_e32 v10, 0x7f, v2
	v_cmp_ne_u32_e64 s[0:1], s53, v10
	v_mov_b32_e32 v37, 0x7c010000
	s_and_saveexec_b64 s[44:45], s[0:1]
	s_cbranch_execz .LBB252_88
; %bb.87:                               ;   in Loop: Header=BB252_13 Depth=1
	v_and_b32_e32 v37, 7, v2
	v_ffbh_u32_e32 v40, v37
	v_min_u32_e32 v42, 32, v40
	v_subrev_u32_e32 v40, 28, v42
	v_lshlrev_b64 v[40:41], v40, v[2:3]
	v_lshrrev_b32_e32 v39, 3, v10
	v_sub_u32_e32 v41, 29, v42
	v_cmp_gt_u32_e64 s[0:1], 8, v10
	v_lshlrev_b32_e32 v2, 8, v2
	s_nop 0
	v_cndmask_b32_e64 v10, v39, v41, s[0:1]
	v_lshl_add_u32 v10, v10, 10, v21
	v_and_b32_e32 v39, 7, v40
	v_and_or_b32 v2, v2, s54, v10
	v_cndmask_b32_e64 v37, v37, v39, s[0:1]
	v_lshlrev_b32_e32 v2, 16, v2
	v_lshl_or_b32 v37, v37, 23, v2
.LBB252_88:                             ;   in Loop: Header=BB252_13 Depth=1
	s_or_b64 exec, exec, s[44:45]
.LBB252_89:                             ;   in Loop: Header=BB252_13 Depth=1
	s_or_b64 exec, exec, s[42:43]
.LBB252_90:                             ;   in Loop: Header=BB252_13 Depth=1
	s_or_b64 exec, exec, s[40:41]
	global_load_dword v8, v[8:9], off offset:520
	v_mov_b32_e32 v9, 0
	v_mov_b32_e32 v10, 0
	s_waitcnt vmcnt(0)
	v_cmp_ne_u16_sdwa s[0:1], v8, v3 src0_sel:BYTE_0 src1_sel:DWORD
	s_and_saveexec_b64 s[40:41], s[0:1]
	s_cbranch_execz .LBB252_96
; %bb.91:                               ;   in Loop: Header=BB252_13 Depth=1
	v_cmp_ne_u16_sdwa s[0:1], v8, s52 src0_sel:BYTE_0 src1_sel:DWORD
	v_mov_b32_e32 v10, 0x8000
	s_and_saveexec_b64 s[42:43], s[0:1]
	s_cbranch_execz .LBB252_95
; %bb.92:                               ;   in Loop: Header=BB252_13 Depth=1
	v_and_b32_e32 v2, 0x7f, v8
	v_cmp_ne_u32_e64 s[0:1], s53, v2
	v_mov_b32_e32 v10, 0x7c01
	s_and_saveexec_b64 s[44:45], s[0:1]
	s_cbranch_execz .LBB252_94
; %bb.93:                               ;   in Loop: Header=BB252_13 Depth=1
	v_and_b32_e32 v10, 7, v8
	v_ffbh_u32_e32 v40, v10
	v_min_u32_e32 v42, 32, v40
	v_subrev_u32_e32 v40, 28, v42
	v_lshlrev_b64 v[40:41], v40, v[8:9]
	v_lshrrev_b32_e32 v39, 3, v2
	v_sub_u32_e32 v41, 29, v42
	v_cmp_gt_u32_e64 s[0:1], 8, v2
	v_and_b32_e32 v40, 7, v40
	s_nop 0
	v_cndmask_b32_e64 v2, v39, v41, s[0:1]
	v_lshl_add_u32 v2, v2, 10, v21
	v_lshlrev_b32_e32 v39, 8, v8
	v_and_b32_e32 v2, 0xfc00, v2
	v_cndmask_b32_e64 v10, v10, v40, s[0:1]
	v_and_or_b32 v2, v39, s54, v2
	v_lshl_or_b32 v10, v10, 7, v2
.LBB252_94:                             ;   in Loop: Header=BB252_13 Depth=1
	s_or_b64 exec, exec, s[44:45]
.LBB252_95:                             ;   in Loop: Header=BB252_13 Depth=1
	s_or_b64 exec, exec, s[42:43]
.LBB252_96:                             ;   in Loop: Header=BB252_13 Depth=1
	s_or_b64 exec, exec, s[40:41]
	v_lshrrev_b16_e32 v2, 8, v8
	v_cmp_ne_u16_e64 s[0:1], 0, v2
	s_and_saveexec_b64 s[40:41], s[0:1]
	s_cbranch_execz .LBB252_102
; %bb.97:                               ;   in Loop: Header=BB252_13 Depth=1
	v_cmp_ne_u16_e64 s[0:1], s52, v2
	v_bfrev_b32_e32 v9, 1
	s_and_saveexec_b64 s[42:43], s[0:1]
	s_cbranch_execz .LBB252_101
; %bb.98:                               ;   in Loop: Header=BB252_13 Depth=1
	v_and_b32_e32 v39, 0x7f, v2
	v_cmp_ne_u32_e64 s[0:1], s53, v39
	v_mov_b32_e32 v9, 0x7c010000
	s_and_saveexec_b64 s[44:45], s[0:1]
	s_cbranch_execz .LBB252_100
; %bb.99:                               ;   in Loop: Header=BB252_13 Depth=1
	v_and_b32_e32 v9, 7, v2
	v_ffbh_u32_e32 v40, v9
	v_min_u32_e32 v43, 32, v40
	v_subrev_u32_e32 v40, 28, v43
	v_lshlrev_b64 v[40:41], v40, v[2:3]
	v_lshrrev_b32_e32 v42, 3, v39
	v_sub_u32_e32 v41, 29, v43
	v_cmp_gt_u32_e64 s[0:1], 8, v39
	v_lshlrev_b32_e32 v2, 8, v2
	v_and_b32_e32 v40, 7, v40
	v_cndmask_b32_e64 v39, v42, v41, s[0:1]
	v_lshl_add_u32 v39, v39, 10, v21
	v_and_or_b32 v2, v2, s54, v39
	v_cndmask_b32_e64 v9, v9, v40, s[0:1]
	v_lshlrev_b32_e32 v2, 16, v2
	v_lshl_or_b32 v9, v9, 23, v2
.LBB252_100:                            ;   in Loop: Header=BB252_13 Depth=1
	s_or_b64 exec, exec, s[44:45]
.LBB252_101:                            ;   in Loop: Header=BB252_13 Depth=1
	s_or_b64 exec, exec, s[42:43]
.LBB252_102:                            ;   in Loop: Header=BB252_13 Depth=1
	s_or_b64 exec, exec, s[40:41]
	v_lshrrev_b32_e32 v2, 16, v8
	v_cmp_ne_u16_sdwa s[0:1], v2, v3 src0_sel:BYTE_0 src1_sel:DWORD
	v_mov_b32_e32 v39, 0
	v_mov_b32_e32 v40, 0
	s_and_saveexec_b64 s[40:41], s[0:1]
	s_cbranch_execz .LBB252_108
; %bb.103:                              ;   in Loop: Header=BB252_13 Depth=1
	v_cmp_ne_u16_sdwa s[0:1], v2, s52 src0_sel:BYTE_0 src1_sel:DWORD
	v_mov_b32_e32 v40, 0x8000
	s_and_saveexec_b64 s[42:43], s[0:1]
	s_cbranch_execz .LBB252_107
; %bb.104:                              ;   in Loop: Header=BB252_13 Depth=1
	v_bfe_u32 v41, v8, 16, 7
	v_cmp_ne_u32_e64 s[0:1], s53, v41
	v_mov_b32_e32 v40, 0x7c01
	s_and_saveexec_b64 s[44:45], s[0:1]
	s_cbranch_execz .LBB252_106
; %bb.105:                              ;   in Loop: Header=BB252_13 Depth=1
	v_and_b32_e32 v40, 7, v2
	v_ffbh_u32_e32 v42, v40
	v_min_u32_e32 v45, 32, v42
	v_subrev_u32_e32 v42, 28, v45
	v_lshlrev_b64 v[42:43], v42, v[2:3]
	v_lshrrev_b32_e32 v44, 3, v41
	v_sub_u32_e32 v43, 29, v45
	v_cmp_gt_u32_e64 s[0:1], 8, v41
	v_lshlrev_b32_e32 v2, 8, v2
	v_and_b32_e32 v42, 7, v42
	v_cndmask_b32_e64 v41, v44, v43, s[0:1]
	v_lshl_add_u32 v41, v41, 10, v21
	v_and_b32_e32 v41, 0xfc00, v41
	v_cndmask_b32_e64 v40, v40, v42, s[0:1]
	v_and_or_b32 v2, v2, s54, v41
	v_lshl_or_b32 v40, v40, 7, v2
.LBB252_106:                            ;   in Loop: Header=BB252_13 Depth=1
	s_or_b64 exec, exec, s[44:45]
.LBB252_107:                            ;   in Loop: Header=BB252_13 Depth=1
	s_or_b64 exec, exec, s[42:43]
.LBB252_108:                            ;   in Loop: Header=BB252_13 Depth=1
	s_or_b64 exec, exec, s[40:41]
	v_cmp_lt_u32_e64 s[0:1], s55, v8
	s_and_saveexec_b64 s[40:41], s[0:1]
	s_cbranch_execz .LBB252_114
; %bb.109:                              ;   in Loop: Header=BB252_13 Depth=1
	v_lshrrev_b32_e32 v2, 24, v8
	v_cmp_ne_u32_e64 s[0:1], s52, v2
	v_bfrev_b32_e32 v39, 1
	s_and_saveexec_b64 s[42:43], s[0:1]
	s_cbranch_execz .LBB252_113
; %bb.110:                              ;   in Loop: Header=BB252_13 Depth=1
	v_and_b32_e32 v8, 0x7f, v2
	v_cmp_ne_u32_e64 s[0:1], s53, v8
	v_mov_b32_e32 v39, 0x7c010000
	s_and_saveexec_b64 s[44:45], s[0:1]
	s_cbranch_execz .LBB252_112
; %bb.111:                              ;   in Loop: Header=BB252_13 Depth=1
	v_and_b32_e32 v39, 7, v2
	v_ffbh_u32_e32 v42, v39
	v_min_u32_e32 v44, 32, v42
	v_subrev_u32_e32 v42, 28, v44
	v_lshlrev_b64 v[42:43], v42, v[2:3]
	v_lshrrev_b32_e32 v41, 3, v8
	v_sub_u32_e32 v43, 29, v44
	v_cmp_gt_u32_e64 s[0:1], 8, v8
	v_lshlrev_b32_e32 v2, 8, v2
	s_nop 0
	v_cndmask_b32_e64 v8, v41, v43, s[0:1]
	v_lshl_add_u32 v8, v8, 10, v21
	v_and_b32_e32 v41, 7, v42
	v_and_or_b32 v2, v2, s54, v8
	v_cndmask_b32_e64 v39, v39, v41, s[0:1]
	v_lshlrev_b32_e32 v2, 16, v2
	v_lshl_or_b32 v39, v39, 23, v2
.LBB252_112:                            ;   in Loop: Header=BB252_13 Depth=1
	s_or_b64 exec, exec, s[44:45]
.LBB252_113:                            ;   in Loop: Header=BB252_13 Depth=1
	s_or_b64 exec, exec, s[42:43]
.LBB252_114:                            ;   in Loop: Header=BB252_13 Depth=1
	s_or_b64 exec, exec, s[40:41]
	v_or_b32_e32 v8, v37, v38
	v_or_b32_e32 v2, v35, v36
	v_fma_mixlo_f16 v36, v26, v8, 0 op_sel_hi:[0,1,0]
	v_or_b32_e32 v8, v31, v32
	v_fma_mixlo_f16 v38, v26, v8, 0 op_sel_hi:[0,1,0]
	v_or_b32_e32 v8, v33, v34
	v_fma_mixlo_f16 v32, v26, v31, 0 op_sel:[0,1,0] op_sel_hi:[0,1,0]
	v_fma_mixlo_f16 v34, v26, v8, 0 op_sel_hi:[0,1,0]
	v_or_b32_e32 v8, v27, v28
	v_or_b32_e32 v28, v29, v30
	ds_read_b64 v[30:31], v14
	v_fma_mixlo_f16 v8, v26, v8, 0 op_sel_hi:[0,1,0]
	v_fma_mixlo_f16 v27, v26, v27, 0 op_sel:[0,1,0] op_sel_hi:[0,1,0]
	v_or_b32_e32 v10, v9, v10
	v_fma_mixlo_f16 v41, v26, v9, 0 op_sel:[0,1,0] op_sel_hi:[0,1,0]
	s_waitcnt lgkmcnt(0)
	v_lshrrev_b32_e32 v9, 16, v30
	v_and_b32_e32 v30, 0xffff, v30
	v_and_b32_e32 v8, 0xffff, v8
	;;#ASMSTART
	v_cvt_f32_f16 v30, v30;
	;;#ASMEND
	;;#ASMSTART
	v_cvt_f32_f16 v42, v9;
	;;#ASMEND
	;;#ASMSTART
	v_cvt_f32_f16 v43, v8;
	;;#ASMEND
	v_and_b32_e32 v8, 0xffff, v27
	v_fma_mixlo_f16 v28, v26, v28, 0 op_sel_hi:[0,1,0]
	;;#ASMSTART
	v_cvt_f32_f16 v27, v8;
	;;#ASMEND
	v_lshrrev_b32_e32 v8, 16, v31
	v_fma_mixlo_f16 v29, v26, v29, 0 op_sel:[0,1,0] op_sel_hi:[0,1,0]
	v_and_b32_e32 v9, 0xffff, v31
	;;#ASMSTART
	v_cvt_f32_f16 v31, v9;
	;;#ASMEND
	;;#ASMSTART
	v_cvt_f32_f16 v44, v8;
	;;#ASMEND
	v_and_b32_e32 v8, 0xffff, v28
	;;#ASMSTART
	v_cvt_f32_f16 v28, v8;
	;;#ASMEND
	v_and_b32_e32 v8, 0xffff, v29
	;;#ASMSTART
	v_cvt_f32_f16 v29, v8;
	;;#ASMEND
	ds_read_b64 v[8:9], v14 offset:8
	v_or_b32_e32 v40, v39, v40
	v_fma_mixlo_f16 v35, v26, v35, 0 op_sel:[0,1,0] op_sel_hi:[0,1,0]
	v_fma_mixlo_f16 v2, v26, v2, 0 op_sel_hi:[0,1,0]
	v_fma_mixlo_f16 v37, v26, v37, 0 op_sel:[0,1,0] op_sel_hi:[0,1,0]
	v_fma_mixlo_f16 v33, v26, v33, 0 op_sel:[0,1,0] op_sel_hi:[0,1,0]
	v_fma_mixlo_f16 v10, v26, v10, 0 op_sel_hi:[0,1,0]
	v_fma_mixlo_f16 v40, v26, v40, 0 op_sel_hi:[0,1,0]
	v_fma_mixlo_f16 v26, v26, v39, 0 op_sel:[0,1,0] op_sel_hi:[0,1,0]
	s_waitcnt lgkmcnt(0)
	v_lshrrev_b32_e32 v39, 16, v8
	v_and_b32_e32 v8, 0xffff, v8
	v_and_b32_e32 v38, 0xffff, v38
	;;#ASMSTART
	v_cvt_f32_f16 v8, v8;
	;;#ASMEND
	;;#ASMSTART
	v_cvt_f32_f16 v39, v39;
	;;#ASMEND
	;; [unrolled: 3-line block ×3, first 2 shown]
	v_and_b32_e32 v32, 0xffff, v32
	v_mul_f32_e32 v38, v8, v38
	;;#ASMSTART
	v_cvt_f32_f16 v32, v32;
	;;#ASMEND
	v_fmac_f32_e32 v38, v30, v43
	v_mul_f32_e32 v30, v39, v32
	v_lshrrev_b32_e32 v8, 16, v9
	v_fmac_f32_e32 v30, v42, v27
	v_and_b32_e32 v9, 0xffff, v9
	;;#ASMSTART
	v_cvt_f32_f16 v27, v9;
	;;#ASMEND
	;;#ASMSTART
	v_cvt_f32_f16 v32, v8;
	;;#ASMEND
	v_and_b32_e32 v8, 0xffff, v34
	;;#ASMSTART
	v_cvt_f32_f16 v34, v8;
	;;#ASMEND
	v_and_b32_e32 v8, 0xffff, v33
	;;#ASMSTART
	v_cvt_f32_f16 v33, v8;
	;;#ASMEND
	ds_read_b64 v[8:9], v14 offset:16
	v_mul_f32_e32 v27, v27, v34
	v_fmac_f32_e32 v27, v31, v28
	v_mul_f32_e32 v28, v32, v33
	v_fmac_f32_e32 v28, v44, v29
	s_waitcnt lgkmcnt(0)
	v_lshrrev_b32_e32 v31, 16, v8
	v_and_b32_e32 v8, 0xffff, v8
	;;#ASMSTART
	v_cvt_f32_f16 v29, v8;
	;;#ASMEND
	v_and_b32_e32 v2, 0xffff, v2
	v_and_b32_e32 v8, 0xffff, v35
	;;#ASMSTART
	v_cvt_f32_f16 v31, v31;
	;;#ASMEND
	;;#ASMSTART
	v_cvt_f32_f16 v2, v2;
	;;#ASMEND
	;;#ASMSTART
	v_cvt_f32_f16 v32, v8;
	;;#ASMEND
	v_lshrrev_b32_e32 v8, 16, v9
	v_and_b32_e32 v9, 0xffff, v9
	;;#ASMSTART
	v_cvt_f32_f16 v33, v9;
	;;#ASMEND
	;;#ASMSTART
	v_cvt_f32_f16 v34, v8;
	;;#ASMEND
	v_and_b32_e32 v8, 0xffff, v36
	;;#ASMSTART
	v_cvt_f32_f16 v35, v8;
	;;#ASMEND
	v_and_b32_e32 v8, 0xffff, v37
	;;#ASMSTART
	v_cvt_f32_f16 v36, v8;
	;;#ASMEND
	ds_read_b64 v[8:9], v14 offset:24
	v_fmac_f32_e32 v38, v29, v2
	v_fmac_f32_e32 v30, v31, v32
	v_and_b32_e32 v10, 0xffff, v10
	v_fmac_f32_e32 v27, v33, v35
	s_waitcnt lgkmcnt(0)
	v_lshrrev_b32_e32 v29, 16, v8
	v_and_b32_e32 v2, 0xffff, v8
	;;#ASMSTART
	v_cvt_f32_f16 v2, v2;
	;;#ASMEND
	;;#ASMSTART
	v_cvt_f32_f16 v8, v29;
	;;#ASMEND
	v_and_b32_e32 v29, 0xffff, v41
	;;#ASMSTART
	v_cvt_f32_f16 v10, v10;
	;;#ASMEND
	;;#ASMSTART
	v_cvt_f32_f16 v29, v29;
	;;#ASMEND
	v_fmac_f32_e32 v28, v34, v36
	v_fmac_f32_e32 v38, v2, v10
	;; [unrolled: 1-line block ×3, first 2 shown]
	v_lshrrev_b32_e32 v8, 16, v9
	v_and_b32_e32 v2, 0xffff, v9
	v_and_b32_e32 v9, 0xffff, v40
	;;#ASMSTART
	v_cvt_f32_f16 v2, v2;
	;;#ASMEND
	;;#ASMSTART
	v_cvt_f32_f16 v8, v8;
	;;#ASMEND
	;;#ASMSTART
	v_cvt_f32_f16 v9, v9;
	;;#ASMEND
	v_and_b32_e32 v10, 0xffff, v26
	v_fmac_f32_e32 v27, v2, v9
	v_and_b32_e32 v9, 64, v24
	;;#ASMSTART
	v_cvt_f32_f16 v10, v10;
	;;#ASMEND
	v_add_u32_e32 v9, 64, v9
	v_fmac_f32_e32 v28, v8, v10
	v_xor_b32_e32 v8, 1, v24
	v_add_f32_e32 v2, v38, v30
	v_cmp_lt_i32_e64 s[0:1], v8, v9
	v_add_f32_e32 v2, v2, v27
	v_add_f32_e32 v2, v28, v2
	v_cndmask_b32_e64 v8, v24, v8, s[0:1]
	v_lshlrev_b32_e32 v8, 2, v8
	ds_bpermute_b32 v8, v8, v2
	s_and_saveexec_b64 s[40:41], vcc
	s_cbranch_execz .LBB252_11
; %bb.115:                              ;   in Loop: Header=BB252_13 Depth=1
	v_add_u32_e32 v9, v18, v17
	v_cvt_f32_i32_e32 v9, v9
	s_waitcnt lgkmcnt(0)
	v_add_f32_e32 v2, v2, v8
	v_add_u32_e32 v10, v13, v17
	v_cmp_gt_i32_e64 s[0:1], s11, v10
	v_mul_f32_e32 v8, s48, v9
	v_cndmask_b32_e64 v8, 0, v8, s[2:3]
	v_fmac_f32_e32 v8, s37, v2
	v_cndmask_b32_e64 v2, 0, v8, s[0:1]
	ds_write_b32 v19, v2
	v_max_f32_e32 v2, v15, v15
	v_max_f32_e32 v2, v2, v8
	v_cndmask_b32_e64 v15, v15, v2, s[0:1]
	s_branch .LBB252_11
.LBB252_116:
	s_or_b64 exec, exec, s[38:39]
.LBB252_117:
	s_or_b64 exec, exec, s[18:19]
	v_mbcnt_hi_u32_b32 v2, -1, v12
	v_and_b32_e32 v9, 64, v2
	v_add_u32_e32 v10, 64, v9
	v_xor_b32_e32 v3, 32, v2
	v_cmp_lt_i32_e32 vcc, v3, v10
	v_xor_b32_e32 v6, 16, v2
	v_max_f32_e32 v5, v15, v15
	v_cndmask_b32_e32 v3, v2, v3, vcc
	v_lshlrev_b32_e32 v3, 2, v3
	ds_bpermute_b32 v4, v3, v15
	v_cmp_lt_i32_e32 vcc, v6, v10
	v_xor_b32_e32 v7, 8, v2
	s_waitcnt lgkmcnt(1)
	v_xor_b32_e32 v8, 4, v2
	v_xor_b32_e32 v12, 2, v2
	s_waitcnt lgkmcnt(0)
	v_max_f32_e32 v4, v4, v4
	v_max_f32_e32 v5, v5, v4
	v_cndmask_b32_e32 v4, v2, v6, vcc
	v_lshlrev_b32_e32 v4, 2, v4
	ds_bpermute_b32 v6, v4, v5
	v_cmp_lt_i32_e32 vcc, v7, v10
	v_and_b32_e32 v24, 63, v0
	s_waitcnt lgkmcnt(0)
	v_max_f32_e32 v6, v6, v6
	v_max_f32_e32 v6, v5, v6
	v_cndmask_b32_e32 v5, v2, v7, vcc
	v_lshlrev_b32_e32 v5, 2, v5
	ds_bpermute_b32 v7, v5, v6
	v_cmp_lt_i32_e32 vcc, v8, v10
	s_waitcnt lgkmcnt(0)
	v_max_f32_e32 v7, v7, v7
	v_max_f32_e32 v7, v6, v7
	v_cndmask_b32_e32 v6, v2, v8, vcc
	v_lshlrev_b32_e32 v6, 2, v6
	ds_bpermute_b32 v8, v6, v7
	v_cmp_lt_i32_e32 vcc, v12, v10
	s_waitcnt lgkmcnt(0)
	v_max_f32_e32 v8, v8, v8
	v_max_f32_e32 v8, v7, v8
	v_cndmask_b32_e32 v7, v2, v12, vcc
	v_lshlrev_b32_e32 v25, 2, v7
	ds_bpermute_b32 v12, v25, v8
	v_cmp_eq_u32_e32 vcc, 0, v24
	v_lshlrev_b32_e32 v7, 2, v22
	s_and_saveexec_b64 s[0:1], vcc
	s_cbranch_execz .LBB252_119
; %bb.118:
	s_waitcnt lgkmcnt(0)
	v_max_f32_e32 v12, v12, v12
	v_max_f32_e32 v8, v8, v8
	;; [unrolled: 1-line block ×3, first 2 shown]
	ds_write_b32 v7, v8 offset:64
.LBB252_119:
	s_or_b64 exec, exec, s[0:1]
	v_cmp_gt_u32_e64 s[0:1], 2, v24
	s_waitcnt lgkmcnt(0)
	v_mov_b32_e32 v12, 0xff7fffff
	v_lshlrev_b32_e32 v8, 2, v24
	s_barrier
	s_and_saveexec_b64 s[2:3], s[0:1]
; %bb.120:
	ds_read_b32 v12, v8 offset:64
; %bb.121:
	s_or_b64 exec, exec, s[2:3]
	v_xor_b32_e32 v13, 1, v2
	v_cmp_lt_i32_e64 s[2:3], v13, v10
	v_lshlrev_b32_e32 v9, 2, v9
	s_nop 0
	v_cndmask_b32_e64 v10, v2, v13, s[2:3]
	v_lshlrev_b32_e32 v26, 2, v10
	s_waitcnt lgkmcnt(0)
	ds_bpermute_b32 v10, v26, v12
	v_max_f32_e32 v12, v12, v12
	s_lshl_b32 s2, s47, 5
	s_min_i32 s37, s2, s11
	v_cmp_gt_i32_e64 s[2:3], s37, v0
	s_waitcnt lgkmcnt(0)
	v_max_f32_e32 v10, v10, v10
	v_max_f32_e32 v10, v12, v10
	ds_bpermute_b32 v10, v9, v10
	v_mov_b32_e32 v9, 0
	s_and_saveexec_b64 s[12:13], s[2:3]
	s_cbranch_execz .LBB252_125
; %bb.122:
	v_mov_b32_e32 v9, 0x50
	v_lshl_add_u32 v12, v0, 2, v9
	v_mov_b32_e32 v9, 0
	s_mov_b64 s[18:19], 0
	v_mov_b32_e32 v13, v0
.LBB252_123:                            ; =>This Inner Loop Header: Depth=1
	ds_read_b32 v14, v12
	v_add_u32_e32 v13, 0x80, v13
	v_cmp_le_i32_e64 s[8:9], s37, v13
	s_or_b64 s[18:19], s[8:9], s[18:19]
	s_waitcnt lgkmcnt(0)
	v_sub_f32_e32 v14, v14, v10
	v_mul_f32_e32 v14, 0x3fb8aa3b, v14
	v_exp_f32_e32 v14, v14
	ds_write_b32 v12, v14
	v_add_f32_e32 v9, v9, v14
	v_add_u32_e32 v12, 0x200, v12
	s_andn2_b64 exec, exec, s[18:19]
	s_cbranch_execnz .LBB252_123
; %bb.124:
	s_or_b64 exec, exec, s[18:19]
.LBB252_125:
	s_or_b64 exec, exec, s[12:13]
	ds_bpermute_b32 v3, v3, v9
	s_waitcnt lgkmcnt(0)
	v_add_f32_e32 v3, v9, v3
	ds_bpermute_b32 v4, v4, v3
	s_waitcnt lgkmcnt(0)
	v_add_f32_e32 v3, v3, v4
	;; [unrolled: 3-line block ×6, first 2 shown]
	s_and_saveexec_b64 s[8:9], vcc
; %bb.126:
	ds_write_b32 v7, v3 offset:72
; %bb.127:
	s_or_b64 exec, exec, s[8:9]
	s_waitcnt lgkmcnt(0)
	s_barrier
	s_and_saveexec_b64 s[8:9], s[0:1]
; %bb.128:
	ds_read_b32 v3, v8 offset:72
; %bb.129:
	s_or_b64 exec, exec, s[8:9]
	s_waitcnt lgkmcnt(0)
	ds_bpermute_b32 v4, v26, v3
	v_lshlrev_b32_e32 v2, 2, v2
	v_and_b32_e32 v2, 0x100, v2
	s_waitcnt lgkmcnt(0)
	v_add_f32_e32 v3, v3, v4
	ds_bpermute_b32 v2, v2, v3
	s_and_saveexec_b64 s[0:1], s[2:3]
	s_cbranch_execz .LBB252_142
; %bb.130:
	s_waitcnt lgkmcnt(0)
	v_add_f32_e32 v2, 0x358637bd, v2
	v_div_scale_f32 v3, s[2:3], v2, v2, 1.0
	v_rcp_f32_e32 v4, v3
	v_div_scale_f32 v5, vcc, 1.0, v2, 1.0
	s_movk_i32 s2, 0x7f
	v_fma_f32 v6, -v3, v4, 1.0
	v_fmac_f32_e32 v4, v6, v4
	v_mul_f32_e32 v6, v5, v4
	v_fma_f32 v7, -v3, v6, v5
	v_fmac_f32_e32 v6, v7, v4
	v_fma_f32 v3, -v3, v6, v5
	v_div_fmas_f32 v3, v3, v4, v6
	v_xad_u32 v4, v0, -1, s37
	v_div_fixup_f32 v2, v3, v2, 1.0
	v_cmp_lt_u32_e32 vcc, s2, v4
	s_mov_b64 s[8:9], -1
	v_mov_b32_e32 v3, v0
	s_and_saveexec_b64 s[2:3], vcc
	s_cbranch_execz .LBB252_139
; %bb.131:
	v_lshrrev_b32_e32 v4, 7, v4
	v_add_u32_e32 v6, -1, v4
	v_lshrrev_b32_e32 v5, 1, v6
	v_mov_b32_e32 v3, v2
	v_add_u32_e32 v5, 1, v5
	v_cmp_lt_u32_e32 vcc, 13, v6
	v_mov_b32_e32 v8, 0
	s_and_saveexec_b64 s[8:9], vcc
	s_cbranch_execz .LBB252_135
; %bb.132:
	v_mov_b32_e32 v7, 0x50
	v_and_b32_e32 v6, -8, v5
	v_lshl_add_u32 v7, v0, 2, v7
	s_mov_b32 s18, 0
	s_mov_b64 s[12:13], 0
.LBB252_133:                            ; =>This Inner Loop Header: Depth=1
	ds_read2st64_b32 v[8:9], v7 offset1:2
	ds_read2st64_b32 v[12:13], v7 offset0:4 offset1:6
	ds_read2st64_b32 v[14:15], v7 offset0:8 offset1:10
	;; [unrolled: 1-line block ×3, first 2 shown]
	v_add_u32_e32 v6, -8, v6
	s_waitcnt lgkmcnt(3)
	v_pk_mul_f32 v[8:9], v[2:3], v[8:9]
	s_waitcnt lgkmcnt(2)
	v_pk_mul_f32 v[12:13], v[2:3], v[12:13]
	ds_write2st64_b32 v7, v8, v9 offset1:2
	ds_write2st64_b32 v7, v12, v13 offset0:4 offset1:6
	ds_read2st64_b32 v[12:13], v7 offset0:16 offset1:18
	s_waitcnt lgkmcnt(4)
	v_pk_mul_f32 v[8:9], v[2:3], v[14:15]
	ds_write2st64_b32 v7, v8, v9 offset0:8 offset1:10
	s_waitcnt lgkmcnt(4)
	v_pk_mul_f32 v[8:9], v[2:3], v[16:17]
	ds_write2st64_b32 v7, v8, v9 offset0:12 offset1:14
	ds_read2st64_b32 v[8:9], v7 offset0:20 offset1:22
	s_waitcnt lgkmcnt(3)
	v_pk_mul_f32 v[12:13], v[2:3], v[12:13]
	ds_read2st64_b32 v[14:15], v7 offset0:24 offset1:26
	ds_write2st64_b32 v7, v12, v13 offset0:16 offset1:18
	ds_read2st64_b32 v[12:13], v7 offset0:28 offset1:30
	s_waitcnt lgkmcnt(3)
	v_pk_mul_f32 v[8:9], v[2:3], v[8:9]
	ds_write2st64_b32 v7, v8, v9 offset0:20 offset1:22
	s_waitcnt lgkmcnt(3)
	v_pk_mul_f32 v[8:9], v[2:3], v[14:15]
	ds_write2st64_b32 v7, v8, v9 offset0:24 offset1:26
	s_waitcnt lgkmcnt(2)
	v_pk_mul_f32 v[8:9], v[2:3], v[12:13]
	s_add_i32 s18, s18, 16
	v_cmp_eq_u32_e32 vcc, 0, v6
	ds_write2st64_b32 v7, v8, v9 offset0:28 offset1:30
	v_add_u32_e32 v7, 0x2000, v7
	s_or_b64 s[12:13], vcc, s[12:13]
	v_mov_b32_e32 v8, s18
	s_andn2_b64 exec, exec, s[12:13]
	s_cbranch_execnz .LBB252_133
; %bb.134:
	s_or_b64 exec, exec, s[12:13]
.LBB252_135:
	s_or_b64 exec, exec, s[8:9]
	v_and_b32_e32 v5, 7, v5
	v_cmp_ne_u32_e32 vcc, 0, v5
	s_and_saveexec_b64 s[8:9], vcc
	s_cbranch_execz .LBB252_138
; %bb.136:
	v_lshlrev_b32_e32 v6, 9, v8
	v_lshlrev_b32_e32 v7, 2, v0
	s_movk_i32 s12, 0x50
	v_add3_u32 v6, v6, v7, s12
	s_mov_b64 s[12:13], 0
.LBB252_137:                            ; =>This Inner Loop Header: Depth=1
	ds_read2st64_b32 v[8:9], v6 offset1:2
	v_add_u32_e32 v5, -1, v5
	v_cmp_eq_u32_e32 vcc, 0, v5
	s_or_b64 s[12:13], vcc, s[12:13]
	s_waitcnt lgkmcnt(0)
	v_pk_mul_f32 v[8:9], v[2:3], v[8:9]
	ds_write2st64_b32 v6, v8, v9 offset1:2
	v_add_u32_e32 v6, 0x400, v6
	s_andn2_b64 exec, exec, s[12:13]
	s_cbranch_execnz .LBB252_137
.LBB252_138:
	s_or_b64 exec, exec, s[8:9]
	v_add_u32_e32 v4, 1, v4
	v_and_b32_e32 v5, 0x3fffffe, v4
	v_cmp_ne_u32_e32 vcc, v4, v5
	v_lshl_add_u32 v3, v5, 7, v0
	s_orn2_b64 s[8:9], vcc, exec
.LBB252_139:
	s_or_b64 exec, exec, s[2:3]
	s_and_b64 exec, exec, s[8:9]
	s_cbranch_execz .LBB252_142
; %bb.140:
	v_mov_b32_e32 v4, 0x50
	v_lshl_add_u32 v4, v3, 2, v4
	s_mov_b64 s[2:3], 0
.LBB252_141:                            ; =>This Inner Loop Header: Depth=1
	ds_read_b32 v5, v4
	v_add_u32_e32 v3, 0x80, v3
	v_cmp_le_i32_e32 vcc, s37, v3
	s_or_b64 s[2:3], vcc, s[2:3]
	s_waitcnt lgkmcnt(0)
	v_mul_f32_e32 v5, v2, v5
	ds_write_b32 v4, v5
	v_add_u32_e32 v4, 0x200, v4
	s_andn2_b64 exec, exec, s[2:3]
	s_cbranch_execnz .LBB252_141
.LBB252_142:
	s_or_b64 exec, exec, s[0:1]
	v_mov_b32_e32 v7, 0
	v_and_b32_e32 v27, 3, v0
	v_mov_b32_e32 v6, 0
	s_waitcnt lgkmcnt(0)
	s_barrier
	s_and_saveexec_b64 s[2:3], s[6:7]
	s_cbranch_execz .LBB252_248
; %bb.143:
	s_sub_i32 s37, s16, s21
	s_ashr_i32 s1, s20, 31
	s_add_u32 s0, s34, s20
	s_addc_u32 s1, s35, s1
	s_abs_i32 s22, s22
	v_cvt_f32_u32_e32 v3, s22
	v_and_b32_e32 v28, 24, v1
	v_and_b32_e32 v2, 0x1f8, v1
	s_add_i32 s35, s47, -1
	v_rcp_iflag_f32_e32 v1, v3
	v_mov_b32_e32 v3, 0
	v_lshl_add_u64 v[4:5], s[0:1], 0, v[2:3]
	s_sub_i32 s0, 0, s22
	v_mul_f32_e32 v1, 0x4f7ffffe, v1
	v_cvt_u32_f32_e32 v1, v1
	s_mov_b32 s6, -1
	s_mov_b32 s34, s17
	s_mov_b32 s7, 0xffffff
	v_mul_lo_u32 v2, s0, v1
	v_mul_hi_u32 v2, v1, v2
	s_lshl_b64 s[0:1], s[30:31], 2
	v_add_u32_e32 v29, v1, v2
	s_add_u32 s0, s28, s0
	v_lshlrev_b32_e32 v1, 5, v27
	v_and_b32_e32 v2, 60, v11
	s_addc_u32 s1, s29, s1
	v_lshl_or_b32 v1, v22, 7, v1
	s_mov_b32 s38, s11
	v_lshl_add_u64 v[8:9], s[0:1], 0, v[2:3]
	v_add_u32_e32 v30, 0x50, v1
	s_mov_b64 s[8:9], 0
	s_movk_i32 s28, 0x80
	s_movk_i32 s29, 0x7f
	s_mov_b32 s30, 0x8000
	v_mov_b32_e32 v31, 0x2000
	v_mov_b32_e32 v6, 0
	v_mov_b32_e32 v7, 0
	s_branch .LBB252_146
.LBB252_144:                            ;   in Loop: Header=BB252_146 Depth=1
	s_or_b64 exec, exec, s[0:1]
	v_add_f32_e32 v2, v42, v43
	;;#ASMSTART
	v_pk_mul_f16 v1, v41, v1;

	;;#ASMEND
	v_add_f32_e32 v6, v6, v2
	;;#ASMSTART
	v_pk_mul_f16 v2, v40, v12;

	;;#ASMEND
	;;#ASMSTART
	v_pk_mul_f16 v10, v21, v19;

	;;#ASMEND
	;; [unrolled: 4-line block ×3, first 2 shown]
	s_nop 0
	;;#ASMSTART
	v_pk_add_f16 v1, v1, v2;

	;;#ASMEND
	s_nop 0
	;;#ASMSTART
	v_pk_add_f16 v1, v1, v10;

	;;#ASMEND
	;; [unrolled: 5-line block ×3, first 2 shown]
	s_nop 0
	v_lshrrev_b32_e32 v2, 16, v1
	v_and_b32_e32 v1, 0xffff, v1
	;;#ASMSTART
	v_cvt_f32_f16 v1, v1;
	;;#ASMEND
	;;#ASMSTART
	v_cvt_f32_f16 v2, v2;
	;;#ASMEND
	s_nop 0
	v_add_f32_e32 v1, v1, v2
	v_add_f32_e32 v7, v7, v1
.LBB252_145:                            ;   in Loop: Header=BB252_146 Depth=1
	s_or_b64 exec, exec, s[12:13]
	v_add_u32_e32 v22, 2, v22
	v_cmp_le_i32_e32 vcc, s47, v22
	v_lshl_add_u64 v[8:9], v[8:9], 0, 8
	v_add_u32_e32 v23, 64, v23
	s_or_b64 s[8:9], vcc, s[8:9]
	v_add_u32_e32 v30, 0x100, v30
	s_andn2_b64 exec, exec, s[8:9]
	s_cbranch_execz .LBB252_247
.LBB252_146:                            ; =>This Inner Loop Header: Depth=1
	v_mul_hi_u32 v1, v23, s33
	v_mul_lo_u32 v2, v1, s25
	v_sub_u32_e32 v2, v23, v2
	v_add_u32_e32 v10, 1, v1
	v_cmp_le_u32_e32 vcc, s25, v2
	s_nop 1
	v_cndmask_b32_e32 v1, v1, v10, vcc
	v_subrev_u32_e32 v10, s25, v2
	v_cndmask_b32_e32 v2, v2, v10, vcc
	v_add_u32_e32 v10, 1, v1
	v_cmp_le_u32_e32 vcc, s25, v2
	s_nop 1
	v_cndmask_b32_e32 v1, v1, v10, vcc
	v_xor_b32_e32 v1, s46, v1
	v_subrev_u32_e32 v1, s46, v1
	v_add_u32_e32 v2, s36, v1
	v_sub_u32_e32 v11, 0, v2
	v_ashrrev_i32_e32 v10, 31, v2
	v_max_i32_e32 v2, v2, v11
	v_mul_hi_u32 v11, v2, v29
	v_mul_lo_u32 v11, v11, s22
	v_sub_u32_e32 v2, v2, v11
	v_subrev_u32_e32 v11, s22, v2
	v_cmp_le_u32_e32 vcc, s22, v2
	v_cmp_lt_i32_e64 s[0:1], s37, v1
	s_nop 0
	v_cndmask_b32_e32 v2, v2, v11, vcc
	v_subrev_u32_e32 v11, s22, v2
	v_cmp_le_u32_e32 vcc, s22, v2
	s_nop 1
	v_cndmask_b32_e32 v2, v2, v11, vcc
	v_xor_b32_e32 v2, v2, v10
	v_sub_u32_e32 v2, v2, v10
	v_cmp_eq_u32_e32 vcc, 0, v2
	s_or_b64 s[0:1], vcc, s[0:1]
	s_and_saveexec_b64 s[12:13], s[0:1]
	s_cbranch_execz .LBB252_145
; %bb.147:                              ;   in Loop: Header=BB252_146 Depth=1
	global_load_dword v1, v[8:9], off
	ds_read2_b64 v[10:13], v30 offset1:1
	ds_read2_b64 v[14:17], v30 offset0:2 offset1:3
	s_waitcnt lgkmcnt(1)
	;;#ASMSTART
	v_cvt_f16_f32 v40, v10;

	;;#ASMEND
	;;#ASMSTART
	v_cvt_f16_f32 v41, v11;

	;;#ASMEND
	;; [unrolled: 4-line block ×4, first 2 shown]
	s_waitcnt lgkmcnt(0)
	;;#ASMSTART
	v_cvt_f16_f32 v44, v14;

	;;#ASMEND
	;;#ASMSTART
	v_cvt_f16_f32 v45, v15;

	;;#ASMEND
	;; [unrolled: 4-line block ×4, first 2 shown]
	v_mov_b32_e32 v13, 0
	s_waitcnt vmcnt(0)
	v_mad_i64_i32 v[10:11], s[0:1], v1, s34, v[4:5]
	global_load_dwordx2 v[14:15], v[10:11], off
	v_mov_b32_e32 v1, 0
	global_load_dword v12, v1, s[14:15]
	s_waitcnt vmcnt(1)
	v_cmp_ne_u16_sdwa s[16:17], v14, v3 src0_sel:BYTE_0 src1_sel:DWORD
	s_and_saveexec_b64 s[0:1], s[16:17]
	s_cbranch_execz .LBB252_153
; %bb.148:                              ;   in Loop: Header=BB252_146 Depth=1
	v_cmp_ne_u16_sdwa s[18:19], v14, s28 src0_sel:BYTE_0 src1_sel:DWORD
	v_mov_b32_e32 v13, 0x8000
	s_and_saveexec_b64 s[16:17], s[18:19]
	s_cbranch_execz .LBB252_152
; %bb.149:                              ;   in Loop: Header=BB252_146 Depth=1
	v_and_b32_e32 v2, 0x7f, v14
	v_cmp_ne_u32_e32 vcc, s29, v2
	v_mov_b32_e32 v13, 0x7c01
	s_and_saveexec_b64 s[18:19], vcc
	s_cbranch_execz .LBB252_151
; %bb.150:                              ;   in Loop: Header=BB252_146 Depth=1
	v_and_b32_e32 v13, 7, v14
	v_ffbh_u32_e32 v16, v13
	v_min_u32_e32 v19, 32, v16
	v_subrev_u32_e32 v16, 28, v19
	v_lshlrev_b64 v[16:17], v16, v[14:15]
	v_lshrrev_b32_e32 v18, 3, v2
	v_sub_u32_e32 v17, 29, v19
	v_cmp_gt_u32_e32 vcc, 8, v2
	v_and_b32_e32 v16, 7, v16
	s_nop 0
	v_cndmask_b32_e32 v2, v18, v17, vcc
	v_lshl_add_u32 v2, v2, 10, v31
	v_lshlrev_b32_e32 v17, 8, v14
	v_and_b32_e32 v2, 0xfc00, v2
	v_cndmask_b32_e32 v13, v13, v16, vcc
	v_and_or_b32 v2, v17, s30, v2
	v_lshl_or_b32 v13, v13, 7, v2
.LBB252_151:                            ;   in Loop: Header=BB252_146 Depth=1
	s_or_b64 exec, exec, s[18:19]
.LBB252_152:                            ;   in Loop: Header=BB252_146 Depth=1
	s_or_b64 exec, exec, s[16:17]
.LBB252_153:                            ;   in Loop: Header=BB252_146 Depth=1
	s_or_b64 exec, exec, s[0:1]
	v_lshrrev_b16_e32 v2, 8, v14
	v_cmp_ne_u16_e32 vcc, 0, v2
	s_and_saveexec_b64 s[0:1], vcc
	s_cbranch_execz .LBB252_159
; %bb.154:                              ;   in Loop: Header=BB252_146 Depth=1
	v_cmp_ne_u16_e32 vcc, s28, v2
	v_bfrev_b32_e32 v1, 1
	s_and_saveexec_b64 s[16:17], vcc
	s_cbranch_execz .LBB252_158
; %bb.155:                              ;   in Loop: Header=BB252_146 Depth=1
	v_and_b32_e32 v16, 0x7f, v2
	v_cmp_ne_u32_e32 vcc, s29, v16
	v_mov_b32_e32 v1, 0x7c010000
	s_and_saveexec_b64 s[18:19], vcc
	s_cbranch_execz .LBB252_157
; %bb.156:                              ;   in Loop: Header=BB252_146 Depth=1
	v_and_b32_e32 v1, 7, v2
	v_ffbh_u32_e32 v18, v1
	v_min_u32_e32 v20, 32, v18
	v_subrev_u32_e32 v18, 28, v20
	v_lshlrev_b64 v[18:19], v18, v[2:3]
	v_lshrrev_b32_e32 v17, 3, v16
	v_sub_u32_e32 v19, 29, v20
	v_cmp_gt_u32_e32 vcc, 8, v16
	v_lshlrev_b32_e32 v2, 8, v2
	s_nop 0
	v_cndmask_b32_e32 v16, v17, v19, vcc
	v_lshl_add_u32 v16, v16, 10, v31
	v_and_b32_e32 v17, 7, v18
	v_and_or_b32 v2, v2, s30, v16
	v_cndmask_b32_e32 v1, v1, v17, vcc
	v_lshlrev_b32_e32 v2, 16, v2
	v_lshl_or_b32 v1, v1, 23, v2
.LBB252_157:                            ;   in Loop: Header=BB252_146 Depth=1
	s_or_b64 exec, exec, s[18:19]
.LBB252_158:                            ;   in Loop: Header=BB252_146 Depth=1
	s_or_b64 exec, exec, s[16:17]
.LBB252_159:                            ;   in Loop: Header=BB252_146 Depth=1
	s_or_b64 exec, exec, s[0:1]
	v_lshrrev_b32_e32 v2, 16, v14
	v_cmp_ne_u16_sdwa s[16:17], v2, v3 src0_sel:BYTE_0 src1_sel:DWORD
	v_mov_b32_e32 v17, 0
	v_mov_b32_e32 v16, 0
	s_and_saveexec_b64 s[0:1], s[16:17]
	s_cbranch_execz .LBB252_165
; %bb.160:                              ;   in Loop: Header=BB252_146 Depth=1
	v_cmp_ne_u16_sdwa s[18:19], v2, s28 src0_sel:BYTE_0 src1_sel:DWORD
	v_mov_b32_e32 v16, 0x8000
	s_and_saveexec_b64 s[16:17], s[18:19]
	s_cbranch_execz .LBB252_164
; %bb.161:                              ;   in Loop: Header=BB252_146 Depth=1
	v_bfe_u32 v18, v14, 16, 7
	v_cmp_ne_u32_e32 vcc, s29, v18
	v_mov_b32_e32 v16, 0x7c01
	s_and_saveexec_b64 s[18:19], vcc
	s_cbranch_execz .LBB252_163
; %bb.162:                              ;   in Loop: Header=BB252_146 Depth=1
	v_and_b32_e32 v16, 7, v2
	v_ffbh_u32_e32 v20, v16
	v_min_u32_e32 v32, 32, v20
	v_subrev_u32_e32 v20, 28, v32
	v_lshlrev_b64 v[20:21], v20, v[2:3]
	v_lshrrev_b32_e32 v19, 3, v18
	v_sub_u32_e32 v21, 29, v32
	v_cmp_gt_u32_e32 vcc, 8, v18
	v_lshlrev_b32_e32 v2, 8, v2
	s_nop 0
	v_cndmask_b32_e32 v18, v19, v21, vcc
	v_lshl_add_u32 v18, v18, 10, v31
	v_and_b32_e32 v19, 7, v20
	v_and_b32_e32 v18, 0xfc00, v18
	v_cndmask_b32_e32 v16, v16, v19, vcc
	v_and_or_b32 v2, v2, s30, v18
	v_lshl_or_b32 v16, v16, 7, v2
.LBB252_163:                            ;   in Loop: Header=BB252_146 Depth=1
	s_or_b64 exec, exec, s[18:19]
.LBB252_164:                            ;   in Loop: Header=BB252_146 Depth=1
	s_or_b64 exec, exec, s[16:17]
.LBB252_165:                            ;   in Loop: Header=BB252_146 Depth=1
	s_or_b64 exec, exec, s[0:1]
	v_cmp_lt_u32_e32 vcc, s7, v14
	s_and_saveexec_b64 s[0:1], vcc
	s_cbranch_execz .LBB252_171
; %bb.166:                              ;   in Loop: Header=BB252_146 Depth=1
	v_lshrrev_b32_e32 v2, 24, v14
	v_cmp_ne_u32_e32 vcc, s28, v2
	v_bfrev_b32_e32 v17, 1
	s_and_saveexec_b64 s[16:17], vcc
	s_cbranch_execz .LBB252_170
; %bb.167:                              ;   in Loop: Header=BB252_146 Depth=1
	v_and_b32_e32 v18, 0x7f, v2
	v_cmp_ne_u32_e32 vcc, s29, v18
	v_mov_b32_e32 v17, 0x7c010000
	s_and_saveexec_b64 s[18:19], vcc
	s_cbranch_execz .LBB252_169
; %bb.168:                              ;   in Loop: Header=BB252_146 Depth=1
	v_and_b32_e32 v17, 7, v2
	v_ffbh_u32_e32 v20, v17
	v_min_u32_e32 v32, 32, v20
	v_subrev_u32_e32 v20, 28, v32
	v_lshlrev_b64 v[20:21], v20, v[2:3]
	v_lshrrev_b32_e32 v19, 3, v18
	v_sub_u32_e32 v21, 29, v32
	v_cmp_gt_u32_e32 vcc, 8, v18
	v_lshlrev_b32_e32 v2, 8, v2
	s_nop 0
	v_cndmask_b32_e32 v18, v19, v21, vcc
	v_lshl_add_u32 v18, v18, 10, v31
	v_and_b32_e32 v19, 7, v20
	v_and_or_b32 v2, v2, s30, v18
	v_cndmask_b32_e32 v17, v17, v19, vcc
	v_lshlrev_b32_e32 v2, 16, v2
	v_lshl_or_b32 v17, v17, 23, v2
.LBB252_169:                            ;   in Loop: Header=BB252_146 Depth=1
	s_or_b64 exec, exec, s[18:19]
.LBB252_170:                            ;   in Loop: Header=BB252_146 Depth=1
	s_or_b64 exec, exec, s[16:17]
.LBB252_171:                            ;   in Loop: Header=BB252_146 Depth=1
	s_or_b64 exec, exec, s[0:1]
	v_mov_b32_e32 v2, v15
	v_cmp_ne_u16_sdwa s[16:17], v15, v3 src0_sel:BYTE_0 src1_sel:DWORD
	v_mov_b32_e32 v18, 0
	v_mov_b32_e32 v19, 0
	s_and_saveexec_b64 s[0:1], s[16:17]
	s_cbranch_execz .LBB252_177
; %bb.172:                              ;   in Loop: Header=BB252_146 Depth=1
	v_cmp_ne_u16_sdwa s[18:19], v15, s28 src0_sel:BYTE_0 src1_sel:DWORD
	v_mov_b32_e32 v19, 0x8000
	s_and_saveexec_b64 s[16:17], s[18:19]
	s_cbranch_execz .LBB252_176
; %bb.173:                              ;   in Loop: Header=BB252_146 Depth=1
	v_and_b32_e32 v20, 0x7f, v15
	v_cmp_ne_u32_e32 vcc, s29, v20
	v_mov_b32_e32 v19, 0x7c01
	s_and_saveexec_b64 s[18:19], vcc
	s_cbranch_execz .LBB252_175
; %bb.174:                              ;   in Loop: Header=BB252_146 Depth=1
	v_and_b32_e32 v19, 7, v15
	v_ffbh_u32_e32 v32, v19
	v_min_u32_e32 v34, 32, v32
	v_subrev_u32_e32 v32, 28, v34
	v_lshlrev_b64 v[32:33], v32, v[2:3]
	v_lshrrev_b32_e32 v21, 3, v20
	v_sub_u32_e32 v33, 29, v34
	v_cmp_gt_u32_e32 vcc, 8, v20
	v_and_b32_e32 v32, 7, v32
	s_nop 0
	v_cndmask_b32_e32 v20, v21, v33, vcc
	v_lshl_add_u32 v20, v20, 10, v31
	v_lshlrev_b32_e32 v21, 8, v15
	v_and_b32_e32 v20, 0xfc00, v20
	v_cndmask_b32_e32 v19, v19, v32, vcc
	v_and_or_b32 v20, v21, s30, v20
	v_lshl_or_b32 v19, v19, 7, v20
.LBB252_175:                            ;   in Loop: Header=BB252_146 Depth=1
	s_or_b64 exec, exec, s[18:19]
.LBB252_176:                            ;   in Loop: Header=BB252_146 Depth=1
	s_or_b64 exec, exec, s[16:17]
.LBB252_177:                            ;   in Loop: Header=BB252_146 Depth=1
	s_or_b64 exec, exec, s[0:1]
	v_lshrrev_b16_e32 v2, 8, v2
	v_cmp_ne_u16_e32 vcc, 0, v2
	v_mov_b32_e32 v20, 0
	s_and_saveexec_b64 s[0:1], vcc
	s_cbranch_execz .LBB252_183
; %bb.178:                              ;   in Loop: Header=BB252_146 Depth=1
	v_cmp_ne_u16_e32 vcc, s28, v2
	v_bfrev_b32_e32 v20, 1
	s_and_saveexec_b64 s[16:17], vcc
	s_cbranch_execz .LBB252_182
; %bb.179:                              ;   in Loop: Header=BB252_146 Depth=1
	v_and_b32_e32 v21, 0x7f, v2
	v_cmp_ne_u32_e32 vcc, s29, v21
	v_mov_b32_e32 v20, 0x7c010000
	s_and_saveexec_b64 s[18:19], vcc
	s_cbranch_execz .LBB252_181
; %bb.180:                              ;   in Loop: Header=BB252_146 Depth=1
	v_and_b32_e32 v20, 7, v2
	v_ffbh_u32_e32 v32, v20
	v_min_u32_e32 v35, 32, v32
	v_subrev_u32_e32 v32, 28, v35
	v_lshlrev_b64 v[32:33], v32, v[2:3]
	v_lshrrev_b32_e32 v34, 3, v21
	v_sub_u32_e32 v33, 29, v35
	v_cmp_gt_u32_e32 vcc, 8, v21
	v_lshlrev_b32_e32 v2, 8, v2
	v_and_b32_e32 v32, 7, v32
	v_cndmask_b32_e32 v21, v34, v33, vcc
	v_lshl_add_u32 v21, v21, 10, v31
	v_and_or_b32 v2, v2, s30, v21
	v_cndmask_b32_e32 v20, v20, v32, vcc
	v_lshlrev_b32_e32 v2, 16, v2
	v_lshl_or_b32 v20, v20, 23, v2
.LBB252_181:                            ;   in Loop: Header=BB252_146 Depth=1
	s_or_b64 exec, exec, s[18:19]
.LBB252_182:                            ;   in Loop: Header=BB252_146 Depth=1
	s_or_b64 exec, exec, s[16:17]
.LBB252_183:                            ;   in Loop: Header=BB252_146 Depth=1
	s_or_b64 exec, exec, s[0:1]
	v_lshrrev_b32_e32 v2, 16, v15
	v_cmp_ne_u16_sdwa s[16:17], v2, v3 src0_sel:BYTE_0 src1_sel:DWORD
	s_and_saveexec_b64 s[0:1], s[16:17]
	s_cbranch_execz .LBB252_189
; %bb.184:                              ;   in Loop: Header=BB252_146 Depth=1
	v_cmp_ne_u16_sdwa s[18:19], v2, s28 src0_sel:BYTE_0 src1_sel:DWORD
	v_mov_b32_e32 v18, 0x8000
	s_and_saveexec_b64 s[16:17], s[18:19]
	s_cbranch_execz .LBB252_188
; %bb.185:                              ;   in Loop: Header=BB252_146 Depth=1
	v_bfe_u32 v21, v15, 16, 7
	v_cmp_ne_u32_e32 vcc, s29, v21
	v_mov_b32_e32 v18, 0x7c01
	s_and_saveexec_b64 s[18:19], vcc
	s_cbranch_execz .LBB252_187
; %bb.186:                              ;   in Loop: Header=BB252_146 Depth=1
	v_and_b32_e32 v18, 7, v2
	v_ffbh_u32_e32 v32, v18
	v_min_u32_e32 v35, 32, v32
	v_subrev_u32_e32 v32, 28, v35
	v_lshlrev_b64 v[32:33], v32, v[2:3]
	v_lshrrev_b32_e32 v34, 3, v21
	v_sub_u32_e32 v33, 29, v35
	v_cmp_gt_u32_e32 vcc, 8, v21
	v_lshlrev_b32_e32 v2, 8, v2
	v_and_b32_e32 v32, 7, v32
	v_cndmask_b32_e32 v21, v34, v33, vcc
	v_lshl_add_u32 v21, v21, 10, v31
	v_and_b32_e32 v21, 0xfc00, v21
	v_cndmask_b32_e32 v18, v18, v32, vcc
	v_and_or_b32 v2, v2, s30, v21
	v_lshl_or_b32 v18, v18, 7, v2
.LBB252_187:                            ;   in Loop: Header=BB252_146 Depth=1
	s_or_b64 exec, exec, s[18:19]
.LBB252_188:                            ;   in Loop: Header=BB252_146 Depth=1
	s_or_b64 exec, exec, s[16:17]
.LBB252_189:                            ;   in Loop: Header=BB252_146 Depth=1
	s_or_b64 exec, exec, s[0:1]
	v_cmp_lt_u64_e32 vcc, s[6:7], v[14:15]
	v_mov_b32_e32 v21, 0
	s_and_saveexec_b64 s[0:1], vcc
	s_cbranch_execz .LBB252_195
; %bb.190:                              ;   in Loop: Header=BB252_146 Depth=1
	v_lshrrev_b32_e32 v2, 24, v15
	v_cmp_ne_u32_e32 vcc, s28, v2
	v_bfrev_b32_e32 v21, 1
	s_and_saveexec_b64 s[16:17], vcc
	s_cbranch_execz .LBB252_194
; %bb.191:                              ;   in Loop: Header=BB252_146 Depth=1
	v_and_b32_e32 v14, 0x7f, v2
	v_cmp_ne_u32_e32 vcc, s29, v14
	v_mov_b32_e32 v21, 0x7c010000
	s_and_saveexec_b64 s[18:19], vcc
	s_cbranch_execz .LBB252_193
; %bb.192:                              ;   in Loop: Header=BB252_146 Depth=1
	v_and_b32_e32 v15, 7, v2
	v_ffbh_u32_e32 v32, v15
	v_min_u32_e32 v34, 32, v32
	v_subrev_u32_e32 v32, 28, v34
	v_lshlrev_b64 v[32:33], v32, v[2:3]
	v_lshrrev_b32_e32 v21, 3, v14
	v_sub_u32_e32 v33, 29, v34
	v_cmp_gt_u32_e32 vcc, 8, v14
	v_lshlrev_b32_e32 v2, 8, v2
	s_nop 0
	v_cndmask_b32_e32 v14, v21, v33, vcc
	v_lshl_add_u32 v14, v14, 10, v31
	v_and_b32_e32 v21, 7, v32
	v_and_or_b32 v2, v2, s30, v14
	v_cndmask_b32_e32 v15, v15, v21, vcc
	v_lshlrev_b32_e32 v2, 16, v2
	v_lshl_or_b32 v21, v15, 23, v2
.LBB252_193:                            ;   in Loop: Header=BB252_146 Depth=1
	s_or_b64 exec, exec, s[18:19]
.LBB252_194:                            ;   in Loop: Header=BB252_146 Depth=1
	s_or_b64 exec, exec, s[16:17]
.LBB252_195:                            ;   in Loop: Header=BB252_146 Depth=1
	s_or_b64 exec, exec, s[0:1]
	v_cvt_f32_f16_sdwa v15, v1 dst_sel:DWORD dst_unused:UNUSED_PAD src0_sel:WORD_1
	v_cvt_f32_f16_sdwa v14, v17 dst_sel:DWORD dst_unused:UNUSED_PAD src0_sel:WORD_1
	v_or_b32_e32 v1, v1, v13
	v_or_b32_e32 v2, v17, v16
	v_cvt_f32_f16_e32 v16, v2
	v_cvt_f32_f16_e32 v17, v1
	s_waitcnt vmcnt(0)
	v_pk_mul_f32 v[14:15], v[12:13], v[14:15] op_sel_hi:[0,1]
	v_cvt_pk_f16_f32 v1, v14, v15
	v_and_b32_e32 v13, 0xffff0000, v1
	v_pk_mul_f32 v[16:17], v[12:13], v[16:17] op_sel_hi:[0,1]
	v_lshlrev_b32_e32 v14, 16, v1
	v_cvt_pk_f16_f32 v1, v16, v17
	v_or_b32_e32 v2, v20, v19
	v_or_b32_e32 v17, v21, v18
	v_cvt_f32_f16_e32 v18, v17
	v_cvt_f32_f16_e32 v19, v2
	v_cvt_f32_f16_sdwa v35, v20 dst_sel:DWORD dst_unused:UNUSED_PAD src0_sel:WORD_1
	v_cvt_f32_f16_sdwa v34, v21 dst_sel:DWORD dst_unused:UNUSED_PAD src0_sel:WORD_1
	v_add_u32_e32 v32, v28, v23
	v_pk_mul_f32 v[18:19], v[12:13], v[18:19] op_sel_hi:[0,1]
	v_cvt_pk_f16_f32 v20, v18, v19
	v_pk_mul_f32 v[18:19], v[12:13], v[34:35] op_sel_hi:[0,1]
	v_cvt_pk_f16_f32 v12, v18, v19
	v_lshrrev_b32_e32 v15, 16, v1
	v_and_b32_e32 v16, 0xffff, v1
	v_and_b32_e32 v17, 0xffff0000, v12
	v_lshlrev_b32_e32 v12, 16, v12
	v_lshrrev_b32_e32 v21, 16, v20
	v_and_b32_e32 v20, 0xffff, v20
	v_cmp_eq_u32_e32 vcc, s35, v22
	v_or_b32_e32 v1, v13, v15
	v_or_b32_e32 v2, v14, v16
	;; [unrolled: 1-line block ×4, first 2 shown]
	v_add_u32_e32 v39, 2, v32
	v_or_b32_e32 v38, 1, v32
	v_or_b32_e32 v37, 3, v32
	;; [unrolled: 1-line block ×6, first 2 shown]
	s_and_saveexec_b64 s[16:17], vcc
	s_cbranch_execz .LBB252_197
; %bb.196:                              ;   in Loop: Header=BB252_146 Depth=1
	v_cmp_gt_i32_e64 s[0:1], s38, v32
	s_nop 1
	v_cndmask_b32_e64 v1, 0, v15, s[0:1]
	v_cmp_gt_i32_e64 s[0:1], s11, v39
	s_nop 1
	v_cndmask_b32_e64 v2, 0, v16, s[0:1]
	;; [unrolled: 3-line block ×3, first 2 shown]
	v_cmp_gt_i32_e64 s[0:1], s11, v37
	v_or_b32_e32 v1, v13, v1
	s_nop 0
	v_cndmask_b32_e64 v14, 0, v14, s[0:1]
	v_cmp_gt_i32_e64 s[0:1], s38, v36
	v_or_b32_e32 v2, v14, v2
	s_nop 0
	v_cndmask_b32_e64 v13, 0, v21, s[0:1]
	v_cmp_gt_i32_e64 s[0:1], s11, v35
	s_nop 1
	v_cndmask_b32_e64 v14, 0, v20, s[0:1]
	v_cmp_gt_i32_e64 s[0:1], s38, v34
	;; [unrolled: 3-line block ×3, first 2 shown]
	v_or_b32_e32 v19, v15, v13
	s_nop 0
	v_cndmask_b32_e64 v12, 0, v12, s[0:1]
	v_or_b32_e32 v18, v12, v14
.LBB252_197:                            ;   in Loop: Header=BB252_146 Depth=1
	s_or_b64 exec, exec, s[16:17]
	v_and_b32_e32 v12, 0xffff, v40
	v_lshl_or_b32 v41, v41, 16, v12
	v_and_b32_e32 v12, 0xffff, v42
	v_lshl_or_b32 v40, v43, 16, v12
	v_and_b32_e32 v12, 0xffff, v44
	v_lshl_or_b32 v21, v45, 16, v12
	v_and_b32_e32 v12, 0xffff, v46
	;;#ASMSTART
	v_pk_mul_f16 v1, v41, v1;

	;;#ASMEND
	v_lshl_or_b32 v20, v47, 16, v12
	;;#ASMSTART
	v_pk_mul_f16 v2, v40, v2;

	;;#ASMEND
	;;#ASMSTART
	v_pk_mul_f16 v12, v21, v19;

	;;#ASMEND
	;; [unrolled: 4-line block ×3, first 2 shown]
	s_nop 0
	;;#ASMSTART
	v_pk_add_f16 v1, v1, v2;

	;;#ASMEND
	s_nop 0
	;;#ASMSTART
	v_pk_add_f16 v1, v1, v12;

	;;#ASMEND
	;; [unrolled: 5-line block ×3, first 2 shown]
	s_nop 0
	v_lshrrev_b32_e32 v2, 16, v1
	v_and_b32_e32 v1, 0xffff, v1
	;;#ASMSTART
	v_cvt_f32_f16 v42, v1;
	;;#ASMEND
	;;#ASMSTART
	v_cvt_f32_f16 v43, v2;
	;;#ASMEND
	global_load_dwordx2 v[12:13], v[10:11], off offset:512
	v_mov_b32_e32 v1, 0
	global_load_dword v10, v1, s[14:15]
	v_mov_b32_e32 v11, 0
	s_waitcnt vmcnt(1)
	v_cmp_ne_u16_sdwa s[0:1], v12, v3 src0_sel:BYTE_0 src1_sel:DWORD
	s_and_saveexec_b64 s[16:17], s[0:1]
	s_cbranch_execz .LBB252_203
; %bb.198:                              ;   in Loop: Header=BB252_146 Depth=1
	v_cmp_ne_u16_sdwa s[0:1], v12, s28 src0_sel:BYTE_0 src1_sel:DWORD
	v_mov_b32_e32 v11, 0x8000
	s_and_saveexec_b64 s[18:19], s[0:1]
	s_cbranch_execz .LBB252_202
; %bb.199:                              ;   in Loop: Header=BB252_146 Depth=1
	v_and_b32_e32 v2, 0x7f, v12
	v_cmp_ne_u32_e64 s[0:1], s29, v2
	v_mov_b32_e32 v11, 0x7c01
	s_and_saveexec_b64 s[20:21], s[0:1]
	s_cbranch_execz .LBB252_201
; %bb.200:                              ;   in Loop: Header=BB252_146 Depth=1
	v_and_b32_e32 v11, 7, v12
	v_ffbh_u32_e32 v14, v11
	v_min_u32_e32 v17, 32, v14
	v_subrev_u32_e32 v14, 28, v17
	v_lshlrev_b64 v[14:15], v14, v[12:13]
	v_lshrrev_b32_e32 v16, 3, v2
	v_sub_u32_e32 v15, 29, v17
	v_cmp_gt_u32_e64 s[0:1], 8, v2
	v_and_b32_e32 v14, 7, v14
	s_nop 0
	v_cndmask_b32_e64 v2, v16, v15, s[0:1]
	v_lshl_add_u32 v2, v2, 10, v31
	v_lshlrev_b32_e32 v15, 8, v12
	v_and_b32_e32 v2, 0xfc00, v2
	v_cndmask_b32_e64 v11, v11, v14, s[0:1]
	v_and_or_b32 v2, v15, s30, v2
	v_lshl_or_b32 v11, v11, 7, v2
.LBB252_201:                            ;   in Loop: Header=BB252_146 Depth=1
	s_or_b64 exec, exec, s[20:21]
.LBB252_202:                            ;   in Loop: Header=BB252_146 Depth=1
	s_or_b64 exec, exec, s[18:19]
.LBB252_203:                            ;   in Loop: Header=BB252_146 Depth=1
	s_or_b64 exec, exec, s[16:17]
	v_lshrrev_b16_e32 v2, 8, v12
	v_cmp_ne_u16_e64 s[0:1], 0, v2
	s_and_saveexec_b64 s[16:17], s[0:1]
	s_cbranch_execz .LBB252_209
; %bb.204:                              ;   in Loop: Header=BB252_146 Depth=1
	v_cmp_ne_u16_e64 s[0:1], s28, v2
	v_bfrev_b32_e32 v1, 1
	s_and_saveexec_b64 s[18:19], s[0:1]
	s_cbranch_execz .LBB252_208
; %bb.205:                              ;   in Loop: Header=BB252_146 Depth=1
	v_and_b32_e32 v14, 0x7f, v2
	v_cmp_ne_u32_e64 s[0:1], s29, v14
	v_mov_b32_e32 v1, 0x7c010000
	s_and_saveexec_b64 s[20:21], s[0:1]
	s_cbranch_execz .LBB252_207
; %bb.206:                              ;   in Loop: Header=BB252_146 Depth=1
	v_and_b32_e32 v1, 7, v2
	v_ffbh_u32_e32 v16, v1
	v_min_u32_e32 v18, 32, v16
	v_subrev_u32_e32 v16, 28, v18
	v_lshlrev_b64 v[16:17], v16, v[2:3]
	v_lshrrev_b32_e32 v15, 3, v14
	v_sub_u32_e32 v17, 29, v18
	v_cmp_gt_u32_e64 s[0:1], 8, v14
	v_lshlrev_b32_e32 v2, 8, v2
	s_nop 0
	v_cndmask_b32_e64 v14, v15, v17, s[0:1]
	v_lshl_add_u32 v14, v14, 10, v31
	v_and_b32_e32 v15, 7, v16
	v_and_or_b32 v2, v2, s30, v14
	v_cndmask_b32_e64 v1, v1, v15, s[0:1]
	v_lshlrev_b32_e32 v2, 16, v2
	v_lshl_or_b32 v1, v1, 23, v2
.LBB252_207:                            ;   in Loop: Header=BB252_146 Depth=1
	s_or_b64 exec, exec, s[20:21]
.LBB252_208:                            ;   in Loop: Header=BB252_146 Depth=1
	s_or_b64 exec, exec, s[18:19]
.LBB252_209:                            ;   in Loop: Header=BB252_146 Depth=1
	s_or_b64 exec, exec, s[16:17]
	v_lshrrev_b32_e32 v2, 16, v12
	v_cmp_ne_u16_sdwa s[0:1], v2, v3 src0_sel:BYTE_0 src1_sel:DWORD
	v_mov_b32_e32 v15, 0
	v_mov_b32_e32 v14, 0
	s_and_saveexec_b64 s[16:17], s[0:1]
	s_cbranch_execz .LBB252_215
; %bb.210:                              ;   in Loop: Header=BB252_146 Depth=1
	v_cmp_ne_u16_sdwa s[0:1], v2, s28 src0_sel:BYTE_0 src1_sel:DWORD
	v_mov_b32_e32 v14, 0x8000
	s_and_saveexec_b64 s[18:19], s[0:1]
	s_cbranch_execz .LBB252_214
; %bb.211:                              ;   in Loop: Header=BB252_146 Depth=1
	v_bfe_u32 v16, v12, 16, 7
	v_cmp_ne_u32_e64 s[0:1], s29, v16
	v_mov_b32_e32 v14, 0x7c01
	s_and_saveexec_b64 s[20:21], s[0:1]
	s_cbranch_execz .LBB252_213
; %bb.212:                              ;   in Loop: Header=BB252_146 Depth=1
	v_and_b32_e32 v14, 7, v2
	v_ffbh_u32_e32 v18, v14
	v_min_u32_e32 v44, 32, v18
	v_subrev_u32_e32 v18, 28, v44
	v_lshlrev_b64 v[18:19], v18, v[2:3]
	v_lshrrev_b32_e32 v17, 3, v16
	v_sub_u32_e32 v19, 29, v44
	v_cmp_gt_u32_e64 s[0:1], 8, v16
	v_lshlrev_b32_e32 v2, 8, v2
	s_nop 0
	v_cndmask_b32_e64 v16, v17, v19, s[0:1]
	v_lshl_add_u32 v16, v16, 10, v31
	v_and_b32_e32 v17, 7, v18
	v_and_b32_e32 v16, 0xfc00, v16
	v_cndmask_b32_e64 v14, v14, v17, s[0:1]
	v_and_or_b32 v2, v2, s30, v16
	v_lshl_or_b32 v14, v14, 7, v2
.LBB252_213:                            ;   in Loop: Header=BB252_146 Depth=1
	s_or_b64 exec, exec, s[20:21]
.LBB252_214:                            ;   in Loop: Header=BB252_146 Depth=1
	s_or_b64 exec, exec, s[18:19]
.LBB252_215:                            ;   in Loop: Header=BB252_146 Depth=1
	s_or_b64 exec, exec, s[16:17]
	v_cmp_lt_u32_e64 s[0:1], s7, v12
	s_and_saveexec_b64 s[16:17], s[0:1]
	s_cbranch_execz .LBB252_221
; %bb.216:                              ;   in Loop: Header=BB252_146 Depth=1
	v_lshrrev_b32_e32 v2, 24, v12
	v_cmp_ne_u32_e64 s[0:1], s28, v2
	v_bfrev_b32_e32 v15, 1
	s_and_saveexec_b64 s[18:19], s[0:1]
	s_cbranch_execz .LBB252_220
; %bb.217:                              ;   in Loop: Header=BB252_146 Depth=1
	v_and_b32_e32 v16, 0x7f, v2
	v_cmp_ne_u32_e64 s[0:1], s29, v16
	v_mov_b32_e32 v15, 0x7c010000
	s_and_saveexec_b64 s[20:21], s[0:1]
	s_cbranch_execz .LBB252_219
; %bb.218:                              ;   in Loop: Header=BB252_146 Depth=1
	v_and_b32_e32 v15, 7, v2
	v_ffbh_u32_e32 v18, v15
	v_min_u32_e32 v44, 32, v18
	v_subrev_u32_e32 v18, 28, v44
	v_lshlrev_b64 v[18:19], v18, v[2:3]
	v_lshrrev_b32_e32 v17, 3, v16
	v_sub_u32_e32 v19, 29, v44
	v_cmp_gt_u32_e64 s[0:1], 8, v16
	v_lshlrev_b32_e32 v2, 8, v2
	s_nop 0
	v_cndmask_b32_e64 v16, v17, v19, s[0:1]
	v_lshl_add_u32 v16, v16, 10, v31
	v_and_b32_e32 v17, 7, v18
	v_and_or_b32 v2, v2, s30, v16
	v_cndmask_b32_e64 v15, v15, v17, s[0:1]
	v_lshlrev_b32_e32 v2, 16, v2
	v_lshl_or_b32 v15, v15, 23, v2
.LBB252_219:                            ;   in Loop: Header=BB252_146 Depth=1
	s_or_b64 exec, exec, s[20:21]
.LBB252_220:                            ;   in Loop: Header=BB252_146 Depth=1
	s_or_b64 exec, exec, s[18:19]
.LBB252_221:                            ;   in Loop: Header=BB252_146 Depth=1
	s_or_b64 exec, exec, s[16:17]
	v_mov_b32_e32 v2, v13
	v_cmp_ne_u16_sdwa s[0:1], v13, v3 src0_sel:BYTE_0 src1_sel:DWORD
	v_mov_b32_e32 v16, 0
	v_mov_b32_e32 v17, 0
	s_and_saveexec_b64 s[16:17], s[0:1]
	s_cbranch_execz .LBB252_227
; %bb.222:                              ;   in Loop: Header=BB252_146 Depth=1
	v_cmp_ne_u16_sdwa s[0:1], v13, s28 src0_sel:BYTE_0 src1_sel:DWORD
	v_mov_b32_e32 v17, 0x8000
	s_and_saveexec_b64 s[18:19], s[0:1]
	s_cbranch_execz .LBB252_226
; %bb.223:                              ;   in Loop: Header=BB252_146 Depth=1
	v_and_b32_e32 v18, 0x7f, v13
	v_cmp_ne_u32_e64 s[0:1], s29, v18
	v_mov_b32_e32 v17, 0x7c01
	s_and_saveexec_b64 s[20:21], s[0:1]
	s_cbranch_execz .LBB252_225
; %bb.224:                              ;   in Loop: Header=BB252_146 Depth=1
	v_and_b32_e32 v17, 7, v13
	v_ffbh_u32_e32 v44, v17
	v_min_u32_e32 v46, 32, v44
	v_subrev_u32_e32 v44, 28, v46
	v_lshlrev_b64 v[44:45], v44, v[2:3]
	v_lshrrev_b32_e32 v19, 3, v18
	v_sub_u32_e32 v45, 29, v46
	v_cmp_gt_u32_e64 s[0:1], 8, v18
	v_and_b32_e32 v44, 7, v44
	s_nop 0
	v_cndmask_b32_e64 v18, v19, v45, s[0:1]
	v_lshl_add_u32 v18, v18, 10, v31
	v_lshlrev_b32_e32 v19, 8, v13
	v_and_b32_e32 v18, 0xfc00, v18
	v_cndmask_b32_e64 v17, v17, v44, s[0:1]
	v_and_or_b32 v18, v19, s30, v18
	v_lshl_or_b32 v17, v17, 7, v18
.LBB252_225:                            ;   in Loop: Header=BB252_146 Depth=1
	s_or_b64 exec, exec, s[20:21]
.LBB252_226:                            ;   in Loop: Header=BB252_146 Depth=1
	s_or_b64 exec, exec, s[18:19]
.LBB252_227:                            ;   in Loop: Header=BB252_146 Depth=1
	s_or_b64 exec, exec, s[16:17]
	v_lshrrev_b16_e32 v2, 8, v2
	v_cmp_ne_u16_e64 s[0:1], 0, v2
	v_mov_b32_e32 v18, 0
	s_and_saveexec_b64 s[16:17], s[0:1]
	s_cbranch_execz .LBB252_233
; %bb.228:                              ;   in Loop: Header=BB252_146 Depth=1
	v_cmp_ne_u16_e64 s[0:1], s28, v2
	v_bfrev_b32_e32 v18, 1
	s_and_saveexec_b64 s[18:19], s[0:1]
	s_cbranch_execz .LBB252_232
; %bb.229:                              ;   in Loop: Header=BB252_146 Depth=1
	v_and_b32_e32 v19, 0x7f, v2
	v_cmp_ne_u32_e64 s[0:1], s29, v19
	v_mov_b32_e32 v18, 0x7c010000
	s_and_saveexec_b64 s[20:21], s[0:1]
	s_cbranch_execz .LBB252_231
; %bb.230:                              ;   in Loop: Header=BB252_146 Depth=1
	v_and_b32_e32 v18, 7, v2
	v_ffbh_u32_e32 v44, v18
	v_min_u32_e32 v47, 32, v44
	v_subrev_u32_e32 v44, 28, v47
	v_lshlrev_b64 v[44:45], v44, v[2:3]
	v_lshrrev_b32_e32 v46, 3, v19
	v_sub_u32_e32 v45, 29, v47
	v_cmp_gt_u32_e64 s[0:1], 8, v19
	v_lshlrev_b32_e32 v2, 8, v2
	v_and_b32_e32 v44, 7, v44
	v_cndmask_b32_e64 v19, v46, v45, s[0:1]
	v_lshl_add_u32 v19, v19, 10, v31
	v_and_or_b32 v2, v2, s30, v19
	v_cndmask_b32_e64 v18, v18, v44, s[0:1]
	v_lshlrev_b32_e32 v2, 16, v2
	v_lshl_or_b32 v18, v18, 23, v2
.LBB252_231:                            ;   in Loop: Header=BB252_146 Depth=1
	s_or_b64 exec, exec, s[20:21]
.LBB252_232:                            ;   in Loop: Header=BB252_146 Depth=1
	s_or_b64 exec, exec, s[18:19]
.LBB252_233:                            ;   in Loop: Header=BB252_146 Depth=1
	s_or_b64 exec, exec, s[16:17]
	v_lshrrev_b32_e32 v2, 16, v13
	v_cmp_ne_u16_sdwa s[0:1], v2, v3 src0_sel:BYTE_0 src1_sel:DWORD
	s_and_saveexec_b64 s[16:17], s[0:1]
	s_cbranch_execz .LBB252_239
; %bb.234:                              ;   in Loop: Header=BB252_146 Depth=1
	v_cmp_ne_u16_sdwa s[0:1], v2, s28 src0_sel:BYTE_0 src1_sel:DWORD
	v_mov_b32_e32 v16, 0x8000
	s_and_saveexec_b64 s[18:19], s[0:1]
	s_cbranch_execz .LBB252_238
; %bb.235:                              ;   in Loop: Header=BB252_146 Depth=1
	v_bfe_u32 v19, v13, 16, 7
	v_cmp_ne_u32_e64 s[0:1], s29, v19
	v_mov_b32_e32 v16, 0x7c01
	s_and_saveexec_b64 s[20:21], s[0:1]
	s_cbranch_execz .LBB252_237
; %bb.236:                              ;   in Loop: Header=BB252_146 Depth=1
	v_and_b32_e32 v16, 7, v2
	v_ffbh_u32_e32 v44, v16
	v_min_u32_e32 v47, 32, v44
	v_subrev_u32_e32 v44, 28, v47
	v_lshlrev_b64 v[44:45], v44, v[2:3]
	v_lshrrev_b32_e32 v46, 3, v19
	v_sub_u32_e32 v45, 29, v47
	v_cmp_gt_u32_e64 s[0:1], 8, v19
	v_lshlrev_b32_e32 v2, 8, v2
	v_and_b32_e32 v44, 7, v44
	v_cndmask_b32_e64 v19, v46, v45, s[0:1]
	v_lshl_add_u32 v19, v19, 10, v31
	v_and_b32_e32 v19, 0xfc00, v19
	v_cndmask_b32_e64 v16, v16, v44, s[0:1]
	v_and_or_b32 v2, v2, s30, v19
	v_lshl_or_b32 v16, v16, 7, v2
.LBB252_237:                            ;   in Loop: Header=BB252_146 Depth=1
	s_or_b64 exec, exec, s[20:21]
.LBB252_238:                            ;   in Loop: Header=BB252_146 Depth=1
	s_or_b64 exec, exec, s[18:19]
.LBB252_239:                            ;   in Loop: Header=BB252_146 Depth=1
	s_or_b64 exec, exec, s[16:17]
	v_cmp_lt_u64_e64 s[0:1], s[6:7], v[12:13]
	v_mov_b32_e32 v12, 0
	s_and_saveexec_b64 s[16:17], s[0:1]
	s_cbranch_execz .LBB252_245
; %bb.240:                              ;   in Loop: Header=BB252_146 Depth=1
	v_lshrrev_b32_e32 v2, 24, v13
	v_cmp_ne_u32_e64 s[0:1], s28, v2
	v_bfrev_b32_e32 v12, 1
	s_and_saveexec_b64 s[18:19], s[0:1]
	s_cbranch_execz .LBB252_244
; %bb.241:                              ;   in Loop: Header=BB252_146 Depth=1
	v_and_b32_e32 v13, 0x7f, v2
	v_cmp_ne_u32_e64 s[0:1], s29, v13
	v_mov_b32_e32 v12, 0x7c010000
	s_and_saveexec_b64 s[20:21], s[0:1]
	s_cbranch_execz .LBB252_243
; %bb.242:                              ;   in Loop: Header=BB252_146 Depth=1
	v_and_b32_e32 v12, 7, v2
	v_ffbh_u32_e32 v44, v12
	v_min_u32_e32 v46, 32, v44
	v_subrev_u32_e32 v44, 28, v46
	v_lshlrev_b64 v[44:45], v44, v[2:3]
	v_lshrrev_b32_e32 v19, 3, v13
	v_sub_u32_e32 v45, 29, v46
	v_cmp_gt_u32_e64 s[0:1], 8, v13
	v_lshlrev_b32_e32 v2, 8, v2
	s_nop 0
	v_cndmask_b32_e64 v13, v19, v45, s[0:1]
	v_lshl_add_u32 v13, v13, 10, v31
	v_and_b32_e32 v19, 7, v44
	v_and_or_b32 v2, v2, s30, v13
	v_cndmask_b32_e64 v12, v12, v19, s[0:1]
	v_lshlrev_b32_e32 v2, 16, v2
	v_lshl_or_b32 v12, v12, 23, v2
.LBB252_243:                            ;   in Loop: Header=BB252_146 Depth=1
	s_or_b64 exec, exec, s[20:21]
.LBB252_244:                            ;   in Loop: Header=BB252_146 Depth=1
	s_or_b64 exec, exec, s[18:19]
.LBB252_245:                            ;   in Loop: Header=BB252_146 Depth=1
	s_or_b64 exec, exec, s[16:17]
	v_cvt_f32_f16_sdwa v45, v1 dst_sel:DWORD dst_unused:UNUSED_PAD src0_sel:WORD_1
	v_cvt_f32_f16_sdwa v44, v15 dst_sel:DWORD dst_unused:UNUSED_PAD src0_sel:WORD_1
	v_or_b32_e32 v1, v1, v11
	v_or_b32_e32 v2, v15, v14
	;; [unrolled: 1-line block ×3, first 2 shown]
	s_waitcnt vmcnt(0)
	v_pk_mul_f32 v[14:15], v[10:11], v[44:45] op_sel_hi:[0,1]
	v_cvt_f32_f16_e32 v44, v2
	v_cvt_f32_f16_e32 v45, v1
	v_cvt_pk_f16_f32 v1, v14, v15
	v_and_b32_e32 v11, 0xffff0000, v1
	v_lshlrev_b32_e32 v2, 16, v1
	v_pk_mul_f32 v[14:15], v[10:11], v[44:45] op_sel_hi:[0,1]
	v_cvt_pk_f16_f32 v1, v14, v15
	v_or_b32_e32 v15, v18, v17
	v_cvt_f32_f16_e32 v16, v16
	v_cvt_f32_f16_e32 v17, v15
	v_cvt_f32_f16_sdwa v19, v18 dst_sel:DWORD dst_unused:UNUSED_PAD src0_sel:WORD_1
	v_cvt_f32_f16_sdwa v18, v12 dst_sel:DWORD dst_unused:UNUSED_PAD src0_sel:WORD_1
	v_lshrrev_b32_e32 v13, 16, v1
	v_pk_mul_f32 v[16:17], v[10:11], v[16:17] op_sel_hi:[0,1]
	v_cvt_pk_f16_f32 v44, v16, v17
	v_pk_mul_f32 v[16:17], v[10:11], v[18:19] op_sel_hi:[0,1]
	v_cvt_pk_f16_f32 v10, v16, v17
	v_and_b32_e32 v14, 0xffff, v1
	v_and_b32_e32 v15, 0xffff0000, v10
	v_lshlrev_b32_e32 v10, 16, v10
	v_lshrrev_b32_e32 v17, 16, v44
	v_and_b32_e32 v16, 0xffff, v44
	v_or_b32_e32 v1, v11, v13
	v_or_b32_e32 v12, v2, v14
	;; [unrolled: 1-line block ×4, first 2 shown]
	s_and_saveexec_b64 s[0:1], vcc
	s_cbranch_execz .LBB252_144
; %bb.246:                              ;   in Loop: Header=BB252_146 Depth=1
	v_cmp_gt_i32_e32 vcc, s38, v32
	s_nop 1
	v_cndmask_b32_e32 v1, 0, v13, vcc
	v_cmp_gt_i32_e32 vcc, s11, v39
	s_nop 1
	v_cndmask_b32_e32 v12, 0, v14, vcc
	;; [unrolled: 3-line block ×3, first 2 shown]
	v_cmp_gt_i32_e32 vcc, s11, v37
	v_or_b32_e32 v1, v11, v1
	s_nop 0
	v_cndmask_b32_e32 v2, 0, v2, vcc
	v_cmp_gt_i32_e32 vcc, s38, v36
	v_or_b32_e32 v12, v2, v12
	s_nop 0
	v_cndmask_b32_e32 v2, 0, v17, vcc
	v_cmp_gt_i32_e32 vcc, s11, v35
	s_nop 1
	v_cndmask_b32_e32 v11, 0, v16, vcc
	v_cmp_gt_i32_e32 vcc, s38, v34
	;; [unrolled: 3-line block ×3, first 2 shown]
	v_or_b32_e32 v19, v13, v2
	s_nop 0
	v_cndmask_b32_e32 v10, 0, v10, vcc
	v_or_b32_e32 v18, v10, v11
	s_branch .LBB252_144
.LBB252_247:
	s_or_b64 exec, exec, s[8:9]
.LBB252_248:
	s_or_b64 exec, exec, s[2:3]
	ds_bpermute_b32 v2, v25, v6
	ds_bpermute_b32 v3, v25, v7
	v_and_b32_e32 v1, 0x3c3, v0
	v_cmp_eq_u32_e32 vcc, 64, v1
	s_waitcnt lgkmcnt(0)
	s_barrier
	v_pk_add_f32 v[2:3], v[6:7], v[2:3]
	ds_bpermute_b32 v4, v26, v2
	ds_bpermute_b32 v5, v26, v3
	s_waitcnt lgkmcnt(0)
	v_pk_add_f32 v[2:3], v[2:3], v[4:5]
	s_and_saveexec_b64 s[0:1], vcc
; %bb.249:
	v_add_u32_e32 v4, 0x50, v24
	ds_write2_b32 v4, v2, v3 offset1:16
; %bb.250:
	s_or_b64 exec, exec, s[0:1]
	v_cmp_gt_u32_e32 vcc, 64, v0
	v_lshrrev_b32_e32 v0, 2, v0
	s_waitcnt lgkmcnt(0)
	s_barrier
	s_and_saveexec_b64 s[0:1], vcc
	s_cbranch_execz .LBB252_256
; %bb.251:
	v_mov_b32_e32 v4, 0x50
	v_cmp_eq_u32_e32 vcc, 0, v27
	v_lshl_add_u32 v4, v0, 2, v4
	s_and_saveexec_b64 s[2:3], vcc
	s_cbranch_execz .LBB252_253
; %bb.252:
	ds_read_b32 v5, v4
	s_waitcnt lgkmcnt(0)
	v_add_f32_e32 v2, v2, v5
.LBB252_253:
	s_or_b64 exec, exec, s[2:3]
	s_and_saveexec_b64 s[2:3], vcc
	s_cbranch_execz .LBB252_255
; %bb.254:
	ds_read_b32 v4, v4 offset:64
	s_waitcnt lgkmcnt(0)
	v_add_f32_e32 v3, v3, v4
.LBB252_255:
	s_or_b64 exec, exec, s[2:3]
.LBB252_256:
	s_or_b64 exec, exec, s[0:1]
	v_cmp_eq_u32_e32 vcc, 0, v1
	s_barrier
	s_and_saveexec_b64 s[0:1], vcc
	s_cbranch_execz .LBB252_258
; %bb.257:
	s_mul_i32 s0, s10, s23
	s_mul_i32 s0, s0, s5
	s_lshl_b32 s0, s0, 5
	s_ashr_i32 s1, s0, 31
	s_lshl_b64 s[0:1], s[0:1], 1
	s_add_u32 s2, s26, s0
	s_mul_i32 s0, s23, s24
	s_addc_u32 s3, s27, s1
	s_ashr_i32 s1, s0, 31
	s_lshl_b64 s[0:1], s[0:1], 1
	s_add_u32 s2, s2, s0
	s_addc_u32 s3, s3, s1
	s_lshl_b32 s0, s4, 5
	s_ashr_i32 s1, s0, 31
	s_lshl_b64 s[0:1], s[0:1], 1
	s_add_u32 s0, s2, s0
	s_addc_u32 s1, s3, s1
	v_lshlrev_b32_e32 v0, 1, v0
	;;#ASMSTART
	v_cvt_f16_f32 v1, v2;

	;;#ASMEND
	global_store_short v0, v1, s[0:1]
	;;#ASMSTART
	v_cvt_f16_f32 v1, v3;

	;;#ASMEND
	global_store_short v0, v1, s[0:1] offset:32
.LBB252_258:
	s_endpgm
	.section	.rodata,"a",@progbits
	.p2align	6, 0x0
	.amdhsa_kernel _ZN4vllm25paged_attention_v1_kernelIthLi32ELi32ELi128ELNS_18Fp8KVCacheDataTypeE1ELb1EEEvPT_PKS2_PKT0_S8_ifPKiSA_iPKfiiiSC_SC_iiiii
		.amdhsa_group_segment_fixed_size 80
		.amdhsa_private_segment_fixed_size 0
		.amdhsa_kernarg_size 384
		.amdhsa_user_sgpr_count 2
		.amdhsa_user_sgpr_dispatch_ptr 0
		.amdhsa_user_sgpr_queue_ptr 0
		.amdhsa_user_sgpr_kernarg_segment_ptr 1
		.amdhsa_user_sgpr_dispatch_id 0
		.amdhsa_user_sgpr_kernarg_preload_length 0
		.amdhsa_user_sgpr_kernarg_preload_offset 0
		.amdhsa_user_sgpr_private_segment_size 0
		.amdhsa_uses_dynamic_stack 0
		.amdhsa_enable_private_segment 0
		.amdhsa_system_sgpr_workgroup_id_x 1
		.amdhsa_system_sgpr_workgroup_id_y 1
		.amdhsa_system_sgpr_workgroup_id_z 1
		.amdhsa_system_sgpr_workgroup_info 0
		.amdhsa_system_vgpr_workitem_id 0
		.amdhsa_next_free_vgpr 48
		.amdhsa_next_free_sgpr 56
		.amdhsa_accum_offset 48
		.amdhsa_reserve_vcc 1
		.amdhsa_float_round_mode_32 0
		.amdhsa_float_round_mode_16_64 0
		.amdhsa_float_denorm_mode_32 3
		.amdhsa_float_denorm_mode_16_64 3
		.amdhsa_dx10_clamp 1
		.amdhsa_ieee_mode 1
		.amdhsa_fp16_overflow 0
		.amdhsa_tg_split 0
		.amdhsa_exception_fp_ieee_invalid_op 0
		.amdhsa_exception_fp_denorm_src 0
		.amdhsa_exception_fp_ieee_div_zero 0
		.amdhsa_exception_fp_ieee_overflow 0
		.amdhsa_exception_fp_ieee_underflow 0
		.amdhsa_exception_fp_ieee_inexact 0
		.amdhsa_exception_int_div_zero 0
	.end_amdhsa_kernel
	.section	.text._ZN4vllm25paged_attention_v1_kernelIthLi32ELi32ELi128ELNS_18Fp8KVCacheDataTypeE1ELb1EEEvPT_PKS2_PKT0_S8_ifPKiSA_iPKfiiiSC_SC_iiiii,"axG",@progbits,_ZN4vllm25paged_attention_v1_kernelIthLi32ELi32ELi128ELNS_18Fp8KVCacheDataTypeE1ELb1EEEvPT_PKS2_PKT0_S8_ifPKiSA_iPKfiiiSC_SC_iiiii,comdat
.Lfunc_end252:
	.size	_ZN4vllm25paged_attention_v1_kernelIthLi32ELi32ELi128ELNS_18Fp8KVCacheDataTypeE1ELb1EEEvPT_PKS2_PKT0_S8_ifPKiSA_iPKfiiiSC_SC_iiiii, .Lfunc_end252-_ZN4vllm25paged_attention_v1_kernelIthLi32ELi32ELi128ELNS_18Fp8KVCacheDataTypeE1ELb1EEEvPT_PKS2_PKT0_S8_ifPKiSA_iPKfiiiSC_SC_iiiii
                                        ; -- End function
	.set _ZN4vllm25paged_attention_v1_kernelIthLi32ELi32ELi128ELNS_18Fp8KVCacheDataTypeE1ELb1EEEvPT_PKS2_PKT0_S8_ifPKiSA_iPKfiiiSC_SC_iiiii.num_vgpr, 48
	.set _ZN4vllm25paged_attention_v1_kernelIthLi32ELi32ELi128ELNS_18Fp8KVCacheDataTypeE1ELb1EEEvPT_PKS2_PKT0_S8_ifPKiSA_iPKfiiiSC_SC_iiiii.num_agpr, 0
	.set _ZN4vllm25paged_attention_v1_kernelIthLi32ELi32ELi128ELNS_18Fp8KVCacheDataTypeE1ELb1EEEvPT_PKS2_PKT0_S8_ifPKiSA_iPKfiiiSC_SC_iiiii.numbered_sgpr, 56
	.set _ZN4vllm25paged_attention_v1_kernelIthLi32ELi32ELi128ELNS_18Fp8KVCacheDataTypeE1ELb1EEEvPT_PKS2_PKT0_S8_ifPKiSA_iPKfiiiSC_SC_iiiii.num_named_barrier, 0
	.set _ZN4vllm25paged_attention_v1_kernelIthLi32ELi32ELi128ELNS_18Fp8KVCacheDataTypeE1ELb1EEEvPT_PKS2_PKT0_S8_ifPKiSA_iPKfiiiSC_SC_iiiii.private_seg_size, 0
	.set _ZN4vllm25paged_attention_v1_kernelIthLi32ELi32ELi128ELNS_18Fp8KVCacheDataTypeE1ELb1EEEvPT_PKS2_PKT0_S8_ifPKiSA_iPKfiiiSC_SC_iiiii.uses_vcc, 1
	.set _ZN4vllm25paged_attention_v1_kernelIthLi32ELi32ELi128ELNS_18Fp8KVCacheDataTypeE1ELb1EEEvPT_PKS2_PKT0_S8_ifPKiSA_iPKfiiiSC_SC_iiiii.uses_flat_scratch, 0
	.set _ZN4vllm25paged_attention_v1_kernelIthLi32ELi32ELi128ELNS_18Fp8KVCacheDataTypeE1ELb1EEEvPT_PKS2_PKT0_S8_ifPKiSA_iPKfiiiSC_SC_iiiii.has_dyn_sized_stack, 0
	.set _ZN4vllm25paged_attention_v1_kernelIthLi32ELi32ELi128ELNS_18Fp8KVCacheDataTypeE1ELb1EEEvPT_PKS2_PKT0_S8_ifPKiSA_iPKfiiiSC_SC_iiiii.has_recursion, 0
	.set _ZN4vllm25paged_attention_v1_kernelIthLi32ELi32ELi128ELNS_18Fp8KVCacheDataTypeE1ELb1EEEvPT_PKS2_PKT0_S8_ifPKiSA_iPKfiiiSC_SC_iiiii.has_indirect_call, 0
	.section	.AMDGPU.csdata,"",@progbits
; Kernel info:
; codeLenInByte = 11864
; TotalNumSgprs: 62
; NumVgprs: 48
; NumAgprs: 0
; TotalNumVgprs: 48
; ScratchSize: 0
; MemoryBound: 0
; FloatMode: 240
; IeeeMode: 1
; LDSByteSize: 80 bytes/workgroup (compile time only)
; SGPRBlocks: 7
; VGPRBlocks: 5
; NumSGPRsForWavesPerEU: 62
; NumVGPRsForWavesPerEU: 48
; AccumOffset: 48
; Occupancy: 8
; WaveLimiterHint : 1
; COMPUTE_PGM_RSRC2:SCRATCH_EN: 0
; COMPUTE_PGM_RSRC2:USER_SGPR: 2
; COMPUTE_PGM_RSRC2:TRAP_HANDLER: 0
; COMPUTE_PGM_RSRC2:TGID_X_EN: 1
; COMPUTE_PGM_RSRC2:TGID_Y_EN: 1
; COMPUTE_PGM_RSRC2:TGID_Z_EN: 1
; COMPUTE_PGM_RSRC2:TIDIG_COMP_CNT: 0
; COMPUTE_PGM_RSRC3_GFX90A:ACCUM_OFFSET: 11
; COMPUTE_PGM_RSRC3_GFX90A:TG_SPLIT: 0
	.section	.text._ZN4vllm25paged_attention_v1_kernelIthLi64ELi32ELi128ELNS_18Fp8KVCacheDataTypeE1ELb1EEEvPT_PKS2_PKT0_S8_ifPKiSA_iPKfiiiSC_SC_iiiii,"axG",@progbits,_ZN4vllm25paged_attention_v1_kernelIthLi64ELi32ELi128ELNS_18Fp8KVCacheDataTypeE1ELb1EEEvPT_PKS2_PKT0_S8_ifPKiSA_iPKfiiiSC_SC_iiiii,comdat
	.protected	_ZN4vllm25paged_attention_v1_kernelIthLi64ELi32ELi128ELNS_18Fp8KVCacheDataTypeE1ELb1EEEvPT_PKS2_PKT0_S8_ifPKiSA_iPKfiiiSC_SC_iiiii ; -- Begin function _ZN4vllm25paged_attention_v1_kernelIthLi64ELi32ELi128ELNS_18Fp8KVCacheDataTypeE1ELb1EEEvPT_PKS2_PKT0_S8_ifPKiSA_iPKfiiiSC_SC_iiiii
	.globl	_ZN4vllm25paged_attention_v1_kernelIthLi64ELi32ELi128ELNS_18Fp8KVCacheDataTypeE1ELb1EEEvPT_PKS2_PKT0_S8_ifPKiSA_iPKfiiiSC_SC_iiiii
	.p2align	8
	.type	_ZN4vllm25paged_attention_v1_kernelIthLi64ELi32ELi128ELNS_18Fp8KVCacheDataTypeE1ELb1EEEvPT_PKS2_PKT0_S8_ifPKiSA_iPKfiiiSC_SC_iiiii,@function
_ZN4vllm25paged_attention_v1_kernelIthLi64ELi32ELi128ELNS_18Fp8KVCacheDataTypeE1ELb1EEEvPT_PKS2_PKT0_S8_ifPKiSA_iPKfiiiSC_SC_iiiii: ; @_ZN4vllm25paged_attention_v1_kernelIthLi64ELi32ELi128ELNS_18Fp8KVCacheDataTypeE1ELb1EEEvPT_PKS2_PKT0_S8_ifPKiSA_iPKfiiiSC_SC_iiiii
; %bb.0:
	s_load_dword s5, s[0:1], 0x80
	s_load_dwordx2 s[6:7], s[0:1], 0x30
	s_load_dwordx2 s[36:37], s[0:1], 0x20
	s_mov_b32 s10, s3
	s_ashr_i32 s11, s3, 31
	s_lshl_b64 s[8:9], s[10:11], 2
	s_waitcnt lgkmcnt(0)
	s_add_u32 s6, s6, s8
	s_addc_u32 s7, s7, s9
	s_abs_i32 s3, s36
	v_cvt_f32_u32_e32 v1, s3
	s_sub_i32 s11, 0, s3
	s_abs_i32 s9, s5
	s_xor_b32 s8, s5, s36
	v_rcp_iflag_f32_e32 v1, v1
	s_ashr_i32 s8, s8, 31
	s_mov_b32 s48, 0
	v_mul_f32_e32 v1, 0x4f7ffffe, v1
	v_cvt_u32_f32_e32 v1, v1
	s_nop 0
	v_readfirstlane_b32 s12, v1
	s_mul_i32 s11, s11, s12
	s_mul_hi_u32 s11, s12, s11
	s_add_i32 s12, s12, s11
	s_mul_hi_u32 s11, s9, s12
	s_mul_i32 s12, s11, s3
	s_sub_i32 s9, s9, s12
	s_add_i32 s12, s11, 1
	s_sub_i32 s13, s9, s3
	s_cmp_ge_u32 s9, s3
	s_cselect_b32 s11, s12, s11
	s_cselect_b32 s9, s13, s9
	s_add_i32 s12, s11, 1
	s_cmp_ge_u32 s9, s3
	s_cselect_b32 s3, s12, s11
	s_xor_b32 s3, s3, s8
	s_sub_i32 s14, s3, s8
	s_abs_i32 s11, s14
	v_cvt_f32_u32_e32 v1, s11
	s_load_dwordx2 s[8:9], s[0:1], 0x40
	s_sub_i32 s3, 0, s11
	s_abs_i32 s12, s2
	v_rcp_iflag_f32_e32 v1, v1
	s_nop 0
	v_mul_f32_e32 v1, 0x4f7ffffe, v1
	v_cvt_u32_f32_e32 v1, v1
	s_nop 0
	v_readfirstlane_b32 s13, v1
	s_mul_i32 s3, s3, s13
	s_mul_hi_u32 s3, s13, s3
	s_add_i32 s13, s13, s3
	s_waitcnt lgkmcnt(0)
	s_cmp_eq_u64 s[8:9], 0
	s_mul_hi_u32 s13, s12, s13
	s_cbranch_scc1 .LBB253_2
; %bb.1:
	s_ashr_i32 s3, s2, 31
	s_lshl_b64 s[16:17], s[2:3], 2
	s_add_u32 s8, s8, s16
	s_addc_u32 s9, s9, s17
	s_load_dword s48, s[8:9], 0x0
.LBB253_2:
	s_load_dword s33, s[6:7], 0x0
	s_load_dwordx4 s[16:19], s[0:1], 0x48
	s_ashr_i32 s3, s2, 31
	s_ashr_i32 s9, s14, 31
	v_and_b32_e32 v4, 1, v0
	s_lshl_b32 s24, s2, 6
	v_cmp_gt_u32_e32 vcc, 16, v0
	v_lshlrev_b32_e32 v1, 3, v0
	s_and_saveexec_b64 s[6:7], vcc
	s_cbranch_execz .LBB253_4
; %bb.3:
	s_load_dwordx2 s[14:15], s[0:1], 0x8
	s_waitcnt lgkmcnt(0)
	s_mul_i32 s20, s16, s10
	s_ashr_i32 s21, s20, 31
	s_lshl_b64 s[20:21], s[20:21], 1
	v_lshlrev_b32_e32 v5, 2, v0
	s_add_u32 s8, s14, s20
	s_addc_u32 s16, s15, s21
	s_ashr_i32 s25, s24, 31
	s_lshl_b64 s[14:15], s[24:25], 1
	s_add_u32 s14, s8, s14
	s_addc_u32 s15, s16, s15
	global_load_dwordx2 v[2:3], v1, s[14:15]
	v_and_b32_e32 v5, 0xff8, v5
	v_lshl_add_u32 v5, v4, 6, v5
	s_waitcnt vmcnt(0)
	ds_write_b64 v5, v[2:3]
.LBB253_4:
	s_or_b64 exec, exec, s[6:7]
	s_mul_i32 s6, s13, s11
	s_sub_i32 s6, s12, s6
	s_xor_b32 s3, s3, s9
	s_add_i32 s7, s13, 1
	s_sub_i32 s9, s6, s11
	s_load_dwordx4 s[20:23], s[0:1], 0x68
	s_load_dword s8, s[0:1], 0x78
	s_cmp_ge_u32 s6, s11
	s_cselect_b32 s7, s7, s13
	s_cselect_b32 s6, s9, s6
	s_add_i32 s9, s7, 1
	s_cmp_ge_u32 s6, s11
	s_cselect_b32 s6, s9, s7
	s_waitcnt lgkmcnt(0)
	s_abs_i32 s25, s23
	v_cvt_f32_u32_e32 v2, s25
	s_xor_b32 s6, s6, s3
	s_sub_i32 s3, s6, s3
	s_sub_i32 s6, 0, s25
	v_rcp_iflag_f32_e32 v2, v2
	s_add_i32 s11, s33, -1
	s_abs_i32 s9, s11
	v_mul_f32_e32 v2, 0x4f7ffffe, v2
	v_cvt_u32_f32_e32 v2, v2
	s_barrier
	v_readfirstlane_b32 s46, v2
	s_mul_i32 s6, s6, s46
	s_mul_hi_u32 s6, s46, s6
	s_add_i32 s46, s46, s6
	s_cmp_lt_i32 s8, 0
	s_mul_hi_u32 s16, s9, s46
	s_cbranch_scc0 .LBB253_6
; %bb.5:
	s_mul_i32 s6, s20, s36
	s_add_i32 s6, s3, s6
	s_mul_i32 s6, s6, s8
	s_sub_i32 s36, 1, s6
	s_mov_b64 s[6:7], 0
	s_branch .LBB253_7
.LBB253_6:
	s_mov_b64 s[6:7], -1
                                        ; implicit-def: $sgpr36
.LBB253_7:
	s_load_dwordx2 s[28:29], s[0:1], 0x28
	s_ashr_i32 s19, s11, 31
	s_andn2_b64 vcc, exec, s[6:7]
	s_ashr_i32 s23, s23, 31
	s_cbranch_vccnz .LBB253_9
; %bb.8:
	s_mul_i32 s6, s5, s20
	s_add_i32 s2, s6, s2
	s_mul_i32 s2, s2, s8
	s_add_i32 s36, s2, 1
.LBB253_9:
	s_load_dword s2, s[0:1], 0x38
	s_load_dwordx2 s[26:27], s[0:1], 0x0
	s_load_dwordx2 s[34:35], s[0:1], 0x18
	s_load_dword s11, s[0:1], 0x88
	s_load_dwordx4 s[12:15], s[0:1], 0x58
	s_mul_i32 s6, s16, s25
	s_waitcnt lgkmcnt(0)
	s_mul_i32 s30, s2, s10
	s_sub_i32 s6, s9, s6
	s_ashr_i32 s31, s30, 31
	s_xor_b32 s2, s19, s23
	s_add_i32 s7, s16, 1
	s_sub_i32 s8, s6, s25
	s_cmp_ge_u32 s6, s25
	s_cselect_b32 s7, s7, s16
	s_cselect_b32 s6, s8, s6
	s_add_i32 s8, s7, 1
	s_cmp_ge_u32 s6, s25
	s_cselect_b32 s6, s8, s7
	s_xor_b32 s6, s6, s2
	s_sub_i32 s16, s6, s2
	s_add_i32 s2, s33, 31
	s_ashr_i32 s6, s2, 31
	s_lshr_b32 s6, s6, 27
	s_add_i32 s2, s2, s6
	s_ashr_i32 s47, s2, 5
	v_lshrrev_b32_e32 v24, 6, v0
	v_cmp_gt_i32_e64 s[6:7], s47, v24
	v_mov_b32_e32 v15, 0xff7fffff
	s_mul_i32 s20, s3, s18
	v_lshrrev_b32_e32 v11, 4, v0
	v_lshlrev_b32_e32 v25, 5, v24
	v_mbcnt_lo_u32_b32 v12, -1, 0
	s_and_saveexec_b64 s[18:19], s[6:7]
	s_cbranch_execz .LBB253_213
; %bb.10:
	s_load_dwordx2 s[0:1], s[0:1], 0x10
	s_sub_i32 s49, s16, s21
	s_ashr_i32 s2, s20, 31
	v_bfe_u32 v13, v0, 1, 5
	v_mov_b32_e32 v3, 0
	s_waitcnt lgkmcnt(0)
	s_add_u32 s0, s0, s20
	s_addc_u32 s1, s1, s2
	s_abs_i32 s50, s22
	v_cvt_f32_u32_e32 v2, s50
	v_cmp_eq_u32_e32 vcc, 0, v4
	v_lshlrev_b32_e32 v14, 6, v4
	s_mov_b32 s51, s17
	v_rcp_iflag_f32_e32 v5, v2
	v_lshlrev_b32_e32 v2, 4, v13
	v_lshl_add_u64 v[6:7], s[0:1], 0, v[2:3]
	s_sub_i32 s0, 0, s50
	v_mul_f32_e32 v5, 0x4f7ffffe, v5
	v_cvt_u32_f32_e32 v5, v5
	v_lshlrev_b32_e32 v2, 2, v4
	v_cmp_neq_f32_e64 s[2:3], s48, 0
	v_lshlrev_b32_e32 v17, 5, v24
	v_mul_lo_u32 v4, s0, v5
	s_lshl_b64 s[0:1], s[30:31], 2
	v_mul_hi_u32 v4, v5, v4
	s_add_u32 s0, s28, s0
	v_add_u32_e32 v16, v5, v4
	v_lshl_add_u64 v[4:5], v[6:7], 0, v[2:3]
	v_and_b32_e32 v2, 60, v11
	s_addc_u32 s1, s29, s1
	v_lshl_add_u64 v[6:7], s[0:1], 0, v[2:3]
	v_subrev_u32_e32 v2, s33, v13
	v_add_u32_e32 v18, 1, v2
	v_lshlrev_b32_e32 v2, 2, v13
	v_lshl_or_b32 v2, v24, 7, v2
	v_add_u32_e32 v19, 0x90, v2
	v_mov_b32_e32 v20, 0xff7fffff
	s_mov_b64 s[38:39], 0
	s_movk_i32 s52, 0x80
	s_movk_i32 s53, 0x7f
	s_mov_b32 s54, 0x8000
	s_mov_b32 s55, 0xffffff
	v_mov_b32_e32 v21, 0x2000
	v_mbcnt_hi_u32_b32 v22, -1, v12
	v_mov_b32_e32 v15, 0xff7fffff
	v_mov_b32_e32 v23, v24
	s_branch .LBB253_13
.LBB253_11:                             ;   in Loop: Header=BB253_13 Depth=1
	s_or_b64 exec, exec, s[40:41]
.LBB253_12:                             ;   in Loop: Header=BB253_13 Depth=1
	s_or_b64 exec, exec, s[8:9]
	v_add_u32_e32 v23, 2, v23
	v_cmp_le_i32_e64 s[0:1], s47, v23
	v_lshl_add_u64 v[6:7], v[6:7], 0, 8
	v_add_u32_e32 v17, 64, v17
	s_or_b64 s[38:39], s[0:1], s[38:39]
	v_add_u32_e32 v19, 0x100, v19
	s_andn2_b64 exec, exec, s[38:39]
	s_cbranch_execz .LBB253_212
.LBB253_13:                             ; =>This Inner Loop Header: Depth=1
	v_mul_hi_u32 v2, v17, s46
	s_waitcnt lgkmcnt(0)
	v_mul_lo_u32 v8, v2, s25
	v_sub_u32_e32 v8, v17, v8
	v_add_u32_e32 v9, 1, v2
	v_cmp_le_u32_e64 s[0:1], s25, v8
	s_nop 1
	v_cndmask_b32_e64 v2, v2, v9, s[0:1]
	v_subrev_u32_e32 v9, s25, v8
	v_cndmask_b32_e64 v8, v8, v9, s[0:1]
	v_add_u32_e32 v9, 1, v2
	v_cmp_le_u32_e64 s[0:1], s25, v8
	s_nop 1
	v_cndmask_b32_e64 v2, v2, v9, s[0:1]
	v_xor_b32_e32 v2, s23, v2
	v_subrev_u32_e32 v2, s23, v2
	v_add_u32_e32 v8, s36, v2
	v_sub_u32_e32 v10, 0, v8
	v_ashrrev_i32_e32 v9, 31, v8
	v_max_i32_e32 v8, v8, v10
	v_mul_hi_u32 v10, v8, v16
	v_mul_lo_u32 v10, v10, s50
	v_sub_u32_e32 v8, v8, v10
	v_subrev_u32_e32 v10, s50, v8
	v_cmp_le_u32_e64 s[0:1], s50, v8
	v_cmp_ge_i32_e64 s[8:9], s49, v2
	s_nop 0
	v_cndmask_b32_e64 v8, v8, v10, s[0:1]
	v_subrev_u32_e32 v10, s50, v8
	v_cmp_le_u32_e64 s[0:1], s50, v8
	s_nop 1
	v_cndmask_b32_e64 v8, v8, v10, s[0:1]
	v_xor_b32_e32 v8, v8, v9
	v_sub_u32_e32 v8, v8, v9
	v_cmp_ne_u32_e64 s[0:1], 0, v8
	s_and_b64 s[0:1], s[0:1], s[8:9]
	s_and_saveexec_b64 s[8:9], s[0:1]
	s_xor_b64 s[0:1], exec, s[8:9]
	s_cbranch_execz .LBB253_17
; %bb.14:                               ;   in Loop: Header=BB253_13 Depth=1
	s_and_saveexec_b64 s[8:9], vcc
; %bb.15:                               ;   in Loop: Header=BB253_13 Depth=1
	ds_write_b32 v19, v20
; %bb.16:                               ;   in Loop: Header=BB253_13 Depth=1
	s_or_b64 exec, exec, s[8:9]
.LBB253_17:                             ;   in Loop: Header=BB253_13 Depth=1
	s_andn2_saveexec_b64 s[8:9], s[0:1]
	s_cbranch_execz .LBB253_12
; %bb.18:                               ;   in Loop: Header=BB253_13 Depth=1
	global_load_dword v2, v[6:7], off
	v_mov_b32_e32 v27, 0
	global_load_dword v26, v27, s[12:13]
	v_mov_b32_e32 v28, 0
	s_waitcnt vmcnt(1)
	v_mad_i64_i32 v[8:9], s[0:1], v2, s51, v[4:5]
	global_load_dword v10, v[8:9], off
	s_waitcnt vmcnt(0)
	v_cmp_ne_u16_sdwa s[0:1], v10, v3 src0_sel:BYTE_0 src1_sel:DWORD
	s_and_saveexec_b64 s[40:41], s[0:1]
	s_cbranch_execz .LBB253_24
; %bb.19:                               ;   in Loop: Header=BB253_13 Depth=1
	v_cmp_ne_u16_sdwa s[0:1], v10, s52 src0_sel:BYTE_0 src1_sel:DWORD
	v_mov_b32_e32 v28, 0x8000
	s_and_saveexec_b64 s[42:43], s[0:1]
	s_cbranch_execz .LBB253_23
; %bb.20:                               ;   in Loop: Header=BB253_13 Depth=1
	v_and_b32_e32 v2, 0x7f, v10
	v_cmp_ne_u32_e64 s[0:1], s53, v2
	v_mov_b32_e32 v28, 0x7c01
	s_and_saveexec_b64 s[44:45], s[0:1]
	s_cbranch_execz .LBB253_22
; %bb.21:                               ;   in Loop: Header=BB253_13 Depth=1
	v_and_b32_e32 v30, 7, v10
	v_ffbh_u32_e32 v28, v30
	v_min_u32_e32 v32, 32, v28
	v_subrev_u32_e32 v28, 28, v32
	v_lshlrev_b64 v[28:29], v28, v[10:11]
	v_lshrrev_b32_e32 v31, 3, v2
	v_sub_u32_e32 v29, 29, v32
	v_cmp_gt_u32_e64 s[0:1], 8, v2
	v_and_b32_e32 v28, 7, v28
	s_nop 0
	v_cndmask_b32_e64 v2, v31, v29, s[0:1]
	v_lshl_add_u32 v2, v2, 10, v21
	v_lshlrev_b32_e32 v29, 8, v10
	v_and_b32_e32 v2, 0xfc00, v2
	v_cndmask_b32_e64 v28, v30, v28, s[0:1]
	v_and_or_b32 v2, v29, s54, v2
	v_lshl_or_b32 v28, v28, 7, v2
.LBB253_22:                             ;   in Loop: Header=BB253_13 Depth=1
	s_or_b64 exec, exec, s[44:45]
.LBB253_23:                             ;   in Loop: Header=BB253_13 Depth=1
	s_or_b64 exec, exec, s[42:43]
.LBB253_24:                             ;   in Loop: Header=BB253_13 Depth=1
	s_or_b64 exec, exec, s[40:41]
	v_lshrrev_b16_e32 v2, 8, v10
	v_cmp_ne_u16_e64 s[0:1], 0, v2
	s_and_saveexec_b64 s[40:41], s[0:1]
	s_cbranch_execz .LBB253_30
; %bb.25:                               ;   in Loop: Header=BB253_13 Depth=1
	v_cmp_ne_u16_e64 s[0:1], s52, v2
	v_bfrev_b32_e32 v27, 1
	s_and_saveexec_b64 s[42:43], s[0:1]
	s_cbranch_execz .LBB253_29
; %bb.26:                               ;   in Loop: Header=BB253_13 Depth=1
	v_and_b32_e32 v29, 0x7f, v2
	v_cmp_ne_u32_e64 s[0:1], s53, v29
	v_mov_b32_e32 v27, 0x7c010000
	s_and_saveexec_b64 s[44:45], s[0:1]
	s_cbranch_execz .LBB253_28
; %bb.27:                               ;   in Loop: Header=BB253_13 Depth=1
	v_and_b32_e32 v27, 7, v2
	v_ffbh_u32_e32 v30, v27
	v_min_u32_e32 v33, 32, v30
	v_subrev_u32_e32 v30, 28, v33
	v_lshlrev_b64 v[30:31], v30, v[2:3]
	v_lshrrev_b32_e32 v32, 3, v29
	v_sub_u32_e32 v31, 29, v33
	v_cmp_gt_u32_e64 s[0:1], 8, v29
	v_lshlrev_b32_e32 v2, 8, v2
	v_and_b32_e32 v30, 7, v30
	v_cndmask_b32_e64 v29, v32, v31, s[0:1]
	v_lshl_add_u32 v29, v29, 10, v21
	v_and_or_b32 v2, v2, s54, v29
	v_cndmask_b32_e64 v27, v27, v30, s[0:1]
	v_lshlrev_b32_e32 v2, 16, v2
	v_lshl_or_b32 v27, v27, 23, v2
.LBB253_28:                             ;   in Loop: Header=BB253_13 Depth=1
	s_or_b64 exec, exec, s[44:45]
.LBB253_29:                             ;   in Loop: Header=BB253_13 Depth=1
	s_or_b64 exec, exec, s[42:43]
.LBB253_30:                             ;   in Loop: Header=BB253_13 Depth=1
	s_or_b64 exec, exec, s[40:41]
	v_lshrrev_b32_e32 v2, 16, v10
	v_cmp_ne_u16_sdwa s[0:1], v2, v3 src0_sel:BYTE_0 src1_sel:DWORD
	v_mov_b32_e32 v29, 0
	v_mov_b32_e32 v30, 0
	s_and_saveexec_b64 s[40:41], s[0:1]
	s_cbranch_execz .LBB253_36
; %bb.31:                               ;   in Loop: Header=BB253_13 Depth=1
	v_cmp_ne_u16_sdwa s[0:1], v2, s52 src0_sel:BYTE_0 src1_sel:DWORD
	v_mov_b32_e32 v30, 0x8000
	s_and_saveexec_b64 s[42:43], s[0:1]
	s_cbranch_execz .LBB253_35
; %bb.32:                               ;   in Loop: Header=BB253_13 Depth=1
	v_bfe_u32 v31, v10, 16, 7
	v_cmp_ne_u32_e64 s[0:1], s53, v31
	v_mov_b32_e32 v30, 0x7c01
	s_and_saveexec_b64 s[44:45], s[0:1]
	s_cbranch_execz .LBB253_34
; %bb.33:                               ;   in Loop: Header=BB253_13 Depth=1
	v_and_b32_e32 v30, 7, v2
	v_ffbh_u32_e32 v32, v30
	v_min_u32_e32 v35, 32, v32
	v_subrev_u32_e32 v32, 28, v35
	v_lshlrev_b64 v[32:33], v32, v[2:3]
	v_lshrrev_b32_e32 v34, 3, v31
	v_sub_u32_e32 v33, 29, v35
	v_cmp_gt_u32_e64 s[0:1], 8, v31
	v_lshlrev_b32_e32 v2, 8, v2
	v_and_b32_e32 v32, 7, v32
	v_cndmask_b32_e64 v31, v34, v33, s[0:1]
	v_lshl_add_u32 v31, v31, 10, v21
	v_and_b32_e32 v31, 0xfc00, v31
	v_cndmask_b32_e64 v30, v30, v32, s[0:1]
	v_and_or_b32 v2, v2, s54, v31
	v_lshl_or_b32 v30, v30, 7, v2
.LBB253_34:                             ;   in Loop: Header=BB253_13 Depth=1
	s_or_b64 exec, exec, s[44:45]
.LBB253_35:                             ;   in Loop: Header=BB253_13 Depth=1
	s_or_b64 exec, exec, s[42:43]
.LBB253_36:                             ;   in Loop: Header=BB253_13 Depth=1
	s_or_b64 exec, exec, s[40:41]
	v_cmp_lt_u32_e64 s[0:1], s55, v10
	s_and_saveexec_b64 s[40:41], s[0:1]
	s_cbranch_execz .LBB253_42
; %bb.37:                               ;   in Loop: Header=BB253_13 Depth=1
	v_lshrrev_b32_e32 v2, 24, v10
	v_cmp_ne_u32_e64 s[0:1], s52, v2
	v_bfrev_b32_e32 v29, 1
	s_and_saveexec_b64 s[42:43], s[0:1]
	s_cbranch_execz .LBB253_41
; %bb.38:                               ;   in Loop: Header=BB253_13 Depth=1
	v_and_b32_e32 v10, 0x7f, v2
	v_cmp_ne_u32_e64 s[0:1], s53, v10
	v_mov_b32_e32 v29, 0x7c010000
	s_and_saveexec_b64 s[44:45], s[0:1]
	s_cbranch_execz .LBB253_40
; %bb.39:                               ;   in Loop: Header=BB253_13 Depth=1
	v_and_b32_e32 v29, 7, v2
	v_ffbh_u32_e32 v32, v29
	v_min_u32_e32 v34, 32, v32
	v_subrev_u32_e32 v32, 28, v34
	v_lshlrev_b64 v[32:33], v32, v[2:3]
	v_lshrrev_b32_e32 v31, 3, v10
	v_sub_u32_e32 v33, 29, v34
	v_cmp_gt_u32_e64 s[0:1], 8, v10
	v_lshlrev_b32_e32 v2, 8, v2
	s_nop 0
	v_cndmask_b32_e64 v10, v31, v33, s[0:1]
	v_lshl_add_u32 v10, v10, 10, v21
	v_and_b32_e32 v31, 7, v32
	v_and_or_b32 v2, v2, s54, v10
	v_cndmask_b32_e64 v29, v29, v31, s[0:1]
	v_lshlrev_b32_e32 v2, 16, v2
	v_lshl_or_b32 v29, v29, 23, v2
.LBB253_40:                             ;   in Loop: Header=BB253_13 Depth=1
	s_or_b64 exec, exec, s[44:45]
.LBB253_41:                             ;   in Loop: Header=BB253_13 Depth=1
	s_or_b64 exec, exec, s[42:43]
.LBB253_42:                             ;   in Loop: Header=BB253_13 Depth=1
	s_or_b64 exec, exec, s[40:41]
	global_load_dword v10, v[8:9], off offset:8
	v_mov_b32_e32 v31, 0
	v_mov_b32_e32 v32, 0
	s_waitcnt vmcnt(0)
	v_cmp_ne_u16_sdwa s[0:1], v10, v3 src0_sel:BYTE_0 src1_sel:DWORD
	s_and_saveexec_b64 s[40:41], s[0:1]
	s_cbranch_execz .LBB253_48
; %bb.43:                               ;   in Loop: Header=BB253_13 Depth=1
	v_cmp_ne_u16_sdwa s[0:1], v10, s52 src0_sel:BYTE_0 src1_sel:DWORD
	v_mov_b32_e32 v32, 0x8000
	s_and_saveexec_b64 s[42:43], s[0:1]
	s_cbranch_execz .LBB253_47
; %bb.44:                               ;   in Loop: Header=BB253_13 Depth=1
	v_and_b32_e32 v2, 0x7f, v10
	v_cmp_ne_u32_e64 s[0:1], s53, v2
	v_mov_b32_e32 v32, 0x7c01
	s_and_saveexec_b64 s[44:45], s[0:1]
	s_cbranch_execz .LBB253_46
; %bb.45:                               ;   in Loop: Header=BB253_13 Depth=1
	v_and_b32_e32 v34, 7, v10
	v_ffbh_u32_e32 v32, v34
	v_min_u32_e32 v36, 32, v32
	v_subrev_u32_e32 v32, 28, v36
	v_lshlrev_b64 v[32:33], v32, v[10:11]
	v_lshrrev_b32_e32 v35, 3, v2
	v_sub_u32_e32 v33, 29, v36
	v_cmp_gt_u32_e64 s[0:1], 8, v2
	v_and_b32_e32 v32, 7, v32
	s_nop 0
	v_cndmask_b32_e64 v2, v35, v33, s[0:1]
	v_lshl_add_u32 v2, v2, 10, v21
	v_lshlrev_b32_e32 v33, 8, v10
	v_and_b32_e32 v2, 0xfc00, v2
	v_cndmask_b32_e64 v32, v34, v32, s[0:1]
	v_and_or_b32 v2, v33, s54, v2
	v_lshl_or_b32 v32, v32, 7, v2
.LBB253_46:                             ;   in Loop: Header=BB253_13 Depth=1
	s_or_b64 exec, exec, s[44:45]
.LBB253_47:                             ;   in Loop: Header=BB253_13 Depth=1
	s_or_b64 exec, exec, s[42:43]
.LBB253_48:                             ;   in Loop: Header=BB253_13 Depth=1
	s_or_b64 exec, exec, s[40:41]
	v_lshrrev_b16_e32 v2, 8, v10
	v_cmp_ne_u16_e64 s[0:1], 0, v2
	s_and_saveexec_b64 s[40:41], s[0:1]
	s_cbranch_execz .LBB253_54
; %bb.49:                               ;   in Loop: Header=BB253_13 Depth=1
	v_cmp_ne_u16_e64 s[0:1], s52, v2
	v_bfrev_b32_e32 v31, 1
	s_and_saveexec_b64 s[42:43], s[0:1]
	s_cbranch_execz .LBB253_53
; %bb.50:                               ;   in Loop: Header=BB253_13 Depth=1
	v_and_b32_e32 v33, 0x7f, v2
	v_cmp_ne_u32_e64 s[0:1], s53, v33
	v_mov_b32_e32 v31, 0x7c010000
	s_and_saveexec_b64 s[44:45], s[0:1]
	s_cbranch_execz .LBB253_52
; %bb.51:                               ;   in Loop: Header=BB253_13 Depth=1
	v_and_b32_e32 v31, 7, v2
	v_ffbh_u32_e32 v34, v31
	v_min_u32_e32 v37, 32, v34
	v_subrev_u32_e32 v34, 28, v37
	v_lshlrev_b64 v[34:35], v34, v[2:3]
	v_lshrrev_b32_e32 v36, 3, v33
	v_sub_u32_e32 v35, 29, v37
	v_cmp_gt_u32_e64 s[0:1], 8, v33
	v_lshlrev_b32_e32 v2, 8, v2
	v_and_b32_e32 v34, 7, v34
	v_cndmask_b32_e64 v33, v36, v35, s[0:1]
	v_lshl_add_u32 v33, v33, 10, v21
	v_and_or_b32 v2, v2, s54, v33
	v_cndmask_b32_e64 v31, v31, v34, s[0:1]
	v_lshlrev_b32_e32 v2, 16, v2
	v_lshl_or_b32 v31, v31, 23, v2
.LBB253_52:                             ;   in Loop: Header=BB253_13 Depth=1
	s_or_b64 exec, exec, s[44:45]
.LBB253_53:                             ;   in Loop: Header=BB253_13 Depth=1
	s_or_b64 exec, exec, s[42:43]
.LBB253_54:                             ;   in Loop: Header=BB253_13 Depth=1
	s_or_b64 exec, exec, s[40:41]
	v_lshrrev_b32_e32 v2, 16, v10
	v_cmp_ne_u16_sdwa s[0:1], v2, v3 src0_sel:BYTE_0 src1_sel:DWORD
	v_mov_b32_e32 v33, 0
	v_mov_b32_e32 v34, 0
	s_and_saveexec_b64 s[40:41], s[0:1]
	s_cbranch_execz .LBB253_60
; %bb.55:                               ;   in Loop: Header=BB253_13 Depth=1
	v_cmp_ne_u16_sdwa s[0:1], v2, s52 src0_sel:BYTE_0 src1_sel:DWORD
	v_mov_b32_e32 v34, 0x8000
	s_and_saveexec_b64 s[42:43], s[0:1]
	s_cbranch_execz .LBB253_59
; %bb.56:                               ;   in Loop: Header=BB253_13 Depth=1
	v_bfe_u32 v35, v10, 16, 7
	v_cmp_ne_u32_e64 s[0:1], s53, v35
	v_mov_b32_e32 v34, 0x7c01
	s_and_saveexec_b64 s[44:45], s[0:1]
	s_cbranch_execz .LBB253_58
; %bb.57:                               ;   in Loop: Header=BB253_13 Depth=1
	v_and_b32_e32 v34, 7, v2
	v_ffbh_u32_e32 v36, v34
	v_min_u32_e32 v39, 32, v36
	v_subrev_u32_e32 v36, 28, v39
	v_lshlrev_b64 v[36:37], v36, v[2:3]
	v_lshrrev_b32_e32 v38, 3, v35
	v_sub_u32_e32 v37, 29, v39
	v_cmp_gt_u32_e64 s[0:1], 8, v35
	v_lshlrev_b32_e32 v2, 8, v2
	v_and_b32_e32 v36, 7, v36
	v_cndmask_b32_e64 v35, v38, v37, s[0:1]
	v_lshl_add_u32 v35, v35, 10, v21
	v_and_b32_e32 v35, 0xfc00, v35
	v_cndmask_b32_e64 v34, v34, v36, s[0:1]
	v_and_or_b32 v2, v2, s54, v35
	v_lshl_or_b32 v34, v34, 7, v2
.LBB253_58:                             ;   in Loop: Header=BB253_13 Depth=1
	s_or_b64 exec, exec, s[44:45]
.LBB253_59:                             ;   in Loop: Header=BB253_13 Depth=1
	s_or_b64 exec, exec, s[42:43]
.LBB253_60:                             ;   in Loop: Header=BB253_13 Depth=1
	s_or_b64 exec, exec, s[40:41]
	v_cmp_lt_u32_e64 s[0:1], s55, v10
	s_and_saveexec_b64 s[40:41], s[0:1]
	s_cbranch_execz .LBB253_66
; %bb.61:                               ;   in Loop: Header=BB253_13 Depth=1
	v_lshrrev_b32_e32 v2, 24, v10
	v_cmp_ne_u32_e64 s[0:1], s52, v2
	v_bfrev_b32_e32 v33, 1
	s_and_saveexec_b64 s[42:43], s[0:1]
	s_cbranch_execz .LBB253_65
; %bb.62:                               ;   in Loop: Header=BB253_13 Depth=1
	v_and_b32_e32 v10, 0x7f, v2
	v_cmp_ne_u32_e64 s[0:1], s53, v10
	v_mov_b32_e32 v33, 0x7c010000
	s_and_saveexec_b64 s[44:45], s[0:1]
	s_cbranch_execz .LBB253_64
; %bb.63:                               ;   in Loop: Header=BB253_13 Depth=1
	v_and_b32_e32 v33, 7, v2
	v_ffbh_u32_e32 v36, v33
	v_min_u32_e32 v38, 32, v36
	v_subrev_u32_e32 v36, 28, v38
	v_lshlrev_b64 v[36:37], v36, v[2:3]
	v_lshrrev_b32_e32 v35, 3, v10
	v_sub_u32_e32 v37, 29, v38
	v_cmp_gt_u32_e64 s[0:1], 8, v10
	v_lshlrev_b32_e32 v2, 8, v2
	s_nop 0
	v_cndmask_b32_e64 v10, v35, v37, s[0:1]
	v_lshl_add_u32 v10, v10, 10, v21
	v_and_b32_e32 v35, 7, v36
	v_and_or_b32 v2, v2, s54, v10
	v_cndmask_b32_e64 v33, v33, v35, s[0:1]
	v_lshlrev_b32_e32 v2, 16, v2
	v_lshl_or_b32 v33, v33, 23, v2
.LBB253_64:                             ;   in Loop: Header=BB253_13 Depth=1
	s_or_b64 exec, exec, s[44:45]
.LBB253_65:                             ;   in Loop: Header=BB253_13 Depth=1
	s_or_b64 exec, exec, s[42:43]
.LBB253_66:                             ;   in Loop: Header=BB253_13 Depth=1
	s_or_b64 exec, exec, s[40:41]
	global_load_dword v10, v[8:9], off offset:512
	v_mov_b32_e32 v35, 0
	v_mov_b32_e32 v36, 0
	s_waitcnt vmcnt(0)
	v_cmp_ne_u16_sdwa s[0:1], v10, v3 src0_sel:BYTE_0 src1_sel:DWORD
	s_and_saveexec_b64 s[40:41], s[0:1]
	s_cbranch_execz .LBB253_72
; %bb.67:                               ;   in Loop: Header=BB253_13 Depth=1
	v_cmp_ne_u16_sdwa s[0:1], v10, s52 src0_sel:BYTE_0 src1_sel:DWORD
	v_mov_b32_e32 v36, 0x8000
	s_and_saveexec_b64 s[42:43], s[0:1]
	s_cbranch_execz .LBB253_71
; %bb.68:                               ;   in Loop: Header=BB253_13 Depth=1
	v_and_b32_e32 v2, 0x7f, v10
	v_cmp_ne_u32_e64 s[0:1], s53, v2
	v_mov_b32_e32 v36, 0x7c01
	s_and_saveexec_b64 s[44:45], s[0:1]
	s_cbranch_execz .LBB253_70
; %bb.69:                               ;   in Loop: Header=BB253_13 Depth=1
	v_and_b32_e32 v38, 7, v10
	v_ffbh_u32_e32 v36, v38
	v_min_u32_e32 v40, 32, v36
	v_subrev_u32_e32 v36, 28, v40
	v_lshlrev_b64 v[36:37], v36, v[10:11]
	v_lshrrev_b32_e32 v39, 3, v2
	v_sub_u32_e32 v37, 29, v40
	v_cmp_gt_u32_e64 s[0:1], 8, v2
	v_and_b32_e32 v36, 7, v36
	s_nop 0
	v_cndmask_b32_e64 v2, v39, v37, s[0:1]
	v_lshl_add_u32 v2, v2, 10, v21
	v_lshlrev_b32_e32 v37, 8, v10
	v_and_b32_e32 v2, 0xfc00, v2
	v_cndmask_b32_e64 v36, v38, v36, s[0:1]
	v_and_or_b32 v2, v37, s54, v2
	v_lshl_or_b32 v36, v36, 7, v2
.LBB253_70:                             ;   in Loop: Header=BB253_13 Depth=1
	s_or_b64 exec, exec, s[44:45]
.LBB253_71:                             ;   in Loop: Header=BB253_13 Depth=1
	s_or_b64 exec, exec, s[42:43]
.LBB253_72:                             ;   in Loop: Header=BB253_13 Depth=1
	s_or_b64 exec, exec, s[40:41]
	v_lshrrev_b16_e32 v2, 8, v10
	v_cmp_ne_u16_e64 s[0:1], 0, v2
	s_and_saveexec_b64 s[40:41], s[0:1]
	s_cbranch_execz .LBB253_78
; %bb.73:                               ;   in Loop: Header=BB253_13 Depth=1
	v_cmp_ne_u16_e64 s[0:1], s52, v2
	v_bfrev_b32_e32 v35, 1
	s_and_saveexec_b64 s[42:43], s[0:1]
	s_cbranch_execz .LBB253_77
; %bb.74:                               ;   in Loop: Header=BB253_13 Depth=1
	v_and_b32_e32 v37, 0x7f, v2
	v_cmp_ne_u32_e64 s[0:1], s53, v37
	v_mov_b32_e32 v35, 0x7c010000
	s_and_saveexec_b64 s[44:45], s[0:1]
	s_cbranch_execz .LBB253_76
; %bb.75:                               ;   in Loop: Header=BB253_13 Depth=1
	v_and_b32_e32 v35, 7, v2
	v_ffbh_u32_e32 v38, v35
	v_min_u32_e32 v41, 32, v38
	v_subrev_u32_e32 v38, 28, v41
	v_lshlrev_b64 v[38:39], v38, v[2:3]
	v_lshrrev_b32_e32 v40, 3, v37
	v_sub_u32_e32 v39, 29, v41
	v_cmp_gt_u32_e64 s[0:1], 8, v37
	v_lshlrev_b32_e32 v2, 8, v2
	v_and_b32_e32 v38, 7, v38
	v_cndmask_b32_e64 v37, v40, v39, s[0:1]
	v_lshl_add_u32 v37, v37, 10, v21
	v_and_or_b32 v2, v2, s54, v37
	v_cndmask_b32_e64 v35, v35, v38, s[0:1]
	v_lshlrev_b32_e32 v2, 16, v2
	v_lshl_or_b32 v35, v35, 23, v2
.LBB253_76:                             ;   in Loop: Header=BB253_13 Depth=1
	s_or_b64 exec, exec, s[44:45]
.LBB253_77:                             ;   in Loop: Header=BB253_13 Depth=1
	s_or_b64 exec, exec, s[42:43]
.LBB253_78:                             ;   in Loop: Header=BB253_13 Depth=1
	s_or_b64 exec, exec, s[40:41]
	v_lshrrev_b32_e32 v2, 16, v10
	v_cmp_ne_u16_sdwa s[0:1], v2, v3 src0_sel:BYTE_0 src1_sel:DWORD
	v_mov_b32_e32 v37, 0
	v_mov_b32_e32 v38, 0
	s_and_saveexec_b64 s[40:41], s[0:1]
	s_cbranch_execz .LBB253_84
; %bb.79:                               ;   in Loop: Header=BB253_13 Depth=1
	v_cmp_ne_u16_sdwa s[0:1], v2, s52 src0_sel:BYTE_0 src1_sel:DWORD
	v_mov_b32_e32 v38, 0x8000
	s_and_saveexec_b64 s[42:43], s[0:1]
	s_cbranch_execz .LBB253_83
; %bb.80:                               ;   in Loop: Header=BB253_13 Depth=1
	v_bfe_u32 v39, v10, 16, 7
	v_cmp_ne_u32_e64 s[0:1], s53, v39
	v_mov_b32_e32 v38, 0x7c01
	s_and_saveexec_b64 s[44:45], s[0:1]
	s_cbranch_execz .LBB253_82
; %bb.81:                               ;   in Loop: Header=BB253_13 Depth=1
	v_and_b32_e32 v38, 7, v2
	v_ffbh_u32_e32 v40, v38
	v_min_u32_e32 v43, 32, v40
	v_subrev_u32_e32 v40, 28, v43
	v_lshlrev_b64 v[40:41], v40, v[2:3]
	v_lshrrev_b32_e32 v42, 3, v39
	v_sub_u32_e32 v41, 29, v43
	v_cmp_gt_u32_e64 s[0:1], 8, v39
	v_lshlrev_b32_e32 v2, 8, v2
	v_and_b32_e32 v40, 7, v40
	v_cndmask_b32_e64 v39, v42, v41, s[0:1]
	v_lshl_add_u32 v39, v39, 10, v21
	v_and_b32_e32 v39, 0xfc00, v39
	v_cndmask_b32_e64 v38, v38, v40, s[0:1]
	v_and_or_b32 v2, v2, s54, v39
	v_lshl_or_b32 v38, v38, 7, v2
.LBB253_82:                             ;   in Loop: Header=BB253_13 Depth=1
	s_or_b64 exec, exec, s[44:45]
.LBB253_83:                             ;   in Loop: Header=BB253_13 Depth=1
	s_or_b64 exec, exec, s[42:43]
.LBB253_84:                             ;   in Loop: Header=BB253_13 Depth=1
	s_or_b64 exec, exec, s[40:41]
	v_cmp_lt_u32_e64 s[0:1], s55, v10
	s_and_saveexec_b64 s[40:41], s[0:1]
	s_cbranch_execz .LBB253_90
; %bb.85:                               ;   in Loop: Header=BB253_13 Depth=1
	v_lshrrev_b32_e32 v2, 24, v10
	v_cmp_ne_u32_e64 s[0:1], s52, v2
	v_bfrev_b32_e32 v37, 1
	s_and_saveexec_b64 s[42:43], s[0:1]
	s_cbranch_execz .LBB253_89
; %bb.86:                               ;   in Loop: Header=BB253_13 Depth=1
	v_and_b32_e32 v10, 0x7f, v2
	v_cmp_ne_u32_e64 s[0:1], s53, v10
	v_mov_b32_e32 v37, 0x7c010000
	s_and_saveexec_b64 s[44:45], s[0:1]
	s_cbranch_execz .LBB253_88
; %bb.87:                               ;   in Loop: Header=BB253_13 Depth=1
	v_and_b32_e32 v37, 7, v2
	v_ffbh_u32_e32 v40, v37
	v_min_u32_e32 v42, 32, v40
	v_subrev_u32_e32 v40, 28, v42
	v_lshlrev_b64 v[40:41], v40, v[2:3]
	v_lshrrev_b32_e32 v39, 3, v10
	v_sub_u32_e32 v41, 29, v42
	v_cmp_gt_u32_e64 s[0:1], 8, v10
	v_lshlrev_b32_e32 v2, 8, v2
	s_nop 0
	v_cndmask_b32_e64 v10, v39, v41, s[0:1]
	v_lshl_add_u32 v10, v10, 10, v21
	v_and_b32_e32 v39, 7, v40
	v_and_or_b32 v2, v2, s54, v10
	v_cndmask_b32_e64 v37, v37, v39, s[0:1]
	v_lshlrev_b32_e32 v2, 16, v2
	v_lshl_or_b32 v37, v37, 23, v2
.LBB253_88:                             ;   in Loop: Header=BB253_13 Depth=1
	s_or_b64 exec, exec, s[44:45]
.LBB253_89:                             ;   in Loop: Header=BB253_13 Depth=1
	s_or_b64 exec, exec, s[42:43]
.LBB253_90:                             ;   in Loop: Header=BB253_13 Depth=1
	s_or_b64 exec, exec, s[40:41]
	global_load_dword v10, v[8:9], off offset:520
	v_mov_b32_e32 v39, 0
	v_mov_b32_e32 v40, 0
	s_waitcnt vmcnt(0)
	v_cmp_ne_u16_sdwa s[0:1], v10, v3 src0_sel:BYTE_0 src1_sel:DWORD
	s_and_saveexec_b64 s[40:41], s[0:1]
	s_cbranch_execz .LBB253_96
; %bb.91:                               ;   in Loop: Header=BB253_13 Depth=1
	v_cmp_ne_u16_sdwa s[0:1], v10, s52 src0_sel:BYTE_0 src1_sel:DWORD
	v_mov_b32_e32 v40, 0x8000
	s_and_saveexec_b64 s[42:43], s[0:1]
	s_cbranch_execz .LBB253_95
; %bb.92:                               ;   in Loop: Header=BB253_13 Depth=1
	v_and_b32_e32 v2, 0x7f, v10
	v_cmp_ne_u32_e64 s[0:1], s53, v2
	v_mov_b32_e32 v40, 0x7c01
	s_and_saveexec_b64 s[44:45], s[0:1]
	s_cbranch_execz .LBB253_94
; %bb.93:                               ;   in Loop: Header=BB253_13 Depth=1
	v_and_b32_e32 v42, 7, v10
	v_ffbh_u32_e32 v40, v42
	v_min_u32_e32 v44, 32, v40
	v_subrev_u32_e32 v40, 28, v44
	v_lshlrev_b64 v[40:41], v40, v[10:11]
	v_lshrrev_b32_e32 v43, 3, v2
	v_sub_u32_e32 v41, 29, v44
	v_cmp_gt_u32_e64 s[0:1], 8, v2
	v_and_b32_e32 v40, 7, v40
	s_nop 0
	v_cndmask_b32_e64 v2, v43, v41, s[0:1]
	v_lshl_add_u32 v2, v2, 10, v21
	v_lshlrev_b32_e32 v41, 8, v10
	v_and_b32_e32 v2, 0xfc00, v2
	v_cndmask_b32_e64 v40, v42, v40, s[0:1]
	v_and_or_b32 v2, v41, s54, v2
	v_lshl_or_b32 v40, v40, 7, v2
.LBB253_94:                             ;   in Loop: Header=BB253_13 Depth=1
	s_or_b64 exec, exec, s[44:45]
.LBB253_95:                             ;   in Loop: Header=BB253_13 Depth=1
	s_or_b64 exec, exec, s[42:43]
.LBB253_96:                             ;   in Loop: Header=BB253_13 Depth=1
	s_or_b64 exec, exec, s[40:41]
	v_lshrrev_b16_e32 v2, 8, v10
	v_cmp_ne_u16_e64 s[0:1], 0, v2
	s_and_saveexec_b64 s[40:41], s[0:1]
	s_cbranch_execz .LBB253_102
; %bb.97:                               ;   in Loop: Header=BB253_13 Depth=1
	v_cmp_ne_u16_e64 s[0:1], s52, v2
	v_bfrev_b32_e32 v39, 1
	s_and_saveexec_b64 s[42:43], s[0:1]
	s_cbranch_execz .LBB253_101
; %bb.98:                               ;   in Loop: Header=BB253_13 Depth=1
	v_and_b32_e32 v41, 0x7f, v2
	v_cmp_ne_u32_e64 s[0:1], s53, v41
	v_mov_b32_e32 v39, 0x7c010000
	s_and_saveexec_b64 s[44:45], s[0:1]
	s_cbranch_execz .LBB253_100
; %bb.99:                               ;   in Loop: Header=BB253_13 Depth=1
	v_and_b32_e32 v39, 7, v2
	v_ffbh_u32_e32 v42, v39
	v_min_u32_e32 v45, 32, v42
	v_subrev_u32_e32 v42, 28, v45
	v_lshlrev_b64 v[42:43], v42, v[2:3]
	v_lshrrev_b32_e32 v44, 3, v41
	v_sub_u32_e32 v43, 29, v45
	v_cmp_gt_u32_e64 s[0:1], 8, v41
	v_lshlrev_b32_e32 v2, 8, v2
	v_and_b32_e32 v42, 7, v42
	v_cndmask_b32_e64 v41, v44, v43, s[0:1]
	v_lshl_add_u32 v41, v41, 10, v21
	v_and_or_b32 v2, v2, s54, v41
	v_cndmask_b32_e64 v39, v39, v42, s[0:1]
	v_lshlrev_b32_e32 v2, 16, v2
	v_lshl_or_b32 v39, v39, 23, v2
.LBB253_100:                            ;   in Loop: Header=BB253_13 Depth=1
	s_or_b64 exec, exec, s[44:45]
.LBB253_101:                            ;   in Loop: Header=BB253_13 Depth=1
	s_or_b64 exec, exec, s[42:43]
.LBB253_102:                            ;   in Loop: Header=BB253_13 Depth=1
	s_or_b64 exec, exec, s[40:41]
	v_lshrrev_b32_e32 v2, 16, v10
	v_cmp_ne_u16_sdwa s[0:1], v2, v3 src0_sel:BYTE_0 src1_sel:DWORD
	v_mov_b32_e32 v41, 0
	v_mov_b32_e32 v42, 0
	s_and_saveexec_b64 s[40:41], s[0:1]
	s_cbranch_execz .LBB253_108
; %bb.103:                              ;   in Loop: Header=BB253_13 Depth=1
	v_cmp_ne_u16_sdwa s[0:1], v2, s52 src0_sel:BYTE_0 src1_sel:DWORD
	v_mov_b32_e32 v42, 0x8000
	s_and_saveexec_b64 s[42:43], s[0:1]
	s_cbranch_execz .LBB253_107
; %bb.104:                              ;   in Loop: Header=BB253_13 Depth=1
	v_bfe_u32 v43, v10, 16, 7
	v_cmp_ne_u32_e64 s[0:1], s53, v43
	v_mov_b32_e32 v42, 0x7c01
	s_and_saveexec_b64 s[44:45], s[0:1]
	s_cbranch_execz .LBB253_106
; %bb.105:                              ;   in Loop: Header=BB253_13 Depth=1
	v_and_b32_e32 v42, 7, v2
	v_ffbh_u32_e32 v44, v42
	v_min_u32_e32 v47, 32, v44
	v_subrev_u32_e32 v44, 28, v47
	v_lshlrev_b64 v[44:45], v44, v[2:3]
	v_lshrrev_b32_e32 v46, 3, v43
	v_sub_u32_e32 v45, 29, v47
	v_cmp_gt_u32_e64 s[0:1], 8, v43
	v_lshlrev_b32_e32 v2, 8, v2
	v_and_b32_e32 v44, 7, v44
	v_cndmask_b32_e64 v43, v46, v45, s[0:1]
	v_lshl_add_u32 v43, v43, 10, v21
	v_and_b32_e32 v43, 0xfc00, v43
	v_cndmask_b32_e64 v42, v42, v44, s[0:1]
	v_and_or_b32 v2, v2, s54, v43
	v_lshl_or_b32 v42, v42, 7, v2
.LBB253_106:                            ;   in Loop: Header=BB253_13 Depth=1
	s_or_b64 exec, exec, s[44:45]
.LBB253_107:                            ;   in Loop: Header=BB253_13 Depth=1
	s_or_b64 exec, exec, s[42:43]
.LBB253_108:                            ;   in Loop: Header=BB253_13 Depth=1
	s_or_b64 exec, exec, s[40:41]
	v_cmp_lt_u32_e64 s[0:1], s55, v10
	s_and_saveexec_b64 s[40:41], s[0:1]
	s_cbranch_execz .LBB253_114
; %bb.109:                              ;   in Loop: Header=BB253_13 Depth=1
	v_lshrrev_b32_e32 v2, 24, v10
	v_cmp_ne_u32_e64 s[0:1], s52, v2
	v_bfrev_b32_e32 v41, 1
	s_and_saveexec_b64 s[42:43], s[0:1]
	s_cbranch_execz .LBB253_113
; %bb.110:                              ;   in Loop: Header=BB253_13 Depth=1
	v_and_b32_e32 v10, 0x7f, v2
	v_cmp_ne_u32_e64 s[0:1], s53, v10
	v_mov_b32_e32 v41, 0x7c010000
	s_and_saveexec_b64 s[44:45], s[0:1]
	s_cbranch_execz .LBB253_112
; %bb.111:                              ;   in Loop: Header=BB253_13 Depth=1
	v_and_b32_e32 v41, 7, v2
	v_ffbh_u32_e32 v44, v41
	v_min_u32_e32 v46, 32, v44
	v_subrev_u32_e32 v44, 28, v46
	v_lshlrev_b64 v[44:45], v44, v[2:3]
	v_lshrrev_b32_e32 v43, 3, v10
	v_sub_u32_e32 v45, 29, v46
	v_cmp_gt_u32_e64 s[0:1], 8, v10
	v_lshlrev_b32_e32 v2, 8, v2
	s_nop 0
	v_cndmask_b32_e64 v10, v43, v45, s[0:1]
	v_lshl_add_u32 v10, v10, 10, v21
	v_and_b32_e32 v43, 7, v44
	v_and_or_b32 v2, v2, s54, v10
	v_cndmask_b32_e64 v41, v41, v43, s[0:1]
	v_lshlrev_b32_e32 v2, 16, v2
	v_lshl_or_b32 v41, v41, 23, v2
.LBB253_112:                            ;   in Loop: Header=BB253_13 Depth=1
	s_or_b64 exec, exec, s[44:45]
.LBB253_113:                            ;   in Loop: Header=BB253_13 Depth=1
	s_or_b64 exec, exec, s[42:43]
.LBB253_114:                            ;   in Loop: Header=BB253_13 Depth=1
	s_or_b64 exec, exec, s[40:41]
	global_load_dword v10, v[8:9], off offset:1024
	v_mov_b32_e32 v43, 0
	v_mov_b32_e32 v44, 0
	s_waitcnt vmcnt(0)
	v_cmp_ne_u16_sdwa s[0:1], v10, v3 src0_sel:BYTE_0 src1_sel:DWORD
	s_and_saveexec_b64 s[40:41], s[0:1]
	s_cbranch_execz .LBB253_120
; %bb.115:                              ;   in Loop: Header=BB253_13 Depth=1
	v_cmp_ne_u16_sdwa s[0:1], v10, s52 src0_sel:BYTE_0 src1_sel:DWORD
	v_mov_b32_e32 v44, 0x8000
	s_and_saveexec_b64 s[42:43], s[0:1]
	s_cbranch_execz .LBB253_119
; %bb.116:                              ;   in Loop: Header=BB253_13 Depth=1
	v_and_b32_e32 v2, 0x7f, v10
	v_cmp_ne_u32_e64 s[0:1], s53, v2
	v_mov_b32_e32 v44, 0x7c01
	s_and_saveexec_b64 s[44:45], s[0:1]
	s_cbranch_execz .LBB253_118
; %bb.117:                              ;   in Loop: Header=BB253_13 Depth=1
	v_and_b32_e32 v46, 7, v10
	v_ffbh_u32_e32 v44, v46
	v_min_u32_e32 v48, 32, v44
	v_subrev_u32_e32 v44, 28, v48
	v_lshlrev_b64 v[44:45], v44, v[10:11]
	v_lshrrev_b32_e32 v47, 3, v2
	v_sub_u32_e32 v45, 29, v48
	v_cmp_gt_u32_e64 s[0:1], 8, v2
	v_and_b32_e32 v44, 7, v44
	s_nop 0
	v_cndmask_b32_e64 v2, v47, v45, s[0:1]
	v_lshl_add_u32 v2, v2, 10, v21
	v_lshlrev_b32_e32 v45, 8, v10
	v_and_b32_e32 v2, 0xfc00, v2
	v_cndmask_b32_e64 v44, v46, v44, s[0:1]
	v_and_or_b32 v2, v45, s54, v2
	v_lshl_or_b32 v44, v44, 7, v2
.LBB253_118:                            ;   in Loop: Header=BB253_13 Depth=1
	s_or_b64 exec, exec, s[44:45]
.LBB253_119:                            ;   in Loop: Header=BB253_13 Depth=1
	s_or_b64 exec, exec, s[42:43]
.LBB253_120:                            ;   in Loop: Header=BB253_13 Depth=1
	s_or_b64 exec, exec, s[40:41]
	v_lshrrev_b16_e32 v2, 8, v10
	v_cmp_ne_u16_e64 s[0:1], 0, v2
	s_and_saveexec_b64 s[40:41], s[0:1]
	s_cbranch_execz .LBB253_126
; %bb.121:                              ;   in Loop: Header=BB253_13 Depth=1
	v_cmp_ne_u16_e64 s[0:1], s52, v2
	v_bfrev_b32_e32 v43, 1
	s_and_saveexec_b64 s[42:43], s[0:1]
	s_cbranch_execz .LBB253_125
; %bb.122:                              ;   in Loop: Header=BB253_13 Depth=1
	v_and_b32_e32 v45, 0x7f, v2
	v_cmp_ne_u32_e64 s[0:1], s53, v45
	v_mov_b32_e32 v43, 0x7c010000
	s_and_saveexec_b64 s[44:45], s[0:1]
	s_cbranch_execz .LBB253_124
; %bb.123:                              ;   in Loop: Header=BB253_13 Depth=1
	v_and_b32_e32 v43, 7, v2
	v_ffbh_u32_e32 v46, v43
	v_min_u32_e32 v49, 32, v46
	v_subrev_u32_e32 v46, 28, v49
	v_lshlrev_b64 v[46:47], v46, v[2:3]
	v_lshrrev_b32_e32 v48, 3, v45
	v_sub_u32_e32 v47, 29, v49
	v_cmp_gt_u32_e64 s[0:1], 8, v45
	v_lshlrev_b32_e32 v2, 8, v2
	v_and_b32_e32 v46, 7, v46
	v_cndmask_b32_e64 v45, v48, v47, s[0:1]
	v_lshl_add_u32 v45, v45, 10, v21
	v_and_or_b32 v2, v2, s54, v45
	v_cndmask_b32_e64 v43, v43, v46, s[0:1]
	v_lshlrev_b32_e32 v2, 16, v2
	v_lshl_or_b32 v43, v43, 23, v2
.LBB253_124:                            ;   in Loop: Header=BB253_13 Depth=1
	s_or_b64 exec, exec, s[44:45]
.LBB253_125:                            ;   in Loop: Header=BB253_13 Depth=1
	s_or_b64 exec, exec, s[42:43]
.LBB253_126:                            ;   in Loop: Header=BB253_13 Depth=1
	s_or_b64 exec, exec, s[40:41]
	v_lshrrev_b32_e32 v2, 16, v10
	v_cmp_ne_u16_sdwa s[0:1], v2, v3 src0_sel:BYTE_0 src1_sel:DWORD
	v_mov_b32_e32 v45, 0
	v_mov_b32_e32 v46, 0
	s_and_saveexec_b64 s[40:41], s[0:1]
	s_cbranch_execz .LBB253_132
; %bb.127:                              ;   in Loop: Header=BB253_13 Depth=1
	v_cmp_ne_u16_sdwa s[0:1], v2, s52 src0_sel:BYTE_0 src1_sel:DWORD
	v_mov_b32_e32 v46, 0x8000
	s_and_saveexec_b64 s[42:43], s[0:1]
	s_cbranch_execz .LBB253_131
; %bb.128:                              ;   in Loop: Header=BB253_13 Depth=1
	v_bfe_u32 v47, v10, 16, 7
	v_cmp_ne_u32_e64 s[0:1], s53, v47
	v_mov_b32_e32 v46, 0x7c01
	s_and_saveexec_b64 s[44:45], s[0:1]
	s_cbranch_execz .LBB253_130
; %bb.129:                              ;   in Loop: Header=BB253_13 Depth=1
	v_and_b32_e32 v46, 7, v2
	v_ffbh_u32_e32 v48, v46
	v_min_u32_e32 v51, 32, v48
	v_subrev_u32_e32 v48, 28, v51
	v_lshlrev_b64 v[48:49], v48, v[2:3]
	v_lshrrev_b32_e32 v50, 3, v47
	v_sub_u32_e32 v49, 29, v51
	v_cmp_gt_u32_e64 s[0:1], 8, v47
	v_lshlrev_b32_e32 v2, 8, v2
	v_and_b32_e32 v48, 7, v48
	v_cndmask_b32_e64 v47, v50, v49, s[0:1]
	v_lshl_add_u32 v47, v47, 10, v21
	v_and_b32_e32 v47, 0xfc00, v47
	v_cndmask_b32_e64 v46, v46, v48, s[0:1]
	v_and_or_b32 v2, v2, s54, v47
	v_lshl_or_b32 v46, v46, 7, v2
.LBB253_130:                            ;   in Loop: Header=BB253_13 Depth=1
	s_or_b64 exec, exec, s[44:45]
.LBB253_131:                            ;   in Loop: Header=BB253_13 Depth=1
	s_or_b64 exec, exec, s[42:43]
.LBB253_132:                            ;   in Loop: Header=BB253_13 Depth=1
	s_or_b64 exec, exec, s[40:41]
	v_cmp_lt_u32_e64 s[0:1], s55, v10
	s_and_saveexec_b64 s[40:41], s[0:1]
	s_cbranch_execz .LBB253_138
; %bb.133:                              ;   in Loop: Header=BB253_13 Depth=1
	v_lshrrev_b32_e32 v2, 24, v10
	v_cmp_ne_u32_e64 s[0:1], s52, v2
	v_bfrev_b32_e32 v45, 1
	s_and_saveexec_b64 s[42:43], s[0:1]
	s_cbranch_execz .LBB253_137
; %bb.134:                              ;   in Loop: Header=BB253_13 Depth=1
	v_and_b32_e32 v10, 0x7f, v2
	v_cmp_ne_u32_e64 s[0:1], s53, v10
	v_mov_b32_e32 v45, 0x7c010000
	s_and_saveexec_b64 s[44:45], s[0:1]
	s_cbranch_execz .LBB253_136
; %bb.135:                              ;   in Loop: Header=BB253_13 Depth=1
	v_and_b32_e32 v45, 7, v2
	v_ffbh_u32_e32 v48, v45
	v_min_u32_e32 v50, 32, v48
	v_subrev_u32_e32 v48, 28, v50
	v_lshlrev_b64 v[48:49], v48, v[2:3]
	v_lshrrev_b32_e32 v47, 3, v10
	v_sub_u32_e32 v49, 29, v50
	v_cmp_gt_u32_e64 s[0:1], 8, v10
	v_lshlrev_b32_e32 v2, 8, v2
	s_nop 0
	v_cndmask_b32_e64 v10, v47, v49, s[0:1]
	v_lshl_add_u32 v10, v10, 10, v21
	v_and_b32_e32 v47, 7, v48
	v_and_or_b32 v2, v2, s54, v10
	v_cndmask_b32_e64 v45, v45, v47, s[0:1]
	v_lshlrev_b32_e32 v2, 16, v2
	v_lshl_or_b32 v45, v45, 23, v2
.LBB253_136:                            ;   in Loop: Header=BB253_13 Depth=1
	s_or_b64 exec, exec, s[44:45]
.LBB253_137:                            ;   in Loop: Header=BB253_13 Depth=1
	s_or_b64 exec, exec, s[42:43]
.LBB253_138:                            ;   in Loop: Header=BB253_13 Depth=1
	s_or_b64 exec, exec, s[40:41]
	global_load_dword v10, v[8:9], off offset:1032
	v_mov_b32_e32 v47, 0
	v_mov_b32_e32 v48, 0
	s_waitcnt vmcnt(0)
	v_cmp_ne_u16_sdwa s[0:1], v10, v3 src0_sel:BYTE_0 src1_sel:DWORD
	s_and_saveexec_b64 s[40:41], s[0:1]
	s_cbranch_execz .LBB253_144
; %bb.139:                              ;   in Loop: Header=BB253_13 Depth=1
	v_cmp_ne_u16_sdwa s[0:1], v10, s52 src0_sel:BYTE_0 src1_sel:DWORD
	v_mov_b32_e32 v48, 0x8000
	s_and_saveexec_b64 s[42:43], s[0:1]
	s_cbranch_execz .LBB253_143
; %bb.140:                              ;   in Loop: Header=BB253_13 Depth=1
	v_and_b32_e32 v2, 0x7f, v10
	v_cmp_ne_u32_e64 s[0:1], s53, v2
	v_mov_b32_e32 v48, 0x7c01
	s_and_saveexec_b64 s[44:45], s[0:1]
	s_cbranch_execz .LBB253_142
; %bb.141:                              ;   in Loop: Header=BB253_13 Depth=1
	v_and_b32_e32 v50, 7, v10
	v_ffbh_u32_e32 v48, v50
	v_min_u32_e32 v52, 32, v48
	v_subrev_u32_e32 v48, 28, v52
	v_lshlrev_b64 v[48:49], v48, v[10:11]
	v_lshrrev_b32_e32 v51, 3, v2
	v_sub_u32_e32 v49, 29, v52
	v_cmp_gt_u32_e64 s[0:1], 8, v2
	v_and_b32_e32 v48, 7, v48
	s_nop 0
	v_cndmask_b32_e64 v2, v51, v49, s[0:1]
	v_lshl_add_u32 v2, v2, 10, v21
	v_lshlrev_b32_e32 v49, 8, v10
	v_and_b32_e32 v2, 0xfc00, v2
	v_cndmask_b32_e64 v48, v50, v48, s[0:1]
	v_and_or_b32 v2, v49, s54, v2
	v_lshl_or_b32 v48, v48, 7, v2
.LBB253_142:                            ;   in Loop: Header=BB253_13 Depth=1
	s_or_b64 exec, exec, s[44:45]
.LBB253_143:                            ;   in Loop: Header=BB253_13 Depth=1
	s_or_b64 exec, exec, s[42:43]
.LBB253_144:                            ;   in Loop: Header=BB253_13 Depth=1
	s_or_b64 exec, exec, s[40:41]
	v_lshrrev_b16_e32 v2, 8, v10
	v_cmp_ne_u16_e64 s[0:1], 0, v2
	s_and_saveexec_b64 s[40:41], s[0:1]
	s_cbranch_execz .LBB253_150
; %bb.145:                              ;   in Loop: Header=BB253_13 Depth=1
	v_cmp_ne_u16_e64 s[0:1], s52, v2
	v_bfrev_b32_e32 v47, 1
	s_and_saveexec_b64 s[42:43], s[0:1]
	s_cbranch_execz .LBB253_149
; %bb.146:                              ;   in Loop: Header=BB253_13 Depth=1
	v_and_b32_e32 v49, 0x7f, v2
	v_cmp_ne_u32_e64 s[0:1], s53, v49
	v_mov_b32_e32 v47, 0x7c010000
	s_and_saveexec_b64 s[44:45], s[0:1]
	s_cbranch_execz .LBB253_148
; %bb.147:                              ;   in Loop: Header=BB253_13 Depth=1
	v_and_b32_e32 v47, 7, v2
	v_ffbh_u32_e32 v50, v47
	v_min_u32_e32 v53, 32, v50
	v_subrev_u32_e32 v50, 28, v53
	v_lshlrev_b64 v[50:51], v50, v[2:3]
	v_lshrrev_b32_e32 v52, 3, v49
	v_sub_u32_e32 v51, 29, v53
	v_cmp_gt_u32_e64 s[0:1], 8, v49
	v_lshlrev_b32_e32 v2, 8, v2
	v_and_b32_e32 v50, 7, v50
	v_cndmask_b32_e64 v49, v52, v51, s[0:1]
	v_lshl_add_u32 v49, v49, 10, v21
	v_and_or_b32 v2, v2, s54, v49
	v_cndmask_b32_e64 v47, v47, v50, s[0:1]
	v_lshlrev_b32_e32 v2, 16, v2
	v_lshl_or_b32 v47, v47, 23, v2
.LBB253_148:                            ;   in Loop: Header=BB253_13 Depth=1
	s_or_b64 exec, exec, s[44:45]
.LBB253_149:                            ;   in Loop: Header=BB253_13 Depth=1
	s_or_b64 exec, exec, s[42:43]
.LBB253_150:                            ;   in Loop: Header=BB253_13 Depth=1
	s_or_b64 exec, exec, s[40:41]
	v_lshrrev_b32_e32 v2, 16, v10
	v_cmp_ne_u16_sdwa s[0:1], v2, v3 src0_sel:BYTE_0 src1_sel:DWORD
	v_mov_b32_e32 v49, 0
	v_mov_b32_e32 v50, 0
	s_and_saveexec_b64 s[40:41], s[0:1]
	s_cbranch_execz .LBB253_156
; %bb.151:                              ;   in Loop: Header=BB253_13 Depth=1
	v_cmp_ne_u16_sdwa s[0:1], v2, s52 src0_sel:BYTE_0 src1_sel:DWORD
	v_mov_b32_e32 v50, 0x8000
	s_and_saveexec_b64 s[42:43], s[0:1]
	s_cbranch_execz .LBB253_155
; %bb.152:                              ;   in Loop: Header=BB253_13 Depth=1
	v_bfe_u32 v51, v10, 16, 7
	v_cmp_ne_u32_e64 s[0:1], s53, v51
	v_mov_b32_e32 v50, 0x7c01
	s_and_saveexec_b64 s[44:45], s[0:1]
	s_cbranch_execz .LBB253_154
; %bb.153:                              ;   in Loop: Header=BB253_13 Depth=1
	v_and_b32_e32 v50, 7, v2
	v_ffbh_u32_e32 v52, v50
	v_min_u32_e32 v55, 32, v52
	v_subrev_u32_e32 v52, 28, v55
	v_lshlrev_b64 v[52:53], v52, v[2:3]
	v_lshrrev_b32_e32 v54, 3, v51
	v_sub_u32_e32 v53, 29, v55
	v_cmp_gt_u32_e64 s[0:1], 8, v51
	v_lshlrev_b32_e32 v2, 8, v2
	v_and_b32_e32 v52, 7, v52
	v_cndmask_b32_e64 v51, v54, v53, s[0:1]
	v_lshl_add_u32 v51, v51, 10, v21
	v_and_b32_e32 v51, 0xfc00, v51
	v_cndmask_b32_e64 v50, v50, v52, s[0:1]
	v_and_or_b32 v2, v2, s54, v51
	v_lshl_or_b32 v50, v50, 7, v2
.LBB253_154:                            ;   in Loop: Header=BB253_13 Depth=1
	s_or_b64 exec, exec, s[44:45]
.LBB253_155:                            ;   in Loop: Header=BB253_13 Depth=1
	s_or_b64 exec, exec, s[42:43]
.LBB253_156:                            ;   in Loop: Header=BB253_13 Depth=1
	s_or_b64 exec, exec, s[40:41]
	v_cmp_lt_u32_e64 s[0:1], s55, v10
	s_and_saveexec_b64 s[40:41], s[0:1]
	s_cbranch_execz .LBB253_162
; %bb.157:                              ;   in Loop: Header=BB253_13 Depth=1
	v_lshrrev_b32_e32 v2, 24, v10
	v_cmp_ne_u32_e64 s[0:1], s52, v2
	v_bfrev_b32_e32 v49, 1
	s_and_saveexec_b64 s[42:43], s[0:1]
	s_cbranch_execz .LBB253_161
; %bb.158:                              ;   in Loop: Header=BB253_13 Depth=1
	v_and_b32_e32 v10, 0x7f, v2
	v_cmp_ne_u32_e64 s[0:1], s53, v10
	v_mov_b32_e32 v49, 0x7c010000
	s_and_saveexec_b64 s[44:45], s[0:1]
	s_cbranch_execz .LBB253_160
; %bb.159:                              ;   in Loop: Header=BB253_13 Depth=1
	v_and_b32_e32 v49, 7, v2
	v_ffbh_u32_e32 v52, v49
	v_min_u32_e32 v54, 32, v52
	v_subrev_u32_e32 v52, 28, v54
	v_lshlrev_b64 v[52:53], v52, v[2:3]
	v_lshrrev_b32_e32 v51, 3, v10
	v_sub_u32_e32 v53, 29, v54
	v_cmp_gt_u32_e64 s[0:1], 8, v10
	v_lshlrev_b32_e32 v2, 8, v2
	s_nop 0
	v_cndmask_b32_e64 v10, v51, v53, s[0:1]
	v_lshl_add_u32 v10, v10, 10, v21
	v_and_b32_e32 v51, 7, v52
	v_and_or_b32 v2, v2, s54, v10
	v_cndmask_b32_e64 v49, v49, v51, s[0:1]
	v_lshlrev_b32_e32 v2, 16, v2
	v_lshl_or_b32 v49, v49, 23, v2
.LBB253_160:                            ;   in Loop: Header=BB253_13 Depth=1
	s_or_b64 exec, exec, s[44:45]
.LBB253_161:                            ;   in Loop: Header=BB253_13 Depth=1
	s_or_b64 exec, exec, s[42:43]
.LBB253_162:                            ;   in Loop: Header=BB253_13 Depth=1
	s_or_b64 exec, exec, s[40:41]
	global_load_dword v10, v[8:9], off offset:1536
	v_mov_b32_e32 v51, 0
	v_mov_b32_e32 v52, 0
	s_waitcnt vmcnt(0)
	v_cmp_ne_u16_sdwa s[0:1], v10, v3 src0_sel:BYTE_0 src1_sel:DWORD
	s_and_saveexec_b64 s[40:41], s[0:1]
	s_cbranch_execz .LBB253_168
; %bb.163:                              ;   in Loop: Header=BB253_13 Depth=1
	v_cmp_ne_u16_sdwa s[0:1], v10, s52 src0_sel:BYTE_0 src1_sel:DWORD
	v_mov_b32_e32 v52, 0x8000
	s_and_saveexec_b64 s[42:43], s[0:1]
	s_cbranch_execz .LBB253_167
; %bb.164:                              ;   in Loop: Header=BB253_13 Depth=1
	v_and_b32_e32 v2, 0x7f, v10
	v_cmp_ne_u32_e64 s[0:1], s53, v2
	v_mov_b32_e32 v52, 0x7c01
	s_and_saveexec_b64 s[44:45], s[0:1]
	s_cbranch_execz .LBB253_166
; %bb.165:                              ;   in Loop: Header=BB253_13 Depth=1
	v_and_b32_e32 v54, 7, v10
	v_ffbh_u32_e32 v52, v54
	v_min_u32_e32 v56, 32, v52
	v_subrev_u32_e32 v52, 28, v56
	v_lshlrev_b64 v[52:53], v52, v[10:11]
	v_lshrrev_b32_e32 v55, 3, v2
	v_sub_u32_e32 v53, 29, v56
	v_cmp_gt_u32_e64 s[0:1], 8, v2
	v_and_b32_e32 v52, 7, v52
	s_nop 0
	v_cndmask_b32_e64 v2, v55, v53, s[0:1]
	v_lshl_add_u32 v2, v2, 10, v21
	v_lshlrev_b32_e32 v53, 8, v10
	v_and_b32_e32 v2, 0xfc00, v2
	v_cndmask_b32_e64 v52, v54, v52, s[0:1]
	v_and_or_b32 v2, v53, s54, v2
	v_lshl_or_b32 v52, v52, 7, v2
.LBB253_166:                            ;   in Loop: Header=BB253_13 Depth=1
	s_or_b64 exec, exec, s[44:45]
.LBB253_167:                            ;   in Loop: Header=BB253_13 Depth=1
	s_or_b64 exec, exec, s[42:43]
.LBB253_168:                            ;   in Loop: Header=BB253_13 Depth=1
	s_or_b64 exec, exec, s[40:41]
	v_lshrrev_b16_e32 v2, 8, v10
	v_cmp_ne_u16_e64 s[0:1], 0, v2
	s_and_saveexec_b64 s[40:41], s[0:1]
	s_cbranch_execz .LBB253_174
; %bb.169:                              ;   in Loop: Header=BB253_13 Depth=1
	v_cmp_ne_u16_e64 s[0:1], s52, v2
	v_bfrev_b32_e32 v51, 1
	s_and_saveexec_b64 s[42:43], s[0:1]
	s_cbranch_execz .LBB253_173
; %bb.170:                              ;   in Loop: Header=BB253_13 Depth=1
	v_and_b32_e32 v53, 0x7f, v2
	v_cmp_ne_u32_e64 s[0:1], s53, v53
	v_mov_b32_e32 v51, 0x7c010000
	s_and_saveexec_b64 s[44:45], s[0:1]
	s_cbranch_execz .LBB253_172
; %bb.171:                              ;   in Loop: Header=BB253_13 Depth=1
	v_and_b32_e32 v51, 7, v2
	v_ffbh_u32_e32 v54, v51
	v_min_u32_e32 v57, 32, v54
	v_subrev_u32_e32 v54, 28, v57
	v_lshlrev_b64 v[54:55], v54, v[2:3]
	v_lshrrev_b32_e32 v56, 3, v53
	v_sub_u32_e32 v55, 29, v57
	v_cmp_gt_u32_e64 s[0:1], 8, v53
	v_lshlrev_b32_e32 v2, 8, v2
	v_and_b32_e32 v54, 7, v54
	v_cndmask_b32_e64 v53, v56, v55, s[0:1]
	v_lshl_add_u32 v53, v53, 10, v21
	v_and_or_b32 v2, v2, s54, v53
	v_cndmask_b32_e64 v51, v51, v54, s[0:1]
	v_lshlrev_b32_e32 v2, 16, v2
	v_lshl_or_b32 v51, v51, 23, v2
.LBB253_172:                            ;   in Loop: Header=BB253_13 Depth=1
	s_or_b64 exec, exec, s[44:45]
.LBB253_173:                            ;   in Loop: Header=BB253_13 Depth=1
	s_or_b64 exec, exec, s[42:43]
.LBB253_174:                            ;   in Loop: Header=BB253_13 Depth=1
	s_or_b64 exec, exec, s[40:41]
	v_lshrrev_b32_e32 v2, 16, v10
	v_cmp_ne_u16_sdwa s[0:1], v2, v3 src0_sel:BYTE_0 src1_sel:DWORD
	v_mov_b32_e32 v53, 0
	v_mov_b32_e32 v54, 0
	s_and_saveexec_b64 s[40:41], s[0:1]
	s_cbranch_execz .LBB253_180
; %bb.175:                              ;   in Loop: Header=BB253_13 Depth=1
	v_cmp_ne_u16_sdwa s[0:1], v2, s52 src0_sel:BYTE_0 src1_sel:DWORD
	v_mov_b32_e32 v54, 0x8000
	s_and_saveexec_b64 s[42:43], s[0:1]
	s_cbranch_execz .LBB253_179
; %bb.176:                              ;   in Loop: Header=BB253_13 Depth=1
	v_bfe_u32 v55, v10, 16, 7
	v_cmp_ne_u32_e64 s[0:1], s53, v55
	v_mov_b32_e32 v54, 0x7c01
	s_and_saveexec_b64 s[44:45], s[0:1]
	s_cbranch_execz .LBB253_178
; %bb.177:                              ;   in Loop: Header=BB253_13 Depth=1
	v_and_b32_e32 v54, 7, v2
	v_ffbh_u32_e32 v56, v54
	v_min_u32_e32 v59, 32, v56
	v_subrev_u32_e32 v56, 28, v59
	v_lshlrev_b64 v[56:57], v56, v[2:3]
	v_lshrrev_b32_e32 v58, 3, v55
	v_sub_u32_e32 v57, 29, v59
	v_cmp_gt_u32_e64 s[0:1], 8, v55
	v_lshlrev_b32_e32 v2, 8, v2
	v_and_b32_e32 v56, 7, v56
	v_cndmask_b32_e64 v55, v58, v57, s[0:1]
	v_lshl_add_u32 v55, v55, 10, v21
	v_and_b32_e32 v55, 0xfc00, v55
	v_cndmask_b32_e64 v54, v54, v56, s[0:1]
	v_and_or_b32 v2, v2, s54, v55
	v_lshl_or_b32 v54, v54, 7, v2
.LBB253_178:                            ;   in Loop: Header=BB253_13 Depth=1
	s_or_b64 exec, exec, s[44:45]
.LBB253_179:                            ;   in Loop: Header=BB253_13 Depth=1
	s_or_b64 exec, exec, s[42:43]
.LBB253_180:                            ;   in Loop: Header=BB253_13 Depth=1
	s_or_b64 exec, exec, s[40:41]
	v_cmp_lt_u32_e64 s[0:1], s55, v10
	s_and_saveexec_b64 s[40:41], s[0:1]
	s_cbranch_execz .LBB253_186
; %bb.181:                              ;   in Loop: Header=BB253_13 Depth=1
	v_lshrrev_b32_e32 v2, 24, v10
	v_cmp_ne_u32_e64 s[0:1], s52, v2
	v_bfrev_b32_e32 v53, 1
	s_and_saveexec_b64 s[42:43], s[0:1]
	s_cbranch_execz .LBB253_185
; %bb.182:                              ;   in Loop: Header=BB253_13 Depth=1
	v_and_b32_e32 v10, 0x7f, v2
	v_cmp_ne_u32_e64 s[0:1], s53, v10
	v_mov_b32_e32 v53, 0x7c010000
	s_and_saveexec_b64 s[44:45], s[0:1]
	s_cbranch_execz .LBB253_184
; %bb.183:                              ;   in Loop: Header=BB253_13 Depth=1
	v_and_b32_e32 v53, 7, v2
	v_ffbh_u32_e32 v56, v53
	v_min_u32_e32 v58, 32, v56
	v_subrev_u32_e32 v56, 28, v58
	v_lshlrev_b64 v[56:57], v56, v[2:3]
	v_lshrrev_b32_e32 v55, 3, v10
	v_sub_u32_e32 v57, 29, v58
	v_cmp_gt_u32_e64 s[0:1], 8, v10
	v_lshlrev_b32_e32 v2, 8, v2
	s_nop 0
	v_cndmask_b32_e64 v10, v55, v57, s[0:1]
	v_lshl_add_u32 v10, v10, 10, v21
	v_and_b32_e32 v55, 7, v56
	v_and_or_b32 v2, v2, s54, v10
	v_cndmask_b32_e64 v53, v53, v55, s[0:1]
	v_lshlrev_b32_e32 v2, 16, v2
	v_lshl_or_b32 v53, v53, 23, v2
.LBB253_184:                            ;   in Loop: Header=BB253_13 Depth=1
	s_or_b64 exec, exec, s[44:45]
.LBB253_185:                            ;   in Loop: Header=BB253_13 Depth=1
	s_or_b64 exec, exec, s[42:43]
.LBB253_186:                            ;   in Loop: Header=BB253_13 Depth=1
	s_or_b64 exec, exec, s[40:41]
	global_load_dword v8, v[8:9], off offset:1544
	v_mov_b32_e32 v55, 0
	v_mov_b32_e32 v56, 0
	s_waitcnt vmcnt(0)
	v_cmp_ne_u16_sdwa s[0:1], v8, v3 src0_sel:BYTE_0 src1_sel:DWORD
	s_and_saveexec_b64 s[40:41], s[0:1]
	s_cbranch_execz .LBB253_192
; %bb.187:                              ;   in Loop: Header=BB253_13 Depth=1
	v_cmp_ne_u16_sdwa s[0:1], v8, s52 src0_sel:BYTE_0 src1_sel:DWORD
	v_mov_b32_e32 v56, 0x8000
	s_and_saveexec_b64 s[42:43], s[0:1]
	s_cbranch_execz .LBB253_191
; %bb.188:                              ;   in Loop: Header=BB253_13 Depth=1
	v_and_b32_e32 v2, 0x7f, v8
	v_cmp_ne_u32_e64 s[0:1], s53, v2
	v_mov_b32_e32 v56, 0x7c01
	s_and_saveexec_b64 s[44:45], s[0:1]
	s_cbranch_execz .LBB253_190
; %bb.189:                              ;   in Loop: Header=BB253_13 Depth=1
	v_and_b32_e32 v9, 7, v8
	v_ffbh_u32_e32 v56, v9
	v_min_u32_e32 v58, 32, v56
	v_subrev_u32_e32 v56, 28, v58
	v_lshlrev_b64 v[56:57], v56, v[8:9]
	v_lshrrev_b32_e32 v10, 3, v2
	v_sub_u32_e32 v57, 29, v58
	v_cmp_gt_u32_e64 s[0:1], 8, v2
	v_and_b32_e32 v56, 7, v56
	s_nop 0
	v_cndmask_b32_e64 v2, v10, v57, s[0:1]
	v_lshl_add_u32 v2, v2, 10, v21
	v_lshlrev_b32_e32 v10, 8, v8
	v_and_b32_e32 v2, 0xfc00, v2
	v_cndmask_b32_e64 v9, v9, v56, s[0:1]
	v_and_or_b32 v2, v10, s54, v2
	v_lshl_or_b32 v56, v9, 7, v2
.LBB253_190:                            ;   in Loop: Header=BB253_13 Depth=1
	s_or_b64 exec, exec, s[44:45]
.LBB253_191:                            ;   in Loop: Header=BB253_13 Depth=1
	s_or_b64 exec, exec, s[42:43]
.LBB253_192:                            ;   in Loop: Header=BB253_13 Depth=1
	s_or_b64 exec, exec, s[40:41]
	v_lshrrev_b16_e32 v2, 8, v8
	v_cmp_ne_u16_e64 s[0:1], 0, v2
	s_and_saveexec_b64 s[40:41], s[0:1]
	s_cbranch_execz .LBB253_198
; %bb.193:                              ;   in Loop: Header=BB253_13 Depth=1
	v_cmp_ne_u16_e64 s[0:1], s52, v2
	v_bfrev_b32_e32 v55, 1
	s_and_saveexec_b64 s[42:43], s[0:1]
	s_cbranch_execz .LBB253_197
; %bb.194:                              ;   in Loop: Header=BB253_13 Depth=1
	v_and_b32_e32 v9, 0x7f, v2
	v_cmp_ne_u32_e64 s[0:1], s53, v9
	v_mov_b32_e32 v55, 0x7c010000
	s_and_saveexec_b64 s[44:45], s[0:1]
	s_cbranch_execz .LBB253_196
; %bb.195:                              ;   in Loop: Header=BB253_13 Depth=1
	v_and_b32_e32 v10, 7, v2
	v_ffbh_u32_e32 v57, v10
	v_min_u32_e32 v57, 32, v57
	v_lshrrev_b32_e32 v55, 3, v9
	v_subrev_u32_e32 v58, 28, v57
	v_sub_u32_e32 v57, 29, v57
	v_cmp_gt_u32_e64 s[0:1], 8, v9
	v_lshlrev_b64 v[58:59], v58, v[2:3]
	v_lshlrev_b32_e32 v2, 8, v2
	v_cndmask_b32_e64 v9, v55, v57, s[0:1]
	v_lshl_add_u32 v9, v9, 10, v21
	v_and_b32_e32 v55, 7, v58
	v_and_or_b32 v2, v2, s54, v9
	v_cndmask_b32_e64 v10, v10, v55, s[0:1]
	v_lshlrev_b32_e32 v2, 16, v2
	v_lshl_or_b32 v55, v10, 23, v2
.LBB253_196:                            ;   in Loop: Header=BB253_13 Depth=1
	s_or_b64 exec, exec, s[44:45]
.LBB253_197:                            ;   in Loop: Header=BB253_13 Depth=1
	s_or_b64 exec, exec, s[42:43]
.LBB253_198:                            ;   in Loop: Header=BB253_13 Depth=1
	s_or_b64 exec, exec, s[40:41]
	v_lshrrev_b32_e32 v2, 16, v8
	v_cmp_ne_u16_sdwa s[0:1], v2, v3 src0_sel:BYTE_0 src1_sel:DWORD
	v_mov_b32_e32 v57, 0
	v_mov_b32_e32 v58, 0
	s_and_saveexec_b64 s[40:41], s[0:1]
	s_cbranch_execz .LBB253_204
; %bb.199:                              ;   in Loop: Header=BB253_13 Depth=1
	v_cmp_ne_u16_sdwa s[0:1], v2, s52 src0_sel:BYTE_0 src1_sel:DWORD
	v_mov_b32_e32 v58, 0x8000
	s_and_saveexec_b64 s[42:43], s[0:1]
	s_cbranch_execz .LBB253_203
; %bb.200:                              ;   in Loop: Header=BB253_13 Depth=1
	v_bfe_u32 v9, v8, 16, 7
	v_cmp_ne_u32_e64 s[0:1], s53, v9
	v_mov_b32_e32 v58, 0x7c01
	s_and_saveexec_b64 s[44:45], s[0:1]
	s_cbranch_execz .LBB253_202
; %bb.201:                              ;   in Loop: Header=BB253_13 Depth=1
	v_and_b32_e32 v10, 7, v2
	v_ffbh_u32_e32 v58, v10
	v_min_u32_e32 v61, 32, v58
	v_subrev_u32_e32 v58, 28, v61
	v_lshlrev_b64 v[58:59], v58, v[2:3]
	v_lshrrev_b32_e32 v60, 3, v9
	v_sub_u32_e32 v59, 29, v61
	v_cmp_gt_u32_e64 s[0:1], 8, v9
	v_lshlrev_b32_e32 v2, 8, v2
	v_and_b32_e32 v58, 7, v58
	v_cndmask_b32_e64 v9, v60, v59, s[0:1]
	v_lshl_add_u32 v9, v9, 10, v21
	v_and_b32_e32 v9, 0xfc00, v9
	v_cndmask_b32_e64 v10, v10, v58, s[0:1]
	v_and_or_b32 v2, v2, s54, v9
	v_lshl_or_b32 v58, v10, 7, v2
.LBB253_202:                            ;   in Loop: Header=BB253_13 Depth=1
	s_or_b64 exec, exec, s[44:45]
.LBB253_203:                            ;   in Loop: Header=BB253_13 Depth=1
	s_or_b64 exec, exec, s[42:43]
.LBB253_204:                            ;   in Loop: Header=BB253_13 Depth=1
	s_or_b64 exec, exec, s[40:41]
	v_cmp_lt_u32_e64 s[0:1], s55, v8
	s_and_saveexec_b64 s[40:41], s[0:1]
	s_cbranch_execz .LBB253_210
; %bb.205:                              ;   in Loop: Header=BB253_13 Depth=1
	v_lshrrev_b32_e32 v2, 24, v8
	v_cmp_ne_u32_e64 s[0:1], s52, v2
	v_bfrev_b32_e32 v57, 1
	s_and_saveexec_b64 s[42:43], s[0:1]
	s_cbranch_execz .LBB253_209
; %bb.206:                              ;   in Loop: Header=BB253_13 Depth=1
	v_and_b32_e32 v8, 0x7f, v2
	v_cmp_ne_u32_e64 s[0:1], s53, v8
	v_mov_b32_e32 v57, 0x7c010000
	s_and_saveexec_b64 s[44:45], s[0:1]
	s_cbranch_execz .LBB253_208
; %bb.207:                              ;   in Loop: Header=BB253_13 Depth=1
	v_and_b32_e32 v9, 7, v2
	v_ffbh_u32_e32 v57, v9
	v_min_u32_e32 v57, 32, v57
	v_lshrrev_b32_e32 v10, 3, v8
	v_subrev_u32_e32 v59, 28, v57
	v_sub_u32_e32 v57, 29, v57
	v_cmp_gt_u32_e64 s[0:1], 8, v8
	v_lshlrev_b64 v[60:61], v59, v[2:3]
	v_lshlrev_b32_e32 v2, 8, v2
	v_cndmask_b32_e64 v8, v10, v57, s[0:1]
	v_lshl_add_u32 v8, v8, 10, v21
	v_and_b32_e32 v10, 7, v60
	v_and_or_b32 v2, v2, s54, v8
	v_cndmask_b32_e64 v9, v9, v10, s[0:1]
	v_lshlrev_b32_e32 v2, 16, v2
	v_lshl_or_b32 v57, v9, 23, v2
.LBB253_208:                            ;   in Loop: Header=BB253_13 Depth=1
	s_or_b64 exec, exec, s[44:45]
.LBB253_209:                            ;   in Loop: Header=BB253_13 Depth=1
	s_or_b64 exec, exec, s[42:43]
.LBB253_210:                            ;   in Loop: Header=BB253_13 Depth=1
	s_or_b64 exec, exec, s[40:41]
	v_or_b32_e32 v2, v51, v52
	v_fma_mixlo_f16 v9, v26, v51, 0 op_sel:[0,1,0] op_sel_hi:[0,1,0]
	v_or_b32_e32 v32, v31, v32
	v_fma_mixlo_f16 v51, v26, v31, 0 op_sel:[0,1,0] op_sel_hi:[0,1,0]
	v_or_b32_e32 v31, v33, v34
	v_fma_mixlo_f16 v34, v26, v31, 0 op_sel_hi:[0,1,0]
	v_or_b32_e32 v28, v27, v28
	v_fma_mixlo_f16 v52, v26, v27, 0 op_sel:[0,1,0] op_sel_hi:[0,1,0]
	v_or_b32_e32 v27, v29, v30
	ds_read_b64 v[30:31], v14
	v_fma_mixlo_f16 v10, v26, v2, 0 op_sel_hi:[0,1,0]
	v_or_b32_e32 v2, v53, v54
	v_fma_mixlo_f16 v28, v26, v28, 0 op_sel_hi:[0,1,0]
	v_fma_mixlo_f16 v8, v26, v2, 0 op_sel_hi:[0,1,0]
	v_fma_mixlo_f16 v2, v26, v53, 0 op_sel:[0,1,0] op_sel_hi:[0,1,0]
	v_fma_mixlo_f16 v53, v26, v27, 0 op_sel_hi:[0,1,0]
	v_or_b32_e32 v54, v55, v56
	v_fma_mixlo_f16 v27, v26, v55, 0 op_sel:[0,1,0] op_sel_hi:[0,1,0]
	s_waitcnt lgkmcnt(0)
	v_lshrrev_b32_e32 v55, 16, v30
	v_and_b32_e32 v30, 0xffff, v30
	v_and_b32_e32 v28, 0xffff, v28
	;;#ASMSTART
	v_cvt_f32_f16 v30, v30;
	;;#ASMEND
	;;#ASMSTART
	v_cvt_f32_f16 v55, v55;
	;;#ASMEND
	;; [unrolled: 3-line block ×3, first 2 shown]
	v_and_b32_e32 v28, 0xffff, v52
	;;#ASMSTART
	v_cvt_f32_f16 v52, v28;
	;;#ASMEND
	v_lshrrev_b32_e32 v28, 16, v31
	v_and_b32_e32 v31, 0xffff, v31
	v_fma_mixlo_f16 v29, v26, v29, 0 op_sel:[0,1,0] op_sel_hi:[0,1,0]
	;;#ASMSTART
	v_cvt_f32_f16 v31, v31;
	;;#ASMEND
	;;#ASMSTART
	v_cvt_f32_f16 v59, v28;
	;;#ASMEND
	v_and_b32_e32 v28, 0xffff, v53
	;;#ASMSTART
	v_cvt_f32_f16 v53, v28;
	;;#ASMEND
	v_and_b32_e32 v28, 0xffff, v29
	;;#ASMSTART
	v_cvt_f32_f16 v60, v28;
	;;#ASMEND
	ds_read_b64 v[28:29], v14 offset:8
	v_or_b32_e32 v48, v47, v48
	v_or_b32_e32 v50, v49, v50
	;; [unrolled: 1-line block ×8, first 2 shown]
	v_fma_mixlo_f16 v32, v26, v32, 0 op_sel_hi:[0,1,0]
	v_or_b32_e32 v58, v57, v58
	v_fma_mixlo_f16 v47, v26, v47, 0 op_sel:[0,1,0] op_sel_hi:[0,1,0]
	v_fma_mixlo_f16 v48, v26, v48, 0 op_sel_hi:[0,1,0]
	v_fma_mixlo_f16 v50, v26, v50, 0 op_sel_hi:[0,1,0]
	v_fma_mixlo_f16 v49, v26, v49, 0 op_sel:[0,1,0] op_sel_hi:[0,1,0]
	v_fma_mixlo_f16 v43, v26, v43, 0 op_sel:[0,1,0] op_sel_hi:[0,1,0]
	v_fma_mixlo_f16 v44, v26, v44, 0 op_sel_hi:[0,1,0]
	v_fma_mixlo_f16 v46, v26, v46, 0 op_sel_hi:[0,1,0]
	v_fma_mixlo_f16 v45, v26, v45, 0 op_sel:[0,1,0] op_sel_hi:[0,1,0]
	;; [unrolled: 4-line block ×5, first 2 shown]
	s_waitcnt lgkmcnt(0)
	v_lshrrev_b32_e32 v57, 16, v28
	v_and_b32_e32 v28, 0xffff, v28
	v_and_b32_e32 v32, 0xffff, v32
	;;#ASMSTART
	v_cvt_f32_f16 v28, v28;
	;;#ASMEND
	;;#ASMSTART
	v_cvt_f32_f16 v57, v57;
	;;#ASMEND
	;; [unrolled: 3-line block ×3, first 2 shown]
	v_and_b32_e32 v51, 0xffff, v51
	v_mul_f32_e32 v32, v28, v32
	;;#ASMSTART
	v_cvt_f32_f16 v51, v51;
	;;#ASMEND
	v_fmac_f32_e32 v32, v30, v56
	v_mul_f32_e32 v30, v57, v51
	v_lshrrev_b32_e32 v28, 16, v29
	v_fmac_f32_e32 v30, v55, v52
	v_and_b32_e32 v29, 0xffff, v29
	;;#ASMSTART
	v_cvt_f32_f16 v51, v29;
	;;#ASMEND
	;;#ASMSTART
	v_cvt_f32_f16 v52, v28;
	;;#ASMEND
	v_and_b32_e32 v28, 0xffff, v34
	;;#ASMSTART
	v_cvt_f32_f16 v34, v28;
	;;#ASMEND
	v_and_b32_e32 v28, 0xffff, v33
	;;#ASMSTART
	v_cvt_f32_f16 v33, v28;
	;;#ASMEND
	ds_read_b64 v[28:29], v14 offset:16
	v_mul_f32_e32 v34, v51, v34
	v_fmac_f32_e32 v34, v31, v53
	v_mul_f32_e32 v31, v52, v33
	v_fmac_f32_e32 v31, v59, v60
	s_waitcnt lgkmcnt(0)
	v_lshrrev_b32_e32 v51, 16, v28
	v_and_b32_e32 v28, 0xffff, v28
	;;#ASMSTART
	v_cvt_f32_f16 v33, v28;
	;;#ASMEND
	v_and_b32_e32 v28, 0xffff, v36
	;;#ASMSTART
	v_cvt_f32_f16 v51, v51;
	;;#ASMEND
	;;#ASMSTART
	v_cvt_f32_f16 v36, v28;
	;;#ASMEND
	v_and_b32_e32 v28, 0xffff, v35
	;;#ASMSTART
	v_cvt_f32_f16 v35, v28;
	;;#ASMEND
	v_lshrrev_b32_e32 v28, 16, v29
	v_and_b32_e32 v29, 0xffff, v29
	;;#ASMSTART
	v_cvt_f32_f16 v52, v29;
	;;#ASMEND
	;;#ASMSTART
	v_cvt_f32_f16 v53, v28;
	;;#ASMEND
	v_and_b32_e32 v28, 0xffff, v38
	;;#ASMSTART
	v_cvt_f32_f16 v38, v28;
	;;#ASMEND
	v_and_b32_e32 v28, 0xffff, v37
	;;#ASMSTART
	v_cvt_f32_f16 v37, v28;
	;;#ASMEND
	ds_read_b64 v[28:29], v14 offset:24
	v_fmac_f32_e32 v30, v51, v35
	v_fmac_f32_e32 v32, v33, v36
	v_fmac_f32_e32 v31, v53, v37
	v_fmac_f32_e32 v34, v52, v38
	s_waitcnt lgkmcnt(0)
	v_lshrrev_b32_e32 v35, 16, v28
	v_and_b32_e32 v28, 0xffff, v28
	;;#ASMSTART
	v_cvt_f32_f16 v33, v28;
	;;#ASMEND
	v_and_b32_e32 v28, 0xffff, v40
	;;#ASMSTART
	v_cvt_f32_f16 v35, v35;
	;;#ASMEND
	;;#ASMSTART
	v_cvt_f32_f16 v36, v28;
	;;#ASMEND
	v_and_b32_e32 v28, 0xffff, v39
	;;#ASMSTART
	v_cvt_f32_f16 v37, v28;
	;;#ASMEND
	v_lshrrev_b32_e32 v28, 16, v29
	v_and_b32_e32 v29, 0xffff, v29
	;;#ASMSTART
	v_cvt_f32_f16 v38, v29;
	;;#ASMEND
	;;#ASMSTART
	v_cvt_f32_f16 v39, v28;
	;;#ASMEND
	v_and_b32_e32 v28, 0xffff, v42
	;;#ASMSTART
	v_cvt_f32_f16 v40, v28;
	;;#ASMEND
	v_and_b32_e32 v28, 0xffff, v41
	;;#ASMSTART
	v_cvt_f32_f16 v41, v28;
	;;#ASMEND
	ds_read_b64 v[28:29], v14 offset:32
	v_fmac_f32_e32 v30, v35, v37
	v_fmac_f32_e32 v32, v33, v36
	v_fmac_f32_e32 v34, v38, v40
	;; [unrolled: 38-line block ×3, first 2 shown]
	v_fmac_f32_e32 v31, v39, v41
	s_waitcnt lgkmcnt(0)
	v_lshrrev_b32_e32 v35, 16, v28
	v_and_b32_e32 v28, 0xffff, v28
	;;#ASMSTART
	v_cvt_f32_f16 v33, v28;
	;;#ASMEND
	v_and_b32_e32 v28, 0xffff, v48
	;;#ASMSTART
	v_cvt_f32_f16 v35, v35;
	;;#ASMEND
	;;#ASMSTART
	v_cvt_f32_f16 v36, v28;
	;;#ASMEND
	v_and_b32_e32 v28, 0xffff, v47
	;;#ASMSTART
	v_cvt_f32_f16 v37, v28;
	;;#ASMEND
	v_lshrrev_b32_e32 v28, 16, v29
	v_and_b32_e32 v29, 0xffff, v29
	;;#ASMSTART
	v_cvt_f32_f16 v38, v29;
	;;#ASMEND
	;;#ASMSTART
	v_cvt_f32_f16 v39, v28;
	;;#ASMEND
	v_and_b32_e32 v28, 0xffff, v50
	;;#ASMSTART
	v_cvt_f32_f16 v40, v28;
	;;#ASMEND
	v_and_b32_e32 v28, 0xffff, v49
	;;#ASMSTART
	v_cvt_f32_f16 v41, v28;
	;;#ASMEND
	ds_read_b64 v[28:29], v14 offset:48
	v_fmac_f32_e32 v32, v33, v36
	v_and_b32_e32 v10, 0xffff, v10
	v_and_b32_e32 v9, 0xffff, v9
	v_fmac_f32_e32 v30, v35, v37
	s_waitcnt lgkmcnt(0)
	v_lshrrev_b32_e32 v33, 16, v28
	v_and_b32_e32 v28, 0xffff, v28
	;;#ASMSTART
	v_cvt_f32_f16 v28, v28;
	;;#ASMEND
	;;#ASMSTART
	v_cvt_f32_f16 v33, v33;
	;;#ASMEND
	;; [unrolled: 3-line block ×4, first 2 shown]
	v_lshrrev_b32_e32 v9, 16, v29
	v_and_b32_e32 v29, 0xffff, v29
	v_and_b32_e32 v8, 0xffff, v8
	;; [unrolled: 1-line block ×3, first 2 shown]
	;;#ASMSTART
	v_cvt_f32_f16 v29, v29;
	;;#ASMEND
	;;#ASMSTART
	v_cvt_f32_f16 v36, v9;
	;;#ASMEND
	;; [unrolled: 3-line block ×4, first 2 shown]
	ds_read_b64 v[8:9], v14 offset:56
	v_fmac_f32_e32 v31, v39, v41
	v_fmac_f32_e32 v32, v28, v10
	;; [unrolled: 1-line block ×4, first 2 shown]
	s_waitcnt lgkmcnt(0)
	v_lshrrev_b32_e32 v10, 16, v8
	v_and_b32_e32 v2, 0xffff, v8
	;;#ASMSTART
	v_cvt_f32_f16 v2, v2;
	;;#ASMEND
	;;#ASMSTART
	v_cvt_f32_f16 v8, v10;
	;;#ASMEND
	v_and_b32_e32 v10, 0xffff, v54
	v_and_b32_e32 v27, 0xffff, v27
	v_fmac_f32_e32 v34, v38, v40
	;;#ASMSTART
	v_cvt_f32_f16 v10, v10;
	;;#ASMEND
	;;#ASMSTART
	v_cvt_f32_f16 v27, v27;
	;;#ASMEND
	v_fmac_f32_e32 v34, v29, v37
	v_fmac_f32_e32 v32, v2, v10
	;; [unrolled: 1-line block ×3, first 2 shown]
	v_lshrrev_b32_e32 v8, 16, v9
	v_and_b32_e32 v2, 0xffff, v9
	v_and_b32_e32 v9, 0xffff, v58
	;;#ASMSTART
	v_cvt_f32_f16 v2, v2;
	;;#ASMEND
	;;#ASMSTART
	v_cvt_f32_f16 v8, v8;
	;;#ASMEND
	;; [unrolled: 3-line block ×3, first 2 shown]
	v_and_b32_e32 v10, 0xffff, v26
	v_fmac_f32_e32 v34, v2, v9
	v_and_b32_e32 v9, 64, v22
	;;#ASMSTART
	v_cvt_f32_f16 v10, v10;
	;;#ASMEND
	v_add_u32_e32 v9, 64, v9
	v_fmac_f32_e32 v31, v8, v10
	v_xor_b32_e32 v8, 1, v22
	v_add_f32_e32 v2, v32, v30
	v_cmp_lt_i32_e64 s[0:1], v8, v9
	v_add_f32_e32 v2, v2, v34
	v_add_f32_e32 v2, v31, v2
	v_cndmask_b32_e64 v8, v22, v8, s[0:1]
	v_lshlrev_b32_e32 v8, 2, v8
	ds_bpermute_b32 v8, v8, v2
	s_and_saveexec_b64 s[40:41], vcc
	s_cbranch_execz .LBB253_11
; %bb.211:                              ;   in Loop: Header=BB253_13 Depth=1
	v_add_u32_e32 v9, v18, v17
	v_cvt_f32_i32_e32 v9, v9
	s_waitcnt lgkmcnt(0)
	v_add_f32_e32 v2, v2, v8
	v_add_u32_e32 v10, v13, v17
	v_cmp_gt_i32_e64 s[0:1], s33, v10
	v_mul_f32_e32 v8, s48, v9
	v_cndmask_b32_e64 v8, 0, v8, s[2:3]
	v_fmac_f32_e32 v8, s37, v2
	v_cndmask_b32_e64 v2, 0, v8, s[0:1]
	ds_write_b32 v19, v2
	v_max_f32_e32 v2, v15, v15
	v_max_f32_e32 v2, v2, v8
	v_cndmask_b32_e64 v15, v15, v2, s[0:1]
	s_branch .LBB253_11
.LBB253_212:
	s_or_b64 exec, exec, s[38:39]
.LBB253_213:
	s_or_b64 exec, exec, s[18:19]
	v_mbcnt_hi_u32_b32 v2, -1, v12
	v_and_b32_e32 v9, 64, v2
	v_add_u32_e32 v10, 64, v9
	v_xor_b32_e32 v3, 32, v2
	v_cmp_lt_i32_e32 vcc, v3, v10
	v_xor_b32_e32 v6, 16, v2
	v_max_f32_e32 v5, v15, v15
	v_cndmask_b32_e32 v3, v2, v3, vcc
	v_lshlrev_b32_e32 v3, 2, v3
	ds_bpermute_b32 v4, v3, v15
	v_cmp_lt_i32_e32 vcc, v6, v10
	v_xor_b32_e32 v7, 8, v2
	s_waitcnt lgkmcnt(1)
	v_xor_b32_e32 v8, 4, v2
	v_xor_b32_e32 v12, 2, v2
	s_waitcnt lgkmcnt(0)
	v_max_f32_e32 v4, v4, v4
	v_max_f32_e32 v5, v5, v4
	v_cndmask_b32_e32 v4, v2, v6, vcc
	v_lshlrev_b32_e32 v4, 2, v4
	ds_bpermute_b32 v6, v4, v5
	v_cmp_lt_i32_e32 vcc, v7, v10
	v_and_b32_e32 v26, 63, v0
	s_waitcnt lgkmcnt(0)
	v_max_f32_e32 v6, v6, v6
	v_max_f32_e32 v6, v5, v6
	v_cndmask_b32_e32 v5, v2, v7, vcc
	v_lshlrev_b32_e32 v5, 2, v5
	ds_bpermute_b32 v7, v5, v6
	v_cmp_lt_i32_e32 vcc, v8, v10
	s_waitcnt lgkmcnt(0)
	v_max_f32_e32 v7, v7, v7
	v_max_f32_e32 v7, v6, v7
	v_cndmask_b32_e32 v6, v2, v8, vcc
	v_lshlrev_b32_e32 v6, 2, v6
	ds_bpermute_b32 v8, v6, v7
	v_cmp_lt_i32_e32 vcc, v12, v10
	s_waitcnt lgkmcnt(0)
	v_max_f32_e32 v8, v8, v8
	v_max_f32_e32 v8, v7, v8
	v_cndmask_b32_e32 v7, v2, v12, vcc
	v_lshlrev_b32_e32 v27, 2, v7
	ds_bpermute_b32 v12, v27, v8
	v_cmp_eq_u32_e32 vcc, 0, v26
	v_lshlrev_b32_e32 v7, 2, v24
	s_and_saveexec_b64 s[0:1], vcc
	s_cbranch_execz .LBB253_215
; %bb.214:
	s_waitcnt lgkmcnt(0)
	v_max_f32_e32 v12, v12, v12
	v_max_f32_e32 v8, v8, v8
	;; [unrolled: 1-line block ×3, first 2 shown]
	ds_write_b32 v7, v8 offset:128
.LBB253_215:
	s_or_b64 exec, exec, s[0:1]
	v_cmp_gt_u32_e64 s[0:1], 2, v26
	s_waitcnt lgkmcnt(0)
	v_mov_b32_e32 v12, 0xff7fffff
	v_lshlrev_b32_e32 v8, 2, v26
	s_barrier
	s_and_saveexec_b64 s[2:3], s[0:1]
; %bb.216:
	ds_read_b32 v12, v8 offset:128
; %bb.217:
	s_or_b64 exec, exec, s[2:3]
	v_xor_b32_e32 v13, 1, v2
	v_cmp_lt_i32_e64 s[2:3], v13, v10
	v_lshlrev_b32_e32 v9, 2, v9
	s_nop 0
	v_cndmask_b32_e64 v10, v2, v13, s[2:3]
	v_lshlrev_b32_e32 v28, 2, v10
	s_waitcnt lgkmcnt(0)
	ds_bpermute_b32 v10, v28, v12
	v_max_f32_e32 v12, v12, v12
	s_lshl_b32 s2, s47, 5
	s_min_i32 s37, s2, s33
	v_cmp_gt_i32_e64 s[2:3], s37, v0
	s_waitcnt lgkmcnt(0)
	v_max_f32_e32 v10, v10, v10
	v_max_f32_e32 v10, v12, v10
	ds_bpermute_b32 v10, v9, v10
	v_mov_b32_e32 v9, 0
	s_and_saveexec_b64 s[12:13], s[2:3]
	s_cbranch_execz .LBB253_221
; %bb.218:
	v_mov_b32_e32 v9, 0x90
	v_lshl_add_u32 v12, v0, 2, v9
	v_mov_b32_e32 v9, 0
	s_mov_b64 s[18:19], 0
	v_mov_b32_e32 v13, v0
.LBB253_219:                            ; =>This Inner Loop Header: Depth=1
	ds_read_b32 v14, v12
	v_add_u32_e32 v13, 0x80, v13
	v_cmp_le_i32_e64 s[8:9], s37, v13
	s_or_b64 s[18:19], s[8:9], s[18:19]
	s_waitcnt lgkmcnt(0)
	v_sub_f32_e32 v14, v14, v10
	v_mul_f32_e32 v14, 0x3fb8aa3b, v14
	v_exp_f32_e32 v14, v14
	ds_write_b32 v12, v14
	v_add_f32_e32 v9, v9, v14
	v_add_u32_e32 v12, 0x200, v12
	s_andn2_b64 exec, exec, s[18:19]
	s_cbranch_execnz .LBB253_219
; %bb.220:
	s_or_b64 exec, exec, s[18:19]
.LBB253_221:
	s_or_b64 exec, exec, s[12:13]
	ds_bpermute_b32 v3, v3, v9
	s_waitcnt lgkmcnt(0)
	v_add_f32_e32 v3, v9, v3
	ds_bpermute_b32 v4, v4, v3
	s_waitcnt lgkmcnt(0)
	v_add_f32_e32 v3, v3, v4
	;; [unrolled: 3-line block ×6, first 2 shown]
	s_and_saveexec_b64 s[8:9], vcc
; %bb.222:
	ds_write_b32 v7, v3 offset:136
; %bb.223:
	s_or_b64 exec, exec, s[8:9]
	s_waitcnt lgkmcnt(0)
	s_barrier
	s_and_saveexec_b64 s[8:9], s[0:1]
; %bb.224:
	ds_read_b32 v3, v8 offset:136
; %bb.225:
	s_or_b64 exec, exec, s[8:9]
	s_waitcnt lgkmcnt(0)
	ds_bpermute_b32 v4, v28, v3
	v_lshlrev_b32_e32 v2, 2, v2
	v_and_b32_e32 v2, 0x100, v2
	s_waitcnt lgkmcnt(0)
	v_add_f32_e32 v3, v3, v4
	ds_bpermute_b32 v2, v2, v3
	s_and_saveexec_b64 s[0:1], s[2:3]
	s_cbranch_execz .LBB253_238
; %bb.226:
	s_waitcnt lgkmcnt(0)
	v_add_f32_e32 v2, 0x358637bd, v2
	v_div_scale_f32 v3, s[2:3], v2, v2, 1.0
	v_rcp_f32_e32 v4, v3
	v_div_scale_f32 v5, vcc, 1.0, v2, 1.0
	s_movk_i32 s2, 0x7f
	v_fma_f32 v6, -v3, v4, 1.0
	v_fmac_f32_e32 v4, v6, v4
	v_mul_f32_e32 v6, v5, v4
	v_fma_f32 v7, -v3, v6, v5
	v_fmac_f32_e32 v6, v7, v4
	v_fma_f32 v3, -v3, v6, v5
	v_div_fmas_f32 v3, v3, v4, v6
	v_xad_u32 v4, v0, -1, s37
	v_div_fixup_f32 v2, v3, v2, 1.0
	v_cmp_lt_u32_e32 vcc, s2, v4
	s_mov_b64 s[8:9], -1
	v_mov_b32_e32 v3, v0
	s_and_saveexec_b64 s[2:3], vcc
	s_cbranch_execz .LBB253_235
; %bb.227:
	v_lshrrev_b32_e32 v4, 7, v4
	v_add_u32_e32 v6, -1, v4
	v_lshrrev_b32_e32 v5, 1, v6
	v_mov_b32_e32 v3, v2
	v_add_u32_e32 v5, 1, v5
	v_cmp_lt_u32_e32 vcc, 13, v6
	v_mov_b32_e32 v8, 0
	s_and_saveexec_b64 s[8:9], vcc
	s_cbranch_execz .LBB253_231
; %bb.228:
	v_mov_b32_e32 v7, 0x90
	v_and_b32_e32 v6, -8, v5
	v_lshl_add_u32 v7, v0, 2, v7
	s_mov_b32 s18, 0
	s_mov_b64 s[12:13], 0
.LBB253_229:                            ; =>This Inner Loop Header: Depth=1
	ds_read2st64_b32 v[8:9], v7 offset1:2
	ds_read2st64_b32 v[12:13], v7 offset0:4 offset1:6
	ds_read2st64_b32 v[14:15], v7 offset0:8 offset1:10
	;; [unrolled: 1-line block ×3, first 2 shown]
	v_add_u32_e32 v6, -8, v6
	s_waitcnt lgkmcnt(3)
	v_pk_mul_f32 v[8:9], v[2:3], v[8:9]
	s_waitcnt lgkmcnt(2)
	v_pk_mul_f32 v[12:13], v[2:3], v[12:13]
	ds_write2st64_b32 v7, v8, v9 offset1:2
	ds_write2st64_b32 v7, v12, v13 offset0:4 offset1:6
	ds_read2st64_b32 v[12:13], v7 offset0:16 offset1:18
	s_waitcnt lgkmcnt(4)
	v_pk_mul_f32 v[8:9], v[2:3], v[14:15]
	ds_write2st64_b32 v7, v8, v9 offset0:8 offset1:10
	s_waitcnt lgkmcnt(4)
	v_pk_mul_f32 v[8:9], v[2:3], v[16:17]
	ds_write2st64_b32 v7, v8, v9 offset0:12 offset1:14
	ds_read2st64_b32 v[8:9], v7 offset0:20 offset1:22
	s_waitcnt lgkmcnt(3)
	v_pk_mul_f32 v[12:13], v[2:3], v[12:13]
	ds_read2st64_b32 v[14:15], v7 offset0:24 offset1:26
	ds_write2st64_b32 v7, v12, v13 offset0:16 offset1:18
	ds_read2st64_b32 v[12:13], v7 offset0:28 offset1:30
	s_waitcnt lgkmcnt(3)
	v_pk_mul_f32 v[8:9], v[2:3], v[8:9]
	ds_write2st64_b32 v7, v8, v9 offset0:20 offset1:22
	s_waitcnt lgkmcnt(3)
	v_pk_mul_f32 v[8:9], v[2:3], v[14:15]
	ds_write2st64_b32 v7, v8, v9 offset0:24 offset1:26
	s_waitcnt lgkmcnt(2)
	v_pk_mul_f32 v[8:9], v[2:3], v[12:13]
	s_add_i32 s18, s18, 16
	v_cmp_eq_u32_e32 vcc, 0, v6
	ds_write2st64_b32 v7, v8, v9 offset0:28 offset1:30
	v_add_u32_e32 v7, 0x2000, v7
	s_or_b64 s[12:13], vcc, s[12:13]
	v_mov_b32_e32 v8, s18
	s_andn2_b64 exec, exec, s[12:13]
	s_cbranch_execnz .LBB253_229
; %bb.230:
	s_or_b64 exec, exec, s[12:13]
.LBB253_231:
	s_or_b64 exec, exec, s[8:9]
	v_and_b32_e32 v5, 7, v5
	v_cmp_ne_u32_e32 vcc, 0, v5
	s_and_saveexec_b64 s[8:9], vcc
	s_cbranch_execz .LBB253_234
; %bb.232:
	v_lshlrev_b32_e32 v6, 9, v8
	v_lshlrev_b32_e32 v7, 2, v0
	s_movk_i32 s12, 0x90
	v_add3_u32 v6, v6, v7, s12
	s_mov_b64 s[12:13], 0
.LBB253_233:                            ; =>This Inner Loop Header: Depth=1
	ds_read2st64_b32 v[8:9], v6 offset1:2
	v_add_u32_e32 v5, -1, v5
	v_cmp_eq_u32_e32 vcc, 0, v5
	s_or_b64 s[12:13], vcc, s[12:13]
	s_waitcnt lgkmcnt(0)
	v_pk_mul_f32 v[8:9], v[2:3], v[8:9]
	ds_write2st64_b32 v6, v8, v9 offset1:2
	v_add_u32_e32 v6, 0x400, v6
	s_andn2_b64 exec, exec, s[12:13]
	s_cbranch_execnz .LBB253_233
.LBB253_234:
	s_or_b64 exec, exec, s[8:9]
	v_add_u32_e32 v4, 1, v4
	v_and_b32_e32 v5, 0x3fffffe, v4
	v_cmp_ne_u32_e32 vcc, v4, v5
	v_lshl_add_u32 v3, v5, 7, v0
	s_orn2_b64 s[8:9], vcc, exec
.LBB253_235:
	s_or_b64 exec, exec, s[2:3]
	s_and_b64 exec, exec, s[8:9]
	s_cbranch_execz .LBB253_238
; %bb.236:
	v_mov_b32_e32 v4, 0x90
	v_lshl_add_u32 v4, v3, 2, v4
	s_mov_b64 s[2:3], 0
.LBB253_237:                            ; =>This Inner Loop Header: Depth=1
	ds_read_b32 v5, v4
	v_add_u32_e32 v3, 0x80, v3
	v_cmp_le_i32_e32 vcc, s37, v3
	s_or_b64 s[2:3], vcc, s[2:3]
	s_waitcnt lgkmcnt(0)
	v_mul_f32_e32 v5, v2, v5
	ds_write_b32 v4, v5
	v_add_u32_e32 v4, 0x200, v4
	s_andn2_b64 exec, exec, s[2:3]
	s_cbranch_execnz .LBB253_237
.LBB253_238:
	s_or_b64 exec, exec, s[0:1]
	v_mov_b32_e32 v3, 0
	v_and_b32_e32 v29, 3, v0
	s_waitcnt lgkmcnt(0)
	v_mov_b32_e32 v2, 0
	v_mov_b32_e32 v5, 0
	;; [unrolled: 1-line block ×3, first 2 shown]
	s_barrier
	s_and_saveexec_b64 s[2:3], s[6:7]
	s_cbranch_execz .LBB253_444
; %bb.239:
	s_sub_i32 s37, s16, s21
	s_ashr_i32 s1, s20, 31
	s_add_u32 s0, s34, s20
	s_addc_u32 s1, s35, s1
	s_abs_i32 s22, s22
	v_cvt_f32_u32_e32 v2, s22
	v_and_b32_e32 v30, 24, v1
	v_and_b32_e32 v6, 0x1f8, v1
	v_mov_b32_e32 v7, 0
	v_rcp_iflag_f32_e32 v1, v2
	v_lshl_add_u64 v[8:9], s[0:1], 0, v[6:7]
	s_sub_i32 s0, 0, s22
	s_add_i32 s35, s47, -1
	v_mul_f32_e32 v1, 0x4f7ffffe, v1
	v_cvt_u32_f32_e32 v1, v1
	s_mov_b32 s6, -1
	v_and_b32_e32 v6, 60, v11
	s_mov_b32 s34, s17
	v_mul_lo_u32 v2, s0, v1
	v_mul_hi_u32 v2, v1, v2
	s_lshl_b64 s[0:1], s[30:31], 2
	v_add_u32_e32 v31, v1, v2
	s_add_u32 s0, s28, s0
	v_lshlrev_b32_e32 v1, 5, v29
	s_addc_u32 s1, s29, s1
	v_lshl_or_b32 v1, v24, 7, v1
	s_mov_b32 s7, 0xffffff
	s_mov_b32 s38, s33
	v_lshl_add_u64 v[10:11], s[0:1], 0, v[6:7]
	v_add_u32_e32 v32, 0x90, v1
	s_mov_b64 s[8:9], 0
	s_movk_i32 s28, 0x80
	s_movk_i32 s29, 0x7f
	s_mov_b32 s30, 0x8000
	v_mov_b32_e32 v33, 0x2000
	v_mov_b32_e32 v4, 0
	;; [unrolled: 1-line block ×5, first 2 shown]
	s_branch .LBB253_242
.LBB253_240:                            ;   in Loop: Header=BB253_242 Depth=1
	s_or_b64 exec, exec, s[0:1]
	v_add_f32_e32 v12, v22, v23
	v_add_f32_e32 v2, v2, v12
	;; [unrolled: 1-line block ×5, first 2 shown]
	;;#ASMSTART
	v_pk_mul_f16 v1, v45, v1;

	;;#ASMEND
	v_add_f32_e32 v4, v4, v12
	;;#ASMSTART
	v_pk_mul_f16 v6, v44, v6;

	;;#ASMEND
	;;#ASMSTART
	v_pk_mul_f16 v12, v43, v19;

	;;#ASMEND
	;; [unrolled: 4-line block ×3, first 2 shown]
	s_nop 0
	;;#ASMSTART
	v_pk_add_f16 v1, v1, v6;

	;;#ASMEND
	s_nop 0
	;;#ASMSTART
	v_pk_add_f16 v1, v1, v12;

	;;#ASMEND
	;; [unrolled: 5-line block ×3, first 2 shown]
	s_nop 0
	v_lshrrev_b32_e32 v6, 16, v1
	v_and_b32_e32 v1, 0xffff, v1
	;;#ASMSTART
	v_cvt_f32_f16 v1, v1;
	;;#ASMEND
	;;#ASMSTART
	v_cvt_f32_f16 v6, v6;
	;;#ASMEND
	s_nop 0
	v_add_f32_e32 v1, v1, v6
	v_add_f32_e32 v3, v3, v1
.LBB253_241:                            ;   in Loop: Header=BB253_242 Depth=1
	s_or_b64 exec, exec, s[12:13]
	v_add_u32_e32 v24, 2, v24
	v_cmp_le_i32_e32 vcc, s47, v24
	v_lshl_add_u64 v[10:11], v[10:11], 0, 8
	v_add_u32_e32 v25, 64, v25
	s_or_b64 s[8:9], vcc, s[8:9]
	v_add_u32_e32 v32, 0x100, v32
	s_andn2_b64 exec, exec, s[8:9]
	s_cbranch_execz .LBB253_443
.LBB253_242:                            ; =>This Inner Loop Header: Depth=1
	v_mul_hi_u32 v1, v25, s46
	v_mul_lo_u32 v6, v1, s25
	v_sub_u32_e32 v6, v25, v6
	v_add_u32_e32 v12, 1, v1
	v_cmp_le_u32_e32 vcc, s25, v6
	s_nop 1
	v_cndmask_b32_e32 v1, v1, v12, vcc
	v_subrev_u32_e32 v12, s25, v6
	v_cndmask_b32_e32 v6, v6, v12, vcc
	v_add_u32_e32 v12, 1, v1
	v_cmp_le_u32_e32 vcc, s25, v6
	s_nop 1
	v_cndmask_b32_e32 v1, v1, v12, vcc
	v_xor_b32_e32 v1, s23, v1
	v_subrev_u32_e32 v1, s23, v1
	v_add_u32_e32 v6, s36, v1
	v_sub_u32_e32 v13, 0, v6
	v_ashrrev_i32_e32 v12, 31, v6
	v_max_i32_e32 v6, v6, v13
	v_mul_hi_u32 v13, v6, v31
	v_mul_lo_u32 v13, v13, s22
	v_sub_u32_e32 v6, v6, v13
	v_subrev_u32_e32 v13, s22, v6
	v_cmp_le_u32_e32 vcc, s22, v6
	v_cmp_lt_i32_e64 s[0:1], s37, v1
	s_nop 0
	v_cndmask_b32_e32 v6, v6, v13, vcc
	v_subrev_u32_e32 v13, s22, v6
	v_cmp_le_u32_e32 vcc, s22, v6
	s_nop 1
	v_cndmask_b32_e32 v6, v6, v13, vcc
	v_xor_b32_e32 v6, v6, v12
	v_sub_u32_e32 v6, v6, v12
	v_cmp_eq_u32_e32 vcc, 0, v6
	s_or_b64 s[0:1], vcc, s[0:1]
	s_and_saveexec_b64 s[12:13], s[0:1]
	s_cbranch_execz .LBB253_241
; %bb.243:                              ;   in Loop: Header=BB253_242 Depth=1
	global_load_dword v1, v[10:11], off
	ds_read2_b64 v[12:15], v32 offset1:1
	ds_read2_b64 v[16:19], v32 offset0:2 offset1:3
	s_waitcnt lgkmcnt(1)
	;;#ASMSTART
	v_cvt_f16_f32 v42, v12;

	;;#ASMEND
	;;#ASMSTART
	v_cvt_f16_f32 v43, v13;

	;;#ASMEND
	;; [unrolled: 4-line block ×4, first 2 shown]
	s_waitcnt lgkmcnt(0)
	;;#ASMSTART
	v_cvt_f16_f32 v47, v16;

	;;#ASMEND
	;;#ASMSTART
	v_cvt_f16_f32 v48, v17;

	;;#ASMEND
	;; [unrolled: 4-line block ×4, first 2 shown]
	v_mov_b32_e32 v15, 0
	s_waitcnt vmcnt(0)
	v_mad_i64_i32 v[12:13], s[0:1], v1, s34, v[8:9]
	global_load_dwordx2 v[16:17], v[12:13], off
	v_mov_b32_e32 v1, 0
	global_load_dword v14, v1, s[14:15]
	s_waitcnt vmcnt(1)
	v_cmp_ne_u16_sdwa s[16:17], v16, v7 src0_sel:BYTE_0 src1_sel:DWORD
	s_and_saveexec_b64 s[0:1], s[16:17]
	s_cbranch_execz .LBB253_249
; %bb.244:                              ;   in Loop: Header=BB253_242 Depth=1
	v_cmp_ne_u16_sdwa s[18:19], v16, s28 src0_sel:BYTE_0 src1_sel:DWORD
	v_mov_b32_e32 v15, 0x8000
	s_and_saveexec_b64 s[16:17], s[18:19]
	s_cbranch_execz .LBB253_248
; %bb.245:                              ;   in Loop: Header=BB253_242 Depth=1
	v_and_b32_e32 v6, 0x7f, v16
	v_cmp_ne_u32_e32 vcc, s29, v6
	v_mov_b32_e32 v15, 0x7c01
	s_and_saveexec_b64 s[18:19], vcc
	s_cbranch_execz .LBB253_247
; %bb.246:                              ;   in Loop: Header=BB253_242 Depth=1
	v_and_b32_e32 v15, 7, v16
	v_ffbh_u32_e32 v18, v15
	v_min_u32_e32 v21, 32, v18
	v_subrev_u32_e32 v18, 28, v21
	v_lshlrev_b64 v[18:19], v18, v[16:17]
	v_lshrrev_b32_e32 v20, 3, v6
	v_sub_u32_e32 v19, 29, v21
	v_cmp_gt_u32_e32 vcc, 8, v6
	v_and_b32_e32 v18, 7, v18
	s_nop 0
	v_cndmask_b32_e32 v6, v20, v19, vcc
	v_lshl_add_u32 v6, v6, 10, v33
	v_lshlrev_b32_e32 v19, 8, v16
	v_and_b32_e32 v6, 0xfc00, v6
	v_cndmask_b32_e32 v15, v15, v18, vcc
	v_and_or_b32 v6, v19, s30, v6
	v_lshl_or_b32 v15, v15, 7, v6
.LBB253_247:                            ;   in Loop: Header=BB253_242 Depth=1
	s_or_b64 exec, exec, s[18:19]
.LBB253_248:                            ;   in Loop: Header=BB253_242 Depth=1
	s_or_b64 exec, exec, s[16:17]
.LBB253_249:                            ;   in Loop: Header=BB253_242 Depth=1
	s_or_b64 exec, exec, s[0:1]
	v_lshrrev_b16_e32 v6, 8, v16
	v_cmp_ne_u16_e32 vcc, 0, v6
	s_and_saveexec_b64 s[0:1], vcc
	s_cbranch_execz .LBB253_255
; %bb.250:                              ;   in Loop: Header=BB253_242 Depth=1
	v_cmp_ne_u16_e32 vcc, s28, v6
	v_bfrev_b32_e32 v1, 1
	s_and_saveexec_b64 s[16:17], vcc
	s_cbranch_execz .LBB253_254
; %bb.251:                              ;   in Loop: Header=BB253_242 Depth=1
	v_and_b32_e32 v18, 0x7f, v6
	v_cmp_ne_u32_e32 vcc, s29, v18
	v_mov_b32_e32 v1, 0x7c010000
	s_and_saveexec_b64 s[18:19], vcc
	s_cbranch_execz .LBB253_253
; %bb.252:                              ;   in Loop: Header=BB253_242 Depth=1
	v_and_b32_e32 v1, 7, v6
	v_ffbh_u32_e32 v20, v1
	v_min_u32_e32 v22, 32, v20
	v_subrev_u32_e32 v20, 28, v22
	v_lshlrev_b64 v[20:21], v20, v[6:7]
	v_lshrrev_b32_e32 v19, 3, v18
	v_sub_u32_e32 v21, 29, v22
	v_cmp_gt_u32_e32 vcc, 8, v18
	v_lshlrev_b32_e32 v6, 8, v6
	s_nop 0
	v_cndmask_b32_e32 v18, v19, v21, vcc
	v_lshl_add_u32 v18, v18, 10, v33
	v_and_b32_e32 v19, 7, v20
	v_and_or_b32 v6, v6, s30, v18
	v_cndmask_b32_e32 v1, v1, v19, vcc
	v_lshlrev_b32_e32 v6, 16, v6
	v_lshl_or_b32 v1, v1, 23, v6
.LBB253_253:                            ;   in Loop: Header=BB253_242 Depth=1
	s_or_b64 exec, exec, s[18:19]
.LBB253_254:                            ;   in Loop: Header=BB253_242 Depth=1
	s_or_b64 exec, exec, s[16:17]
.LBB253_255:                            ;   in Loop: Header=BB253_242 Depth=1
	s_or_b64 exec, exec, s[0:1]
	v_lshrrev_b32_e32 v6, 16, v16
	v_cmp_ne_u16_sdwa s[16:17], v6, v7 src0_sel:BYTE_0 src1_sel:DWORD
	v_mov_b32_e32 v19, 0
	v_mov_b32_e32 v18, 0
	s_and_saveexec_b64 s[0:1], s[16:17]
	s_cbranch_execz .LBB253_261
; %bb.256:                              ;   in Loop: Header=BB253_242 Depth=1
	v_cmp_ne_u16_sdwa s[18:19], v6, s28 src0_sel:BYTE_0 src1_sel:DWORD
	v_mov_b32_e32 v18, 0x8000
	s_and_saveexec_b64 s[16:17], s[18:19]
	s_cbranch_execz .LBB253_260
; %bb.257:                              ;   in Loop: Header=BB253_242 Depth=1
	v_bfe_u32 v20, v16, 16, 7
	v_cmp_ne_u32_e32 vcc, s29, v20
	v_mov_b32_e32 v18, 0x7c01
	s_and_saveexec_b64 s[18:19], vcc
	s_cbranch_execz .LBB253_259
; %bb.258:                              ;   in Loop: Header=BB253_242 Depth=1
	v_and_b32_e32 v18, 7, v6
	v_ffbh_u32_e32 v22, v18
	v_min_u32_e32 v34, 32, v22
	v_subrev_u32_e32 v22, 28, v34
	v_lshlrev_b64 v[22:23], v22, v[6:7]
	v_lshrrev_b32_e32 v21, 3, v20
	v_sub_u32_e32 v23, 29, v34
	v_cmp_gt_u32_e32 vcc, 8, v20
	v_lshlrev_b32_e32 v6, 8, v6
	s_nop 0
	v_cndmask_b32_e32 v20, v21, v23, vcc
	v_lshl_add_u32 v20, v20, 10, v33
	v_and_b32_e32 v21, 7, v22
	v_and_b32_e32 v20, 0xfc00, v20
	v_cndmask_b32_e32 v18, v18, v21, vcc
	v_and_or_b32 v6, v6, s30, v20
	v_lshl_or_b32 v18, v18, 7, v6
.LBB253_259:                            ;   in Loop: Header=BB253_242 Depth=1
	s_or_b64 exec, exec, s[18:19]
.LBB253_260:                            ;   in Loop: Header=BB253_242 Depth=1
	s_or_b64 exec, exec, s[16:17]
.LBB253_261:                            ;   in Loop: Header=BB253_242 Depth=1
	s_or_b64 exec, exec, s[0:1]
	v_cmp_lt_u32_e32 vcc, s7, v16
	s_and_saveexec_b64 s[0:1], vcc
	s_cbranch_execz .LBB253_267
; %bb.262:                              ;   in Loop: Header=BB253_242 Depth=1
	v_lshrrev_b32_e32 v6, 24, v16
	v_cmp_ne_u32_e32 vcc, s28, v6
	v_bfrev_b32_e32 v19, 1
	s_and_saveexec_b64 s[16:17], vcc
	s_cbranch_execz .LBB253_266
; %bb.263:                              ;   in Loop: Header=BB253_242 Depth=1
	v_and_b32_e32 v20, 0x7f, v6
	v_cmp_ne_u32_e32 vcc, s29, v20
	v_mov_b32_e32 v19, 0x7c010000
	s_and_saveexec_b64 s[18:19], vcc
	s_cbranch_execz .LBB253_265
; %bb.264:                              ;   in Loop: Header=BB253_242 Depth=1
	v_and_b32_e32 v19, 7, v6
	v_ffbh_u32_e32 v22, v19
	v_min_u32_e32 v34, 32, v22
	v_subrev_u32_e32 v22, 28, v34
	v_lshlrev_b64 v[22:23], v22, v[6:7]
	v_lshrrev_b32_e32 v21, 3, v20
	v_sub_u32_e32 v23, 29, v34
	v_cmp_gt_u32_e32 vcc, 8, v20
	v_lshlrev_b32_e32 v6, 8, v6
	s_nop 0
	v_cndmask_b32_e32 v20, v21, v23, vcc
	v_lshl_add_u32 v20, v20, 10, v33
	v_and_b32_e32 v21, 7, v22
	v_and_or_b32 v6, v6, s30, v20
	v_cndmask_b32_e32 v19, v19, v21, vcc
	v_lshlrev_b32_e32 v6, 16, v6
	v_lshl_or_b32 v19, v19, 23, v6
.LBB253_265:                            ;   in Loop: Header=BB253_242 Depth=1
	s_or_b64 exec, exec, s[18:19]
.LBB253_266:                            ;   in Loop: Header=BB253_242 Depth=1
	s_or_b64 exec, exec, s[16:17]
.LBB253_267:                            ;   in Loop: Header=BB253_242 Depth=1
	s_or_b64 exec, exec, s[0:1]
	v_mov_b32_e32 v6, v17
	v_cmp_ne_u16_sdwa s[16:17], v17, v7 src0_sel:BYTE_0 src1_sel:DWORD
	v_mov_b32_e32 v20, 0
	v_mov_b32_e32 v21, 0
	s_and_saveexec_b64 s[0:1], s[16:17]
	s_cbranch_execz .LBB253_273
; %bb.268:                              ;   in Loop: Header=BB253_242 Depth=1
	v_cmp_ne_u16_sdwa s[18:19], v17, s28 src0_sel:BYTE_0 src1_sel:DWORD
	v_mov_b32_e32 v21, 0x8000
	s_and_saveexec_b64 s[16:17], s[18:19]
	s_cbranch_execz .LBB253_272
; %bb.269:                              ;   in Loop: Header=BB253_242 Depth=1
	v_and_b32_e32 v22, 0x7f, v17
	v_cmp_ne_u32_e32 vcc, s29, v22
	v_mov_b32_e32 v21, 0x7c01
	s_and_saveexec_b64 s[18:19], vcc
	s_cbranch_execz .LBB253_271
; %bb.270:                              ;   in Loop: Header=BB253_242 Depth=1
	v_and_b32_e32 v21, 7, v17
	v_ffbh_u32_e32 v34, v21
	v_min_u32_e32 v36, 32, v34
	v_subrev_u32_e32 v34, 28, v36
	v_lshlrev_b64 v[34:35], v34, v[6:7]
	v_lshrrev_b32_e32 v23, 3, v22
	v_sub_u32_e32 v35, 29, v36
	v_cmp_gt_u32_e32 vcc, 8, v22
	v_and_b32_e32 v34, 7, v34
	s_nop 0
	v_cndmask_b32_e32 v22, v23, v35, vcc
	v_lshl_add_u32 v22, v22, 10, v33
	v_lshlrev_b32_e32 v23, 8, v17
	v_and_b32_e32 v22, 0xfc00, v22
	v_cndmask_b32_e32 v21, v21, v34, vcc
	v_and_or_b32 v22, v23, s30, v22
	v_lshl_or_b32 v21, v21, 7, v22
.LBB253_271:                            ;   in Loop: Header=BB253_242 Depth=1
	s_or_b64 exec, exec, s[18:19]
.LBB253_272:                            ;   in Loop: Header=BB253_242 Depth=1
	s_or_b64 exec, exec, s[16:17]
.LBB253_273:                            ;   in Loop: Header=BB253_242 Depth=1
	s_or_b64 exec, exec, s[0:1]
	v_lshrrev_b16_e32 v6, 8, v6
	v_cmp_ne_u16_e32 vcc, 0, v6
	v_mov_b32_e32 v22, 0
	s_and_saveexec_b64 s[0:1], vcc
	s_cbranch_execz .LBB253_279
; %bb.274:                              ;   in Loop: Header=BB253_242 Depth=1
	v_cmp_ne_u16_e32 vcc, s28, v6
	v_bfrev_b32_e32 v22, 1
	s_and_saveexec_b64 s[16:17], vcc
	s_cbranch_execz .LBB253_278
; %bb.275:                              ;   in Loop: Header=BB253_242 Depth=1
	v_and_b32_e32 v23, 0x7f, v6
	v_cmp_ne_u32_e32 vcc, s29, v23
	v_mov_b32_e32 v22, 0x7c010000
	s_and_saveexec_b64 s[18:19], vcc
	s_cbranch_execz .LBB253_277
; %bb.276:                              ;   in Loop: Header=BB253_242 Depth=1
	v_and_b32_e32 v22, 7, v6
	v_ffbh_u32_e32 v34, v22
	v_min_u32_e32 v37, 32, v34
	v_subrev_u32_e32 v34, 28, v37
	v_lshlrev_b64 v[34:35], v34, v[6:7]
	v_lshrrev_b32_e32 v36, 3, v23
	v_sub_u32_e32 v35, 29, v37
	v_cmp_gt_u32_e32 vcc, 8, v23
	v_lshlrev_b32_e32 v6, 8, v6
	v_and_b32_e32 v34, 7, v34
	v_cndmask_b32_e32 v23, v36, v35, vcc
	v_lshl_add_u32 v23, v23, 10, v33
	v_and_or_b32 v6, v6, s30, v23
	v_cndmask_b32_e32 v22, v22, v34, vcc
	v_lshlrev_b32_e32 v6, 16, v6
	v_lshl_or_b32 v22, v22, 23, v6
.LBB253_277:                            ;   in Loop: Header=BB253_242 Depth=1
	s_or_b64 exec, exec, s[18:19]
.LBB253_278:                            ;   in Loop: Header=BB253_242 Depth=1
	s_or_b64 exec, exec, s[16:17]
.LBB253_279:                            ;   in Loop: Header=BB253_242 Depth=1
	s_or_b64 exec, exec, s[0:1]
	v_lshrrev_b32_e32 v6, 16, v17
	v_cmp_ne_u16_sdwa s[16:17], v6, v7 src0_sel:BYTE_0 src1_sel:DWORD
	s_and_saveexec_b64 s[0:1], s[16:17]
	s_cbranch_execz .LBB253_285
; %bb.280:                              ;   in Loop: Header=BB253_242 Depth=1
	v_cmp_ne_u16_sdwa s[18:19], v6, s28 src0_sel:BYTE_0 src1_sel:DWORD
	v_mov_b32_e32 v20, 0x8000
	s_and_saveexec_b64 s[16:17], s[18:19]
	s_cbranch_execz .LBB253_284
; %bb.281:                              ;   in Loop: Header=BB253_242 Depth=1
	v_bfe_u32 v23, v17, 16, 7
	v_cmp_ne_u32_e32 vcc, s29, v23
	v_mov_b32_e32 v20, 0x7c01
	s_and_saveexec_b64 s[18:19], vcc
	s_cbranch_execz .LBB253_283
; %bb.282:                              ;   in Loop: Header=BB253_242 Depth=1
	v_and_b32_e32 v20, 7, v6
	v_ffbh_u32_e32 v34, v20
	v_min_u32_e32 v37, 32, v34
	v_subrev_u32_e32 v34, 28, v37
	v_lshlrev_b64 v[34:35], v34, v[6:7]
	v_lshrrev_b32_e32 v36, 3, v23
	v_sub_u32_e32 v35, 29, v37
	v_cmp_gt_u32_e32 vcc, 8, v23
	v_lshlrev_b32_e32 v6, 8, v6
	v_and_b32_e32 v34, 7, v34
	v_cndmask_b32_e32 v23, v36, v35, vcc
	v_lshl_add_u32 v23, v23, 10, v33
	v_and_b32_e32 v23, 0xfc00, v23
	v_cndmask_b32_e32 v20, v20, v34, vcc
	v_and_or_b32 v6, v6, s30, v23
	v_lshl_or_b32 v20, v20, 7, v6
.LBB253_283:                            ;   in Loop: Header=BB253_242 Depth=1
	s_or_b64 exec, exec, s[18:19]
.LBB253_284:                            ;   in Loop: Header=BB253_242 Depth=1
	s_or_b64 exec, exec, s[16:17]
.LBB253_285:                            ;   in Loop: Header=BB253_242 Depth=1
	s_or_b64 exec, exec, s[0:1]
	v_cmp_lt_u64_e32 vcc, s[6:7], v[16:17]
	v_mov_b32_e32 v23, 0
	s_and_saveexec_b64 s[0:1], vcc
	s_cbranch_execz .LBB253_291
; %bb.286:                              ;   in Loop: Header=BB253_242 Depth=1
	v_lshrrev_b32_e32 v6, 24, v17
	v_cmp_ne_u32_e32 vcc, s28, v6
	v_bfrev_b32_e32 v23, 1
	s_and_saveexec_b64 s[16:17], vcc
	s_cbranch_execz .LBB253_290
; %bb.287:                              ;   in Loop: Header=BB253_242 Depth=1
	v_and_b32_e32 v16, 0x7f, v6
	v_cmp_ne_u32_e32 vcc, s29, v16
	v_mov_b32_e32 v23, 0x7c010000
	s_and_saveexec_b64 s[18:19], vcc
	s_cbranch_execz .LBB253_289
; %bb.288:                              ;   in Loop: Header=BB253_242 Depth=1
	v_and_b32_e32 v17, 7, v6
	v_ffbh_u32_e32 v34, v17
	v_min_u32_e32 v36, 32, v34
	v_subrev_u32_e32 v34, 28, v36
	v_lshlrev_b64 v[34:35], v34, v[6:7]
	v_lshrrev_b32_e32 v23, 3, v16
	v_sub_u32_e32 v35, 29, v36
	v_cmp_gt_u32_e32 vcc, 8, v16
	v_lshlrev_b32_e32 v6, 8, v6
	s_nop 0
	v_cndmask_b32_e32 v16, v23, v35, vcc
	v_lshl_add_u32 v16, v16, 10, v33
	v_and_b32_e32 v23, 7, v34
	v_and_or_b32 v6, v6, s30, v16
	v_cndmask_b32_e32 v17, v17, v23, vcc
	v_lshlrev_b32_e32 v6, 16, v6
	v_lshl_or_b32 v23, v17, 23, v6
.LBB253_289:                            ;   in Loop: Header=BB253_242 Depth=1
	s_or_b64 exec, exec, s[18:19]
.LBB253_290:                            ;   in Loop: Header=BB253_242 Depth=1
	s_or_b64 exec, exec, s[16:17]
.LBB253_291:                            ;   in Loop: Header=BB253_242 Depth=1
	s_or_b64 exec, exec, s[0:1]
	v_cvt_f32_f16_sdwa v17, v1 dst_sel:DWORD dst_unused:UNUSED_PAD src0_sel:WORD_1
	v_cvt_f32_f16_sdwa v16, v19 dst_sel:DWORD dst_unused:UNUSED_PAD src0_sel:WORD_1
	v_or_b32_e32 v1, v1, v15
	v_or_b32_e32 v6, v19, v18
	v_cvt_f32_f16_e32 v18, v6
	v_cvt_f32_f16_e32 v19, v1
	s_waitcnt vmcnt(0)
	v_pk_mul_f32 v[16:17], v[14:15], v[16:17] op_sel_hi:[0,1]
	v_cvt_pk_f16_f32 v1, v16, v17
	v_and_b32_e32 v15, 0xffff0000, v1
	v_pk_mul_f32 v[18:19], v[14:15], v[18:19] op_sel_hi:[0,1]
	v_lshlrev_b32_e32 v16, 16, v1
	v_cvt_pk_f16_f32 v1, v18, v19
	v_or_b32_e32 v6, v22, v21
	v_or_b32_e32 v19, v23, v20
	v_cvt_f32_f16_e32 v20, v19
	v_cvt_f32_f16_e32 v21, v6
	v_cvt_f32_f16_sdwa v37, v22 dst_sel:DWORD dst_unused:UNUSED_PAD src0_sel:WORD_1
	v_cvt_f32_f16_sdwa v36, v23 dst_sel:DWORD dst_unused:UNUSED_PAD src0_sel:WORD_1
	v_add_u32_e32 v34, v30, v25
	v_pk_mul_f32 v[20:21], v[14:15], v[20:21] op_sel_hi:[0,1]
	v_cvt_pk_f16_f32 v22, v20, v21
	v_pk_mul_f32 v[20:21], v[14:15], v[36:37] op_sel_hi:[0,1]
	v_cvt_pk_f16_f32 v14, v20, v21
	v_lshrrev_b32_e32 v17, 16, v1
	v_and_b32_e32 v18, 0xffff, v1
	v_and_b32_e32 v19, 0xffff0000, v14
	v_lshlrev_b32_e32 v14, 16, v14
	v_lshrrev_b32_e32 v23, 16, v22
	v_and_b32_e32 v22, 0xffff, v22
	v_cmp_eq_u32_e32 vcc, s35, v24
	v_or_b32_e32 v1, v15, v17
	v_or_b32_e32 v6, v16, v18
	v_or_b32_e32 v21, v19, v23
	v_or_b32_e32 v20, v14, v22
	v_add_u32_e32 v41, 2, v34
	v_or_b32_e32 v40, 1, v34
	v_or_b32_e32 v39, 3, v34
	;; [unrolled: 1-line block ×6, first 2 shown]
	s_and_saveexec_b64 s[16:17], vcc
	s_cbranch_execz .LBB253_293
; %bb.292:                              ;   in Loop: Header=BB253_242 Depth=1
	v_cmp_gt_i32_e64 s[0:1], s38, v34
	s_nop 1
	v_cndmask_b32_e64 v1, 0, v17, s[0:1]
	v_cmp_gt_i32_e64 s[0:1], s33, v41
	s_nop 1
	v_cndmask_b32_e64 v6, 0, v18, s[0:1]
	v_cmp_gt_i32_e64 s[0:1], s38, v40
	s_nop 1
	v_cndmask_b32_e64 v15, 0, v15, s[0:1]
	v_cmp_gt_i32_e64 s[0:1], s33, v39
	v_or_b32_e32 v1, v15, v1
	s_nop 0
	v_cndmask_b32_e64 v16, 0, v16, s[0:1]
	v_cmp_gt_i32_e64 s[0:1], s38, v38
	v_or_b32_e32 v6, v16, v6
	s_nop 0
	v_cndmask_b32_e64 v15, 0, v23, s[0:1]
	v_cmp_gt_i32_e64 s[0:1], s33, v37
	s_nop 1
	v_cndmask_b32_e64 v16, 0, v22, s[0:1]
	v_cmp_gt_i32_e64 s[0:1], s38, v36
	;; [unrolled: 3-line block ×3, first 2 shown]
	v_or_b32_e32 v21, v17, v15
	s_nop 0
	v_cndmask_b32_e64 v14, 0, v14, s[0:1]
	v_or_b32_e32 v20, v14, v16
.LBB253_293:                            ;   in Loop: Header=BB253_242 Depth=1
	s_or_b64 exec, exec, s[16:17]
	v_and_b32_e32 v14, 0xffff, v42
	v_lshl_or_b32 v45, v43, 16, v14
	v_and_b32_e32 v14, 0xffff, v44
	v_lshl_or_b32 v44, v46, 16, v14
	;; [unrolled: 2-line block ×3, first 2 shown]
	v_and_b32_e32 v14, 0xffff, v49
	;;#ASMSTART
	v_pk_mul_f16 v1, v45, v1;

	;;#ASMEND
	v_lshl_or_b32 v42, v50, 16, v14
	;;#ASMSTART
	v_pk_mul_f16 v6, v44, v6;

	;;#ASMEND
	;;#ASMSTART
	v_pk_mul_f16 v14, v43, v21;

	;;#ASMEND
	;; [unrolled: 4-line block ×3, first 2 shown]
	s_nop 0
	;;#ASMSTART
	v_pk_add_f16 v1, v1, v6;

	;;#ASMEND
	s_nop 0
	;;#ASMSTART
	v_pk_add_f16 v1, v1, v14;

	;;#ASMEND
	;; [unrolled: 5-line block ×3, first 2 shown]
	v_mov_b32_e32 v15, 0
	v_lshrrev_b32_e32 v6, 16, v1
	v_and_b32_e32 v1, 0xffff, v1
	;;#ASMSTART
	v_cvt_f32_f16 v46, v1;
	;;#ASMEND
	;;#ASMSTART
	v_cvt_f32_f16 v47, v6;
	;;#ASMEND
	global_load_dwordx2 v[16:17], v[12:13], off offset:512
	v_mov_b32_e32 v1, 0
	global_load_dword v14, v1, s[14:15]
	s_waitcnt vmcnt(1)
	v_cmp_ne_u16_sdwa s[0:1], v16, v7 src0_sel:BYTE_0 src1_sel:DWORD
	s_and_saveexec_b64 s[16:17], s[0:1]
	s_cbranch_execz .LBB253_299
; %bb.294:                              ;   in Loop: Header=BB253_242 Depth=1
	v_cmp_ne_u16_sdwa s[0:1], v16, s28 src0_sel:BYTE_0 src1_sel:DWORD
	v_mov_b32_e32 v15, 0x8000
	s_and_saveexec_b64 s[18:19], s[0:1]
	s_cbranch_execz .LBB253_298
; %bb.295:                              ;   in Loop: Header=BB253_242 Depth=1
	v_and_b32_e32 v6, 0x7f, v16
	v_cmp_ne_u32_e64 s[0:1], s29, v6
	v_mov_b32_e32 v15, 0x7c01
	s_and_saveexec_b64 s[20:21], s[0:1]
	s_cbranch_execz .LBB253_297
; %bb.296:                              ;   in Loop: Header=BB253_242 Depth=1
	v_and_b32_e32 v15, 7, v16
	v_ffbh_u32_e32 v18, v15
	v_min_u32_e32 v21, 32, v18
	v_subrev_u32_e32 v18, 28, v21
	v_lshlrev_b64 v[18:19], v18, v[16:17]
	v_lshrrev_b32_e32 v20, 3, v6
	v_sub_u32_e32 v19, 29, v21
	v_cmp_gt_u32_e64 s[0:1], 8, v6
	v_and_b32_e32 v18, 7, v18
	s_nop 0
	v_cndmask_b32_e64 v6, v20, v19, s[0:1]
	v_lshl_add_u32 v6, v6, 10, v33
	v_lshlrev_b32_e32 v19, 8, v16
	v_and_b32_e32 v6, 0xfc00, v6
	v_cndmask_b32_e64 v15, v15, v18, s[0:1]
	v_and_or_b32 v6, v19, s30, v6
	v_lshl_or_b32 v15, v15, 7, v6
.LBB253_297:                            ;   in Loop: Header=BB253_242 Depth=1
	s_or_b64 exec, exec, s[20:21]
.LBB253_298:                            ;   in Loop: Header=BB253_242 Depth=1
	s_or_b64 exec, exec, s[18:19]
.LBB253_299:                            ;   in Loop: Header=BB253_242 Depth=1
	s_or_b64 exec, exec, s[16:17]
	v_lshrrev_b16_e32 v6, 8, v16
	v_cmp_ne_u16_e64 s[0:1], 0, v6
	s_and_saveexec_b64 s[16:17], s[0:1]
	s_cbranch_execz .LBB253_305
; %bb.300:                              ;   in Loop: Header=BB253_242 Depth=1
	v_cmp_ne_u16_e64 s[0:1], s28, v6
	v_bfrev_b32_e32 v1, 1
	s_and_saveexec_b64 s[18:19], s[0:1]
	s_cbranch_execz .LBB253_304
; %bb.301:                              ;   in Loop: Header=BB253_242 Depth=1
	v_and_b32_e32 v18, 0x7f, v6
	v_cmp_ne_u32_e64 s[0:1], s29, v18
	v_mov_b32_e32 v1, 0x7c010000
	s_and_saveexec_b64 s[20:21], s[0:1]
	s_cbranch_execz .LBB253_303
; %bb.302:                              ;   in Loop: Header=BB253_242 Depth=1
	v_and_b32_e32 v1, 7, v6
	v_ffbh_u32_e32 v20, v1
	v_min_u32_e32 v22, 32, v20
	v_subrev_u32_e32 v20, 28, v22
	v_lshlrev_b64 v[20:21], v20, v[6:7]
	v_lshrrev_b32_e32 v19, 3, v18
	v_sub_u32_e32 v21, 29, v22
	v_cmp_gt_u32_e64 s[0:1], 8, v18
	v_lshlrev_b32_e32 v6, 8, v6
	s_nop 0
	v_cndmask_b32_e64 v18, v19, v21, s[0:1]
	v_lshl_add_u32 v18, v18, 10, v33
	v_and_b32_e32 v19, 7, v20
	v_and_or_b32 v6, v6, s30, v18
	v_cndmask_b32_e64 v1, v1, v19, s[0:1]
	v_lshlrev_b32_e32 v6, 16, v6
	v_lshl_or_b32 v1, v1, 23, v6
.LBB253_303:                            ;   in Loop: Header=BB253_242 Depth=1
	s_or_b64 exec, exec, s[20:21]
.LBB253_304:                            ;   in Loop: Header=BB253_242 Depth=1
	s_or_b64 exec, exec, s[18:19]
.LBB253_305:                            ;   in Loop: Header=BB253_242 Depth=1
	s_or_b64 exec, exec, s[16:17]
	v_lshrrev_b32_e32 v6, 16, v16
	v_cmp_ne_u16_sdwa s[0:1], v6, v7 src0_sel:BYTE_0 src1_sel:DWORD
	v_mov_b32_e32 v19, 0
	v_mov_b32_e32 v18, 0
	s_and_saveexec_b64 s[16:17], s[0:1]
	s_cbranch_execz .LBB253_311
; %bb.306:                              ;   in Loop: Header=BB253_242 Depth=1
	v_cmp_ne_u16_sdwa s[0:1], v6, s28 src0_sel:BYTE_0 src1_sel:DWORD
	v_mov_b32_e32 v18, 0x8000
	s_and_saveexec_b64 s[18:19], s[0:1]
	s_cbranch_execz .LBB253_310
; %bb.307:                              ;   in Loop: Header=BB253_242 Depth=1
	v_bfe_u32 v20, v16, 16, 7
	v_cmp_ne_u32_e64 s[0:1], s29, v20
	v_mov_b32_e32 v18, 0x7c01
	s_and_saveexec_b64 s[20:21], s[0:1]
	s_cbranch_execz .LBB253_309
; %bb.308:                              ;   in Loop: Header=BB253_242 Depth=1
	v_and_b32_e32 v18, 7, v6
	v_ffbh_u32_e32 v22, v18
	v_min_u32_e32 v48, 32, v22
	v_subrev_u32_e32 v22, 28, v48
	v_lshlrev_b64 v[22:23], v22, v[6:7]
	v_lshrrev_b32_e32 v21, 3, v20
	v_sub_u32_e32 v23, 29, v48
	v_cmp_gt_u32_e64 s[0:1], 8, v20
	v_lshlrev_b32_e32 v6, 8, v6
	s_nop 0
	v_cndmask_b32_e64 v20, v21, v23, s[0:1]
	v_lshl_add_u32 v20, v20, 10, v33
	v_and_b32_e32 v21, 7, v22
	v_and_b32_e32 v20, 0xfc00, v20
	v_cndmask_b32_e64 v18, v18, v21, s[0:1]
	v_and_or_b32 v6, v6, s30, v20
	v_lshl_or_b32 v18, v18, 7, v6
.LBB253_309:                            ;   in Loop: Header=BB253_242 Depth=1
	s_or_b64 exec, exec, s[20:21]
.LBB253_310:                            ;   in Loop: Header=BB253_242 Depth=1
	s_or_b64 exec, exec, s[18:19]
.LBB253_311:                            ;   in Loop: Header=BB253_242 Depth=1
	s_or_b64 exec, exec, s[16:17]
	v_cmp_lt_u32_e64 s[0:1], s7, v16
	s_and_saveexec_b64 s[16:17], s[0:1]
	s_cbranch_execz .LBB253_317
; %bb.312:                              ;   in Loop: Header=BB253_242 Depth=1
	v_lshrrev_b32_e32 v6, 24, v16
	v_cmp_ne_u32_e64 s[0:1], s28, v6
	v_bfrev_b32_e32 v19, 1
	s_and_saveexec_b64 s[18:19], s[0:1]
	s_cbranch_execz .LBB253_316
; %bb.313:                              ;   in Loop: Header=BB253_242 Depth=1
	v_and_b32_e32 v20, 0x7f, v6
	v_cmp_ne_u32_e64 s[0:1], s29, v20
	v_mov_b32_e32 v19, 0x7c010000
	s_and_saveexec_b64 s[20:21], s[0:1]
	s_cbranch_execz .LBB253_315
; %bb.314:                              ;   in Loop: Header=BB253_242 Depth=1
	v_and_b32_e32 v19, 7, v6
	v_ffbh_u32_e32 v22, v19
	v_min_u32_e32 v48, 32, v22
	v_subrev_u32_e32 v22, 28, v48
	v_lshlrev_b64 v[22:23], v22, v[6:7]
	v_lshrrev_b32_e32 v21, 3, v20
	v_sub_u32_e32 v23, 29, v48
	v_cmp_gt_u32_e64 s[0:1], 8, v20
	v_lshlrev_b32_e32 v6, 8, v6
	s_nop 0
	v_cndmask_b32_e64 v20, v21, v23, s[0:1]
	v_lshl_add_u32 v20, v20, 10, v33
	v_and_b32_e32 v21, 7, v22
	v_and_or_b32 v6, v6, s30, v20
	v_cndmask_b32_e64 v19, v19, v21, s[0:1]
	v_lshlrev_b32_e32 v6, 16, v6
	v_lshl_or_b32 v19, v19, 23, v6
.LBB253_315:                            ;   in Loop: Header=BB253_242 Depth=1
	s_or_b64 exec, exec, s[20:21]
.LBB253_316:                            ;   in Loop: Header=BB253_242 Depth=1
	s_or_b64 exec, exec, s[18:19]
.LBB253_317:                            ;   in Loop: Header=BB253_242 Depth=1
	s_or_b64 exec, exec, s[16:17]
	v_mov_b32_e32 v6, v17
	v_cmp_ne_u16_sdwa s[0:1], v17, v7 src0_sel:BYTE_0 src1_sel:DWORD
	v_mov_b32_e32 v20, 0
	v_mov_b32_e32 v21, 0
	s_and_saveexec_b64 s[16:17], s[0:1]
	s_cbranch_execz .LBB253_323
; %bb.318:                              ;   in Loop: Header=BB253_242 Depth=1
	v_cmp_ne_u16_sdwa s[0:1], v17, s28 src0_sel:BYTE_0 src1_sel:DWORD
	v_mov_b32_e32 v21, 0x8000
	s_and_saveexec_b64 s[18:19], s[0:1]
	s_cbranch_execz .LBB253_322
; %bb.319:                              ;   in Loop: Header=BB253_242 Depth=1
	v_and_b32_e32 v22, 0x7f, v17
	v_cmp_ne_u32_e64 s[0:1], s29, v22
	v_mov_b32_e32 v21, 0x7c01
	s_and_saveexec_b64 s[20:21], s[0:1]
	s_cbranch_execz .LBB253_321
; %bb.320:                              ;   in Loop: Header=BB253_242 Depth=1
	v_and_b32_e32 v21, 7, v17
	v_ffbh_u32_e32 v48, v21
	v_min_u32_e32 v50, 32, v48
	v_subrev_u32_e32 v48, 28, v50
	v_lshlrev_b64 v[48:49], v48, v[6:7]
	v_lshrrev_b32_e32 v23, 3, v22
	v_sub_u32_e32 v49, 29, v50
	v_cmp_gt_u32_e64 s[0:1], 8, v22
	v_and_b32_e32 v48, 7, v48
	s_nop 0
	v_cndmask_b32_e64 v22, v23, v49, s[0:1]
	v_lshl_add_u32 v22, v22, 10, v33
	v_lshlrev_b32_e32 v23, 8, v17
	v_and_b32_e32 v22, 0xfc00, v22
	v_cndmask_b32_e64 v21, v21, v48, s[0:1]
	v_and_or_b32 v22, v23, s30, v22
	v_lshl_or_b32 v21, v21, 7, v22
.LBB253_321:                            ;   in Loop: Header=BB253_242 Depth=1
	s_or_b64 exec, exec, s[20:21]
.LBB253_322:                            ;   in Loop: Header=BB253_242 Depth=1
	s_or_b64 exec, exec, s[18:19]
.LBB253_323:                            ;   in Loop: Header=BB253_242 Depth=1
	s_or_b64 exec, exec, s[16:17]
	v_lshrrev_b16_e32 v6, 8, v6
	v_cmp_ne_u16_e64 s[0:1], 0, v6
	v_mov_b32_e32 v22, 0
	s_and_saveexec_b64 s[16:17], s[0:1]
	s_cbranch_execz .LBB253_329
; %bb.324:                              ;   in Loop: Header=BB253_242 Depth=1
	v_cmp_ne_u16_e64 s[0:1], s28, v6
	v_bfrev_b32_e32 v22, 1
	s_and_saveexec_b64 s[18:19], s[0:1]
	s_cbranch_execz .LBB253_328
; %bb.325:                              ;   in Loop: Header=BB253_242 Depth=1
	v_and_b32_e32 v23, 0x7f, v6
	v_cmp_ne_u32_e64 s[0:1], s29, v23
	v_mov_b32_e32 v22, 0x7c010000
	s_and_saveexec_b64 s[20:21], s[0:1]
	s_cbranch_execz .LBB253_327
; %bb.326:                              ;   in Loop: Header=BB253_242 Depth=1
	v_and_b32_e32 v22, 7, v6
	v_ffbh_u32_e32 v48, v22
	v_min_u32_e32 v51, 32, v48
	v_subrev_u32_e32 v48, 28, v51
	v_lshlrev_b64 v[48:49], v48, v[6:7]
	v_lshrrev_b32_e32 v50, 3, v23
	v_sub_u32_e32 v49, 29, v51
	v_cmp_gt_u32_e64 s[0:1], 8, v23
	v_lshlrev_b32_e32 v6, 8, v6
	v_and_b32_e32 v48, 7, v48
	v_cndmask_b32_e64 v23, v50, v49, s[0:1]
	v_lshl_add_u32 v23, v23, 10, v33
	v_and_or_b32 v6, v6, s30, v23
	v_cndmask_b32_e64 v22, v22, v48, s[0:1]
	v_lshlrev_b32_e32 v6, 16, v6
	v_lshl_or_b32 v22, v22, 23, v6
.LBB253_327:                            ;   in Loop: Header=BB253_242 Depth=1
	s_or_b64 exec, exec, s[20:21]
.LBB253_328:                            ;   in Loop: Header=BB253_242 Depth=1
	s_or_b64 exec, exec, s[18:19]
.LBB253_329:                            ;   in Loop: Header=BB253_242 Depth=1
	s_or_b64 exec, exec, s[16:17]
	v_lshrrev_b32_e32 v6, 16, v17
	v_cmp_ne_u16_sdwa s[0:1], v6, v7 src0_sel:BYTE_0 src1_sel:DWORD
	s_and_saveexec_b64 s[16:17], s[0:1]
	s_cbranch_execz .LBB253_335
; %bb.330:                              ;   in Loop: Header=BB253_242 Depth=1
	v_cmp_ne_u16_sdwa s[0:1], v6, s28 src0_sel:BYTE_0 src1_sel:DWORD
	v_mov_b32_e32 v20, 0x8000
	s_and_saveexec_b64 s[18:19], s[0:1]
	s_cbranch_execz .LBB253_334
; %bb.331:                              ;   in Loop: Header=BB253_242 Depth=1
	v_bfe_u32 v23, v17, 16, 7
	v_cmp_ne_u32_e64 s[0:1], s29, v23
	v_mov_b32_e32 v20, 0x7c01
	s_and_saveexec_b64 s[20:21], s[0:1]
	s_cbranch_execz .LBB253_333
; %bb.332:                              ;   in Loop: Header=BB253_242 Depth=1
	v_and_b32_e32 v20, 7, v6
	v_ffbh_u32_e32 v48, v20
	v_min_u32_e32 v51, 32, v48
	v_subrev_u32_e32 v48, 28, v51
	v_lshlrev_b64 v[48:49], v48, v[6:7]
	v_lshrrev_b32_e32 v50, 3, v23
	v_sub_u32_e32 v49, 29, v51
	v_cmp_gt_u32_e64 s[0:1], 8, v23
	v_lshlrev_b32_e32 v6, 8, v6
	v_and_b32_e32 v48, 7, v48
	v_cndmask_b32_e64 v23, v50, v49, s[0:1]
	v_lshl_add_u32 v23, v23, 10, v33
	v_and_b32_e32 v23, 0xfc00, v23
	v_cndmask_b32_e64 v20, v20, v48, s[0:1]
	v_and_or_b32 v6, v6, s30, v23
	v_lshl_or_b32 v20, v20, 7, v6
.LBB253_333:                            ;   in Loop: Header=BB253_242 Depth=1
	s_or_b64 exec, exec, s[20:21]
.LBB253_334:                            ;   in Loop: Header=BB253_242 Depth=1
	s_or_b64 exec, exec, s[18:19]
.LBB253_335:                            ;   in Loop: Header=BB253_242 Depth=1
	s_or_b64 exec, exec, s[16:17]
	v_cmp_lt_u64_e64 s[0:1], s[6:7], v[16:17]
	v_mov_b32_e32 v16, 0
	s_and_saveexec_b64 s[16:17], s[0:1]
	s_cbranch_execz .LBB253_341
; %bb.336:                              ;   in Loop: Header=BB253_242 Depth=1
	v_lshrrev_b32_e32 v6, 24, v17
	v_cmp_ne_u32_e64 s[0:1], s28, v6
	v_bfrev_b32_e32 v16, 1
	s_and_saveexec_b64 s[18:19], s[0:1]
	s_cbranch_execz .LBB253_340
; %bb.337:                              ;   in Loop: Header=BB253_242 Depth=1
	v_and_b32_e32 v17, 0x7f, v6
	v_cmp_ne_u32_e64 s[0:1], s29, v17
	v_mov_b32_e32 v16, 0x7c010000
	s_and_saveexec_b64 s[20:21], s[0:1]
	s_cbranch_execz .LBB253_339
; %bb.338:                              ;   in Loop: Header=BB253_242 Depth=1
	v_and_b32_e32 v16, 7, v6
	v_ffbh_u32_e32 v48, v16
	v_min_u32_e32 v50, 32, v48
	v_subrev_u32_e32 v48, 28, v50
	v_lshlrev_b64 v[48:49], v48, v[6:7]
	v_lshrrev_b32_e32 v23, 3, v17
	v_sub_u32_e32 v49, 29, v50
	v_cmp_gt_u32_e64 s[0:1], 8, v17
	v_lshlrev_b32_e32 v6, 8, v6
	s_nop 0
	v_cndmask_b32_e64 v17, v23, v49, s[0:1]
	v_lshl_add_u32 v17, v17, 10, v33
	v_and_b32_e32 v23, 7, v48
	v_and_or_b32 v6, v6, s30, v17
	v_cndmask_b32_e64 v16, v16, v23, s[0:1]
	v_lshlrev_b32_e32 v6, 16, v6
	v_lshl_or_b32 v16, v16, 23, v6
.LBB253_339:                            ;   in Loop: Header=BB253_242 Depth=1
	s_or_b64 exec, exec, s[20:21]
.LBB253_340:                            ;   in Loop: Header=BB253_242 Depth=1
	s_or_b64 exec, exec, s[18:19]
.LBB253_341:                            ;   in Loop: Header=BB253_242 Depth=1
	s_or_b64 exec, exec, s[16:17]
	v_cvt_f32_f16_sdwa v49, v1 dst_sel:DWORD dst_unused:UNUSED_PAD src0_sel:WORD_1
	v_cvt_f32_f16_sdwa v48, v19 dst_sel:DWORD dst_unused:UNUSED_PAD src0_sel:WORD_1
	v_or_b32_e32 v1, v1, v15
	v_or_b32_e32 v6, v19, v18
	;; [unrolled: 1-line block ×3, first 2 shown]
	s_waitcnt vmcnt(0)
	v_pk_mul_f32 v[18:19], v[14:15], v[48:49] op_sel_hi:[0,1]
	v_cvt_f32_f16_e32 v48, v6
	v_cvt_f32_f16_e32 v49, v1
	v_cvt_pk_f16_f32 v1, v18, v19
	v_and_b32_e32 v15, 0xffff0000, v1
	v_lshlrev_b32_e32 v6, 16, v1
	v_pk_mul_f32 v[18:19], v[14:15], v[48:49] op_sel_hi:[0,1]
	v_cvt_pk_f16_f32 v1, v18, v19
	v_or_b32_e32 v19, v22, v21
	v_cvt_f32_f16_e32 v20, v20
	v_cvt_f32_f16_e32 v21, v19
	v_cvt_f32_f16_sdwa v23, v22 dst_sel:DWORD dst_unused:UNUSED_PAD src0_sel:WORD_1
	v_cvt_f32_f16_sdwa v22, v16 dst_sel:DWORD dst_unused:UNUSED_PAD src0_sel:WORD_1
	v_lshrrev_b32_e32 v17, 16, v1
	v_pk_mul_f32 v[20:21], v[14:15], v[20:21] op_sel_hi:[0,1]
	v_cvt_pk_f16_f32 v48, v20, v21
	v_pk_mul_f32 v[20:21], v[14:15], v[22:23] op_sel_hi:[0,1]
	v_cvt_pk_f16_f32 v14, v20, v21
	v_and_b32_e32 v18, 0xffff, v1
	v_and_b32_e32 v19, 0xffff0000, v14
	v_lshlrev_b32_e32 v14, 16, v14
	v_lshrrev_b32_e32 v21, 16, v48
	v_and_b32_e32 v20, 0xffff, v48
	v_or_b32_e32 v1, v15, v17
	v_or_b32_e32 v16, v6, v18
	;; [unrolled: 1-line block ×4, first 2 shown]
	s_and_saveexec_b64 s[16:17], vcc
	s_cbranch_execz .LBB253_343
; %bb.342:                              ;   in Loop: Header=BB253_242 Depth=1
	v_cmp_gt_i32_e64 s[0:1], s38, v34
	s_nop 1
	v_cndmask_b32_e64 v1, 0, v17, s[0:1]
	v_cmp_gt_i32_e64 s[0:1], s33, v41
	s_nop 1
	v_cndmask_b32_e64 v16, 0, v18, s[0:1]
	;; [unrolled: 3-line block ×3, first 2 shown]
	v_cmp_gt_i32_e64 s[0:1], s33, v39
	v_or_b32_e32 v1, v15, v1
	s_nop 0
	v_cndmask_b32_e64 v6, 0, v6, s[0:1]
	v_cmp_gt_i32_e64 s[0:1], s38, v38
	v_or_b32_e32 v16, v6, v16
	s_nop 0
	v_cndmask_b32_e64 v6, 0, v21, s[0:1]
	v_cmp_gt_i32_e64 s[0:1], s33, v37
	s_nop 1
	v_cndmask_b32_e64 v15, 0, v20, s[0:1]
	v_cmp_gt_i32_e64 s[0:1], s38, v36
	;; [unrolled: 3-line block ×3, first 2 shown]
	v_or_b32_e32 v23, v17, v6
	s_nop 0
	v_cndmask_b32_e64 v14, 0, v14, s[0:1]
	v_or_b32_e32 v22, v14, v15
.LBB253_343:                            ;   in Loop: Header=BB253_242 Depth=1
	s_or_b64 exec, exec, s[16:17]
	;;#ASMSTART
	v_pk_mul_f16 v1, v45, v1;

	;;#ASMEND
	;;#ASMSTART
	v_pk_mul_f16 v6, v44, v16;

	;;#ASMEND
	;; [unrolled: 4-line block ×4, first 2 shown]
	s_nop 0
	;;#ASMSTART
	v_pk_add_f16 v1, v1, v6;

	;;#ASMEND
	s_nop 0
	;;#ASMSTART
	v_pk_add_f16 v1, v1, v14;

	;;#ASMEND
	;; [unrolled: 5-line block ×3, first 2 shown]
	v_mov_b32_e32 v15, 0
	v_lshrrev_b32_e32 v6, 16, v1
	v_and_b32_e32 v1, 0xffff, v1
	;;#ASMSTART
	v_cvt_f32_f16 v48, v1;
	;;#ASMEND
	;;#ASMSTART
	v_cvt_f32_f16 v49, v6;
	;;#ASMEND
	global_load_dwordx2 v[16:17], v[12:13], off offset:1024
	v_mov_b32_e32 v1, 0
	global_load_dword v14, v1, s[14:15]
	s_waitcnt vmcnt(1)
	v_cmp_ne_u16_sdwa s[0:1], v16, v7 src0_sel:BYTE_0 src1_sel:DWORD
	s_and_saveexec_b64 s[16:17], s[0:1]
	s_cbranch_execz .LBB253_349
; %bb.344:                              ;   in Loop: Header=BB253_242 Depth=1
	v_cmp_ne_u16_sdwa s[0:1], v16, s28 src0_sel:BYTE_0 src1_sel:DWORD
	v_mov_b32_e32 v15, 0x8000
	s_and_saveexec_b64 s[18:19], s[0:1]
	s_cbranch_execz .LBB253_348
; %bb.345:                              ;   in Loop: Header=BB253_242 Depth=1
	v_and_b32_e32 v6, 0x7f, v16
	v_cmp_ne_u32_e64 s[0:1], s29, v6
	v_mov_b32_e32 v15, 0x7c01
	s_and_saveexec_b64 s[20:21], s[0:1]
	s_cbranch_execz .LBB253_347
; %bb.346:                              ;   in Loop: Header=BB253_242 Depth=1
	v_and_b32_e32 v15, 7, v16
	v_ffbh_u32_e32 v18, v15
	v_min_u32_e32 v21, 32, v18
	v_subrev_u32_e32 v18, 28, v21
	v_lshlrev_b64 v[18:19], v18, v[16:17]
	v_lshrrev_b32_e32 v20, 3, v6
	v_sub_u32_e32 v19, 29, v21
	v_cmp_gt_u32_e64 s[0:1], 8, v6
	v_and_b32_e32 v18, 7, v18
	s_nop 0
	v_cndmask_b32_e64 v6, v20, v19, s[0:1]
	v_lshl_add_u32 v6, v6, 10, v33
	v_lshlrev_b32_e32 v19, 8, v16
	v_and_b32_e32 v6, 0xfc00, v6
	v_cndmask_b32_e64 v15, v15, v18, s[0:1]
	v_and_or_b32 v6, v19, s30, v6
	v_lshl_or_b32 v15, v15, 7, v6
.LBB253_347:                            ;   in Loop: Header=BB253_242 Depth=1
	s_or_b64 exec, exec, s[20:21]
.LBB253_348:                            ;   in Loop: Header=BB253_242 Depth=1
	s_or_b64 exec, exec, s[18:19]
.LBB253_349:                            ;   in Loop: Header=BB253_242 Depth=1
	s_or_b64 exec, exec, s[16:17]
	v_lshrrev_b16_e32 v6, 8, v16
	v_cmp_ne_u16_e64 s[0:1], 0, v6
	s_and_saveexec_b64 s[16:17], s[0:1]
	s_cbranch_execz .LBB253_355
; %bb.350:                              ;   in Loop: Header=BB253_242 Depth=1
	v_cmp_ne_u16_e64 s[0:1], s28, v6
	v_bfrev_b32_e32 v1, 1
	s_and_saveexec_b64 s[18:19], s[0:1]
	s_cbranch_execz .LBB253_354
; %bb.351:                              ;   in Loop: Header=BB253_242 Depth=1
	v_and_b32_e32 v18, 0x7f, v6
	v_cmp_ne_u32_e64 s[0:1], s29, v18
	v_mov_b32_e32 v1, 0x7c010000
	s_and_saveexec_b64 s[20:21], s[0:1]
	s_cbranch_execz .LBB253_353
; %bb.352:                              ;   in Loop: Header=BB253_242 Depth=1
	v_and_b32_e32 v1, 7, v6
	v_ffbh_u32_e32 v20, v1
	v_min_u32_e32 v22, 32, v20
	v_subrev_u32_e32 v20, 28, v22
	v_lshlrev_b64 v[20:21], v20, v[6:7]
	v_lshrrev_b32_e32 v19, 3, v18
	v_sub_u32_e32 v21, 29, v22
	v_cmp_gt_u32_e64 s[0:1], 8, v18
	v_lshlrev_b32_e32 v6, 8, v6
	s_nop 0
	v_cndmask_b32_e64 v18, v19, v21, s[0:1]
	v_lshl_add_u32 v18, v18, 10, v33
	v_and_b32_e32 v19, 7, v20
	v_and_or_b32 v6, v6, s30, v18
	v_cndmask_b32_e64 v1, v1, v19, s[0:1]
	v_lshlrev_b32_e32 v6, 16, v6
	v_lshl_or_b32 v1, v1, 23, v6
.LBB253_353:                            ;   in Loop: Header=BB253_242 Depth=1
	s_or_b64 exec, exec, s[20:21]
.LBB253_354:                            ;   in Loop: Header=BB253_242 Depth=1
	s_or_b64 exec, exec, s[18:19]
.LBB253_355:                            ;   in Loop: Header=BB253_242 Depth=1
	s_or_b64 exec, exec, s[16:17]
	v_lshrrev_b32_e32 v6, 16, v16
	v_cmp_ne_u16_sdwa s[0:1], v6, v7 src0_sel:BYTE_0 src1_sel:DWORD
	v_mov_b32_e32 v19, 0
	v_mov_b32_e32 v18, 0
	s_and_saveexec_b64 s[16:17], s[0:1]
	s_cbranch_execz .LBB253_361
; %bb.356:                              ;   in Loop: Header=BB253_242 Depth=1
	v_cmp_ne_u16_sdwa s[0:1], v6, s28 src0_sel:BYTE_0 src1_sel:DWORD
	v_mov_b32_e32 v18, 0x8000
	s_and_saveexec_b64 s[18:19], s[0:1]
	s_cbranch_execz .LBB253_360
; %bb.357:                              ;   in Loop: Header=BB253_242 Depth=1
	v_bfe_u32 v20, v16, 16, 7
	v_cmp_ne_u32_e64 s[0:1], s29, v20
	v_mov_b32_e32 v18, 0x7c01
	s_and_saveexec_b64 s[20:21], s[0:1]
	s_cbranch_execz .LBB253_359
; %bb.358:                              ;   in Loop: Header=BB253_242 Depth=1
	v_and_b32_e32 v18, 7, v6
	v_ffbh_u32_e32 v22, v18
	v_min_u32_e32 v50, 32, v22
	v_subrev_u32_e32 v22, 28, v50
	v_lshlrev_b64 v[22:23], v22, v[6:7]
	v_lshrrev_b32_e32 v21, 3, v20
	v_sub_u32_e32 v23, 29, v50
	v_cmp_gt_u32_e64 s[0:1], 8, v20
	v_lshlrev_b32_e32 v6, 8, v6
	s_nop 0
	v_cndmask_b32_e64 v20, v21, v23, s[0:1]
	v_lshl_add_u32 v20, v20, 10, v33
	v_and_b32_e32 v21, 7, v22
	v_and_b32_e32 v20, 0xfc00, v20
	v_cndmask_b32_e64 v18, v18, v21, s[0:1]
	v_and_or_b32 v6, v6, s30, v20
	v_lshl_or_b32 v18, v18, 7, v6
.LBB253_359:                            ;   in Loop: Header=BB253_242 Depth=1
	s_or_b64 exec, exec, s[20:21]
.LBB253_360:                            ;   in Loop: Header=BB253_242 Depth=1
	s_or_b64 exec, exec, s[18:19]
.LBB253_361:                            ;   in Loop: Header=BB253_242 Depth=1
	s_or_b64 exec, exec, s[16:17]
	v_cmp_lt_u32_e64 s[0:1], s7, v16
	s_and_saveexec_b64 s[16:17], s[0:1]
	s_cbranch_execz .LBB253_367
; %bb.362:                              ;   in Loop: Header=BB253_242 Depth=1
	v_lshrrev_b32_e32 v6, 24, v16
	v_cmp_ne_u32_e64 s[0:1], s28, v6
	v_bfrev_b32_e32 v19, 1
	s_and_saveexec_b64 s[18:19], s[0:1]
	s_cbranch_execz .LBB253_366
; %bb.363:                              ;   in Loop: Header=BB253_242 Depth=1
	v_and_b32_e32 v20, 0x7f, v6
	v_cmp_ne_u32_e64 s[0:1], s29, v20
	v_mov_b32_e32 v19, 0x7c010000
	s_and_saveexec_b64 s[20:21], s[0:1]
	s_cbranch_execz .LBB253_365
; %bb.364:                              ;   in Loop: Header=BB253_242 Depth=1
	v_and_b32_e32 v19, 7, v6
	v_ffbh_u32_e32 v22, v19
	v_min_u32_e32 v50, 32, v22
	v_subrev_u32_e32 v22, 28, v50
	v_lshlrev_b64 v[22:23], v22, v[6:7]
	v_lshrrev_b32_e32 v21, 3, v20
	v_sub_u32_e32 v23, 29, v50
	v_cmp_gt_u32_e64 s[0:1], 8, v20
	v_lshlrev_b32_e32 v6, 8, v6
	s_nop 0
	v_cndmask_b32_e64 v20, v21, v23, s[0:1]
	v_lshl_add_u32 v20, v20, 10, v33
	v_and_b32_e32 v21, 7, v22
	v_and_or_b32 v6, v6, s30, v20
	v_cndmask_b32_e64 v19, v19, v21, s[0:1]
	v_lshlrev_b32_e32 v6, 16, v6
	v_lshl_or_b32 v19, v19, 23, v6
.LBB253_365:                            ;   in Loop: Header=BB253_242 Depth=1
	s_or_b64 exec, exec, s[20:21]
.LBB253_366:                            ;   in Loop: Header=BB253_242 Depth=1
	s_or_b64 exec, exec, s[18:19]
.LBB253_367:                            ;   in Loop: Header=BB253_242 Depth=1
	s_or_b64 exec, exec, s[16:17]
	v_mov_b32_e32 v6, v17
	v_cmp_ne_u16_sdwa s[0:1], v17, v7 src0_sel:BYTE_0 src1_sel:DWORD
	v_mov_b32_e32 v20, 0
	v_mov_b32_e32 v21, 0
	s_and_saveexec_b64 s[16:17], s[0:1]
	s_cbranch_execz .LBB253_373
; %bb.368:                              ;   in Loop: Header=BB253_242 Depth=1
	v_cmp_ne_u16_sdwa s[0:1], v17, s28 src0_sel:BYTE_0 src1_sel:DWORD
	v_mov_b32_e32 v21, 0x8000
	s_and_saveexec_b64 s[18:19], s[0:1]
	s_cbranch_execz .LBB253_372
; %bb.369:                              ;   in Loop: Header=BB253_242 Depth=1
	v_and_b32_e32 v22, 0x7f, v17
	v_cmp_ne_u32_e64 s[0:1], s29, v22
	v_mov_b32_e32 v21, 0x7c01
	s_and_saveexec_b64 s[20:21], s[0:1]
	s_cbranch_execz .LBB253_371
; %bb.370:                              ;   in Loop: Header=BB253_242 Depth=1
	v_and_b32_e32 v21, 7, v17
	v_ffbh_u32_e32 v50, v21
	v_min_u32_e32 v52, 32, v50
	v_subrev_u32_e32 v50, 28, v52
	v_lshlrev_b64 v[50:51], v50, v[6:7]
	v_lshrrev_b32_e32 v23, 3, v22
	v_sub_u32_e32 v51, 29, v52
	v_cmp_gt_u32_e64 s[0:1], 8, v22
	v_and_b32_e32 v50, 7, v50
	s_nop 0
	v_cndmask_b32_e64 v22, v23, v51, s[0:1]
	v_lshl_add_u32 v22, v22, 10, v33
	v_lshlrev_b32_e32 v23, 8, v17
	v_and_b32_e32 v22, 0xfc00, v22
	v_cndmask_b32_e64 v21, v21, v50, s[0:1]
	v_and_or_b32 v22, v23, s30, v22
	v_lshl_or_b32 v21, v21, 7, v22
.LBB253_371:                            ;   in Loop: Header=BB253_242 Depth=1
	s_or_b64 exec, exec, s[20:21]
.LBB253_372:                            ;   in Loop: Header=BB253_242 Depth=1
	s_or_b64 exec, exec, s[18:19]
.LBB253_373:                            ;   in Loop: Header=BB253_242 Depth=1
	s_or_b64 exec, exec, s[16:17]
	v_lshrrev_b16_e32 v6, 8, v6
	v_cmp_ne_u16_e64 s[0:1], 0, v6
	v_mov_b32_e32 v22, 0
	s_and_saveexec_b64 s[16:17], s[0:1]
	s_cbranch_execz .LBB253_379
; %bb.374:                              ;   in Loop: Header=BB253_242 Depth=1
	v_cmp_ne_u16_e64 s[0:1], s28, v6
	v_bfrev_b32_e32 v22, 1
	s_and_saveexec_b64 s[18:19], s[0:1]
	s_cbranch_execz .LBB253_378
; %bb.375:                              ;   in Loop: Header=BB253_242 Depth=1
	v_and_b32_e32 v23, 0x7f, v6
	v_cmp_ne_u32_e64 s[0:1], s29, v23
	v_mov_b32_e32 v22, 0x7c010000
	s_and_saveexec_b64 s[20:21], s[0:1]
	s_cbranch_execz .LBB253_377
; %bb.376:                              ;   in Loop: Header=BB253_242 Depth=1
	v_and_b32_e32 v22, 7, v6
	v_ffbh_u32_e32 v50, v22
	v_min_u32_e32 v53, 32, v50
	v_subrev_u32_e32 v50, 28, v53
	v_lshlrev_b64 v[50:51], v50, v[6:7]
	v_lshrrev_b32_e32 v52, 3, v23
	v_sub_u32_e32 v51, 29, v53
	v_cmp_gt_u32_e64 s[0:1], 8, v23
	v_lshlrev_b32_e32 v6, 8, v6
	v_and_b32_e32 v50, 7, v50
	v_cndmask_b32_e64 v23, v52, v51, s[0:1]
	v_lshl_add_u32 v23, v23, 10, v33
	v_and_or_b32 v6, v6, s30, v23
	v_cndmask_b32_e64 v22, v22, v50, s[0:1]
	v_lshlrev_b32_e32 v6, 16, v6
	v_lshl_or_b32 v22, v22, 23, v6
.LBB253_377:                            ;   in Loop: Header=BB253_242 Depth=1
	s_or_b64 exec, exec, s[20:21]
.LBB253_378:                            ;   in Loop: Header=BB253_242 Depth=1
	s_or_b64 exec, exec, s[18:19]
.LBB253_379:                            ;   in Loop: Header=BB253_242 Depth=1
	s_or_b64 exec, exec, s[16:17]
	v_lshrrev_b32_e32 v6, 16, v17
	v_cmp_ne_u16_sdwa s[0:1], v6, v7 src0_sel:BYTE_0 src1_sel:DWORD
	s_and_saveexec_b64 s[16:17], s[0:1]
	s_cbranch_execz .LBB253_385
; %bb.380:                              ;   in Loop: Header=BB253_242 Depth=1
	v_cmp_ne_u16_sdwa s[0:1], v6, s28 src0_sel:BYTE_0 src1_sel:DWORD
	v_mov_b32_e32 v20, 0x8000
	s_and_saveexec_b64 s[18:19], s[0:1]
	s_cbranch_execz .LBB253_384
; %bb.381:                              ;   in Loop: Header=BB253_242 Depth=1
	v_bfe_u32 v23, v17, 16, 7
	v_cmp_ne_u32_e64 s[0:1], s29, v23
	v_mov_b32_e32 v20, 0x7c01
	s_and_saveexec_b64 s[20:21], s[0:1]
	s_cbranch_execz .LBB253_383
; %bb.382:                              ;   in Loop: Header=BB253_242 Depth=1
	v_and_b32_e32 v20, 7, v6
	v_ffbh_u32_e32 v50, v20
	v_min_u32_e32 v53, 32, v50
	v_subrev_u32_e32 v50, 28, v53
	v_lshlrev_b64 v[50:51], v50, v[6:7]
	v_lshrrev_b32_e32 v52, 3, v23
	v_sub_u32_e32 v51, 29, v53
	v_cmp_gt_u32_e64 s[0:1], 8, v23
	v_lshlrev_b32_e32 v6, 8, v6
	v_and_b32_e32 v50, 7, v50
	v_cndmask_b32_e64 v23, v52, v51, s[0:1]
	v_lshl_add_u32 v23, v23, 10, v33
	v_and_b32_e32 v23, 0xfc00, v23
	v_cndmask_b32_e64 v20, v20, v50, s[0:1]
	v_and_or_b32 v6, v6, s30, v23
	v_lshl_or_b32 v20, v20, 7, v6
.LBB253_383:                            ;   in Loop: Header=BB253_242 Depth=1
	s_or_b64 exec, exec, s[20:21]
.LBB253_384:                            ;   in Loop: Header=BB253_242 Depth=1
	s_or_b64 exec, exec, s[18:19]
.LBB253_385:                            ;   in Loop: Header=BB253_242 Depth=1
	s_or_b64 exec, exec, s[16:17]
	v_cmp_lt_u64_e64 s[0:1], s[6:7], v[16:17]
	v_mov_b32_e32 v16, 0
	s_and_saveexec_b64 s[16:17], s[0:1]
	s_cbranch_execz .LBB253_391
; %bb.386:                              ;   in Loop: Header=BB253_242 Depth=1
	v_lshrrev_b32_e32 v6, 24, v17
	v_cmp_ne_u32_e64 s[0:1], s28, v6
	v_bfrev_b32_e32 v16, 1
	s_and_saveexec_b64 s[18:19], s[0:1]
	s_cbranch_execz .LBB253_390
; %bb.387:                              ;   in Loop: Header=BB253_242 Depth=1
	v_and_b32_e32 v17, 0x7f, v6
	v_cmp_ne_u32_e64 s[0:1], s29, v17
	v_mov_b32_e32 v16, 0x7c010000
	s_and_saveexec_b64 s[20:21], s[0:1]
	s_cbranch_execz .LBB253_389
; %bb.388:                              ;   in Loop: Header=BB253_242 Depth=1
	v_and_b32_e32 v16, 7, v6
	v_ffbh_u32_e32 v50, v16
	v_min_u32_e32 v52, 32, v50
	v_subrev_u32_e32 v50, 28, v52
	v_lshlrev_b64 v[50:51], v50, v[6:7]
	v_lshrrev_b32_e32 v23, 3, v17
	v_sub_u32_e32 v51, 29, v52
	v_cmp_gt_u32_e64 s[0:1], 8, v17
	v_lshlrev_b32_e32 v6, 8, v6
	s_nop 0
	v_cndmask_b32_e64 v17, v23, v51, s[0:1]
	v_lshl_add_u32 v17, v17, 10, v33
	v_and_b32_e32 v23, 7, v50
	v_and_or_b32 v6, v6, s30, v17
	v_cndmask_b32_e64 v16, v16, v23, s[0:1]
	v_lshlrev_b32_e32 v6, 16, v6
	v_lshl_or_b32 v16, v16, 23, v6
.LBB253_389:                            ;   in Loop: Header=BB253_242 Depth=1
	s_or_b64 exec, exec, s[20:21]
.LBB253_390:                            ;   in Loop: Header=BB253_242 Depth=1
	s_or_b64 exec, exec, s[18:19]
.LBB253_391:                            ;   in Loop: Header=BB253_242 Depth=1
	s_or_b64 exec, exec, s[16:17]
	v_cvt_f32_f16_sdwa v51, v1 dst_sel:DWORD dst_unused:UNUSED_PAD src0_sel:WORD_1
	v_cvt_f32_f16_sdwa v50, v19 dst_sel:DWORD dst_unused:UNUSED_PAD src0_sel:WORD_1
	v_or_b32_e32 v1, v1, v15
	v_or_b32_e32 v6, v19, v18
	v_or_b32_e32 v20, v16, v20
	s_waitcnt vmcnt(0)
	v_pk_mul_f32 v[18:19], v[14:15], v[50:51] op_sel_hi:[0,1]
	v_cvt_f32_f16_e32 v50, v6
	v_cvt_f32_f16_e32 v51, v1
	v_cvt_pk_f16_f32 v1, v18, v19
	v_and_b32_e32 v15, 0xffff0000, v1
	v_lshlrev_b32_e32 v6, 16, v1
	v_pk_mul_f32 v[18:19], v[14:15], v[50:51] op_sel_hi:[0,1]
	v_cvt_pk_f16_f32 v1, v18, v19
	v_or_b32_e32 v19, v22, v21
	v_cvt_f32_f16_e32 v20, v20
	v_cvt_f32_f16_e32 v21, v19
	v_cvt_f32_f16_sdwa v23, v22 dst_sel:DWORD dst_unused:UNUSED_PAD src0_sel:WORD_1
	v_cvt_f32_f16_sdwa v22, v16 dst_sel:DWORD dst_unused:UNUSED_PAD src0_sel:WORD_1
	v_lshrrev_b32_e32 v17, 16, v1
	v_pk_mul_f32 v[20:21], v[14:15], v[20:21] op_sel_hi:[0,1]
	v_cvt_pk_f16_f32 v50, v20, v21
	v_pk_mul_f32 v[20:21], v[14:15], v[22:23] op_sel_hi:[0,1]
	v_cvt_pk_f16_f32 v14, v20, v21
	v_and_b32_e32 v18, 0xffff, v1
	v_and_b32_e32 v19, 0xffff0000, v14
	v_lshlrev_b32_e32 v14, 16, v14
	v_lshrrev_b32_e32 v21, 16, v50
	v_and_b32_e32 v20, 0xffff, v50
	v_or_b32_e32 v1, v15, v17
	v_or_b32_e32 v16, v6, v18
	;; [unrolled: 1-line block ×4, first 2 shown]
	s_and_saveexec_b64 s[16:17], vcc
	s_cbranch_execz .LBB253_393
; %bb.392:                              ;   in Loop: Header=BB253_242 Depth=1
	v_cmp_gt_i32_e64 s[0:1], s38, v34
	s_nop 1
	v_cndmask_b32_e64 v1, 0, v17, s[0:1]
	v_cmp_gt_i32_e64 s[0:1], s33, v41
	s_nop 1
	v_cndmask_b32_e64 v16, 0, v18, s[0:1]
	;; [unrolled: 3-line block ×3, first 2 shown]
	v_cmp_gt_i32_e64 s[0:1], s33, v39
	v_or_b32_e32 v1, v15, v1
	s_nop 0
	v_cndmask_b32_e64 v6, 0, v6, s[0:1]
	v_cmp_gt_i32_e64 s[0:1], s38, v38
	v_or_b32_e32 v16, v6, v16
	s_nop 0
	v_cndmask_b32_e64 v6, 0, v21, s[0:1]
	v_cmp_gt_i32_e64 s[0:1], s33, v37
	s_nop 1
	v_cndmask_b32_e64 v15, 0, v20, s[0:1]
	v_cmp_gt_i32_e64 s[0:1], s38, v36
	;; [unrolled: 3-line block ×3, first 2 shown]
	v_or_b32_e32 v23, v17, v6
	s_nop 0
	v_cndmask_b32_e64 v14, 0, v14, s[0:1]
	v_or_b32_e32 v22, v14, v15
.LBB253_393:                            ;   in Loop: Header=BB253_242 Depth=1
	s_or_b64 exec, exec, s[16:17]
	;;#ASMSTART
	v_pk_mul_f16 v1, v45, v1;

	;;#ASMEND
	;;#ASMSTART
	v_pk_mul_f16 v6, v44, v16;

	;;#ASMEND
	;; [unrolled: 4-line block ×4, first 2 shown]
	s_nop 0
	;;#ASMSTART
	v_pk_add_f16 v1, v1, v6;

	;;#ASMEND
	s_nop 0
	;;#ASMSTART
	v_pk_add_f16 v1, v1, v14;

	;;#ASMEND
	;; [unrolled: 5-line block ×3, first 2 shown]
	s_nop 0
	v_lshrrev_b32_e32 v6, 16, v1
	v_and_b32_e32 v1, 0xffff, v1
	;;#ASMSTART
	v_cvt_f32_f16 v22, v1;
	;;#ASMEND
	;;#ASMSTART
	v_cvt_f32_f16 v23, v6;
	;;#ASMEND
	global_load_dwordx2 v[14:15], v[12:13], off offset:1536
	v_mov_b32_e32 v1, 0
	global_load_dword v12, v1, s[14:15]
	v_mov_b32_e32 v13, 0
	s_waitcnt vmcnt(1)
	v_cmp_ne_u16_sdwa s[0:1], v14, v7 src0_sel:BYTE_0 src1_sel:DWORD
	s_and_saveexec_b64 s[16:17], s[0:1]
	s_cbranch_execz .LBB253_399
; %bb.394:                              ;   in Loop: Header=BB253_242 Depth=1
	v_cmp_ne_u16_sdwa s[0:1], v14, s28 src0_sel:BYTE_0 src1_sel:DWORD
	v_mov_b32_e32 v13, 0x8000
	s_and_saveexec_b64 s[18:19], s[0:1]
	s_cbranch_execz .LBB253_398
; %bb.395:                              ;   in Loop: Header=BB253_242 Depth=1
	v_and_b32_e32 v6, 0x7f, v14
	v_cmp_ne_u32_e64 s[0:1], s29, v6
	v_mov_b32_e32 v13, 0x7c01
	s_and_saveexec_b64 s[20:21], s[0:1]
	s_cbranch_execz .LBB253_397
; %bb.396:                              ;   in Loop: Header=BB253_242 Depth=1
	v_and_b32_e32 v13, 7, v14
	v_ffbh_u32_e32 v16, v13
	v_min_u32_e32 v19, 32, v16
	v_subrev_u32_e32 v16, 28, v19
	v_lshlrev_b64 v[16:17], v16, v[14:15]
	v_lshrrev_b32_e32 v18, 3, v6
	v_sub_u32_e32 v17, 29, v19
	v_cmp_gt_u32_e64 s[0:1], 8, v6
	v_and_b32_e32 v16, 7, v16
	s_nop 0
	v_cndmask_b32_e64 v6, v18, v17, s[0:1]
	v_lshl_add_u32 v6, v6, 10, v33
	v_lshlrev_b32_e32 v17, 8, v14
	v_and_b32_e32 v6, 0xfc00, v6
	v_cndmask_b32_e64 v13, v13, v16, s[0:1]
	v_and_or_b32 v6, v17, s30, v6
	v_lshl_or_b32 v13, v13, 7, v6
.LBB253_397:                            ;   in Loop: Header=BB253_242 Depth=1
	s_or_b64 exec, exec, s[20:21]
.LBB253_398:                            ;   in Loop: Header=BB253_242 Depth=1
	s_or_b64 exec, exec, s[18:19]
.LBB253_399:                            ;   in Loop: Header=BB253_242 Depth=1
	s_or_b64 exec, exec, s[16:17]
	v_lshrrev_b16_e32 v6, 8, v14
	v_cmp_ne_u16_e64 s[0:1], 0, v6
	s_and_saveexec_b64 s[16:17], s[0:1]
	s_cbranch_execz .LBB253_405
; %bb.400:                              ;   in Loop: Header=BB253_242 Depth=1
	v_cmp_ne_u16_e64 s[0:1], s28, v6
	v_bfrev_b32_e32 v1, 1
	s_and_saveexec_b64 s[18:19], s[0:1]
	s_cbranch_execz .LBB253_404
; %bb.401:                              ;   in Loop: Header=BB253_242 Depth=1
	v_and_b32_e32 v16, 0x7f, v6
	v_cmp_ne_u32_e64 s[0:1], s29, v16
	v_mov_b32_e32 v1, 0x7c010000
	s_and_saveexec_b64 s[20:21], s[0:1]
	s_cbranch_execz .LBB253_403
; %bb.402:                              ;   in Loop: Header=BB253_242 Depth=1
	v_and_b32_e32 v1, 7, v6
	v_ffbh_u32_e32 v18, v1
	v_min_u32_e32 v20, 32, v18
	v_subrev_u32_e32 v18, 28, v20
	v_lshlrev_b64 v[18:19], v18, v[6:7]
	v_lshrrev_b32_e32 v17, 3, v16
	v_sub_u32_e32 v19, 29, v20
	v_cmp_gt_u32_e64 s[0:1], 8, v16
	v_lshlrev_b32_e32 v6, 8, v6
	s_nop 0
	v_cndmask_b32_e64 v16, v17, v19, s[0:1]
	v_lshl_add_u32 v16, v16, 10, v33
	v_and_b32_e32 v17, 7, v18
	v_and_or_b32 v6, v6, s30, v16
	v_cndmask_b32_e64 v1, v1, v17, s[0:1]
	v_lshlrev_b32_e32 v6, 16, v6
	v_lshl_or_b32 v1, v1, 23, v6
.LBB253_403:                            ;   in Loop: Header=BB253_242 Depth=1
	s_or_b64 exec, exec, s[20:21]
.LBB253_404:                            ;   in Loop: Header=BB253_242 Depth=1
	s_or_b64 exec, exec, s[18:19]
.LBB253_405:                            ;   in Loop: Header=BB253_242 Depth=1
	s_or_b64 exec, exec, s[16:17]
	v_lshrrev_b32_e32 v6, 16, v14
	v_cmp_ne_u16_sdwa s[0:1], v6, v7 src0_sel:BYTE_0 src1_sel:DWORD
	v_mov_b32_e32 v17, 0
	v_mov_b32_e32 v16, 0
	s_and_saveexec_b64 s[16:17], s[0:1]
	s_cbranch_execz .LBB253_411
; %bb.406:                              ;   in Loop: Header=BB253_242 Depth=1
	v_cmp_ne_u16_sdwa s[0:1], v6, s28 src0_sel:BYTE_0 src1_sel:DWORD
	v_mov_b32_e32 v16, 0x8000
	s_and_saveexec_b64 s[18:19], s[0:1]
	s_cbranch_execz .LBB253_410
; %bb.407:                              ;   in Loop: Header=BB253_242 Depth=1
	v_bfe_u32 v18, v14, 16, 7
	v_cmp_ne_u32_e64 s[0:1], s29, v18
	v_mov_b32_e32 v16, 0x7c01
	s_and_saveexec_b64 s[20:21], s[0:1]
	s_cbranch_execz .LBB253_409
; %bb.408:                              ;   in Loop: Header=BB253_242 Depth=1
	v_and_b32_e32 v16, 7, v6
	v_ffbh_u32_e32 v20, v16
	v_min_u32_e32 v50, 32, v20
	v_subrev_u32_e32 v20, 28, v50
	v_lshlrev_b64 v[20:21], v20, v[6:7]
	v_lshrrev_b32_e32 v19, 3, v18
	v_sub_u32_e32 v21, 29, v50
	v_cmp_gt_u32_e64 s[0:1], 8, v18
	v_lshlrev_b32_e32 v6, 8, v6
	s_nop 0
	v_cndmask_b32_e64 v18, v19, v21, s[0:1]
	v_lshl_add_u32 v18, v18, 10, v33
	v_and_b32_e32 v19, 7, v20
	v_and_b32_e32 v18, 0xfc00, v18
	v_cndmask_b32_e64 v16, v16, v19, s[0:1]
	v_and_or_b32 v6, v6, s30, v18
	v_lshl_or_b32 v16, v16, 7, v6
.LBB253_409:                            ;   in Loop: Header=BB253_242 Depth=1
	s_or_b64 exec, exec, s[20:21]
.LBB253_410:                            ;   in Loop: Header=BB253_242 Depth=1
	s_or_b64 exec, exec, s[18:19]
.LBB253_411:                            ;   in Loop: Header=BB253_242 Depth=1
	s_or_b64 exec, exec, s[16:17]
	v_cmp_lt_u32_e64 s[0:1], s7, v14
	s_and_saveexec_b64 s[16:17], s[0:1]
	s_cbranch_execz .LBB253_417
; %bb.412:                              ;   in Loop: Header=BB253_242 Depth=1
	v_lshrrev_b32_e32 v6, 24, v14
	v_cmp_ne_u32_e64 s[0:1], s28, v6
	v_bfrev_b32_e32 v17, 1
	s_and_saveexec_b64 s[18:19], s[0:1]
	s_cbranch_execz .LBB253_416
; %bb.413:                              ;   in Loop: Header=BB253_242 Depth=1
	v_and_b32_e32 v18, 0x7f, v6
	v_cmp_ne_u32_e64 s[0:1], s29, v18
	v_mov_b32_e32 v17, 0x7c010000
	s_and_saveexec_b64 s[20:21], s[0:1]
	s_cbranch_execz .LBB253_415
; %bb.414:                              ;   in Loop: Header=BB253_242 Depth=1
	v_and_b32_e32 v17, 7, v6
	v_ffbh_u32_e32 v20, v17
	v_min_u32_e32 v50, 32, v20
	v_subrev_u32_e32 v20, 28, v50
	v_lshlrev_b64 v[20:21], v20, v[6:7]
	v_lshrrev_b32_e32 v19, 3, v18
	v_sub_u32_e32 v21, 29, v50
	v_cmp_gt_u32_e64 s[0:1], 8, v18
	v_lshlrev_b32_e32 v6, 8, v6
	s_nop 0
	v_cndmask_b32_e64 v18, v19, v21, s[0:1]
	v_lshl_add_u32 v18, v18, 10, v33
	v_and_b32_e32 v19, 7, v20
	v_and_or_b32 v6, v6, s30, v18
	v_cndmask_b32_e64 v17, v17, v19, s[0:1]
	v_lshlrev_b32_e32 v6, 16, v6
	v_lshl_or_b32 v17, v17, 23, v6
.LBB253_415:                            ;   in Loop: Header=BB253_242 Depth=1
	s_or_b64 exec, exec, s[20:21]
.LBB253_416:                            ;   in Loop: Header=BB253_242 Depth=1
	s_or_b64 exec, exec, s[18:19]
.LBB253_417:                            ;   in Loop: Header=BB253_242 Depth=1
	s_or_b64 exec, exec, s[16:17]
	v_mov_b32_e32 v6, v15
	v_cmp_ne_u16_sdwa s[0:1], v15, v7 src0_sel:BYTE_0 src1_sel:DWORD
	v_mov_b32_e32 v18, 0
	v_mov_b32_e32 v19, 0
	s_and_saveexec_b64 s[16:17], s[0:1]
	s_cbranch_execz .LBB253_423
; %bb.418:                              ;   in Loop: Header=BB253_242 Depth=1
	v_cmp_ne_u16_sdwa s[0:1], v15, s28 src0_sel:BYTE_0 src1_sel:DWORD
	v_mov_b32_e32 v19, 0x8000
	s_and_saveexec_b64 s[18:19], s[0:1]
	s_cbranch_execz .LBB253_422
; %bb.419:                              ;   in Loop: Header=BB253_242 Depth=1
	v_and_b32_e32 v20, 0x7f, v15
	v_cmp_ne_u32_e64 s[0:1], s29, v20
	v_mov_b32_e32 v19, 0x7c01
	s_and_saveexec_b64 s[20:21], s[0:1]
	s_cbranch_execz .LBB253_421
; %bb.420:                              ;   in Loop: Header=BB253_242 Depth=1
	v_and_b32_e32 v19, 7, v15
	v_ffbh_u32_e32 v50, v19
	v_min_u32_e32 v52, 32, v50
	v_subrev_u32_e32 v50, 28, v52
	v_lshlrev_b64 v[50:51], v50, v[6:7]
	v_lshrrev_b32_e32 v21, 3, v20
	v_sub_u32_e32 v51, 29, v52
	v_cmp_gt_u32_e64 s[0:1], 8, v20
	v_and_b32_e32 v50, 7, v50
	s_nop 0
	v_cndmask_b32_e64 v20, v21, v51, s[0:1]
	v_lshl_add_u32 v20, v20, 10, v33
	v_lshlrev_b32_e32 v21, 8, v15
	v_and_b32_e32 v20, 0xfc00, v20
	v_cndmask_b32_e64 v19, v19, v50, s[0:1]
	v_and_or_b32 v20, v21, s30, v20
	v_lshl_or_b32 v19, v19, 7, v20
.LBB253_421:                            ;   in Loop: Header=BB253_242 Depth=1
	s_or_b64 exec, exec, s[20:21]
.LBB253_422:                            ;   in Loop: Header=BB253_242 Depth=1
	s_or_b64 exec, exec, s[18:19]
.LBB253_423:                            ;   in Loop: Header=BB253_242 Depth=1
	s_or_b64 exec, exec, s[16:17]
	v_lshrrev_b16_e32 v6, 8, v6
	v_cmp_ne_u16_e64 s[0:1], 0, v6
	v_mov_b32_e32 v20, 0
	s_and_saveexec_b64 s[16:17], s[0:1]
	s_cbranch_execz .LBB253_429
; %bb.424:                              ;   in Loop: Header=BB253_242 Depth=1
	v_cmp_ne_u16_e64 s[0:1], s28, v6
	v_bfrev_b32_e32 v20, 1
	s_and_saveexec_b64 s[18:19], s[0:1]
	s_cbranch_execz .LBB253_428
; %bb.425:                              ;   in Loop: Header=BB253_242 Depth=1
	v_and_b32_e32 v21, 0x7f, v6
	v_cmp_ne_u32_e64 s[0:1], s29, v21
	v_mov_b32_e32 v20, 0x7c010000
	s_and_saveexec_b64 s[20:21], s[0:1]
	s_cbranch_execz .LBB253_427
; %bb.426:                              ;   in Loop: Header=BB253_242 Depth=1
	v_and_b32_e32 v20, 7, v6
	v_ffbh_u32_e32 v50, v20
	v_min_u32_e32 v53, 32, v50
	v_subrev_u32_e32 v50, 28, v53
	v_lshlrev_b64 v[50:51], v50, v[6:7]
	v_lshrrev_b32_e32 v52, 3, v21
	v_sub_u32_e32 v51, 29, v53
	v_cmp_gt_u32_e64 s[0:1], 8, v21
	v_lshlrev_b32_e32 v6, 8, v6
	v_and_b32_e32 v50, 7, v50
	v_cndmask_b32_e64 v21, v52, v51, s[0:1]
	v_lshl_add_u32 v21, v21, 10, v33
	v_and_or_b32 v6, v6, s30, v21
	v_cndmask_b32_e64 v20, v20, v50, s[0:1]
	v_lshlrev_b32_e32 v6, 16, v6
	v_lshl_or_b32 v20, v20, 23, v6
.LBB253_427:                            ;   in Loop: Header=BB253_242 Depth=1
	s_or_b64 exec, exec, s[20:21]
.LBB253_428:                            ;   in Loop: Header=BB253_242 Depth=1
	s_or_b64 exec, exec, s[18:19]
.LBB253_429:                            ;   in Loop: Header=BB253_242 Depth=1
	s_or_b64 exec, exec, s[16:17]
	v_lshrrev_b32_e32 v6, 16, v15
	v_cmp_ne_u16_sdwa s[0:1], v6, v7 src0_sel:BYTE_0 src1_sel:DWORD
	s_and_saveexec_b64 s[16:17], s[0:1]
	s_cbranch_execz .LBB253_435
; %bb.430:                              ;   in Loop: Header=BB253_242 Depth=1
	v_cmp_ne_u16_sdwa s[0:1], v6, s28 src0_sel:BYTE_0 src1_sel:DWORD
	v_mov_b32_e32 v18, 0x8000
	s_and_saveexec_b64 s[18:19], s[0:1]
	s_cbranch_execz .LBB253_434
; %bb.431:                              ;   in Loop: Header=BB253_242 Depth=1
	v_bfe_u32 v21, v15, 16, 7
	v_cmp_ne_u32_e64 s[0:1], s29, v21
	v_mov_b32_e32 v18, 0x7c01
	s_and_saveexec_b64 s[20:21], s[0:1]
	s_cbranch_execz .LBB253_433
; %bb.432:                              ;   in Loop: Header=BB253_242 Depth=1
	v_and_b32_e32 v18, 7, v6
	v_ffbh_u32_e32 v50, v18
	v_min_u32_e32 v53, 32, v50
	v_subrev_u32_e32 v50, 28, v53
	v_lshlrev_b64 v[50:51], v50, v[6:7]
	v_lshrrev_b32_e32 v52, 3, v21
	v_sub_u32_e32 v51, 29, v53
	v_cmp_gt_u32_e64 s[0:1], 8, v21
	v_lshlrev_b32_e32 v6, 8, v6
	v_and_b32_e32 v50, 7, v50
	v_cndmask_b32_e64 v21, v52, v51, s[0:1]
	v_lshl_add_u32 v21, v21, 10, v33
	v_and_b32_e32 v21, 0xfc00, v21
	v_cndmask_b32_e64 v18, v18, v50, s[0:1]
	v_and_or_b32 v6, v6, s30, v21
	v_lshl_or_b32 v18, v18, 7, v6
.LBB253_433:                            ;   in Loop: Header=BB253_242 Depth=1
	s_or_b64 exec, exec, s[20:21]
.LBB253_434:                            ;   in Loop: Header=BB253_242 Depth=1
	s_or_b64 exec, exec, s[18:19]
.LBB253_435:                            ;   in Loop: Header=BB253_242 Depth=1
	s_or_b64 exec, exec, s[16:17]
	v_cmp_lt_u64_e64 s[0:1], s[6:7], v[14:15]
	v_mov_b32_e32 v21, 0
	s_and_saveexec_b64 s[16:17], s[0:1]
	s_cbranch_execz .LBB253_441
; %bb.436:                              ;   in Loop: Header=BB253_242 Depth=1
	v_lshrrev_b32_e32 v6, 24, v15
	v_cmp_ne_u32_e64 s[0:1], s28, v6
	v_bfrev_b32_e32 v21, 1
	s_and_saveexec_b64 s[18:19], s[0:1]
	s_cbranch_execz .LBB253_440
; %bb.437:                              ;   in Loop: Header=BB253_242 Depth=1
	v_and_b32_e32 v14, 0x7f, v6
	v_cmp_ne_u32_e64 s[0:1], s29, v14
	v_mov_b32_e32 v21, 0x7c010000
	s_and_saveexec_b64 s[20:21], s[0:1]
	s_cbranch_execz .LBB253_439
; %bb.438:                              ;   in Loop: Header=BB253_242 Depth=1
	v_and_b32_e32 v15, 7, v6
	v_ffbh_u32_e32 v50, v15
	v_min_u32_e32 v52, 32, v50
	v_subrev_u32_e32 v50, 28, v52
	v_lshlrev_b64 v[50:51], v50, v[6:7]
	v_lshrrev_b32_e32 v21, 3, v14
	v_sub_u32_e32 v51, 29, v52
	v_cmp_gt_u32_e64 s[0:1], 8, v14
	v_lshlrev_b32_e32 v6, 8, v6
	s_nop 0
	v_cndmask_b32_e64 v14, v21, v51, s[0:1]
	v_lshl_add_u32 v14, v14, 10, v33
	v_and_b32_e32 v21, 7, v50
	v_and_or_b32 v6, v6, s30, v14
	v_cndmask_b32_e64 v15, v15, v21, s[0:1]
	v_lshlrev_b32_e32 v6, 16, v6
	v_lshl_or_b32 v21, v15, 23, v6
.LBB253_439:                            ;   in Loop: Header=BB253_242 Depth=1
	s_or_b64 exec, exec, s[20:21]
.LBB253_440:                            ;   in Loop: Header=BB253_242 Depth=1
	s_or_b64 exec, exec, s[18:19]
.LBB253_441:                            ;   in Loop: Header=BB253_242 Depth=1
	s_or_b64 exec, exec, s[16:17]
	v_cvt_f32_f16_sdwa v15, v1 dst_sel:DWORD dst_unused:UNUSED_PAD src0_sel:WORD_1
	v_cvt_f32_f16_sdwa v14, v17 dst_sel:DWORD dst_unused:UNUSED_PAD src0_sel:WORD_1
	v_or_b32_e32 v1, v1, v13
	v_or_b32_e32 v6, v17, v16
	v_cvt_f32_f16_e32 v16, v6
	v_cvt_f32_f16_e32 v17, v1
	s_waitcnt vmcnt(0)
	v_pk_mul_f32 v[14:15], v[12:13], v[14:15] op_sel_hi:[0,1]
	v_cvt_pk_f16_f32 v1, v14, v15
	v_and_b32_e32 v13, 0xffff0000, v1
	v_pk_mul_f32 v[16:17], v[12:13], v[16:17] op_sel_hi:[0,1]
	v_lshlrev_b32_e32 v14, 16, v1
	v_cvt_pk_f16_f32 v1, v16, v17
	v_or_b32_e32 v6, v20, v19
	v_or_b32_e32 v17, v21, v18
	v_cvt_f32_f16_e32 v18, v17
	v_cvt_f32_f16_e32 v19, v6
	v_cvt_f32_f16_sdwa v51, v20 dst_sel:DWORD dst_unused:UNUSED_PAD src0_sel:WORD_1
	v_cvt_f32_f16_sdwa v50, v21 dst_sel:DWORD dst_unused:UNUSED_PAD src0_sel:WORD_1
	v_lshrrev_b32_e32 v15, 16, v1
	v_pk_mul_f32 v[18:19], v[12:13], v[18:19] op_sel_hi:[0,1]
	v_cvt_pk_f16_f32 v20, v18, v19
	v_pk_mul_f32 v[18:19], v[12:13], v[50:51] op_sel_hi:[0,1]
	v_cvt_pk_f16_f32 v12, v18, v19
	v_and_b32_e32 v16, 0xffff, v1
	v_and_b32_e32 v17, 0xffff0000, v12
	v_lshlrev_b32_e32 v12, 16, v12
	v_lshrrev_b32_e32 v21, 16, v20
	v_and_b32_e32 v20, 0xffff, v20
	v_or_b32_e32 v1, v13, v15
	v_or_b32_e32 v6, v14, v16
	;; [unrolled: 1-line block ×4, first 2 shown]
	s_and_saveexec_b64 s[0:1], vcc
	s_cbranch_execz .LBB253_240
; %bb.442:                              ;   in Loop: Header=BB253_242 Depth=1
	v_cmp_gt_i32_e32 vcc, s38, v34
	s_nop 1
	v_cndmask_b32_e32 v1, 0, v15, vcc
	v_cmp_gt_i32_e32 vcc, s33, v41
	s_nop 1
	v_cndmask_b32_e32 v6, 0, v16, vcc
	;; [unrolled: 3-line block ×3, first 2 shown]
	v_cmp_gt_i32_e32 vcc, s33, v39
	v_or_b32_e32 v1, v13, v1
	s_nop 0
	v_cndmask_b32_e32 v14, 0, v14, vcc
	v_cmp_gt_i32_e32 vcc, s38, v38
	v_or_b32_e32 v6, v14, v6
	s_nop 0
	v_cndmask_b32_e32 v13, 0, v21, vcc
	v_cmp_gt_i32_e32 vcc, s33, v37
	s_nop 1
	v_cndmask_b32_e32 v14, 0, v20, vcc
	v_cmp_gt_i32_e32 vcc, s38, v36
	;; [unrolled: 3-line block ×3, first 2 shown]
	v_or_b32_e32 v19, v15, v13
	s_nop 0
	v_cndmask_b32_e32 v12, 0, v12, vcc
	v_or_b32_e32 v18, v12, v14
	s_branch .LBB253_240
.LBB253_443:
	s_or_b64 exec, exec, s[8:9]
.LBB253_444:
	s_or_b64 exec, exec, s[2:3]
	ds_bpermute_b32 v6, v27, v4
	ds_bpermute_b32 v7, v27, v5
	;; [unrolled: 1-line block ×4, first 2 shown]
	v_and_b32_e32 v1, 0x3c3, v0
	v_cmp_ne_u32_e32 vcc, 64, v1
	s_waitcnt lgkmcnt(2)
	v_pk_add_f32 v[10:11], v[4:5], v[6:7]
	ds_bpermute_b32 v12, v28, v10
	ds_bpermute_b32 v13, v28, v11
	s_waitcnt lgkmcnt(2)
	v_pk_add_f32 v[4:5], v[2:3], v[8:9]
	ds_bpermute_b32 v6, v28, v4
	ds_bpermute_b32 v7, v28, v5
	s_waitcnt lgkmcnt(0)
	v_pk_add_f32 v[2:3], v[10:11], v[12:13]
	s_barrier
	s_and_saveexec_b64 s[0:1], vcc
	s_xor_b64 s[0:1], exec, s[0:1]
; %bb.445:
                                        ; implicit-def: $vgpr26
; %bb.446:
	s_or_saveexec_b64 s[0:1], s[0:1]
	v_pk_add_f32 v[4:5], v[4:5], v[6:7]
	s_xor_b64 exec, exec, s[0:1]
	s_cbranch_execz .LBB253_448
; %bb.447:
	v_add_u32_e32 v6, 0x90, v26
	ds_write2_b32 v6, v2, v3 offset1:16
	ds_write2_b32 v6, v4, v5 offset0:32 offset1:48
.LBB253_448:
	s_or_b64 exec, exec, s[0:1]
	v_cmp_gt_u32_e32 vcc, 64, v0
	v_lshrrev_b32_e32 v0, 2, v0
	s_waitcnt lgkmcnt(0)
	s_barrier
	s_and_saveexec_b64 s[0:1], vcc
	s_cbranch_execz .LBB253_455
; %bb.449:
	v_mov_b32_e32 v6, 0x90
	v_cmp_eq_u32_e32 vcc, 0, v29
	v_lshl_add_u32 v6, v0, 2, v6
	s_and_saveexec_b64 s[2:3], vcc
	s_cbranch_execnz .LBB253_458
; %bb.450:
	s_or_b64 exec, exec, s[2:3]
	s_and_saveexec_b64 s[2:3], vcc
	s_cbranch_execnz .LBB253_459
.LBB253_451:
	s_or_b64 exec, exec, s[2:3]
	s_and_saveexec_b64 s[2:3], vcc
	s_cbranch_execnz .LBB253_460
.LBB253_452:
	s_or_b64 exec, exec, s[2:3]
	s_and_saveexec_b64 s[2:3], vcc
	s_cbranch_execz .LBB253_454
.LBB253_453:
	ds_read_b32 v6, v6 offset:192
	s_waitcnt lgkmcnt(0)
	v_add_f32_e32 v5, v5, v6
.LBB253_454:
	s_or_b64 exec, exec, s[2:3]
.LBB253_455:
	s_or_b64 exec, exec, s[0:1]
	v_cmp_eq_u32_e32 vcc, 0, v1
	s_barrier
	s_and_saveexec_b64 s[0:1], vcc
	s_cbranch_execz .LBB253_457
; %bb.456:
	s_mul_i32 s0, s10, s11
	s_mul_i32 s0, s0, s5
	s_lshl_b32 s0, s0, 6
	s_ashr_i32 s1, s0, 31
	s_lshl_b64 s[0:1], s[0:1], 1
	s_add_u32 s2, s26, s0
	s_mul_i32 s0, s11, s24
	s_addc_u32 s3, s27, s1
	s_ashr_i32 s1, s0, 31
	s_lshl_b64 s[0:1], s[0:1], 1
	s_add_u32 s2, s2, s0
	s_addc_u32 s3, s3, s1
	s_lshl_b32 s0, s4, 6
	s_ashr_i32 s1, s0, 31
	s_lshl_b64 s[0:1], s[0:1], 1
	s_add_u32 s0, s2, s0
	s_addc_u32 s1, s3, s1
	v_lshlrev_b32_e32 v0, 1, v0
	;;#ASMSTART
	v_cvt_f16_f32 v1, v2;

	;;#ASMEND
	global_store_short v0, v1, s[0:1]
	;;#ASMSTART
	v_cvt_f16_f32 v1, v3;

	;;#ASMEND
	global_store_short v0, v1, s[0:1] offset:32
	;;#ASMSTART
	v_cvt_f16_f32 v1, v4;

	;;#ASMEND
	global_store_short v0, v1, s[0:1] offset:64
	;; [unrolled: 5-line block ×3, first 2 shown]
.LBB253_457:
	s_endpgm
.LBB253_458:
	ds_read_b32 v7, v6
	s_waitcnt lgkmcnt(0)
	v_add_f32_e32 v2, v2, v7
	s_or_b64 exec, exec, s[2:3]
	s_and_saveexec_b64 s[2:3], vcc
	s_cbranch_execz .LBB253_451
.LBB253_459:
	ds_read_b32 v7, v6 offset:64
	s_waitcnt lgkmcnt(0)
	v_add_f32_e32 v3, v3, v7
	s_or_b64 exec, exec, s[2:3]
	s_and_saveexec_b64 s[2:3], vcc
	s_cbranch_execz .LBB253_452
.LBB253_460:
	ds_read_b32 v7, v6 offset:128
	s_waitcnt lgkmcnt(0)
	v_add_f32_e32 v4, v4, v7
	s_or_b64 exec, exec, s[2:3]
	s_and_saveexec_b64 s[2:3], vcc
	s_cbranch_execnz .LBB253_453
	s_branch .LBB253_454
	.section	.rodata,"a",@progbits
	.p2align	6, 0x0
	.amdhsa_kernel _ZN4vllm25paged_attention_v1_kernelIthLi64ELi32ELi128ELNS_18Fp8KVCacheDataTypeE1ELb1EEEvPT_PKS2_PKT0_S8_ifPKiSA_iPKfiiiSC_SC_iiiii
		.amdhsa_group_segment_fixed_size 144
		.amdhsa_private_segment_fixed_size 0
		.amdhsa_kernarg_size 384
		.amdhsa_user_sgpr_count 2
		.amdhsa_user_sgpr_dispatch_ptr 0
		.amdhsa_user_sgpr_queue_ptr 0
		.amdhsa_user_sgpr_kernarg_segment_ptr 1
		.amdhsa_user_sgpr_dispatch_id 0
		.amdhsa_user_sgpr_kernarg_preload_length 0
		.amdhsa_user_sgpr_kernarg_preload_offset 0
		.amdhsa_user_sgpr_private_segment_size 0
		.amdhsa_uses_dynamic_stack 0
		.amdhsa_enable_private_segment 0
		.amdhsa_system_sgpr_workgroup_id_x 1
		.amdhsa_system_sgpr_workgroup_id_y 1
		.amdhsa_system_sgpr_workgroup_id_z 1
		.amdhsa_system_sgpr_workgroup_info 0
		.amdhsa_system_vgpr_workitem_id 0
		.amdhsa_next_free_vgpr 62
		.amdhsa_next_free_sgpr 56
		.amdhsa_accum_offset 64
		.amdhsa_reserve_vcc 1
		.amdhsa_float_round_mode_32 0
		.amdhsa_float_round_mode_16_64 0
		.amdhsa_float_denorm_mode_32 3
		.amdhsa_float_denorm_mode_16_64 3
		.amdhsa_dx10_clamp 1
		.amdhsa_ieee_mode 1
		.amdhsa_fp16_overflow 0
		.amdhsa_tg_split 0
		.amdhsa_exception_fp_ieee_invalid_op 0
		.amdhsa_exception_fp_denorm_src 0
		.amdhsa_exception_fp_ieee_div_zero 0
		.amdhsa_exception_fp_ieee_overflow 0
		.amdhsa_exception_fp_ieee_underflow 0
		.amdhsa_exception_fp_ieee_inexact 0
		.amdhsa_exception_int_div_zero 0
	.end_amdhsa_kernel
	.section	.text._ZN4vllm25paged_attention_v1_kernelIthLi64ELi32ELi128ELNS_18Fp8KVCacheDataTypeE1ELb1EEEvPT_PKS2_PKT0_S8_ifPKiSA_iPKfiiiSC_SC_iiiii,"axG",@progbits,_ZN4vllm25paged_attention_v1_kernelIthLi64ELi32ELi128ELNS_18Fp8KVCacheDataTypeE1ELb1EEEvPT_PKS2_PKT0_S8_ifPKiSA_iPKfiiiSC_SC_iiiii,comdat
.Lfunc_end253:
	.size	_ZN4vllm25paged_attention_v1_kernelIthLi64ELi32ELi128ELNS_18Fp8KVCacheDataTypeE1ELb1EEEvPT_PKS2_PKT0_S8_ifPKiSA_iPKfiiiSC_SC_iiiii, .Lfunc_end253-_ZN4vllm25paged_attention_v1_kernelIthLi64ELi32ELi128ELNS_18Fp8KVCacheDataTypeE1ELb1EEEvPT_PKS2_PKT0_S8_ifPKiSA_iPKfiiiSC_SC_iiiii
                                        ; -- End function
	.set _ZN4vllm25paged_attention_v1_kernelIthLi64ELi32ELi128ELNS_18Fp8KVCacheDataTypeE1ELb1EEEvPT_PKS2_PKT0_S8_ifPKiSA_iPKfiiiSC_SC_iiiii.num_vgpr, 62
	.set _ZN4vllm25paged_attention_v1_kernelIthLi64ELi32ELi128ELNS_18Fp8KVCacheDataTypeE1ELb1EEEvPT_PKS2_PKT0_S8_ifPKiSA_iPKfiiiSC_SC_iiiii.num_agpr, 0
	.set _ZN4vllm25paged_attention_v1_kernelIthLi64ELi32ELi128ELNS_18Fp8KVCacheDataTypeE1ELb1EEEvPT_PKS2_PKT0_S8_ifPKiSA_iPKfiiiSC_SC_iiiii.numbered_sgpr, 56
	.set _ZN4vllm25paged_attention_v1_kernelIthLi64ELi32ELi128ELNS_18Fp8KVCacheDataTypeE1ELb1EEEvPT_PKS2_PKT0_S8_ifPKiSA_iPKfiiiSC_SC_iiiii.num_named_barrier, 0
	.set _ZN4vllm25paged_attention_v1_kernelIthLi64ELi32ELi128ELNS_18Fp8KVCacheDataTypeE1ELb1EEEvPT_PKS2_PKT0_S8_ifPKiSA_iPKfiiiSC_SC_iiiii.private_seg_size, 0
	.set _ZN4vllm25paged_attention_v1_kernelIthLi64ELi32ELi128ELNS_18Fp8KVCacheDataTypeE1ELb1EEEvPT_PKS2_PKT0_S8_ifPKiSA_iPKfiiiSC_SC_iiiii.uses_vcc, 1
	.set _ZN4vllm25paged_attention_v1_kernelIthLi64ELi32ELi128ELNS_18Fp8KVCacheDataTypeE1ELb1EEEvPT_PKS2_PKT0_S8_ifPKiSA_iPKfiiiSC_SC_iiiii.uses_flat_scratch, 0
	.set _ZN4vllm25paged_attention_v1_kernelIthLi64ELi32ELi128ELNS_18Fp8KVCacheDataTypeE1ELb1EEEvPT_PKS2_PKT0_S8_ifPKiSA_iPKfiiiSC_SC_iiiii.has_dyn_sized_stack, 0
	.set _ZN4vllm25paged_attention_v1_kernelIthLi64ELi32ELi128ELNS_18Fp8KVCacheDataTypeE1ELb1EEEvPT_PKS2_PKT0_S8_ifPKiSA_iPKfiiiSC_SC_iiiii.has_recursion, 0
	.set _ZN4vllm25paged_attention_v1_kernelIthLi64ELi32ELi128ELNS_18Fp8KVCacheDataTypeE1ELb1EEEvPT_PKS2_PKT0_S8_ifPKiSA_iPKfiiiSC_SC_iiiii.has_indirect_call, 0
	.section	.AMDGPU.csdata,"",@progbits
; Kernel info:
; codeLenInByte = 20256
; TotalNumSgprs: 62
; NumVgprs: 62
; NumAgprs: 0
; TotalNumVgprs: 62
; ScratchSize: 0
; MemoryBound: 0
; FloatMode: 240
; IeeeMode: 1
; LDSByteSize: 144 bytes/workgroup (compile time only)
; SGPRBlocks: 7
; VGPRBlocks: 7
; NumSGPRsForWavesPerEU: 62
; NumVGPRsForWavesPerEU: 62
; AccumOffset: 64
; Occupancy: 8
; WaveLimiterHint : 1
; COMPUTE_PGM_RSRC2:SCRATCH_EN: 0
; COMPUTE_PGM_RSRC2:USER_SGPR: 2
; COMPUTE_PGM_RSRC2:TRAP_HANDLER: 0
; COMPUTE_PGM_RSRC2:TGID_X_EN: 1
; COMPUTE_PGM_RSRC2:TGID_Y_EN: 1
; COMPUTE_PGM_RSRC2:TGID_Z_EN: 1
; COMPUTE_PGM_RSRC2:TIDIG_COMP_CNT: 0
; COMPUTE_PGM_RSRC3_GFX90A:ACCUM_OFFSET: 15
; COMPUTE_PGM_RSRC3_GFX90A:TG_SPLIT: 0
	.section	.text._ZN4vllm25paged_attention_v1_kernelIthLi80ELi32ELi128ELNS_18Fp8KVCacheDataTypeE1ELb1EEEvPT_PKS2_PKT0_S8_ifPKiSA_iPKfiiiSC_SC_iiiii,"axG",@progbits,_ZN4vllm25paged_attention_v1_kernelIthLi80ELi32ELi128ELNS_18Fp8KVCacheDataTypeE1ELb1EEEvPT_PKS2_PKT0_S8_ifPKiSA_iPKfiiiSC_SC_iiiii,comdat
	.protected	_ZN4vllm25paged_attention_v1_kernelIthLi80ELi32ELi128ELNS_18Fp8KVCacheDataTypeE1ELb1EEEvPT_PKS2_PKT0_S8_ifPKiSA_iPKfiiiSC_SC_iiiii ; -- Begin function _ZN4vllm25paged_attention_v1_kernelIthLi80ELi32ELi128ELNS_18Fp8KVCacheDataTypeE1ELb1EEEvPT_PKS2_PKT0_S8_ifPKiSA_iPKfiiiSC_SC_iiiii
	.globl	_ZN4vllm25paged_attention_v1_kernelIthLi80ELi32ELi128ELNS_18Fp8KVCacheDataTypeE1ELb1EEEvPT_PKS2_PKT0_S8_ifPKiSA_iPKfiiiSC_SC_iiiii
	.p2align	8
	.type	_ZN4vllm25paged_attention_v1_kernelIthLi80ELi32ELi128ELNS_18Fp8KVCacheDataTypeE1ELb1EEEvPT_PKS2_PKT0_S8_ifPKiSA_iPKfiiiSC_SC_iiiii,@function
_ZN4vllm25paged_attention_v1_kernelIthLi80ELi32ELi128ELNS_18Fp8KVCacheDataTypeE1ELb1EEEvPT_PKS2_PKT0_S8_ifPKiSA_iPKfiiiSC_SC_iiiii: ; @_ZN4vllm25paged_attention_v1_kernelIthLi80ELi32ELi128ELNS_18Fp8KVCacheDataTypeE1ELb1EEEvPT_PKS2_PKT0_S8_ifPKiSA_iPKfiiiSC_SC_iiiii
; %bb.0:
	s_load_dword s5, s[0:1], 0x80
	s_load_dwordx2 s[6:7], s[0:1], 0x30
	s_load_dwordx2 s[36:37], s[0:1], 0x20
	s_mov_b32 s10, s3
	s_ashr_i32 s11, s3, 31
	s_lshl_b64 s[8:9], s[10:11], 2
	s_waitcnt lgkmcnt(0)
	s_add_u32 s6, s6, s8
	s_addc_u32 s7, s7, s9
	s_abs_i32 s3, s36
	v_cvt_f32_u32_e32 v1, s3
	s_sub_i32 s11, 0, s3
	s_abs_i32 s9, s5
	s_xor_b32 s8, s5, s36
	v_rcp_iflag_f32_e32 v1, v1
	s_ashr_i32 s8, s8, 31
	s_mov_b32 s48, 0
	v_mul_f32_e32 v1, 0x4f7ffffe, v1
	v_cvt_u32_f32_e32 v1, v1
	s_nop 0
	v_readfirstlane_b32 s12, v1
	s_mul_i32 s11, s11, s12
	s_mul_hi_u32 s11, s12, s11
	s_add_i32 s12, s12, s11
	s_mul_hi_u32 s11, s9, s12
	s_mul_i32 s12, s11, s3
	s_sub_i32 s9, s9, s12
	s_add_i32 s12, s11, 1
	s_sub_i32 s13, s9, s3
	s_cmp_ge_u32 s9, s3
	s_cselect_b32 s11, s12, s11
	s_cselect_b32 s9, s13, s9
	s_add_i32 s12, s11, 1
	s_cmp_ge_u32 s9, s3
	s_cselect_b32 s3, s12, s11
	s_xor_b32 s3, s3, s8
	s_sub_i32 s14, s3, s8
	s_abs_i32 s11, s14
	v_cvt_f32_u32_e32 v1, s11
	s_load_dwordx2 s[8:9], s[0:1], 0x40
	s_sub_i32 s3, 0, s11
	s_abs_i32 s12, s2
	v_rcp_iflag_f32_e32 v1, v1
	s_nop 0
	v_mul_f32_e32 v1, 0x4f7ffffe, v1
	v_cvt_u32_f32_e32 v1, v1
	s_nop 0
	v_readfirstlane_b32 s13, v1
	s_mul_i32 s3, s3, s13
	s_mul_hi_u32 s3, s13, s3
	s_add_i32 s13, s13, s3
	s_waitcnt lgkmcnt(0)
	s_cmp_eq_u64 s[8:9], 0
	s_mul_hi_u32 s13, s12, s13
	s_cbranch_scc1 .LBB254_2
; %bb.1:
	s_ashr_i32 s3, s2, 31
	s_lshl_b64 s[16:17], s[2:3], 2
	s_add_u32 s8, s8, s16
	s_addc_u32 s9, s9, s17
	s_load_dword s48, s[8:9], 0x0
.LBB254_2:
	s_load_dword s33, s[6:7], 0x0
	s_load_dwordx4 s[16:19], s[0:1], 0x48
	s_ashr_i32 s3, s2, 31
	s_ashr_i32 s9, s14, 31
	v_and_b32_e32 v4, 1, v0
	s_movk_i32 s8, 0x50
	s_mul_i32 s24, s2, 0x50
	v_cmp_gt_u32_e32 vcc, 20, v0
	v_lshlrev_b32_e32 v1, 3, v0
	s_and_saveexec_b64 s[6:7], vcc
	s_cbranch_execz .LBB254_4
; %bb.3:
	s_load_dwordx2 s[14:15], s[0:1], 0x8
	s_waitcnt lgkmcnt(0)
	s_mul_i32 s20, s16, s10
	s_ashr_i32 s21, s20, 31
	s_lshl_b64 s[20:21], s[20:21], 1
	v_lshlrev_b32_e32 v5, 2, v0
	s_add_u32 s16, s14, s20
	s_addc_u32 s19, s15, s21
	s_ashr_i32 s25, s24, 31
	s_lshl_b64 s[14:15], s[24:25], 1
	s_add_u32 s14, s16, s14
	s_addc_u32 s15, s19, s15
	global_load_dwordx2 v[2:3], v1, s[14:15]
	v_and_b32_e32 v5, 0xff8, v5
	v_mad_u32_u24 v5, v4, s8, v5
	s_waitcnt vmcnt(0)
	ds_write_b64 v5, v[2:3]
.LBB254_4:
	s_or_b64 exec, exec, s[6:7]
	s_mul_i32 s6, s13, s11
	s_sub_i32 s6, s12, s6
	s_xor_b32 s3, s3, s9
	s_add_i32 s7, s13, 1
	s_sub_i32 s9, s6, s11
	s_load_dwordx4 s[20:23], s[0:1], 0x68
	s_load_dword s8, s[0:1], 0x78
	s_cmp_ge_u32 s6, s11
	s_cselect_b32 s7, s7, s13
	s_cselect_b32 s6, s9, s6
	s_add_i32 s9, s7, 1
	s_cmp_ge_u32 s6, s11
	s_cselect_b32 s6, s9, s7
	s_waitcnt lgkmcnt(0)
	s_abs_i32 s25, s23
	v_cvt_f32_u32_e32 v2, s25
	s_xor_b32 s6, s6, s3
	s_sub_i32 s3, s6, s3
	s_sub_i32 s6, 0, s25
	v_rcp_iflag_f32_e32 v2, v2
	s_add_i32 s11, s33, -1
	s_abs_i32 s9, s11
	v_mul_f32_e32 v2, 0x4f7ffffe, v2
	v_cvt_u32_f32_e32 v2, v2
	s_barrier
	v_readfirstlane_b32 s46, v2
	s_mul_i32 s6, s6, s46
	s_mul_hi_u32 s6, s46, s6
	s_add_i32 s46, s46, s6
	s_cmp_lt_i32 s8, 0
	s_mul_hi_u32 s16, s9, s46
	s_cbranch_scc0 .LBB254_6
; %bb.5:
	s_mul_i32 s6, s20, s36
	s_add_i32 s6, s3, s6
	s_mul_i32 s6, s6, s8
	s_sub_i32 s36, 1, s6
	s_mov_b64 s[6:7], 0
	s_branch .LBB254_7
.LBB254_6:
	s_mov_b64 s[6:7], -1
                                        ; implicit-def: $sgpr36
.LBB254_7:
	s_load_dwordx2 s[28:29], s[0:1], 0x28
	s_ashr_i32 s19, s11, 31
	s_andn2_b64 vcc, exec, s[6:7]
	s_ashr_i32 s23, s23, 31
	s_cbranch_vccnz .LBB254_9
; %bb.8:
	s_mul_i32 s6, s5, s20
	s_add_i32 s2, s6, s2
	s_mul_i32 s2, s2, s8
	s_add_i32 s36, s2, 1
.LBB254_9:
	s_load_dword s2, s[0:1], 0x38
	s_load_dwordx2 s[26:27], s[0:1], 0x0
	s_load_dwordx2 s[34:35], s[0:1], 0x18
	s_load_dword s11, s[0:1], 0x88
	s_load_dwordx4 s[12:15], s[0:1], 0x58
	s_mul_i32 s6, s16, s25
	s_waitcnt lgkmcnt(0)
	s_mul_i32 s30, s2, s10
	s_sub_i32 s6, s9, s6
	s_ashr_i32 s31, s30, 31
	s_xor_b32 s2, s19, s23
	s_add_i32 s7, s16, 1
	s_sub_i32 s8, s6, s25
	s_cmp_ge_u32 s6, s25
	s_cselect_b32 s7, s7, s16
	s_cselect_b32 s6, s8, s6
	s_add_i32 s8, s7, 1
	s_cmp_ge_u32 s6, s25
	s_cselect_b32 s6, s8, s7
	s_xor_b32 s6, s6, s2
	s_sub_i32 s16, s6, s2
	s_add_i32 s2, s33, 31
	s_ashr_i32 s6, s2, 31
	s_lshr_b32 s6, s6, 27
	s_add_i32 s2, s2, s6
	s_ashr_i32 s47, s2, 5
	v_lshrrev_b32_e32 v24, 6, v0
	v_cmp_gt_i32_e64 s[6:7], s47, v24
	v_mov_b32_e32 v15, 0xff7fffff
	s_mul_i32 s20, s3, s18
	v_lshrrev_b32_e32 v11, 4, v0
	v_lshlrev_b32_e32 v25, 5, v24
	v_mbcnt_lo_u32_b32 v12, -1, 0
	s_and_saveexec_b64 s[18:19], s[6:7]
	s_cbranch_execz .LBB254_261
; %bb.10:
	s_load_dwordx2 s[0:1], s[0:1], 0x10
	s_sub_i32 s49, s16, s21
	s_ashr_i32 s2, s20, 31
	v_bfe_u32 v13, v0, 1, 5
	v_mov_b32_e32 v3, 0
	s_waitcnt lgkmcnt(0)
	s_add_u32 s0, s0, s20
	s_addc_u32 s1, s1, s2
	s_abs_i32 s50, s22
	v_cvt_f32_u32_e32 v2, s50
	v_cmp_eq_u32_e32 vcc, 0, v4
	v_mul_u32_u24_e32 v14, 0x50, v4
	s_mov_b32 s51, s17
	v_rcp_iflag_f32_e32 v5, v2
	v_lshlrev_b32_e32 v2, 4, v13
	v_lshl_add_u64 v[6:7], s[0:1], 0, v[2:3]
	s_sub_i32 s0, 0, s50
	v_mul_f32_e32 v5, 0x4f7ffffe, v5
	v_cvt_u32_f32_e32 v5, v5
	v_lshlrev_b32_e32 v2, 2, v4
	v_cmp_neq_f32_e64 s[2:3], s48, 0
	v_lshlrev_b32_e32 v17, 5, v24
	v_mul_lo_u32 v4, s0, v5
	s_lshl_b64 s[0:1], s[30:31], 2
	v_mul_hi_u32 v4, v5, v4
	s_add_u32 s0, s28, s0
	v_add_u32_e32 v16, v5, v4
	v_lshl_add_u64 v[4:5], v[6:7], 0, v[2:3]
	v_and_b32_e32 v2, 60, v11
	s_addc_u32 s1, s29, s1
	v_lshl_add_u64 v[6:7], s[0:1], 0, v[2:3]
	v_subrev_u32_e32 v2, s33, v13
	v_add_u32_e32 v18, 1, v2
	v_lshlrev_b32_e32 v2, 2, v13
	v_lshl_or_b32 v2, v24, 7, v2
	v_add_u32_e32 v19, 0xb0, v2
	v_mov_b32_e32 v20, 0xff7fffff
	s_mov_b64 s[38:39], 0
	s_movk_i32 s52, 0x80
	s_movk_i32 s53, 0x7f
	s_mov_b32 s54, 0x8000
	s_mov_b32 s55, 0xffffff
	v_mov_b32_e32 v21, 0x2000
	v_mbcnt_hi_u32_b32 v22, -1, v12
	v_mov_b32_e32 v15, 0xff7fffff
	v_mov_b32_e32 v23, v24
	s_branch .LBB254_13
.LBB254_11:                             ;   in Loop: Header=BB254_13 Depth=1
	s_or_b64 exec, exec, s[40:41]
.LBB254_12:                             ;   in Loop: Header=BB254_13 Depth=1
	s_or_b64 exec, exec, s[8:9]
	v_add_u32_e32 v23, 2, v23
	v_cmp_le_i32_e64 s[0:1], s47, v23
	v_lshl_add_u64 v[6:7], v[6:7], 0, 8
	v_add_u32_e32 v17, 64, v17
	s_or_b64 s[38:39], s[0:1], s[38:39]
	v_add_u32_e32 v19, 0x100, v19
	s_andn2_b64 exec, exec, s[38:39]
	s_cbranch_execz .LBB254_260
.LBB254_13:                             ; =>This Inner Loop Header: Depth=1
	v_mul_hi_u32 v2, v17, s46
	s_waitcnt lgkmcnt(0)
	v_mul_lo_u32 v8, v2, s25
	v_sub_u32_e32 v8, v17, v8
	v_add_u32_e32 v9, 1, v2
	v_cmp_le_u32_e64 s[0:1], s25, v8
	s_nop 1
	v_cndmask_b32_e64 v2, v2, v9, s[0:1]
	v_subrev_u32_e32 v9, s25, v8
	v_cndmask_b32_e64 v8, v8, v9, s[0:1]
	v_add_u32_e32 v9, 1, v2
	v_cmp_le_u32_e64 s[0:1], s25, v8
	s_nop 1
	v_cndmask_b32_e64 v2, v2, v9, s[0:1]
	v_xor_b32_e32 v2, s23, v2
	v_subrev_u32_e32 v2, s23, v2
	v_add_u32_e32 v8, s36, v2
	v_sub_u32_e32 v10, 0, v8
	v_ashrrev_i32_e32 v9, 31, v8
	v_max_i32_e32 v8, v8, v10
	v_mul_hi_u32 v10, v8, v16
	v_mul_lo_u32 v10, v10, s50
	v_sub_u32_e32 v8, v8, v10
	v_subrev_u32_e32 v10, s50, v8
	v_cmp_le_u32_e64 s[0:1], s50, v8
	v_cmp_ge_i32_e64 s[8:9], s49, v2
	s_nop 0
	v_cndmask_b32_e64 v8, v8, v10, s[0:1]
	v_subrev_u32_e32 v10, s50, v8
	v_cmp_le_u32_e64 s[0:1], s50, v8
	s_nop 1
	v_cndmask_b32_e64 v8, v8, v10, s[0:1]
	v_xor_b32_e32 v8, v8, v9
	v_sub_u32_e32 v8, v8, v9
	v_cmp_ne_u32_e64 s[0:1], 0, v8
	s_and_b64 s[0:1], s[0:1], s[8:9]
	s_and_saveexec_b64 s[8:9], s[0:1]
	s_xor_b64 s[0:1], exec, s[8:9]
	s_cbranch_execz .LBB254_17
; %bb.14:                               ;   in Loop: Header=BB254_13 Depth=1
	s_and_saveexec_b64 s[8:9], vcc
; %bb.15:                               ;   in Loop: Header=BB254_13 Depth=1
	ds_write_b32 v19, v20
; %bb.16:                               ;   in Loop: Header=BB254_13 Depth=1
	s_or_b64 exec, exec, s[8:9]
.LBB254_17:                             ;   in Loop: Header=BB254_13 Depth=1
	s_andn2_saveexec_b64 s[8:9], s[0:1]
	s_cbranch_execz .LBB254_12
; %bb.18:                               ;   in Loop: Header=BB254_13 Depth=1
	global_load_dword v2, v[6:7], off
	v_mov_b32_e32 v27, 0
	global_load_dword v26, v27, s[12:13]
	v_mov_b32_e32 v28, 0
	s_waitcnt vmcnt(1)
	v_mad_i64_i32 v[8:9], s[0:1], v2, s51, v[4:5]
	global_load_dword v10, v[8:9], off
	s_waitcnt vmcnt(0)
	v_cmp_ne_u16_sdwa s[0:1], v10, v3 src0_sel:BYTE_0 src1_sel:DWORD
	s_and_saveexec_b64 s[40:41], s[0:1]
	s_cbranch_execz .LBB254_24
; %bb.19:                               ;   in Loop: Header=BB254_13 Depth=1
	v_cmp_ne_u16_sdwa s[0:1], v10, s52 src0_sel:BYTE_0 src1_sel:DWORD
	v_mov_b32_e32 v28, 0x8000
	s_and_saveexec_b64 s[42:43], s[0:1]
	s_cbranch_execz .LBB254_23
; %bb.20:                               ;   in Loop: Header=BB254_13 Depth=1
	v_and_b32_e32 v2, 0x7f, v10
	v_cmp_ne_u32_e64 s[0:1], s53, v2
	v_mov_b32_e32 v28, 0x7c01
	s_and_saveexec_b64 s[44:45], s[0:1]
	s_cbranch_execz .LBB254_22
; %bb.21:                               ;   in Loop: Header=BB254_13 Depth=1
	v_and_b32_e32 v30, 7, v10
	v_ffbh_u32_e32 v28, v30
	v_min_u32_e32 v32, 32, v28
	v_subrev_u32_e32 v28, 28, v32
	v_lshlrev_b64 v[28:29], v28, v[10:11]
	v_lshrrev_b32_e32 v31, 3, v2
	v_sub_u32_e32 v29, 29, v32
	v_cmp_gt_u32_e64 s[0:1], 8, v2
	v_and_b32_e32 v28, 7, v28
	s_nop 0
	v_cndmask_b32_e64 v2, v31, v29, s[0:1]
	v_lshl_add_u32 v2, v2, 10, v21
	v_lshlrev_b32_e32 v29, 8, v10
	v_and_b32_e32 v2, 0xfc00, v2
	v_cndmask_b32_e64 v28, v30, v28, s[0:1]
	v_and_or_b32 v2, v29, s54, v2
	v_lshl_or_b32 v28, v28, 7, v2
.LBB254_22:                             ;   in Loop: Header=BB254_13 Depth=1
	s_or_b64 exec, exec, s[44:45]
.LBB254_23:                             ;   in Loop: Header=BB254_13 Depth=1
	s_or_b64 exec, exec, s[42:43]
.LBB254_24:                             ;   in Loop: Header=BB254_13 Depth=1
	s_or_b64 exec, exec, s[40:41]
	v_lshrrev_b16_e32 v2, 8, v10
	v_cmp_ne_u16_e64 s[0:1], 0, v2
	s_and_saveexec_b64 s[40:41], s[0:1]
	s_cbranch_execz .LBB254_30
; %bb.25:                               ;   in Loop: Header=BB254_13 Depth=1
	v_cmp_ne_u16_e64 s[0:1], s52, v2
	v_bfrev_b32_e32 v27, 1
	s_and_saveexec_b64 s[42:43], s[0:1]
	s_cbranch_execz .LBB254_29
; %bb.26:                               ;   in Loop: Header=BB254_13 Depth=1
	v_and_b32_e32 v29, 0x7f, v2
	v_cmp_ne_u32_e64 s[0:1], s53, v29
	v_mov_b32_e32 v27, 0x7c010000
	s_and_saveexec_b64 s[44:45], s[0:1]
	s_cbranch_execz .LBB254_28
; %bb.27:                               ;   in Loop: Header=BB254_13 Depth=1
	v_and_b32_e32 v27, 7, v2
	v_ffbh_u32_e32 v30, v27
	v_min_u32_e32 v33, 32, v30
	v_subrev_u32_e32 v30, 28, v33
	v_lshlrev_b64 v[30:31], v30, v[2:3]
	v_lshrrev_b32_e32 v32, 3, v29
	v_sub_u32_e32 v31, 29, v33
	v_cmp_gt_u32_e64 s[0:1], 8, v29
	v_lshlrev_b32_e32 v2, 8, v2
	v_and_b32_e32 v30, 7, v30
	v_cndmask_b32_e64 v29, v32, v31, s[0:1]
	v_lshl_add_u32 v29, v29, 10, v21
	v_and_or_b32 v2, v2, s54, v29
	v_cndmask_b32_e64 v27, v27, v30, s[0:1]
	v_lshlrev_b32_e32 v2, 16, v2
	v_lshl_or_b32 v27, v27, 23, v2
.LBB254_28:                             ;   in Loop: Header=BB254_13 Depth=1
	s_or_b64 exec, exec, s[44:45]
.LBB254_29:                             ;   in Loop: Header=BB254_13 Depth=1
	s_or_b64 exec, exec, s[42:43]
.LBB254_30:                             ;   in Loop: Header=BB254_13 Depth=1
	s_or_b64 exec, exec, s[40:41]
	v_lshrrev_b32_e32 v2, 16, v10
	v_cmp_ne_u16_sdwa s[0:1], v2, v3 src0_sel:BYTE_0 src1_sel:DWORD
	v_mov_b32_e32 v29, 0
	v_mov_b32_e32 v30, 0
	s_and_saveexec_b64 s[40:41], s[0:1]
	s_cbranch_execz .LBB254_36
; %bb.31:                               ;   in Loop: Header=BB254_13 Depth=1
	v_cmp_ne_u16_sdwa s[0:1], v2, s52 src0_sel:BYTE_0 src1_sel:DWORD
	v_mov_b32_e32 v30, 0x8000
	s_and_saveexec_b64 s[42:43], s[0:1]
	s_cbranch_execz .LBB254_35
; %bb.32:                               ;   in Loop: Header=BB254_13 Depth=1
	v_bfe_u32 v31, v10, 16, 7
	v_cmp_ne_u32_e64 s[0:1], s53, v31
	v_mov_b32_e32 v30, 0x7c01
	s_and_saveexec_b64 s[44:45], s[0:1]
	s_cbranch_execz .LBB254_34
; %bb.33:                               ;   in Loop: Header=BB254_13 Depth=1
	v_and_b32_e32 v30, 7, v2
	v_ffbh_u32_e32 v32, v30
	v_min_u32_e32 v35, 32, v32
	v_subrev_u32_e32 v32, 28, v35
	v_lshlrev_b64 v[32:33], v32, v[2:3]
	v_lshrrev_b32_e32 v34, 3, v31
	v_sub_u32_e32 v33, 29, v35
	v_cmp_gt_u32_e64 s[0:1], 8, v31
	v_lshlrev_b32_e32 v2, 8, v2
	v_and_b32_e32 v32, 7, v32
	v_cndmask_b32_e64 v31, v34, v33, s[0:1]
	v_lshl_add_u32 v31, v31, 10, v21
	v_and_b32_e32 v31, 0xfc00, v31
	v_cndmask_b32_e64 v30, v30, v32, s[0:1]
	v_and_or_b32 v2, v2, s54, v31
	v_lshl_or_b32 v30, v30, 7, v2
.LBB254_34:                             ;   in Loop: Header=BB254_13 Depth=1
	s_or_b64 exec, exec, s[44:45]
.LBB254_35:                             ;   in Loop: Header=BB254_13 Depth=1
	s_or_b64 exec, exec, s[42:43]
.LBB254_36:                             ;   in Loop: Header=BB254_13 Depth=1
	s_or_b64 exec, exec, s[40:41]
	v_cmp_lt_u32_e64 s[0:1], s55, v10
	s_and_saveexec_b64 s[40:41], s[0:1]
	s_cbranch_execz .LBB254_42
; %bb.37:                               ;   in Loop: Header=BB254_13 Depth=1
	v_lshrrev_b32_e32 v2, 24, v10
	v_cmp_ne_u32_e64 s[0:1], s52, v2
	v_bfrev_b32_e32 v29, 1
	s_and_saveexec_b64 s[42:43], s[0:1]
	s_cbranch_execz .LBB254_41
; %bb.38:                               ;   in Loop: Header=BB254_13 Depth=1
	v_and_b32_e32 v10, 0x7f, v2
	v_cmp_ne_u32_e64 s[0:1], s53, v10
	v_mov_b32_e32 v29, 0x7c010000
	s_and_saveexec_b64 s[44:45], s[0:1]
	s_cbranch_execz .LBB254_40
; %bb.39:                               ;   in Loop: Header=BB254_13 Depth=1
	v_and_b32_e32 v29, 7, v2
	v_ffbh_u32_e32 v32, v29
	v_min_u32_e32 v34, 32, v32
	v_subrev_u32_e32 v32, 28, v34
	v_lshlrev_b64 v[32:33], v32, v[2:3]
	v_lshrrev_b32_e32 v31, 3, v10
	v_sub_u32_e32 v33, 29, v34
	v_cmp_gt_u32_e64 s[0:1], 8, v10
	v_lshlrev_b32_e32 v2, 8, v2
	s_nop 0
	v_cndmask_b32_e64 v10, v31, v33, s[0:1]
	v_lshl_add_u32 v10, v10, 10, v21
	v_and_b32_e32 v31, 7, v32
	v_and_or_b32 v2, v2, s54, v10
	v_cndmask_b32_e64 v29, v29, v31, s[0:1]
	v_lshlrev_b32_e32 v2, 16, v2
	v_lshl_or_b32 v29, v29, 23, v2
.LBB254_40:                             ;   in Loop: Header=BB254_13 Depth=1
	s_or_b64 exec, exec, s[44:45]
.LBB254_41:                             ;   in Loop: Header=BB254_13 Depth=1
	s_or_b64 exec, exec, s[42:43]
.LBB254_42:                             ;   in Loop: Header=BB254_13 Depth=1
	s_or_b64 exec, exec, s[40:41]
	global_load_dword v10, v[8:9], off offset:8
	v_mov_b32_e32 v31, 0
	v_mov_b32_e32 v32, 0
	s_waitcnt vmcnt(0)
	v_cmp_ne_u16_sdwa s[0:1], v10, v3 src0_sel:BYTE_0 src1_sel:DWORD
	s_and_saveexec_b64 s[40:41], s[0:1]
	s_cbranch_execz .LBB254_48
; %bb.43:                               ;   in Loop: Header=BB254_13 Depth=1
	v_cmp_ne_u16_sdwa s[0:1], v10, s52 src0_sel:BYTE_0 src1_sel:DWORD
	v_mov_b32_e32 v32, 0x8000
	s_and_saveexec_b64 s[42:43], s[0:1]
	s_cbranch_execz .LBB254_47
; %bb.44:                               ;   in Loop: Header=BB254_13 Depth=1
	v_and_b32_e32 v2, 0x7f, v10
	v_cmp_ne_u32_e64 s[0:1], s53, v2
	v_mov_b32_e32 v32, 0x7c01
	s_and_saveexec_b64 s[44:45], s[0:1]
	s_cbranch_execz .LBB254_46
; %bb.45:                               ;   in Loop: Header=BB254_13 Depth=1
	v_and_b32_e32 v34, 7, v10
	v_ffbh_u32_e32 v32, v34
	v_min_u32_e32 v36, 32, v32
	v_subrev_u32_e32 v32, 28, v36
	v_lshlrev_b64 v[32:33], v32, v[10:11]
	v_lshrrev_b32_e32 v35, 3, v2
	v_sub_u32_e32 v33, 29, v36
	v_cmp_gt_u32_e64 s[0:1], 8, v2
	v_and_b32_e32 v32, 7, v32
	s_nop 0
	v_cndmask_b32_e64 v2, v35, v33, s[0:1]
	v_lshl_add_u32 v2, v2, 10, v21
	v_lshlrev_b32_e32 v33, 8, v10
	v_and_b32_e32 v2, 0xfc00, v2
	v_cndmask_b32_e64 v32, v34, v32, s[0:1]
	v_and_or_b32 v2, v33, s54, v2
	v_lshl_or_b32 v32, v32, 7, v2
.LBB254_46:                             ;   in Loop: Header=BB254_13 Depth=1
	s_or_b64 exec, exec, s[44:45]
.LBB254_47:                             ;   in Loop: Header=BB254_13 Depth=1
	s_or_b64 exec, exec, s[42:43]
.LBB254_48:                             ;   in Loop: Header=BB254_13 Depth=1
	s_or_b64 exec, exec, s[40:41]
	v_lshrrev_b16_e32 v2, 8, v10
	v_cmp_ne_u16_e64 s[0:1], 0, v2
	s_and_saveexec_b64 s[40:41], s[0:1]
	s_cbranch_execz .LBB254_54
; %bb.49:                               ;   in Loop: Header=BB254_13 Depth=1
	v_cmp_ne_u16_e64 s[0:1], s52, v2
	v_bfrev_b32_e32 v31, 1
	s_and_saveexec_b64 s[42:43], s[0:1]
	s_cbranch_execz .LBB254_53
; %bb.50:                               ;   in Loop: Header=BB254_13 Depth=1
	v_and_b32_e32 v33, 0x7f, v2
	v_cmp_ne_u32_e64 s[0:1], s53, v33
	v_mov_b32_e32 v31, 0x7c010000
	s_and_saveexec_b64 s[44:45], s[0:1]
	s_cbranch_execz .LBB254_52
; %bb.51:                               ;   in Loop: Header=BB254_13 Depth=1
	v_and_b32_e32 v31, 7, v2
	v_ffbh_u32_e32 v34, v31
	v_min_u32_e32 v37, 32, v34
	v_subrev_u32_e32 v34, 28, v37
	v_lshlrev_b64 v[34:35], v34, v[2:3]
	v_lshrrev_b32_e32 v36, 3, v33
	v_sub_u32_e32 v35, 29, v37
	v_cmp_gt_u32_e64 s[0:1], 8, v33
	v_lshlrev_b32_e32 v2, 8, v2
	v_and_b32_e32 v34, 7, v34
	v_cndmask_b32_e64 v33, v36, v35, s[0:1]
	v_lshl_add_u32 v33, v33, 10, v21
	v_and_or_b32 v2, v2, s54, v33
	v_cndmask_b32_e64 v31, v31, v34, s[0:1]
	v_lshlrev_b32_e32 v2, 16, v2
	v_lshl_or_b32 v31, v31, 23, v2
.LBB254_52:                             ;   in Loop: Header=BB254_13 Depth=1
	s_or_b64 exec, exec, s[44:45]
.LBB254_53:                             ;   in Loop: Header=BB254_13 Depth=1
	s_or_b64 exec, exec, s[42:43]
.LBB254_54:                             ;   in Loop: Header=BB254_13 Depth=1
	s_or_b64 exec, exec, s[40:41]
	v_lshrrev_b32_e32 v2, 16, v10
	v_cmp_ne_u16_sdwa s[0:1], v2, v3 src0_sel:BYTE_0 src1_sel:DWORD
	v_mov_b32_e32 v33, 0
	v_mov_b32_e32 v34, 0
	s_and_saveexec_b64 s[40:41], s[0:1]
	s_cbranch_execz .LBB254_60
; %bb.55:                               ;   in Loop: Header=BB254_13 Depth=1
	v_cmp_ne_u16_sdwa s[0:1], v2, s52 src0_sel:BYTE_0 src1_sel:DWORD
	v_mov_b32_e32 v34, 0x8000
	s_and_saveexec_b64 s[42:43], s[0:1]
	s_cbranch_execz .LBB254_59
; %bb.56:                               ;   in Loop: Header=BB254_13 Depth=1
	v_bfe_u32 v35, v10, 16, 7
	v_cmp_ne_u32_e64 s[0:1], s53, v35
	v_mov_b32_e32 v34, 0x7c01
	s_and_saveexec_b64 s[44:45], s[0:1]
	s_cbranch_execz .LBB254_58
; %bb.57:                               ;   in Loop: Header=BB254_13 Depth=1
	v_and_b32_e32 v34, 7, v2
	v_ffbh_u32_e32 v36, v34
	v_min_u32_e32 v39, 32, v36
	v_subrev_u32_e32 v36, 28, v39
	v_lshlrev_b64 v[36:37], v36, v[2:3]
	v_lshrrev_b32_e32 v38, 3, v35
	v_sub_u32_e32 v37, 29, v39
	v_cmp_gt_u32_e64 s[0:1], 8, v35
	v_lshlrev_b32_e32 v2, 8, v2
	v_and_b32_e32 v36, 7, v36
	v_cndmask_b32_e64 v35, v38, v37, s[0:1]
	v_lshl_add_u32 v35, v35, 10, v21
	v_and_b32_e32 v35, 0xfc00, v35
	v_cndmask_b32_e64 v34, v34, v36, s[0:1]
	v_and_or_b32 v2, v2, s54, v35
	v_lshl_or_b32 v34, v34, 7, v2
.LBB254_58:                             ;   in Loop: Header=BB254_13 Depth=1
	s_or_b64 exec, exec, s[44:45]
.LBB254_59:                             ;   in Loop: Header=BB254_13 Depth=1
	s_or_b64 exec, exec, s[42:43]
.LBB254_60:                             ;   in Loop: Header=BB254_13 Depth=1
	s_or_b64 exec, exec, s[40:41]
	v_cmp_lt_u32_e64 s[0:1], s55, v10
	s_and_saveexec_b64 s[40:41], s[0:1]
	s_cbranch_execz .LBB254_66
; %bb.61:                               ;   in Loop: Header=BB254_13 Depth=1
	v_lshrrev_b32_e32 v2, 24, v10
	v_cmp_ne_u32_e64 s[0:1], s52, v2
	v_bfrev_b32_e32 v33, 1
	s_and_saveexec_b64 s[42:43], s[0:1]
	s_cbranch_execz .LBB254_65
; %bb.62:                               ;   in Loop: Header=BB254_13 Depth=1
	v_and_b32_e32 v10, 0x7f, v2
	v_cmp_ne_u32_e64 s[0:1], s53, v10
	v_mov_b32_e32 v33, 0x7c010000
	s_and_saveexec_b64 s[44:45], s[0:1]
	s_cbranch_execz .LBB254_64
; %bb.63:                               ;   in Loop: Header=BB254_13 Depth=1
	v_and_b32_e32 v33, 7, v2
	v_ffbh_u32_e32 v36, v33
	v_min_u32_e32 v38, 32, v36
	v_subrev_u32_e32 v36, 28, v38
	v_lshlrev_b64 v[36:37], v36, v[2:3]
	v_lshrrev_b32_e32 v35, 3, v10
	v_sub_u32_e32 v37, 29, v38
	v_cmp_gt_u32_e64 s[0:1], 8, v10
	v_lshlrev_b32_e32 v2, 8, v2
	s_nop 0
	v_cndmask_b32_e64 v10, v35, v37, s[0:1]
	v_lshl_add_u32 v10, v10, 10, v21
	v_and_b32_e32 v35, 7, v36
	v_and_or_b32 v2, v2, s54, v10
	v_cndmask_b32_e64 v33, v33, v35, s[0:1]
	v_lshlrev_b32_e32 v2, 16, v2
	v_lshl_or_b32 v33, v33, 23, v2
.LBB254_64:                             ;   in Loop: Header=BB254_13 Depth=1
	s_or_b64 exec, exec, s[44:45]
.LBB254_65:                             ;   in Loop: Header=BB254_13 Depth=1
	s_or_b64 exec, exec, s[42:43]
.LBB254_66:                             ;   in Loop: Header=BB254_13 Depth=1
	s_or_b64 exec, exec, s[40:41]
	global_load_dword v10, v[8:9], off offset:512
	v_mov_b32_e32 v35, 0
	v_mov_b32_e32 v36, 0
	s_waitcnt vmcnt(0)
	v_cmp_ne_u16_sdwa s[0:1], v10, v3 src0_sel:BYTE_0 src1_sel:DWORD
	s_and_saveexec_b64 s[40:41], s[0:1]
	s_cbranch_execz .LBB254_72
; %bb.67:                               ;   in Loop: Header=BB254_13 Depth=1
	v_cmp_ne_u16_sdwa s[0:1], v10, s52 src0_sel:BYTE_0 src1_sel:DWORD
	v_mov_b32_e32 v36, 0x8000
	s_and_saveexec_b64 s[42:43], s[0:1]
	s_cbranch_execz .LBB254_71
; %bb.68:                               ;   in Loop: Header=BB254_13 Depth=1
	v_and_b32_e32 v2, 0x7f, v10
	v_cmp_ne_u32_e64 s[0:1], s53, v2
	v_mov_b32_e32 v36, 0x7c01
	s_and_saveexec_b64 s[44:45], s[0:1]
	s_cbranch_execz .LBB254_70
; %bb.69:                               ;   in Loop: Header=BB254_13 Depth=1
	v_and_b32_e32 v38, 7, v10
	v_ffbh_u32_e32 v36, v38
	v_min_u32_e32 v40, 32, v36
	v_subrev_u32_e32 v36, 28, v40
	v_lshlrev_b64 v[36:37], v36, v[10:11]
	v_lshrrev_b32_e32 v39, 3, v2
	v_sub_u32_e32 v37, 29, v40
	v_cmp_gt_u32_e64 s[0:1], 8, v2
	v_and_b32_e32 v36, 7, v36
	s_nop 0
	v_cndmask_b32_e64 v2, v39, v37, s[0:1]
	v_lshl_add_u32 v2, v2, 10, v21
	v_lshlrev_b32_e32 v37, 8, v10
	v_and_b32_e32 v2, 0xfc00, v2
	v_cndmask_b32_e64 v36, v38, v36, s[0:1]
	v_and_or_b32 v2, v37, s54, v2
	v_lshl_or_b32 v36, v36, 7, v2
.LBB254_70:                             ;   in Loop: Header=BB254_13 Depth=1
	s_or_b64 exec, exec, s[44:45]
.LBB254_71:                             ;   in Loop: Header=BB254_13 Depth=1
	s_or_b64 exec, exec, s[42:43]
.LBB254_72:                             ;   in Loop: Header=BB254_13 Depth=1
	s_or_b64 exec, exec, s[40:41]
	v_lshrrev_b16_e32 v2, 8, v10
	v_cmp_ne_u16_e64 s[0:1], 0, v2
	s_and_saveexec_b64 s[40:41], s[0:1]
	s_cbranch_execz .LBB254_78
; %bb.73:                               ;   in Loop: Header=BB254_13 Depth=1
	v_cmp_ne_u16_e64 s[0:1], s52, v2
	v_bfrev_b32_e32 v35, 1
	s_and_saveexec_b64 s[42:43], s[0:1]
	s_cbranch_execz .LBB254_77
; %bb.74:                               ;   in Loop: Header=BB254_13 Depth=1
	v_and_b32_e32 v37, 0x7f, v2
	v_cmp_ne_u32_e64 s[0:1], s53, v37
	v_mov_b32_e32 v35, 0x7c010000
	s_and_saveexec_b64 s[44:45], s[0:1]
	s_cbranch_execz .LBB254_76
; %bb.75:                               ;   in Loop: Header=BB254_13 Depth=1
	v_and_b32_e32 v35, 7, v2
	v_ffbh_u32_e32 v38, v35
	v_min_u32_e32 v41, 32, v38
	v_subrev_u32_e32 v38, 28, v41
	v_lshlrev_b64 v[38:39], v38, v[2:3]
	v_lshrrev_b32_e32 v40, 3, v37
	v_sub_u32_e32 v39, 29, v41
	v_cmp_gt_u32_e64 s[0:1], 8, v37
	v_lshlrev_b32_e32 v2, 8, v2
	v_and_b32_e32 v38, 7, v38
	v_cndmask_b32_e64 v37, v40, v39, s[0:1]
	v_lshl_add_u32 v37, v37, 10, v21
	v_and_or_b32 v2, v2, s54, v37
	v_cndmask_b32_e64 v35, v35, v38, s[0:1]
	v_lshlrev_b32_e32 v2, 16, v2
	v_lshl_or_b32 v35, v35, 23, v2
.LBB254_76:                             ;   in Loop: Header=BB254_13 Depth=1
	s_or_b64 exec, exec, s[44:45]
.LBB254_77:                             ;   in Loop: Header=BB254_13 Depth=1
	s_or_b64 exec, exec, s[42:43]
.LBB254_78:                             ;   in Loop: Header=BB254_13 Depth=1
	s_or_b64 exec, exec, s[40:41]
	v_lshrrev_b32_e32 v2, 16, v10
	v_cmp_ne_u16_sdwa s[0:1], v2, v3 src0_sel:BYTE_0 src1_sel:DWORD
	v_mov_b32_e32 v37, 0
	v_mov_b32_e32 v38, 0
	s_and_saveexec_b64 s[40:41], s[0:1]
	s_cbranch_execz .LBB254_84
; %bb.79:                               ;   in Loop: Header=BB254_13 Depth=1
	v_cmp_ne_u16_sdwa s[0:1], v2, s52 src0_sel:BYTE_0 src1_sel:DWORD
	v_mov_b32_e32 v38, 0x8000
	s_and_saveexec_b64 s[42:43], s[0:1]
	s_cbranch_execz .LBB254_83
; %bb.80:                               ;   in Loop: Header=BB254_13 Depth=1
	v_bfe_u32 v39, v10, 16, 7
	v_cmp_ne_u32_e64 s[0:1], s53, v39
	v_mov_b32_e32 v38, 0x7c01
	s_and_saveexec_b64 s[44:45], s[0:1]
	s_cbranch_execz .LBB254_82
; %bb.81:                               ;   in Loop: Header=BB254_13 Depth=1
	v_and_b32_e32 v38, 7, v2
	v_ffbh_u32_e32 v40, v38
	v_min_u32_e32 v43, 32, v40
	v_subrev_u32_e32 v40, 28, v43
	v_lshlrev_b64 v[40:41], v40, v[2:3]
	v_lshrrev_b32_e32 v42, 3, v39
	v_sub_u32_e32 v41, 29, v43
	v_cmp_gt_u32_e64 s[0:1], 8, v39
	v_lshlrev_b32_e32 v2, 8, v2
	v_and_b32_e32 v40, 7, v40
	v_cndmask_b32_e64 v39, v42, v41, s[0:1]
	v_lshl_add_u32 v39, v39, 10, v21
	v_and_b32_e32 v39, 0xfc00, v39
	v_cndmask_b32_e64 v38, v38, v40, s[0:1]
	v_and_or_b32 v2, v2, s54, v39
	v_lshl_or_b32 v38, v38, 7, v2
.LBB254_82:                             ;   in Loop: Header=BB254_13 Depth=1
	s_or_b64 exec, exec, s[44:45]
.LBB254_83:                             ;   in Loop: Header=BB254_13 Depth=1
	s_or_b64 exec, exec, s[42:43]
.LBB254_84:                             ;   in Loop: Header=BB254_13 Depth=1
	s_or_b64 exec, exec, s[40:41]
	v_cmp_lt_u32_e64 s[0:1], s55, v10
	s_and_saveexec_b64 s[40:41], s[0:1]
	s_cbranch_execz .LBB254_90
; %bb.85:                               ;   in Loop: Header=BB254_13 Depth=1
	v_lshrrev_b32_e32 v2, 24, v10
	v_cmp_ne_u32_e64 s[0:1], s52, v2
	v_bfrev_b32_e32 v37, 1
	s_and_saveexec_b64 s[42:43], s[0:1]
	s_cbranch_execz .LBB254_89
; %bb.86:                               ;   in Loop: Header=BB254_13 Depth=1
	v_and_b32_e32 v10, 0x7f, v2
	v_cmp_ne_u32_e64 s[0:1], s53, v10
	v_mov_b32_e32 v37, 0x7c010000
	s_and_saveexec_b64 s[44:45], s[0:1]
	s_cbranch_execz .LBB254_88
; %bb.87:                               ;   in Loop: Header=BB254_13 Depth=1
	v_and_b32_e32 v37, 7, v2
	v_ffbh_u32_e32 v40, v37
	v_min_u32_e32 v42, 32, v40
	v_subrev_u32_e32 v40, 28, v42
	v_lshlrev_b64 v[40:41], v40, v[2:3]
	v_lshrrev_b32_e32 v39, 3, v10
	v_sub_u32_e32 v41, 29, v42
	v_cmp_gt_u32_e64 s[0:1], 8, v10
	v_lshlrev_b32_e32 v2, 8, v2
	s_nop 0
	v_cndmask_b32_e64 v10, v39, v41, s[0:1]
	v_lshl_add_u32 v10, v10, 10, v21
	v_and_b32_e32 v39, 7, v40
	v_and_or_b32 v2, v2, s54, v10
	v_cndmask_b32_e64 v37, v37, v39, s[0:1]
	v_lshlrev_b32_e32 v2, 16, v2
	v_lshl_or_b32 v37, v37, 23, v2
.LBB254_88:                             ;   in Loop: Header=BB254_13 Depth=1
	s_or_b64 exec, exec, s[44:45]
.LBB254_89:                             ;   in Loop: Header=BB254_13 Depth=1
	s_or_b64 exec, exec, s[42:43]
.LBB254_90:                             ;   in Loop: Header=BB254_13 Depth=1
	s_or_b64 exec, exec, s[40:41]
	global_load_dword v10, v[8:9], off offset:520
	v_mov_b32_e32 v39, 0
	v_mov_b32_e32 v40, 0
	s_waitcnt vmcnt(0)
	v_cmp_ne_u16_sdwa s[0:1], v10, v3 src0_sel:BYTE_0 src1_sel:DWORD
	s_and_saveexec_b64 s[40:41], s[0:1]
	s_cbranch_execz .LBB254_96
; %bb.91:                               ;   in Loop: Header=BB254_13 Depth=1
	v_cmp_ne_u16_sdwa s[0:1], v10, s52 src0_sel:BYTE_0 src1_sel:DWORD
	v_mov_b32_e32 v40, 0x8000
	s_and_saveexec_b64 s[42:43], s[0:1]
	s_cbranch_execz .LBB254_95
; %bb.92:                               ;   in Loop: Header=BB254_13 Depth=1
	v_and_b32_e32 v2, 0x7f, v10
	v_cmp_ne_u32_e64 s[0:1], s53, v2
	v_mov_b32_e32 v40, 0x7c01
	s_and_saveexec_b64 s[44:45], s[0:1]
	s_cbranch_execz .LBB254_94
; %bb.93:                               ;   in Loop: Header=BB254_13 Depth=1
	v_and_b32_e32 v42, 7, v10
	v_ffbh_u32_e32 v40, v42
	v_min_u32_e32 v44, 32, v40
	v_subrev_u32_e32 v40, 28, v44
	v_lshlrev_b64 v[40:41], v40, v[10:11]
	v_lshrrev_b32_e32 v43, 3, v2
	v_sub_u32_e32 v41, 29, v44
	v_cmp_gt_u32_e64 s[0:1], 8, v2
	v_and_b32_e32 v40, 7, v40
	s_nop 0
	v_cndmask_b32_e64 v2, v43, v41, s[0:1]
	v_lshl_add_u32 v2, v2, 10, v21
	v_lshlrev_b32_e32 v41, 8, v10
	v_and_b32_e32 v2, 0xfc00, v2
	v_cndmask_b32_e64 v40, v42, v40, s[0:1]
	v_and_or_b32 v2, v41, s54, v2
	v_lshl_or_b32 v40, v40, 7, v2
.LBB254_94:                             ;   in Loop: Header=BB254_13 Depth=1
	s_or_b64 exec, exec, s[44:45]
.LBB254_95:                             ;   in Loop: Header=BB254_13 Depth=1
	s_or_b64 exec, exec, s[42:43]
.LBB254_96:                             ;   in Loop: Header=BB254_13 Depth=1
	s_or_b64 exec, exec, s[40:41]
	v_lshrrev_b16_e32 v2, 8, v10
	v_cmp_ne_u16_e64 s[0:1], 0, v2
	s_and_saveexec_b64 s[40:41], s[0:1]
	s_cbranch_execz .LBB254_102
; %bb.97:                               ;   in Loop: Header=BB254_13 Depth=1
	v_cmp_ne_u16_e64 s[0:1], s52, v2
	v_bfrev_b32_e32 v39, 1
	s_and_saveexec_b64 s[42:43], s[0:1]
	s_cbranch_execz .LBB254_101
; %bb.98:                               ;   in Loop: Header=BB254_13 Depth=1
	v_and_b32_e32 v41, 0x7f, v2
	v_cmp_ne_u32_e64 s[0:1], s53, v41
	v_mov_b32_e32 v39, 0x7c010000
	s_and_saveexec_b64 s[44:45], s[0:1]
	s_cbranch_execz .LBB254_100
; %bb.99:                               ;   in Loop: Header=BB254_13 Depth=1
	v_and_b32_e32 v39, 7, v2
	v_ffbh_u32_e32 v42, v39
	v_min_u32_e32 v45, 32, v42
	v_subrev_u32_e32 v42, 28, v45
	v_lshlrev_b64 v[42:43], v42, v[2:3]
	v_lshrrev_b32_e32 v44, 3, v41
	v_sub_u32_e32 v43, 29, v45
	v_cmp_gt_u32_e64 s[0:1], 8, v41
	v_lshlrev_b32_e32 v2, 8, v2
	v_and_b32_e32 v42, 7, v42
	v_cndmask_b32_e64 v41, v44, v43, s[0:1]
	v_lshl_add_u32 v41, v41, 10, v21
	v_and_or_b32 v2, v2, s54, v41
	v_cndmask_b32_e64 v39, v39, v42, s[0:1]
	v_lshlrev_b32_e32 v2, 16, v2
	v_lshl_or_b32 v39, v39, 23, v2
.LBB254_100:                            ;   in Loop: Header=BB254_13 Depth=1
	s_or_b64 exec, exec, s[44:45]
.LBB254_101:                            ;   in Loop: Header=BB254_13 Depth=1
	s_or_b64 exec, exec, s[42:43]
.LBB254_102:                            ;   in Loop: Header=BB254_13 Depth=1
	s_or_b64 exec, exec, s[40:41]
	v_lshrrev_b32_e32 v2, 16, v10
	v_cmp_ne_u16_sdwa s[0:1], v2, v3 src0_sel:BYTE_0 src1_sel:DWORD
	v_mov_b32_e32 v41, 0
	v_mov_b32_e32 v42, 0
	s_and_saveexec_b64 s[40:41], s[0:1]
	s_cbranch_execz .LBB254_108
; %bb.103:                              ;   in Loop: Header=BB254_13 Depth=1
	v_cmp_ne_u16_sdwa s[0:1], v2, s52 src0_sel:BYTE_0 src1_sel:DWORD
	v_mov_b32_e32 v42, 0x8000
	s_and_saveexec_b64 s[42:43], s[0:1]
	s_cbranch_execz .LBB254_107
; %bb.104:                              ;   in Loop: Header=BB254_13 Depth=1
	v_bfe_u32 v43, v10, 16, 7
	v_cmp_ne_u32_e64 s[0:1], s53, v43
	v_mov_b32_e32 v42, 0x7c01
	s_and_saveexec_b64 s[44:45], s[0:1]
	s_cbranch_execz .LBB254_106
; %bb.105:                              ;   in Loop: Header=BB254_13 Depth=1
	v_and_b32_e32 v42, 7, v2
	v_ffbh_u32_e32 v44, v42
	v_min_u32_e32 v47, 32, v44
	v_subrev_u32_e32 v44, 28, v47
	v_lshlrev_b64 v[44:45], v44, v[2:3]
	v_lshrrev_b32_e32 v46, 3, v43
	v_sub_u32_e32 v45, 29, v47
	v_cmp_gt_u32_e64 s[0:1], 8, v43
	v_lshlrev_b32_e32 v2, 8, v2
	v_and_b32_e32 v44, 7, v44
	v_cndmask_b32_e64 v43, v46, v45, s[0:1]
	v_lshl_add_u32 v43, v43, 10, v21
	v_and_b32_e32 v43, 0xfc00, v43
	v_cndmask_b32_e64 v42, v42, v44, s[0:1]
	v_and_or_b32 v2, v2, s54, v43
	v_lshl_or_b32 v42, v42, 7, v2
.LBB254_106:                            ;   in Loop: Header=BB254_13 Depth=1
	s_or_b64 exec, exec, s[44:45]
.LBB254_107:                            ;   in Loop: Header=BB254_13 Depth=1
	s_or_b64 exec, exec, s[42:43]
.LBB254_108:                            ;   in Loop: Header=BB254_13 Depth=1
	s_or_b64 exec, exec, s[40:41]
	v_cmp_lt_u32_e64 s[0:1], s55, v10
	s_and_saveexec_b64 s[40:41], s[0:1]
	s_cbranch_execz .LBB254_114
; %bb.109:                              ;   in Loop: Header=BB254_13 Depth=1
	v_lshrrev_b32_e32 v2, 24, v10
	v_cmp_ne_u32_e64 s[0:1], s52, v2
	v_bfrev_b32_e32 v41, 1
	s_and_saveexec_b64 s[42:43], s[0:1]
	s_cbranch_execz .LBB254_113
; %bb.110:                              ;   in Loop: Header=BB254_13 Depth=1
	v_and_b32_e32 v10, 0x7f, v2
	v_cmp_ne_u32_e64 s[0:1], s53, v10
	v_mov_b32_e32 v41, 0x7c010000
	s_and_saveexec_b64 s[44:45], s[0:1]
	s_cbranch_execz .LBB254_112
; %bb.111:                              ;   in Loop: Header=BB254_13 Depth=1
	v_and_b32_e32 v41, 7, v2
	v_ffbh_u32_e32 v44, v41
	v_min_u32_e32 v46, 32, v44
	v_subrev_u32_e32 v44, 28, v46
	v_lshlrev_b64 v[44:45], v44, v[2:3]
	v_lshrrev_b32_e32 v43, 3, v10
	v_sub_u32_e32 v45, 29, v46
	v_cmp_gt_u32_e64 s[0:1], 8, v10
	v_lshlrev_b32_e32 v2, 8, v2
	s_nop 0
	v_cndmask_b32_e64 v10, v43, v45, s[0:1]
	v_lshl_add_u32 v10, v10, 10, v21
	v_and_b32_e32 v43, 7, v44
	v_and_or_b32 v2, v2, s54, v10
	v_cndmask_b32_e64 v41, v41, v43, s[0:1]
	v_lshlrev_b32_e32 v2, 16, v2
	v_lshl_or_b32 v41, v41, 23, v2
.LBB254_112:                            ;   in Loop: Header=BB254_13 Depth=1
	s_or_b64 exec, exec, s[44:45]
.LBB254_113:                            ;   in Loop: Header=BB254_13 Depth=1
	s_or_b64 exec, exec, s[42:43]
.LBB254_114:                            ;   in Loop: Header=BB254_13 Depth=1
	s_or_b64 exec, exec, s[40:41]
	global_load_dword v10, v[8:9], off offset:1024
	v_mov_b32_e32 v43, 0
	v_mov_b32_e32 v44, 0
	s_waitcnt vmcnt(0)
	v_cmp_ne_u16_sdwa s[0:1], v10, v3 src0_sel:BYTE_0 src1_sel:DWORD
	s_and_saveexec_b64 s[40:41], s[0:1]
	s_cbranch_execz .LBB254_120
; %bb.115:                              ;   in Loop: Header=BB254_13 Depth=1
	v_cmp_ne_u16_sdwa s[0:1], v10, s52 src0_sel:BYTE_0 src1_sel:DWORD
	v_mov_b32_e32 v44, 0x8000
	s_and_saveexec_b64 s[42:43], s[0:1]
	s_cbranch_execz .LBB254_119
; %bb.116:                              ;   in Loop: Header=BB254_13 Depth=1
	v_and_b32_e32 v2, 0x7f, v10
	v_cmp_ne_u32_e64 s[0:1], s53, v2
	v_mov_b32_e32 v44, 0x7c01
	s_and_saveexec_b64 s[44:45], s[0:1]
	s_cbranch_execz .LBB254_118
; %bb.117:                              ;   in Loop: Header=BB254_13 Depth=1
	v_and_b32_e32 v46, 7, v10
	v_ffbh_u32_e32 v44, v46
	v_min_u32_e32 v48, 32, v44
	v_subrev_u32_e32 v44, 28, v48
	v_lshlrev_b64 v[44:45], v44, v[10:11]
	v_lshrrev_b32_e32 v47, 3, v2
	v_sub_u32_e32 v45, 29, v48
	v_cmp_gt_u32_e64 s[0:1], 8, v2
	v_and_b32_e32 v44, 7, v44
	s_nop 0
	v_cndmask_b32_e64 v2, v47, v45, s[0:1]
	v_lshl_add_u32 v2, v2, 10, v21
	v_lshlrev_b32_e32 v45, 8, v10
	v_and_b32_e32 v2, 0xfc00, v2
	v_cndmask_b32_e64 v44, v46, v44, s[0:1]
	v_and_or_b32 v2, v45, s54, v2
	v_lshl_or_b32 v44, v44, 7, v2
.LBB254_118:                            ;   in Loop: Header=BB254_13 Depth=1
	s_or_b64 exec, exec, s[44:45]
.LBB254_119:                            ;   in Loop: Header=BB254_13 Depth=1
	s_or_b64 exec, exec, s[42:43]
.LBB254_120:                            ;   in Loop: Header=BB254_13 Depth=1
	s_or_b64 exec, exec, s[40:41]
	v_lshrrev_b16_e32 v2, 8, v10
	v_cmp_ne_u16_e64 s[0:1], 0, v2
	s_and_saveexec_b64 s[40:41], s[0:1]
	s_cbranch_execz .LBB254_126
; %bb.121:                              ;   in Loop: Header=BB254_13 Depth=1
	v_cmp_ne_u16_e64 s[0:1], s52, v2
	v_bfrev_b32_e32 v43, 1
	s_and_saveexec_b64 s[42:43], s[0:1]
	s_cbranch_execz .LBB254_125
; %bb.122:                              ;   in Loop: Header=BB254_13 Depth=1
	v_and_b32_e32 v45, 0x7f, v2
	v_cmp_ne_u32_e64 s[0:1], s53, v45
	v_mov_b32_e32 v43, 0x7c010000
	s_and_saveexec_b64 s[44:45], s[0:1]
	s_cbranch_execz .LBB254_124
; %bb.123:                              ;   in Loop: Header=BB254_13 Depth=1
	v_and_b32_e32 v43, 7, v2
	v_ffbh_u32_e32 v46, v43
	v_min_u32_e32 v49, 32, v46
	v_subrev_u32_e32 v46, 28, v49
	v_lshlrev_b64 v[46:47], v46, v[2:3]
	v_lshrrev_b32_e32 v48, 3, v45
	v_sub_u32_e32 v47, 29, v49
	v_cmp_gt_u32_e64 s[0:1], 8, v45
	v_lshlrev_b32_e32 v2, 8, v2
	v_and_b32_e32 v46, 7, v46
	v_cndmask_b32_e64 v45, v48, v47, s[0:1]
	v_lshl_add_u32 v45, v45, 10, v21
	v_and_or_b32 v2, v2, s54, v45
	v_cndmask_b32_e64 v43, v43, v46, s[0:1]
	v_lshlrev_b32_e32 v2, 16, v2
	v_lshl_or_b32 v43, v43, 23, v2
.LBB254_124:                            ;   in Loop: Header=BB254_13 Depth=1
	s_or_b64 exec, exec, s[44:45]
.LBB254_125:                            ;   in Loop: Header=BB254_13 Depth=1
	s_or_b64 exec, exec, s[42:43]
.LBB254_126:                            ;   in Loop: Header=BB254_13 Depth=1
	s_or_b64 exec, exec, s[40:41]
	v_lshrrev_b32_e32 v2, 16, v10
	v_cmp_ne_u16_sdwa s[0:1], v2, v3 src0_sel:BYTE_0 src1_sel:DWORD
	v_mov_b32_e32 v45, 0
	v_mov_b32_e32 v46, 0
	s_and_saveexec_b64 s[40:41], s[0:1]
	s_cbranch_execz .LBB254_132
; %bb.127:                              ;   in Loop: Header=BB254_13 Depth=1
	v_cmp_ne_u16_sdwa s[0:1], v2, s52 src0_sel:BYTE_0 src1_sel:DWORD
	v_mov_b32_e32 v46, 0x8000
	s_and_saveexec_b64 s[42:43], s[0:1]
	s_cbranch_execz .LBB254_131
; %bb.128:                              ;   in Loop: Header=BB254_13 Depth=1
	v_bfe_u32 v47, v10, 16, 7
	v_cmp_ne_u32_e64 s[0:1], s53, v47
	v_mov_b32_e32 v46, 0x7c01
	s_and_saveexec_b64 s[44:45], s[0:1]
	s_cbranch_execz .LBB254_130
; %bb.129:                              ;   in Loop: Header=BB254_13 Depth=1
	v_and_b32_e32 v46, 7, v2
	v_ffbh_u32_e32 v48, v46
	v_min_u32_e32 v51, 32, v48
	v_subrev_u32_e32 v48, 28, v51
	v_lshlrev_b64 v[48:49], v48, v[2:3]
	v_lshrrev_b32_e32 v50, 3, v47
	v_sub_u32_e32 v49, 29, v51
	v_cmp_gt_u32_e64 s[0:1], 8, v47
	v_lshlrev_b32_e32 v2, 8, v2
	v_and_b32_e32 v48, 7, v48
	v_cndmask_b32_e64 v47, v50, v49, s[0:1]
	v_lshl_add_u32 v47, v47, 10, v21
	v_and_b32_e32 v47, 0xfc00, v47
	v_cndmask_b32_e64 v46, v46, v48, s[0:1]
	v_and_or_b32 v2, v2, s54, v47
	v_lshl_or_b32 v46, v46, 7, v2
.LBB254_130:                            ;   in Loop: Header=BB254_13 Depth=1
	s_or_b64 exec, exec, s[44:45]
.LBB254_131:                            ;   in Loop: Header=BB254_13 Depth=1
	s_or_b64 exec, exec, s[42:43]
.LBB254_132:                            ;   in Loop: Header=BB254_13 Depth=1
	s_or_b64 exec, exec, s[40:41]
	v_cmp_lt_u32_e64 s[0:1], s55, v10
	s_and_saveexec_b64 s[40:41], s[0:1]
	s_cbranch_execz .LBB254_138
; %bb.133:                              ;   in Loop: Header=BB254_13 Depth=1
	v_lshrrev_b32_e32 v2, 24, v10
	v_cmp_ne_u32_e64 s[0:1], s52, v2
	v_bfrev_b32_e32 v45, 1
	s_and_saveexec_b64 s[42:43], s[0:1]
	s_cbranch_execz .LBB254_137
; %bb.134:                              ;   in Loop: Header=BB254_13 Depth=1
	v_and_b32_e32 v10, 0x7f, v2
	v_cmp_ne_u32_e64 s[0:1], s53, v10
	v_mov_b32_e32 v45, 0x7c010000
	s_and_saveexec_b64 s[44:45], s[0:1]
	s_cbranch_execz .LBB254_136
; %bb.135:                              ;   in Loop: Header=BB254_13 Depth=1
	v_and_b32_e32 v45, 7, v2
	v_ffbh_u32_e32 v48, v45
	v_min_u32_e32 v50, 32, v48
	v_subrev_u32_e32 v48, 28, v50
	v_lshlrev_b64 v[48:49], v48, v[2:3]
	v_lshrrev_b32_e32 v47, 3, v10
	v_sub_u32_e32 v49, 29, v50
	v_cmp_gt_u32_e64 s[0:1], 8, v10
	v_lshlrev_b32_e32 v2, 8, v2
	s_nop 0
	v_cndmask_b32_e64 v10, v47, v49, s[0:1]
	v_lshl_add_u32 v10, v10, 10, v21
	v_and_b32_e32 v47, 7, v48
	v_and_or_b32 v2, v2, s54, v10
	v_cndmask_b32_e64 v45, v45, v47, s[0:1]
	v_lshlrev_b32_e32 v2, 16, v2
	v_lshl_or_b32 v45, v45, 23, v2
.LBB254_136:                            ;   in Loop: Header=BB254_13 Depth=1
	s_or_b64 exec, exec, s[44:45]
.LBB254_137:                            ;   in Loop: Header=BB254_13 Depth=1
	s_or_b64 exec, exec, s[42:43]
.LBB254_138:                            ;   in Loop: Header=BB254_13 Depth=1
	s_or_b64 exec, exec, s[40:41]
	global_load_dword v10, v[8:9], off offset:1032
	v_mov_b32_e32 v47, 0
	v_mov_b32_e32 v48, 0
	s_waitcnt vmcnt(0)
	v_cmp_ne_u16_sdwa s[0:1], v10, v3 src0_sel:BYTE_0 src1_sel:DWORD
	s_and_saveexec_b64 s[40:41], s[0:1]
	s_cbranch_execz .LBB254_144
; %bb.139:                              ;   in Loop: Header=BB254_13 Depth=1
	v_cmp_ne_u16_sdwa s[0:1], v10, s52 src0_sel:BYTE_0 src1_sel:DWORD
	v_mov_b32_e32 v48, 0x8000
	s_and_saveexec_b64 s[42:43], s[0:1]
	s_cbranch_execz .LBB254_143
; %bb.140:                              ;   in Loop: Header=BB254_13 Depth=1
	v_and_b32_e32 v2, 0x7f, v10
	v_cmp_ne_u32_e64 s[0:1], s53, v2
	v_mov_b32_e32 v48, 0x7c01
	s_and_saveexec_b64 s[44:45], s[0:1]
	s_cbranch_execz .LBB254_142
; %bb.141:                              ;   in Loop: Header=BB254_13 Depth=1
	v_and_b32_e32 v50, 7, v10
	v_ffbh_u32_e32 v48, v50
	v_min_u32_e32 v52, 32, v48
	v_subrev_u32_e32 v48, 28, v52
	v_lshlrev_b64 v[48:49], v48, v[10:11]
	v_lshrrev_b32_e32 v51, 3, v2
	v_sub_u32_e32 v49, 29, v52
	v_cmp_gt_u32_e64 s[0:1], 8, v2
	v_and_b32_e32 v48, 7, v48
	s_nop 0
	v_cndmask_b32_e64 v2, v51, v49, s[0:1]
	v_lshl_add_u32 v2, v2, 10, v21
	v_lshlrev_b32_e32 v49, 8, v10
	v_and_b32_e32 v2, 0xfc00, v2
	v_cndmask_b32_e64 v48, v50, v48, s[0:1]
	v_and_or_b32 v2, v49, s54, v2
	v_lshl_or_b32 v48, v48, 7, v2
.LBB254_142:                            ;   in Loop: Header=BB254_13 Depth=1
	s_or_b64 exec, exec, s[44:45]
.LBB254_143:                            ;   in Loop: Header=BB254_13 Depth=1
	s_or_b64 exec, exec, s[42:43]
.LBB254_144:                            ;   in Loop: Header=BB254_13 Depth=1
	s_or_b64 exec, exec, s[40:41]
	v_lshrrev_b16_e32 v2, 8, v10
	v_cmp_ne_u16_e64 s[0:1], 0, v2
	s_and_saveexec_b64 s[40:41], s[0:1]
	s_cbranch_execz .LBB254_150
; %bb.145:                              ;   in Loop: Header=BB254_13 Depth=1
	v_cmp_ne_u16_e64 s[0:1], s52, v2
	v_bfrev_b32_e32 v47, 1
	s_and_saveexec_b64 s[42:43], s[0:1]
	s_cbranch_execz .LBB254_149
; %bb.146:                              ;   in Loop: Header=BB254_13 Depth=1
	v_and_b32_e32 v49, 0x7f, v2
	v_cmp_ne_u32_e64 s[0:1], s53, v49
	v_mov_b32_e32 v47, 0x7c010000
	s_and_saveexec_b64 s[44:45], s[0:1]
	s_cbranch_execz .LBB254_148
; %bb.147:                              ;   in Loop: Header=BB254_13 Depth=1
	v_and_b32_e32 v47, 7, v2
	v_ffbh_u32_e32 v50, v47
	v_min_u32_e32 v53, 32, v50
	v_subrev_u32_e32 v50, 28, v53
	v_lshlrev_b64 v[50:51], v50, v[2:3]
	v_lshrrev_b32_e32 v52, 3, v49
	v_sub_u32_e32 v51, 29, v53
	v_cmp_gt_u32_e64 s[0:1], 8, v49
	v_lshlrev_b32_e32 v2, 8, v2
	v_and_b32_e32 v50, 7, v50
	v_cndmask_b32_e64 v49, v52, v51, s[0:1]
	v_lshl_add_u32 v49, v49, 10, v21
	v_and_or_b32 v2, v2, s54, v49
	v_cndmask_b32_e64 v47, v47, v50, s[0:1]
	v_lshlrev_b32_e32 v2, 16, v2
	v_lshl_or_b32 v47, v47, 23, v2
.LBB254_148:                            ;   in Loop: Header=BB254_13 Depth=1
	s_or_b64 exec, exec, s[44:45]
.LBB254_149:                            ;   in Loop: Header=BB254_13 Depth=1
	s_or_b64 exec, exec, s[42:43]
.LBB254_150:                            ;   in Loop: Header=BB254_13 Depth=1
	s_or_b64 exec, exec, s[40:41]
	v_lshrrev_b32_e32 v2, 16, v10
	v_cmp_ne_u16_sdwa s[0:1], v2, v3 src0_sel:BYTE_0 src1_sel:DWORD
	v_mov_b32_e32 v49, 0
	v_mov_b32_e32 v50, 0
	s_and_saveexec_b64 s[40:41], s[0:1]
	s_cbranch_execz .LBB254_156
; %bb.151:                              ;   in Loop: Header=BB254_13 Depth=1
	v_cmp_ne_u16_sdwa s[0:1], v2, s52 src0_sel:BYTE_0 src1_sel:DWORD
	v_mov_b32_e32 v50, 0x8000
	s_and_saveexec_b64 s[42:43], s[0:1]
	s_cbranch_execz .LBB254_155
; %bb.152:                              ;   in Loop: Header=BB254_13 Depth=1
	v_bfe_u32 v51, v10, 16, 7
	v_cmp_ne_u32_e64 s[0:1], s53, v51
	v_mov_b32_e32 v50, 0x7c01
	s_and_saveexec_b64 s[44:45], s[0:1]
	s_cbranch_execz .LBB254_154
; %bb.153:                              ;   in Loop: Header=BB254_13 Depth=1
	v_and_b32_e32 v50, 7, v2
	v_ffbh_u32_e32 v52, v50
	v_min_u32_e32 v55, 32, v52
	v_subrev_u32_e32 v52, 28, v55
	v_lshlrev_b64 v[52:53], v52, v[2:3]
	v_lshrrev_b32_e32 v54, 3, v51
	v_sub_u32_e32 v53, 29, v55
	v_cmp_gt_u32_e64 s[0:1], 8, v51
	v_lshlrev_b32_e32 v2, 8, v2
	v_and_b32_e32 v52, 7, v52
	v_cndmask_b32_e64 v51, v54, v53, s[0:1]
	v_lshl_add_u32 v51, v51, 10, v21
	v_and_b32_e32 v51, 0xfc00, v51
	v_cndmask_b32_e64 v50, v50, v52, s[0:1]
	v_and_or_b32 v2, v2, s54, v51
	v_lshl_or_b32 v50, v50, 7, v2
.LBB254_154:                            ;   in Loop: Header=BB254_13 Depth=1
	s_or_b64 exec, exec, s[44:45]
.LBB254_155:                            ;   in Loop: Header=BB254_13 Depth=1
	s_or_b64 exec, exec, s[42:43]
.LBB254_156:                            ;   in Loop: Header=BB254_13 Depth=1
	s_or_b64 exec, exec, s[40:41]
	v_cmp_lt_u32_e64 s[0:1], s55, v10
	s_and_saveexec_b64 s[40:41], s[0:1]
	s_cbranch_execz .LBB254_162
; %bb.157:                              ;   in Loop: Header=BB254_13 Depth=1
	v_lshrrev_b32_e32 v2, 24, v10
	v_cmp_ne_u32_e64 s[0:1], s52, v2
	v_bfrev_b32_e32 v49, 1
	s_and_saveexec_b64 s[42:43], s[0:1]
	s_cbranch_execz .LBB254_161
; %bb.158:                              ;   in Loop: Header=BB254_13 Depth=1
	v_and_b32_e32 v10, 0x7f, v2
	v_cmp_ne_u32_e64 s[0:1], s53, v10
	v_mov_b32_e32 v49, 0x7c010000
	s_and_saveexec_b64 s[44:45], s[0:1]
	s_cbranch_execz .LBB254_160
; %bb.159:                              ;   in Loop: Header=BB254_13 Depth=1
	v_and_b32_e32 v49, 7, v2
	v_ffbh_u32_e32 v52, v49
	v_min_u32_e32 v54, 32, v52
	v_subrev_u32_e32 v52, 28, v54
	v_lshlrev_b64 v[52:53], v52, v[2:3]
	v_lshrrev_b32_e32 v51, 3, v10
	v_sub_u32_e32 v53, 29, v54
	v_cmp_gt_u32_e64 s[0:1], 8, v10
	v_lshlrev_b32_e32 v2, 8, v2
	s_nop 0
	v_cndmask_b32_e64 v10, v51, v53, s[0:1]
	v_lshl_add_u32 v10, v10, 10, v21
	v_and_b32_e32 v51, 7, v52
	v_and_or_b32 v2, v2, s54, v10
	v_cndmask_b32_e64 v49, v49, v51, s[0:1]
	v_lshlrev_b32_e32 v2, 16, v2
	v_lshl_or_b32 v49, v49, 23, v2
.LBB254_160:                            ;   in Loop: Header=BB254_13 Depth=1
	s_or_b64 exec, exec, s[44:45]
.LBB254_161:                            ;   in Loop: Header=BB254_13 Depth=1
	s_or_b64 exec, exec, s[42:43]
.LBB254_162:                            ;   in Loop: Header=BB254_13 Depth=1
	s_or_b64 exec, exec, s[40:41]
	global_load_dword v10, v[8:9], off offset:1536
	v_mov_b32_e32 v51, 0
	v_mov_b32_e32 v52, 0
	s_waitcnt vmcnt(0)
	v_cmp_ne_u16_sdwa s[0:1], v10, v3 src0_sel:BYTE_0 src1_sel:DWORD
	s_and_saveexec_b64 s[40:41], s[0:1]
	s_cbranch_execz .LBB254_168
; %bb.163:                              ;   in Loop: Header=BB254_13 Depth=1
	v_cmp_ne_u16_sdwa s[0:1], v10, s52 src0_sel:BYTE_0 src1_sel:DWORD
	v_mov_b32_e32 v52, 0x8000
	s_and_saveexec_b64 s[42:43], s[0:1]
	s_cbranch_execz .LBB254_167
; %bb.164:                              ;   in Loop: Header=BB254_13 Depth=1
	v_and_b32_e32 v2, 0x7f, v10
	v_cmp_ne_u32_e64 s[0:1], s53, v2
	v_mov_b32_e32 v52, 0x7c01
	s_and_saveexec_b64 s[44:45], s[0:1]
	s_cbranch_execz .LBB254_166
; %bb.165:                              ;   in Loop: Header=BB254_13 Depth=1
	v_and_b32_e32 v54, 7, v10
	v_ffbh_u32_e32 v52, v54
	v_min_u32_e32 v56, 32, v52
	v_subrev_u32_e32 v52, 28, v56
	v_lshlrev_b64 v[52:53], v52, v[10:11]
	v_lshrrev_b32_e32 v55, 3, v2
	v_sub_u32_e32 v53, 29, v56
	v_cmp_gt_u32_e64 s[0:1], 8, v2
	v_and_b32_e32 v52, 7, v52
	s_nop 0
	v_cndmask_b32_e64 v2, v55, v53, s[0:1]
	v_lshl_add_u32 v2, v2, 10, v21
	v_lshlrev_b32_e32 v53, 8, v10
	v_and_b32_e32 v2, 0xfc00, v2
	v_cndmask_b32_e64 v52, v54, v52, s[0:1]
	v_and_or_b32 v2, v53, s54, v2
	v_lshl_or_b32 v52, v52, 7, v2
.LBB254_166:                            ;   in Loop: Header=BB254_13 Depth=1
	s_or_b64 exec, exec, s[44:45]
.LBB254_167:                            ;   in Loop: Header=BB254_13 Depth=1
	s_or_b64 exec, exec, s[42:43]
.LBB254_168:                            ;   in Loop: Header=BB254_13 Depth=1
	s_or_b64 exec, exec, s[40:41]
	v_lshrrev_b16_e32 v2, 8, v10
	v_cmp_ne_u16_e64 s[0:1], 0, v2
	s_and_saveexec_b64 s[40:41], s[0:1]
	s_cbranch_execz .LBB254_174
; %bb.169:                              ;   in Loop: Header=BB254_13 Depth=1
	v_cmp_ne_u16_e64 s[0:1], s52, v2
	v_bfrev_b32_e32 v51, 1
	s_and_saveexec_b64 s[42:43], s[0:1]
	s_cbranch_execz .LBB254_173
; %bb.170:                              ;   in Loop: Header=BB254_13 Depth=1
	v_and_b32_e32 v53, 0x7f, v2
	v_cmp_ne_u32_e64 s[0:1], s53, v53
	v_mov_b32_e32 v51, 0x7c010000
	s_and_saveexec_b64 s[44:45], s[0:1]
	s_cbranch_execz .LBB254_172
; %bb.171:                              ;   in Loop: Header=BB254_13 Depth=1
	v_and_b32_e32 v51, 7, v2
	v_ffbh_u32_e32 v54, v51
	v_min_u32_e32 v57, 32, v54
	v_subrev_u32_e32 v54, 28, v57
	v_lshlrev_b64 v[54:55], v54, v[2:3]
	v_lshrrev_b32_e32 v56, 3, v53
	v_sub_u32_e32 v55, 29, v57
	v_cmp_gt_u32_e64 s[0:1], 8, v53
	v_lshlrev_b32_e32 v2, 8, v2
	v_and_b32_e32 v54, 7, v54
	v_cndmask_b32_e64 v53, v56, v55, s[0:1]
	v_lshl_add_u32 v53, v53, 10, v21
	v_and_or_b32 v2, v2, s54, v53
	v_cndmask_b32_e64 v51, v51, v54, s[0:1]
	v_lshlrev_b32_e32 v2, 16, v2
	v_lshl_or_b32 v51, v51, 23, v2
.LBB254_172:                            ;   in Loop: Header=BB254_13 Depth=1
	s_or_b64 exec, exec, s[44:45]
.LBB254_173:                            ;   in Loop: Header=BB254_13 Depth=1
	s_or_b64 exec, exec, s[42:43]
.LBB254_174:                            ;   in Loop: Header=BB254_13 Depth=1
	s_or_b64 exec, exec, s[40:41]
	v_lshrrev_b32_e32 v2, 16, v10
	v_cmp_ne_u16_sdwa s[0:1], v2, v3 src0_sel:BYTE_0 src1_sel:DWORD
	v_mov_b32_e32 v53, 0
	v_mov_b32_e32 v54, 0
	s_and_saveexec_b64 s[40:41], s[0:1]
	s_cbranch_execz .LBB254_180
; %bb.175:                              ;   in Loop: Header=BB254_13 Depth=1
	v_cmp_ne_u16_sdwa s[0:1], v2, s52 src0_sel:BYTE_0 src1_sel:DWORD
	v_mov_b32_e32 v54, 0x8000
	s_and_saveexec_b64 s[42:43], s[0:1]
	s_cbranch_execz .LBB254_179
; %bb.176:                              ;   in Loop: Header=BB254_13 Depth=1
	v_bfe_u32 v55, v10, 16, 7
	v_cmp_ne_u32_e64 s[0:1], s53, v55
	v_mov_b32_e32 v54, 0x7c01
	s_and_saveexec_b64 s[44:45], s[0:1]
	s_cbranch_execz .LBB254_178
; %bb.177:                              ;   in Loop: Header=BB254_13 Depth=1
	v_and_b32_e32 v54, 7, v2
	v_ffbh_u32_e32 v56, v54
	v_min_u32_e32 v59, 32, v56
	v_subrev_u32_e32 v56, 28, v59
	v_lshlrev_b64 v[56:57], v56, v[2:3]
	v_lshrrev_b32_e32 v58, 3, v55
	v_sub_u32_e32 v57, 29, v59
	v_cmp_gt_u32_e64 s[0:1], 8, v55
	v_lshlrev_b32_e32 v2, 8, v2
	v_and_b32_e32 v56, 7, v56
	v_cndmask_b32_e64 v55, v58, v57, s[0:1]
	v_lshl_add_u32 v55, v55, 10, v21
	v_and_b32_e32 v55, 0xfc00, v55
	v_cndmask_b32_e64 v54, v54, v56, s[0:1]
	v_and_or_b32 v2, v2, s54, v55
	v_lshl_or_b32 v54, v54, 7, v2
.LBB254_178:                            ;   in Loop: Header=BB254_13 Depth=1
	s_or_b64 exec, exec, s[44:45]
.LBB254_179:                            ;   in Loop: Header=BB254_13 Depth=1
	s_or_b64 exec, exec, s[42:43]
.LBB254_180:                            ;   in Loop: Header=BB254_13 Depth=1
	s_or_b64 exec, exec, s[40:41]
	v_cmp_lt_u32_e64 s[0:1], s55, v10
	s_and_saveexec_b64 s[40:41], s[0:1]
	s_cbranch_execz .LBB254_186
; %bb.181:                              ;   in Loop: Header=BB254_13 Depth=1
	v_lshrrev_b32_e32 v2, 24, v10
	v_cmp_ne_u32_e64 s[0:1], s52, v2
	v_bfrev_b32_e32 v53, 1
	s_and_saveexec_b64 s[42:43], s[0:1]
	s_cbranch_execz .LBB254_185
; %bb.182:                              ;   in Loop: Header=BB254_13 Depth=1
	v_and_b32_e32 v10, 0x7f, v2
	v_cmp_ne_u32_e64 s[0:1], s53, v10
	v_mov_b32_e32 v53, 0x7c010000
	s_and_saveexec_b64 s[44:45], s[0:1]
	s_cbranch_execz .LBB254_184
; %bb.183:                              ;   in Loop: Header=BB254_13 Depth=1
	v_and_b32_e32 v53, 7, v2
	v_ffbh_u32_e32 v56, v53
	v_min_u32_e32 v58, 32, v56
	v_subrev_u32_e32 v56, 28, v58
	v_lshlrev_b64 v[56:57], v56, v[2:3]
	v_lshrrev_b32_e32 v55, 3, v10
	v_sub_u32_e32 v57, 29, v58
	v_cmp_gt_u32_e64 s[0:1], 8, v10
	v_lshlrev_b32_e32 v2, 8, v2
	s_nop 0
	v_cndmask_b32_e64 v10, v55, v57, s[0:1]
	v_lshl_add_u32 v10, v10, 10, v21
	v_and_b32_e32 v55, 7, v56
	v_and_or_b32 v2, v2, s54, v10
	v_cndmask_b32_e64 v53, v53, v55, s[0:1]
	v_lshlrev_b32_e32 v2, 16, v2
	v_lshl_or_b32 v53, v53, 23, v2
.LBB254_184:                            ;   in Loop: Header=BB254_13 Depth=1
	s_or_b64 exec, exec, s[44:45]
.LBB254_185:                            ;   in Loop: Header=BB254_13 Depth=1
	s_or_b64 exec, exec, s[42:43]
.LBB254_186:                            ;   in Loop: Header=BB254_13 Depth=1
	s_or_b64 exec, exec, s[40:41]
	global_load_dword v10, v[8:9], off offset:1544
	v_mov_b32_e32 v55, 0
	v_mov_b32_e32 v56, 0
	s_waitcnt vmcnt(0)
	v_cmp_ne_u16_sdwa s[0:1], v10, v3 src0_sel:BYTE_0 src1_sel:DWORD
	s_and_saveexec_b64 s[40:41], s[0:1]
	s_cbranch_execz .LBB254_192
; %bb.187:                              ;   in Loop: Header=BB254_13 Depth=1
	v_cmp_ne_u16_sdwa s[0:1], v10, s52 src0_sel:BYTE_0 src1_sel:DWORD
	v_mov_b32_e32 v56, 0x8000
	s_and_saveexec_b64 s[42:43], s[0:1]
	s_cbranch_execz .LBB254_191
; %bb.188:                              ;   in Loop: Header=BB254_13 Depth=1
	v_and_b32_e32 v2, 0x7f, v10
	v_cmp_ne_u32_e64 s[0:1], s53, v2
	v_mov_b32_e32 v56, 0x7c01
	s_and_saveexec_b64 s[44:45], s[0:1]
	s_cbranch_execz .LBB254_190
; %bb.189:                              ;   in Loop: Header=BB254_13 Depth=1
	v_and_b32_e32 v58, 7, v10
	v_ffbh_u32_e32 v56, v58
	v_min_u32_e32 v60, 32, v56
	v_subrev_u32_e32 v56, 28, v60
	v_lshlrev_b64 v[56:57], v56, v[10:11]
	v_lshrrev_b32_e32 v59, 3, v2
	v_sub_u32_e32 v57, 29, v60
	v_cmp_gt_u32_e64 s[0:1], 8, v2
	v_and_b32_e32 v56, 7, v56
	s_nop 0
	v_cndmask_b32_e64 v2, v59, v57, s[0:1]
	v_lshl_add_u32 v2, v2, 10, v21
	v_lshlrev_b32_e32 v57, 8, v10
	v_and_b32_e32 v2, 0xfc00, v2
	v_cndmask_b32_e64 v56, v58, v56, s[0:1]
	v_and_or_b32 v2, v57, s54, v2
	v_lshl_or_b32 v56, v56, 7, v2
.LBB254_190:                            ;   in Loop: Header=BB254_13 Depth=1
	s_or_b64 exec, exec, s[44:45]
.LBB254_191:                            ;   in Loop: Header=BB254_13 Depth=1
	s_or_b64 exec, exec, s[42:43]
.LBB254_192:                            ;   in Loop: Header=BB254_13 Depth=1
	s_or_b64 exec, exec, s[40:41]
	v_lshrrev_b16_e32 v2, 8, v10
	v_cmp_ne_u16_e64 s[0:1], 0, v2
	s_and_saveexec_b64 s[40:41], s[0:1]
	s_cbranch_execz .LBB254_198
; %bb.193:                              ;   in Loop: Header=BB254_13 Depth=1
	v_cmp_ne_u16_e64 s[0:1], s52, v2
	v_bfrev_b32_e32 v55, 1
	s_and_saveexec_b64 s[42:43], s[0:1]
	s_cbranch_execz .LBB254_197
; %bb.194:                              ;   in Loop: Header=BB254_13 Depth=1
	v_and_b32_e32 v57, 0x7f, v2
	v_cmp_ne_u32_e64 s[0:1], s53, v57
	v_mov_b32_e32 v55, 0x7c010000
	s_and_saveexec_b64 s[44:45], s[0:1]
	s_cbranch_execz .LBB254_196
; %bb.195:                              ;   in Loop: Header=BB254_13 Depth=1
	v_and_b32_e32 v55, 7, v2
	v_ffbh_u32_e32 v58, v55
	v_min_u32_e32 v61, 32, v58
	v_subrev_u32_e32 v58, 28, v61
	v_lshlrev_b64 v[58:59], v58, v[2:3]
	v_lshrrev_b32_e32 v60, 3, v57
	v_sub_u32_e32 v59, 29, v61
	v_cmp_gt_u32_e64 s[0:1], 8, v57
	v_lshlrev_b32_e32 v2, 8, v2
	v_and_b32_e32 v58, 7, v58
	v_cndmask_b32_e64 v57, v60, v59, s[0:1]
	v_lshl_add_u32 v57, v57, 10, v21
	v_and_or_b32 v2, v2, s54, v57
	v_cndmask_b32_e64 v55, v55, v58, s[0:1]
	v_lshlrev_b32_e32 v2, 16, v2
	v_lshl_or_b32 v55, v55, 23, v2
.LBB254_196:                            ;   in Loop: Header=BB254_13 Depth=1
	s_or_b64 exec, exec, s[44:45]
.LBB254_197:                            ;   in Loop: Header=BB254_13 Depth=1
	s_or_b64 exec, exec, s[42:43]
.LBB254_198:                            ;   in Loop: Header=BB254_13 Depth=1
	s_or_b64 exec, exec, s[40:41]
	v_lshrrev_b32_e32 v2, 16, v10
	v_cmp_ne_u16_sdwa s[0:1], v2, v3 src0_sel:BYTE_0 src1_sel:DWORD
	v_mov_b32_e32 v57, 0
	v_mov_b32_e32 v58, 0
	s_and_saveexec_b64 s[40:41], s[0:1]
	s_cbranch_execz .LBB254_204
; %bb.199:                              ;   in Loop: Header=BB254_13 Depth=1
	v_cmp_ne_u16_sdwa s[0:1], v2, s52 src0_sel:BYTE_0 src1_sel:DWORD
	v_mov_b32_e32 v58, 0x8000
	s_and_saveexec_b64 s[42:43], s[0:1]
	s_cbranch_execz .LBB254_203
; %bb.200:                              ;   in Loop: Header=BB254_13 Depth=1
	v_bfe_u32 v59, v10, 16, 7
	v_cmp_ne_u32_e64 s[0:1], s53, v59
	v_mov_b32_e32 v58, 0x7c01
	s_and_saveexec_b64 s[44:45], s[0:1]
	s_cbranch_execz .LBB254_202
; %bb.201:                              ;   in Loop: Header=BB254_13 Depth=1
	v_and_b32_e32 v58, 7, v2
	v_ffbh_u32_e32 v60, v58
	v_min_u32_e32 v63, 32, v60
	v_subrev_u32_e32 v60, 28, v63
	v_lshlrev_b64 v[60:61], v60, v[2:3]
	v_lshrrev_b32_e32 v62, 3, v59
	v_sub_u32_e32 v61, 29, v63
	v_cmp_gt_u32_e64 s[0:1], 8, v59
	v_lshlrev_b32_e32 v2, 8, v2
	v_and_b32_e32 v60, 7, v60
	v_cndmask_b32_e64 v59, v62, v61, s[0:1]
	v_lshl_add_u32 v59, v59, 10, v21
	v_and_b32_e32 v59, 0xfc00, v59
	v_cndmask_b32_e64 v58, v58, v60, s[0:1]
	v_and_or_b32 v2, v2, s54, v59
	v_lshl_or_b32 v58, v58, 7, v2
.LBB254_202:                            ;   in Loop: Header=BB254_13 Depth=1
	s_or_b64 exec, exec, s[44:45]
.LBB254_203:                            ;   in Loop: Header=BB254_13 Depth=1
	s_or_b64 exec, exec, s[42:43]
.LBB254_204:                            ;   in Loop: Header=BB254_13 Depth=1
	s_or_b64 exec, exec, s[40:41]
	v_cmp_lt_u32_e64 s[0:1], s55, v10
	s_and_saveexec_b64 s[40:41], s[0:1]
	s_cbranch_execz .LBB254_210
; %bb.205:                              ;   in Loop: Header=BB254_13 Depth=1
	v_lshrrev_b32_e32 v2, 24, v10
	v_cmp_ne_u32_e64 s[0:1], s52, v2
	v_bfrev_b32_e32 v57, 1
	s_and_saveexec_b64 s[42:43], s[0:1]
	s_cbranch_execz .LBB254_209
; %bb.206:                              ;   in Loop: Header=BB254_13 Depth=1
	v_and_b32_e32 v10, 0x7f, v2
	v_cmp_ne_u32_e64 s[0:1], s53, v10
	v_mov_b32_e32 v57, 0x7c010000
	s_and_saveexec_b64 s[44:45], s[0:1]
	s_cbranch_execz .LBB254_208
; %bb.207:                              ;   in Loop: Header=BB254_13 Depth=1
	v_and_b32_e32 v57, 7, v2
	v_ffbh_u32_e32 v60, v57
	v_min_u32_e32 v62, 32, v60
	v_subrev_u32_e32 v60, 28, v62
	v_lshlrev_b64 v[60:61], v60, v[2:3]
	v_lshrrev_b32_e32 v59, 3, v10
	v_sub_u32_e32 v61, 29, v62
	v_cmp_gt_u32_e64 s[0:1], 8, v10
	v_lshlrev_b32_e32 v2, 8, v2
	s_nop 0
	v_cndmask_b32_e64 v10, v59, v61, s[0:1]
	v_lshl_add_u32 v10, v10, 10, v21
	v_and_b32_e32 v59, 7, v60
	v_and_or_b32 v2, v2, s54, v10
	v_cndmask_b32_e64 v57, v57, v59, s[0:1]
	v_lshlrev_b32_e32 v2, 16, v2
	v_lshl_or_b32 v57, v57, 23, v2
.LBB254_208:                            ;   in Loop: Header=BB254_13 Depth=1
	s_or_b64 exec, exec, s[44:45]
.LBB254_209:                            ;   in Loop: Header=BB254_13 Depth=1
	s_or_b64 exec, exec, s[42:43]
.LBB254_210:                            ;   in Loop: Header=BB254_13 Depth=1
	s_or_b64 exec, exec, s[40:41]
	global_load_dword v10, v[8:9], off offset:2048
	v_mov_b32_e32 v59, 0
	v_mov_b32_e32 v60, 0
	s_waitcnt vmcnt(0)
	v_cmp_ne_u16_sdwa s[0:1], v10, v3 src0_sel:BYTE_0 src1_sel:DWORD
	s_and_saveexec_b64 s[40:41], s[0:1]
	s_cbranch_execz .LBB254_216
; %bb.211:                              ;   in Loop: Header=BB254_13 Depth=1
	v_cmp_ne_u16_sdwa s[0:1], v10, s52 src0_sel:BYTE_0 src1_sel:DWORD
	v_mov_b32_e32 v60, 0x8000
	s_and_saveexec_b64 s[42:43], s[0:1]
	s_cbranch_execz .LBB254_215
; %bb.212:                              ;   in Loop: Header=BB254_13 Depth=1
	v_and_b32_e32 v2, 0x7f, v10
	v_cmp_ne_u32_e64 s[0:1], s53, v2
	v_mov_b32_e32 v60, 0x7c01
	s_and_saveexec_b64 s[44:45], s[0:1]
	s_cbranch_execz .LBB254_214
; %bb.213:                              ;   in Loop: Header=BB254_13 Depth=1
	v_and_b32_e32 v62, 7, v10
	v_ffbh_u32_e32 v60, v62
	v_min_u32_e32 v64, 32, v60
	v_subrev_u32_e32 v60, 28, v64
	v_lshlrev_b64 v[60:61], v60, v[10:11]
	v_lshrrev_b32_e32 v63, 3, v2
	v_sub_u32_e32 v61, 29, v64
	v_cmp_gt_u32_e64 s[0:1], 8, v2
	v_and_b32_e32 v60, 7, v60
	s_nop 0
	v_cndmask_b32_e64 v2, v63, v61, s[0:1]
	v_lshl_add_u32 v2, v2, 10, v21
	v_lshlrev_b32_e32 v61, 8, v10
	v_and_b32_e32 v2, 0xfc00, v2
	v_cndmask_b32_e64 v60, v62, v60, s[0:1]
	v_and_or_b32 v2, v61, s54, v2
	v_lshl_or_b32 v60, v60, 7, v2
.LBB254_214:                            ;   in Loop: Header=BB254_13 Depth=1
	s_or_b64 exec, exec, s[44:45]
.LBB254_215:                            ;   in Loop: Header=BB254_13 Depth=1
	s_or_b64 exec, exec, s[42:43]
.LBB254_216:                            ;   in Loop: Header=BB254_13 Depth=1
	s_or_b64 exec, exec, s[40:41]
	v_lshrrev_b16_e32 v2, 8, v10
	v_cmp_ne_u16_e64 s[0:1], 0, v2
	s_and_saveexec_b64 s[40:41], s[0:1]
	s_cbranch_execz .LBB254_222
; %bb.217:                              ;   in Loop: Header=BB254_13 Depth=1
	v_cmp_ne_u16_e64 s[0:1], s52, v2
	v_bfrev_b32_e32 v59, 1
	s_and_saveexec_b64 s[42:43], s[0:1]
	s_cbranch_execz .LBB254_221
; %bb.218:                              ;   in Loop: Header=BB254_13 Depth=1
	v_and_b32_e32 v61, 0x7f, v2
	v_cmp_ne_u32_e64 s[0:1], s53, v61
	v_mov_b32_e32 v59, 0x7c010000
	s_and_saveexec_b64 s[44:45], s[0:1]
	s_cbranch_execz .LBB254_220
; %bb.219:                              ;   in Loop: Header=BB254_13 Depth=1
	v_and_b32_e32 v59, 7, v2
	v_ffbh_u32_e32 v62, v59
	v_min_u32_e32 v65, 32, v62
	v_subrev_u32_e32 v62, 28, v65
	v_lshlrev_b64 v[62:63], v62, v[2:3]
	v_lshrrev_b32_e32 v64, 3, v61
	v_sub_u32_e32 v63, 29, v65
	v_cmp_gt_u32_e64 s[0:1], 8, v61
	v_lshlrev_b32_e32 v2, 8, v2
	v_and_b32_e32 v62, 7, v62
	v_cndmask_b32_e64 v61, v64, v63, s[0:1]
	v_lshl_add_u32 v61, v61, 10, v21
	v_and_or_b32 v2, v2, s54, v61
	v_cndmask_b32_e64 v59, v59, v62, s[0:1]
	v_lshlrev_b32_e32 v2, 16, v2
	v_lshl_or_b32 v59, v59, 23, v2
.LBB254_220:                            ;   in Loop: Header=BB254_13 Depth=1
	s_or_b64 exec, exec, s[44:45]
.LBB254_221:                            ;   in Loop: Header=BB254_13 Depth=1
	s_or_b64 exec, exec, s[42:43]
.LBB254_222:                            ;   in Loop: Header=BB254_13 Depth=1
	s_or_b64 exec, exec, s[40:41]
	v_lshrrev_b32_e32 v2, 16, v10
	v_cmp_ne_u16_sdwa s[0:1], v2, v3 src0_sel:BYTE_0 src1_sel:DWORD
	v_mov_b32_e32 v61, 0
	v_mov_b32_e32 v62, 0
	s_and_saveexec_b64 s[40:41], s[0:1]
	s_cbranch_execz .LBB254_228
; %bb.223:                              ;   in Loop: Header=BB254_13 Depth=1
	v_cmp_ne_u16_sdwa s[0:1], v2, s52 src0_sel:BYTE_0 src1_sel:DWORD
	v_mov_b32_e32 v62, 0x8000
	s_and_saveexec_b64 s[42:43], s[0:1]
	s_cbranch_execz .LBB254_227
; %bb.224:                              ;   in Loop: Header=BB254_13 Depth=1
	v_bfe_u32 v63, v10, 16, 7
	v_cmp_ne_u32_e64 s[0:1], s53, v63
	v_mov_b32_e32 v62, 0x7c01
	s_and_saveexec_b64 s[44:45], s[0:1]
	s_cbranch_execz .LBB254_226
; %bb.225:                              ;   in Loop: Header=BB254_13 Depth=1
	v_and_b32_e32 v62, 7, v2
	v_ffbh_u32_e32 v64, v62
	v_min_u32_e32 v67, 32, v64
	v_subrev_u32_e32 v64, 28, v67
	v_lshlrev_b64 v[64:65], v64, v[2:3]
	v_lshrrev_b32_e32 v66, 3, v63
	v_sub_u32_e32 v65, 29, v67
	v_cmp_gt_u32_e64 s[0:1], 8, v63
	v_lshlrev_b32_e32 v2, 8, v2
	v_and_b32_e32 v64, 7, v64
	v_cndmask_b32_e64 v63, v66, v65, s[0:1]
	v_lshl_add_u32 v63, v63, 10, v21
	v_and_b32_e32 v63, 0xfc00, v63
	v_cndmask_b32_e64 v62, v62, v64, s[0:1]
	v_and_or_b32 v2, v2, s54, v63
	v_lshl_or_b32 v62, v62, 7, v2
.LBB254_226:                            ;   in Loop: Header=BB254_13 Depth=1
	s_or_b64 exec, exec, s[44:45]
.LBB254_227:                            ;   in Loop: Header=BB254_13 Depth=1
	s_or_b64 exec, exec, s[42:43]
.LBB254_228:                            ;   in Loop: Header=BB254_13 Depth=1
	s_or_b64 exec, exec, s[40:41]
	v_cmp_lt_u32_e64 s[0:1], s55, v10
	s_and_saveexec_b64 s[40:41], s[0:1]
	s_cbranch_execz .LBB254_234
; %bb.229:                              ;   in Loop: Header=BB254_13 Depth=1
	v_lshrrev_b32_e32 v2, 24, v10
	v_cmp_ne_u32_e64 s[0:1], s52, v2
	v_bfrev_b32_e32 v61, 1
	s_and_saveexec_b64 s[42:43], s[0:1]
	s_cbranch_execz .LBB254_233
; %bb.230:                              ;   in Loop: Header=BB254_13 Depth=1
	v_and_b32_e32 v10, 0x7f, v2
	v_cmp_ne_u32_e64 s[0:1], s53, v10
	v_mov_b32_e32 v61, 0x7c010000
	s_and_saveexec_b64 s[44:45], s[0:1]
	s_cbranch_execz .LBB254_232
; %bb.231:                              ;   in Loop: Header=BB254_13 Depth=1
	v_and_b32_e32 v61, 7, v2
	v_ffbh_u32_e32 v64, v61
	v_min_u32_e32 v66, 32, v64
	v_subrev_u32_e32 v64, 28, v66
	v_lshlrev_b64 v[64:65], v64, v[2:3]
	v_lshrrev_b32_e32 v63, 3, v10
	v_sub_u32_e32 v65, 29, v66
	v_cmp_gt_u32_e64 s[0:1], 8, v10
	v_lshlrev_b32_e32 v2, 8, v2
	s_nop 0
	v_cndmask_b32_e64 v10, v63, v65, s[0:1]
	v_lshl_add_u32 v10, v10, 10, v21
	v_and_b32_e32 v63, 7, v64
	v_and_or_b32 v2, v2, s54, v10
	v_cndmask_b32_e64 v61, v61, v63, s[0:1]
	v_lshlrev_b32_e32 v2, 16, v2
	v_lshl_or_b32 v61, v61, 23, v2
.LBB254_232:                            ;   in Loop: Header=BB254_13 Depth=1
	s_or_b64 exec, exec, s[44:45]
.LBB254_233:                            ;   in Loop: Header=BB254_13 Depth=1
	s_or_b64 exec, exec, s[42:43]
.LBB254_234:                            ;   in Loop: Header=BB254_13 Depth=1
	s_or_b64 exec, exec, s[40:41]
	global_load_dword v8, v[8:9], off offset:2056
	v_mov_b32_e32 v63, 0
	v_mov_b32_e32 v64, 0
	s_waitcnt vmcnt(0)
	v_cmp_ne_u16_sdwa s[0:1], v8, v3 src0_sel:BYTE_0 src1_sel:DWORD
	s_and_saveexec_b64 s[40:41], s[0:1]
	s_cbranch_execz .LBB254_240
; %bb.235:                              ;   in Loop: Header=BB254_13 Depth=1
	v_cmp_ne_u16_sdwa s[0:1], v8, s52 src0_sel:BYTE_0 src1_sel:DWORD
	v_mov_b32_e32 v64, 0x8000
	s_and_saveexec_b64 s[42:43], s[0:1]
	s_cbranch_execz .LBB254_239
; %bb.236:                              ;   in Loop: Header=BB254_13 Depth=1
	v_and_b32_e32 v2, 0x7f, v8
	v_cmp_ne_u32_e64 s[0:1], s53, v2
	v_mov_b32_e32 v64, 0x7c01
	s_and_saveexec_b64 s[44:45], s[0:1]
	s_cbranch_execz .LBB254_238
; %bb.237:                              ;   in Loop: Header=BB254_13 Depth=1
	v_and_b32_e32 v9, 7, v8
	v_ffbh_u32_e32 v64, v9
	v_min_u32_e32 v66, 32, v64
	v_subrev_u32_e32 v64, 28, v66
	v_lshlrev_b64 v[64:65], v64, v[8:9]
	v_lshrrev_b32_e32 v10, 3, v2
	v_sub_u32_e32 v65, 29, v66
	v_cmp_gt_u32_e64 s[0:1], 8, v2
	v_and_b32_e32 v64, 7, v64
	s_nop 0
	v_cndmask_b32_e64 v2, v10, v65, s[0:1]
	v_lshl_add_u32 v2, v2, 10, v21
	v_lshlrev_b32_e32 v10, 8, v8
	v_and_b32_e32 v2, 0xfc00, v2
	v_cndmask_b32_e64 v9, v9, v64, s[0:1]
	v_and_or_b32 v2, v10, s54, v2
	v_lshl_or_b32 v64, v9, 7, v2
.LBB254_238:                            ;   in Loop: Header=BB254_13 Depth=1
	s_or_b64 exec, exec, s[44:45]
.LBB254_239:                            ;   in Loop: Header=BB254_13 Depth=1
	s_or_b64 exec, exec, s[42:43]
.LBB254_240:                            ;   in Loop: Header=BB254_13 Depth=1
	s_or_b64 exec, exec, s[40:41]
	v_lshrrev_b16_e32 v2, 8, v8
	v_cmp_ne_u16_e64 s[0:1], 0, v2
	s_and_saveexec_b64 s[40:41], s[0:1]
	s_cbranch_execz .LBB254_246
; %bb.241:                              ;   in Loop: Header=BB254_13 Depth=1
	v_cmp_ne_u16_e64 s[0:1], s52, v2
	v_bfrev_b32_e32 v63, 1
	s_and_saveexec_b64 s[42:43], s[0:1]
	s_cbranch_execz .LBB254_245
; %bb.242:                              ;   in Loop: Header=BB254_13 Depth=1
	v_and_b32_e32 v9, 0x7f, v2
	v_cmp_ne_u32_e64 s[0:1], s53, v9
	v_mov_b32_e32 v63, 0x7c010000
	s_and_saveexec_b64 s[44:45], s[0:1]
	s_cbranch_execz .LBB254_244
; %bb.243:                              ;   in Loop: Header=BB254_13 Depth=1
	v_and_b32_e32 v10, 7, v2
	v_ffbh_u32_e32 v65, v10
	v_min_u32_e32 v65, 32, v65
	v_lshrrev_b32_e32 v63, 3, v9
	v_subrev_u32_e32 v66, 28, v65
	v_sub_u32_e32 v65, 29, v65
	v_cmp_gt_u32_e64 s[0:1], 8, v9
	v_lshlrev_b64 v[66:67], v66, v[2:3]
	v_lshlrev_b32_e32 v2, 8, v2
	v_cndmask_b32_e64 v9, v63, v65, s[0:1]
	v_lshl_add_u32 v9, v9, 10, v21
	v_and_b32_e32 v63, 7, v66
	v_and_or_b32 v2, v2, s54, v9
	v_cndmask_b32_e64 v10, v10, v63, s[0:1]
	v_lshlrev_b32_e32 v2, 16, v2
	v_lshl_or_b32 v63, v10, 23, v2
.LBB254_244:                            ;   in Loop: Header=BB254_13 Depth=1
	s_or_b64 exec, exec, s[44:45]
.LBB254_245:                            ;   in Loop: Header=BB254_13 Depth=1
	s_or_b64 exec, exec, s[42:43]
.LBB254_246:                            ;   in Loop: Header=BB254_13 Depth=1
	s_or_b64 exec, exec, s[40:41]
	v_lshrrev_b32_e32 v2, 16, v8
	v_cmp_ne_u16_sdwa s[0:1], v2, v3 src0_sel:BYTE_0 src1_sel:DWORD
	v_mov_b32_e32 v65, 0
	v_mov_b32_e32 v66, 0
	s_and_saveexec_b64 s[40:41], s[0:1]
	s_cbranch_execz .LBB254_252
; %bb.247:                              ;   in Loop: Header=BB254_13 Depth=1
	v_cmp_ne_u16_sdwa s[0:1], v2, s52 src0_sel:BYTE_0 src1_sel:DWORD
	v_mov_b32_e32 v66, 0x8000
	s_and_saveexec_b64 s[42:43], s[0:1]
	s_cbranch_execz .LBB254_251
; %bb.248:                              ;   in Loop: Header=BB254_13 Depth=1
	v_bfe_u32 v9, v8, 16, 7
	v_cmp_ne_u32_e64 s[0:1], s53, v9
	v_mov_b32_e32 v66, 0x7c01
	s_and_saveexec_b64 s[44:45], s[0:1]
	s_cbranch_execz .LBB254_250
; %bb.249:                              ;   in Loop: Header=BB254_13 Depth=1
	v_and_b32_e32 v10, 7, v2
	v_ffbh_u32_e32 v66, v10
	v_min_u32_e32 v69, 32, v66
	v_subrev_u32_e32 v66, 28, v69
	v_lshlrev_b64 v[66:67], v66, v[2:3]
	v_lshrrev_b32_e32 v68, 3, v9
	v_sub_u32_e32 v67, 29, v69
	v_cmp_gt_u32_e64 s[0:1], 8, v9
	v_lshlrev_b32_e32 v2, 8, v2
	v_and_b32_e32 v66, 7, v66
	v_cndmask_b32_e64 v9, v68, v67, s[0:1]
	v_lshl_add_u32 v9, v9, 10, v21
	v_and_b32_e32 v9, 0xfc00, v9
	v_cndmask_b32_e64 v10, v10, v66, s[0:1]
	v_and_or_b32 v2, v2, s54, v9
	v_lshl_or_b32 v66, v10, 7, v2
.LBB254_250:                            ;   in Loop: Header=BB254_13 Depth=1
	s_or_b64 exec, exec, s[44:45]
.LBB254_251:                            ;   in Loop: Header=BB254_13 Depth=1
	s_or_b64 exec, exec, s[42:43]
.LBB254_252:                            ;   in Loop: Header=BB254_13 Depth=1
	s_or_b64 exec, exec, s[40:41]
	v_cmp_lt_u32_e64 s[0:1], s55, v8
	s_and_saveexec_b64 s[40:41], s[0:1]
	s_cbranch_execz .LBB254_258
; %bb.253:                              ;   in Loop: Header=BB254_13 Depth=1
	v_lshrrev_b32_e32 v2, 24, v8
	v_cmp_ne_u32_e64 s[0:1], s52, v2
	v_bfrev_b32_e32 v65, 1
	s_and_saveexec_b64 s[42:43], s[0:1]
	s_cbranch_execz .LBB254_257
; %bb.254:                              ;   in Loop: Header=BB254_13 Depth=1
	v_and_b32_e32 v8, 0x7f, v2
	v_cmp_ne_u32_e64 s[0:1], s53, v8
	v_mov_b32_e32 v65, 0x7c010000
	s_and_saveexec_b64 s[44:45], s[0:1]
	s_cbranch_execz .LBB254_256
; %bb.255:                              ;   in Loop: Header=BB254_13 Depth=1
	v_and_b32_e32 v9, 7, v2
	v_ffbh_u32_e32 v65, v9
	v_min_u32_e32 v65, 32, v65
	v_lshrrev_b32_e32 v10, 3, v8
	v_subrev_u32_e32 v67, 28, v65
	v_sub_u32_e32 v65, 29, v65
	v_cmp_gt_u32_e64 s[0:1], 8, v8
	v_lshlrev_b64 v[68:69], v67, v[2:3]
	v_lshlrev_b32_e32 v2, 8, v2
	v_cndmask_b32_e64 v8, v10, v65, s[0:1]
	v_lshl_add_u32 v8, v8, 10, v21
	v_and_b32_e32 v10, 7, v68
	v_and_or_b32 v2, v2, s54, v8
	v_cndmask_b32_e64 v9, v9, v10, s[0:1]
	v_lshlrev_b32_e32 v2, 16, v2
	v_lshl_or_b32 v65, v9, 23, v2
.LBB254_256:                            ;   in Loop: Header=BB254_13 Depth=1
	s_or_b64 exec, exec, s[44:45]
.LBB254_257:                            ;   in Loop: Header=BB254_13 Depth=1
	s_or_b64 exec, exec, s[42:43]
.LBB254_258:                            ;   in Loop: Header=BB254_13 Depth=1
	s_or_b64 exec, exec, s[40:41]
	v_or_b32_e32 v2, v59, v60
	v_fma_mixlo_f16 v9, v26, v59, 0 op_sel:[0,1,0] op_sel_hi:[0,1,0]
	v_or_b32_e32 v56, v55, v56
	v_fma_mixlo_f16 v59, v26, v55, 0 op_sel:[0,1,0] op_sel_hi:[0,1,0]
	v_or_b32_e32 v55, v57, v58
	v_fma_mixlo_f16 v60, v26, v56, 0 op_sel_hi:[0,1,0]
	v_fma_mixlo_f16 v56, v26, v55, 0 op_sel_hi:[0,1,0]
	v_fma_mixlo_f16 v55, v26, v57, 0 op_sel:[0,1,0] op_sel_hi:[0,1,0]
	v_or_b32_e32 v52, v51, v52
	v_fma_mixlo_f16 v57, v26, v51, 0 op_sel:[0,1,0] op_sel_hi:[0,1,0]
	v_or_b32_e32 v51, v53, v54
	v_fma_mixlo_f16 v58, v26, v52, 0 op_sel_hi:[0,1,0]
	v_fma_mixlo_f16 v52, v26, v51, 0 op_sel_hi:[0,1,0]
	v_fma_mixlo_f16 v51, v26, v53, 0 op_sel:[0,1,0] op_sel_hi:[0,1,0]
	v_or_b32_e32 v36, v35, v36
	v_fma_mixlo_f16 v53, v26, v35, 0 op_sel:[0,1,0] op_sel_hi:[0,1,0]
	v_or_b32_e32 v35, v37, v38
	v_fma_mixlo_f16 v38, v26, v35, 0 op_sel_hi:[0,1,0]
	v_or_b32_e32 v32, v31, v32
	v_fma_mixlo_f16 v35, v26, v31, 0 op_sel:[0,1,0] op_sel_hi:[0,1,0]
	v_or_b32_e32 v31, v33, v34
	v_fma_mixlo_f16 v54, v26, v32, 0 op_sel_hi:[0,1,0]
	v_fma_mixlo_f16 v34, v26, v31, 0 op_sel_hi:[0,1,0]
	v_or_b32_e32 v28, v27, v28
	v_fma_mixlo_f16 v32, v26, v27, 0 op_sel:[0,1,0] op_sel_hi:[0,1,0]
	v_or_b32_e32 v27, v29, v30
	ds_read_b64 v[30:31], v14
	v_fma_mixlo_f16 v10, v26, v2, 0 op_sel_hi:[0,1,0]
	v_or_b32_e32 v2, v61, v62
	v_fma_mixlo_f16 v28, v26, v28, 0 op_sel_hi:[0,1,0]
	v_fma_mixlo_f16 v8, v26, v2, 0 op_sel_hi:[0,1,0]
	v_fma_mixlo_f16 v2, v26, v61, 0 op_sel:[0,1,0] op_sel_hi:[0,1,0]
	v_fma_mixlo_f16 v61, v26, v33, 0 op_sel:[0,1,0] op_sel_hi:[0,1,0]
	v_fma_mixlo_f16 v33, v26, v27, 0 op_sel_hi:[0,1,0]
	v_or_b32_e32 v62, v63, v64
	v_fma_mixlo_f16 v27, v26, v63, 0 op_sel:[0,1,0] op_sel_hi:[0,1,0]
	s_waitcnt lgkmcnt(0)
	v_lshrrev_b32_e32 v63, 16, v30
	v_and_b32_e32 v30, 0xffff, v30
	v_and_b32_e32 v28, 0xffff, v28
	;;#ASMSTART
	v_cvt_f32_f16 v30, v30;
	;;#ASMEND
	;;#ASMSTART
	v_cvt_f32_f16 v63, v63;
	;;#ASMEND
	;; [unrolled: 3-line block ×3, first 2 shown]
	v_and_b32_e32 v28, 0xffff, v32
	;;#ASMSTART
	v_cvt_f32_f16 v67, v28;
	;;#ASMEND
	v_lshrrev_b32_e32 v28, 16, v31
	v_fma_mixlo_f16 v29, v26, v29, 0 op_sel:[0,1,0] op_sel_hi:[0,1,0]
	v_and_b32_e32 v31, 0xffff, v31
	;;#ASMSTART
	v_cvt_f32_f16 v68, v31;
	;;#ASMEND
	;;#ASMSTART
	v_cvt_f32_f16 v69, v28;
	;;#ASMEND
	v_and_b32_e32 v28, 0xffff, v33
	;;#ASMSTART
	v_cvt_f32_f16 v70, v28;
	;;#ASMEND
	v_and_b32_e32 v28, 0xffff, v29
	;;#ASMSTART
	v_cvt_f32_f16 v71, v28;
	;;#ASMEND
	ds_read_b64 v[32:33], v14 offset:8
	v_and_b32_e32 v54, 0xffff, v54
	v_fma_mixlo_f16 v31, v26, v62, 0 op_sel_hi:[0,1,0]
	v_and_b32_e32 v35, 0xffff, v35
	v_and_b32_e32 v34, 0xffff, v34
	s_waitcnt lgkmcnt(0)
	v_and_b32_e32 v29, 0xffff, v32
	;;#ASMSTART
	v_cvt_f32_f16 v29, v29;
	;;#ASMEND
	v_lshrrev_b32_e32 v62, 16, v32
	;;#ASMSTART
	v_cvt_f32_f16 v32, v62;
	;;#ASMEND
	;;#ASMSTART
	v_cvt_f32_f16 v54, v54;
	;;#ASMEND
	;; [unrolled: 3-line block ×3, first 2 shown]
	v_fma_mixlo_f16 v36, v26, v36, 0 op_sel_hi:[0,1,0]
	v_mul_f32_e32 v29, v29, v54
	v_fmac_f32_e32 v29, v30, v64
	v_mul_f32_e32 v30, v32, v35
	v_and_b32_e32 v32, 0xffff, v33
	v_lshrrev_b32_e32 v35, 16, v33
	;;#ASMSTART
	v_cvt_f32_f16 v32, v32;
	;;#ASMEND
	;;#ASMSTART
	v_cvt_f32_f16 v33, v35;
	;;#ASMEND
	;; [unrolled: 3-line block ×3, first 2 shown]
	v_and_b32_e32 v34, 0xffff, v61
	;;#ASMSTART
	v_cvt_f32_f16 v61, v34;
	;;#ASMEND
	ds_read_b64 v[34:35], v14 offset:16
	v_mul_f32_e32 v33, v33, v61
	v_mul_f32_e32 v32, v32, v54
	v_fma_mixlo_f16 v37, v26, v37, 0 op_sel:[0,1,0] op_sel_hi:[0,1,0]
	v_fmac_f32_e32 v30, v63, v67
	s_waitcnt lgkmcnt(0)
	v_lshrrev_b32_e32 v61, 16, v34
	v_and_b32_e32 v34, 0xffff, v34
	;;#ASMSTART
	v_cvt_f32_f16 v54, v34;
	;;#ASMEND
	v_and_b32_e32 v34, 0xffff, v36
	;;#ASMSTART
	v_cvt_f32_f16 v61, v61;
	;;#ASMEND
	;;#ASMSTART
	v_cvt_f32_f16 v36, v34;
	;;#ASMEND
	v_and_b32_e32 v34, 0xffff, v53
	;;#ASMSTART
	v_cvt_f32_f16 v53, v34;
	;;#ASMEND
	v_lshrrev_b32_e32 v34, 16, v35
	v_and_b32_e32 v35, 0xffff, v35
	;;#ASMSTART
	v_cvt_f32_f16 v62, v35;
	;;#ASMEND
	;;#ASMSTART
	v_cvt_f32_f16 v63, v34;
	;;#ASMEND
	v_and_b32_e32 v34, 0xffff, v38
	;;#ASMSTART
	v_cvt_f32_f16 v38, v34;
	;;#ASMEND
	v_and_b32_e32 v34, 0xffff, v37
	;;#ASMSTART
	v_cvt_f32_f16 v37, v34;
	;;#ASMEND
	ds_read_b64 v[34:35], v14 offset:24
	v_or_b32_e32 v40, v39, v40
	v_fmac_f32_e32 v33, v69, v71
	v_fma_mixlo_f16 v40, v26, v40, 0 op_sel_hi:[0,1,0]
	v_fmac_f32_e32 v33, v63, v37
	s_waitcnt lgkmcnt(0)
	v_lshrrev_b32_e32 v37, 16, v34
	v_and_b32_e32 v34, 0xffff, v34
	v_fma_mixlo_f16 v39, v26, v39, 0 op_sel:[0,1,0] op_sel_hi:[0,1,0]
	v_fmac_f32_e32 v32, v68, v70
	v_fmac_f32_e32 v29, v54, v36
	;;#ASMSTART
	v_cvt_f32_f16 v36, v34;
	;;#ASMEND
	v_and_b32_e32 v34, 0xffff, v40
	v_or_b32_e32 v42, v41, v42
	v_fmac_f32_e32 v32, v62, v38
	;;#ASMSTART
	v_cvt_f32_f16 v37, v37;
	;;#ASMEND
	;;#ASMSTART
	v_cvt_f32_f16 v38, v34;
	;;#ASMEND
	v_and_b32_e32 v34, 0xffff, v39
	v_fma_mixlo_f16 v42, v26, v42, 0 op_sel_hi:[0,1,0]
	;;#ASMSTART
	v_cvt_f32_f16 v39, v34;
	;;#ASMEND
	v_lshrrev_b32_e32 v34, 16, v35
	v_fma_mixlo_f16 v41, v26, v41, 0 op_sel:[0,1,0] op_sel_hi:[0,1,0]
	v_fmac_f32_e32 v30, v61, v53
	v_and_b32_e32 v35, 0xffff, v35
	;;#ASMSTART
	v_cvt_f32_f16 v40, v35;
	;;#ASMEND
	;;#ASMSTART
	v_cvt_f32_f16 v53, v34;
	;;#ASMEND
	v_and_b32_e32 v34, 0xffff, v42
	;;#ASMSTART
	v_cvt_f32_f16 v42, v34;
	;;#ASMEND
	v_and_b32_e32 v34, 0xffff, v41
	;;#ASMSTART
	v_cvt_f32_f16 v41, v34;
	;;#ASMEND
	ds_read_b64 v[34:35], v14 offset:32
	v_or_b32_e32 v44, v43, v44
	v_fma_mixlo_f16 v44, v26, v44, 0 op_sel_hi:[0,1,0]
	v_fmac_f32_e32 v30, v37, v39
	v_fma_mixlo_f16 v43, v26, v43, 0 op_sel:[0,1,0] op_sel_hi:[0,1,0]
	s_waitcnt lgkmcnt(0)
	v_lshrrev_b32_e32 v37, 16, v34
	v_and_b32_e32 v34, 0xffff, v34
	v_fmac_f32_e32 v29, v36, v38
	;;#ASMSTART
	v_cvt_f32_f16 v36, v34;
	;;#ASMEND
	v_and_b32_e32 v34, 0xffff, v44
	v_or_b32_e32 v46, v45, v46
	;;#ASMSTART
	v_cvt_f32_f16 v37, v37;
	;;#ASMEND
	;;#ASMSTART
	v_cvt_f32_f16 v38, v34;
	;;#ASMEND
	v_and_b32_e32 v34, 0xffff, v43
	v_fma_mixlo_f16 v46, v26, v46, 0 op_sel_hi:[0,1,0]
	;;#ASMSTART
	v_cvt_f32_f16 v39, v34;
	;;#ASMEND
	v_lshrrev_b32_e32 v34, 16, v35
	v_fma_mixlo_f16 v45, v26, v45, 0 op_sel:[0,1,0] op_sel_hi:[0,1,0]
	v_fmac_f32_e32 v32, v40, v42
	v_fmac_f32_e32 v33, v53, v41
	v_and_b32_e32 v35, 0xffff, v35
	;;#ASMSTART
	v_cvt_f32_f16 v40, v35;
	;;#ASMEND
	;;#ASMSTART
	v_cvt_f32_f16 v41, v34;
	;;#ASMEND
	v_and_b32_e32 v34, 0xffff, v46
	;;#ASMSTART
	v_cvt_f32_f16 v42, v34;
	;;#ASMEND
	v_and_b32_e32 v34, 0xffff, v45
	;;#ASMSTART
	v_cvt_f32_f16 v43, v34;
	;;#ASMEND
	ds_read_b64 v[34:35], v14 offset:40
	v_or_b32_e32 v48, v47, v48
	v_fma_mixlo_f16 v48, v26, v48, 0 op_sel_hi:[0,1,0]
	v_fmac_f32_e32 v30, v37, v39
	v_fma_mixlo_f16 v47, v26, v47, 0 op_sel:[0,1,0] op_sel_hi:[0,1,0]
	s_waitcnt lgkmcnt(0)
	v_lshrrev_b32_e32 v37, 16, v34
	v_and_b32_e32 v34, 0xffff, v34
	v_fmac_f32_e32 v29, v36, v38
	;;#ASMSTART
	v_cvt_f32_f16 v36, v34;
	;;#ASMEND
	v_and_b32_e32 v34, 0xffff, v48
	v_or_b32_e32 v50, v49, v50
	;;#ASMSTART
	v_cvt_f32_f16 v37, v37;
	;;#ASMEND
	;;#ASMSTART
	v_cvt_f32_f16 v38, v34;
	;;#ASMEND
	v_and_b32_e32 v34, 0xffff, v47
	v_fma_mixlo_f16 v50, v26, v50, 0 op_sel_hi:[0,1,0]
	;;#ASMSTART
	v_cvt_f32_f16 v39, v34;
	;;#ASMEND
	v_lshrrev_b32_e32 v34, 16, v35
	v_fma_mixlo_f16 v49, v26, v49, 0 op_sel:[0,1,0] op_sel_hi:[0,1,0]
	v_fmac_f32_e32 v32, v40, v42
	v_fmac_f32_e32 v33, v41, v43
	v_and_b32_e32 v35, 0xffff, v35
	;;#ASMSTART
	v_cvt_f32_f16 v40, v35;
	;;#ASMEND
	;;#ASMSTART
	v_cvt_f32_f16 v41, v34;
	;;#ASMEND
	v_and_b32_e32 v34, 0xffff, v50
	;;#ASMSTART
	v_cvt_f32_f16 v42, v34;
	;;#ASMEND
	v_and_b32_e32 v34, 0xffff, v49
	;;#ASMSTART
	v_cvt_f32_f16 v43, v34;
	;;#ASMEND
	ds_read_b64 v[34:35], v14 offset:48
	v_fmac_f32_e32 v30, v37, v39
	v_fmac_f32_e32 v29, v36, v38
	;; [unrolled: 1-line block ×4, first 2 shown]
	s_waitcnt lgkmcnt(0)
	v_lshrrev_b32_e32 v37, 16, v34
	v_and_b32_e32 v34, 0xffff, v34
	;;#ASMSTART
	v_cvt_f32_f16 v36, v34;
	;;#ASMEND
	v_and_b32_e32 v34, 0xffff, v58
	;;#ASMSTART
	v_cvt_f32_f16 v37, v37;
	;;#ASMEND
	;;#ASMSTART
	v_cvt_f32_f16 v38, v34;
	;;#ASMEND
	v_and_b32_e32 v34, 0xffff, v57
	;;#ASMSTART
	v_cvt_f32_f16 v39, v34;
	;;#ASMEND
	v_lshrrev_b32_e32 v34, 16, v35
	v_and_b32_e32 v35, 0xffff, v35
	;;#ASMSTART
	v_cvt_f32_f16 v40, v35;
	;;#ASMEND
	;;#ASMSTART
	v_cvt_f32_f16 v41, v34;
	;;#ASMEND
	v_and_b32_e32 v34, 0xffff, v52
	;;#ASMSTART
	v_cvt_f32_f16 v42, v34;
	;;#ASMEND
	v_and_b32_e32 v34, 0xffff, v51
	;;#ASMSTART
	v_cvt_f32_f16 v43, v34;
	;;#ASMEND
	ds_read_b64 v[34:35], v14 offset:56
	v_fmac_f32_e32 v30, v37, v39
	v_fmac_f32_e32 v29, v36, v38
	;; [unrolled: 1-line block ×4, first 2 shown]
	s_waitcnt lgkmcnt(0)
	v_lshrrev_b32_e32 v37, 16, v34
	v_and_b32_e32 v34, 0xffff, v34
	;;#ASMSTART
	v_cvt_f32_f16 v36, v34;
	;;#ASMEND
	v_and_b32_e32 v34, 0xffff, v60
	;;#ASMSTART
	v_cvt_f32_f16 v37, v37;
	;;#ASMEND
	;;#ASMSTART
	v_cvt_f32_f16 v38, v34;
	;;#ASMEND
	v_and_b32_e32 v34, 0xffff, v59
	;;#ASMSTART
	v_cvt_f32_f16 v39, v34;
	;;#ASMEND
	v_lshrrev_b32_e32 v34, 16, v35
	v_and_b32_e32 v35, 0xffff, v35
	;;#ASMSTART
	v_cvt_f32_f16 v40, v35;
	;;#ASMEND
	;;#ASMSTART
	v_cvt_f32_f16 v41, v34;
	;;#ASMEND
	v_and_b32_e32 v34, 0xffff, v56
	;;#ASMSTART
	v_cvt_f32_f16 v42, v34;
	;;#ASMEND
	v_and_b32_e32 v34, 0xffff, v55
	;;#ASMSTART
	v_cvt_f32_f16 v43, v34;
	;;#ASMEND
	ds_read_b64 v[34:35], v14 offset:64
	v_fmac_f32_e32 v29, v36, v38
	v_and_b32_e32 v10, 0xffff, v10
	v_and_b32_e32 v9, 0xffff, v9
	v_fmac_f32_e32 v30, v37, v39
	s_waitcnt lgkmcnt(0)
	v_lshrrev_b32_e32 v36, 16, v34
	v_and_b32_e32 v34, 0xffff, v34
	;;#ASMSTART
	v_cvt_f32_f16 v34, v34;
	;;#ASMEND
	;;#ASMSTART
	v_cvt_f32_f16 v36, v36;
	;;#ASMEND
	;; [unrolled: 3-line block ×4, first 2 shown]
	v_lshrrev_b32_e32 v9, 16, v35
	v_and_b32_e32 v35, 0xffff, v35
	v_and_b32_e32 v8, 0xffff, v8
	;; [unrolled: 1-line block ×3, first 2 shown]
	;;#ASMSTART
	v_cvt_f32_f16 v35, v35;
	;;#ASMEND
	;;#ASMSTART
	v_cvt_f32_f16 v38, v9;
	;;#ASMEND
	;; [unrolled: 3-line block ×4, first 2 shown]
	ds_read_b64 v[8:9], v14 offset:72
	v_fmac_f32_e32 v33, v41, v43
	v_or_b32_e32 v28, v65, v66
	v_fmac_f32_e32 v29, v34, v10
	v_fmac_f32_e32 v33, v38, v2
	s_waitcnt lgkmcnt(0)
	v_lshrrev_b32_e32 v10, 16, v8
	v_and_b32_e32 v2, 0xffff, v8
	v_fma_mixlo_f16 v28, v26, v28, 0 op_sel_hi:[0,1,0]
	v_fmac_f32_e32 v30, v36, v37
	;;#ASMSTART
	v_cvt_f32_f16 v2, v2;
	;;#ASMEND
	;;#ASMSTART
	v_cvt_f32_f16 v8, v10;
	;;#ASMEND
	v_and_b32_e32 v10, 0xffff, v31
	v_and_b32_e32 v27, 0xffff, v27
	v_fmac_f32_e32 v32, v40, v42
	;;#ASMSTART
	v_cvt_f32_f16 v10, v10;
	;;#ASMEND
	;;#ASMSTART
	v_cvt_f32_f16 v27, v27;
	;;#ASMEND
	v_fma_mixlo_f16 v26, v26, v65, 0 op_sel:[0,1,0] op_sel_hi:[0,1,0]
	v_fmac_f32_e32 v29, v2, v10
	v_fmac_f32_e32 v30, v8, v27
	v_lshrrev_b32_e32 v8, 16, v9
	v_and_b32_e32 v2, 0xffff, v9
	v_and_b32_e32 v9, 0xffff, v28
	v_fmac_f32_e32 v32, v35, v39
	;;#ASMSTART
	v_cvt_f32_f16 v2, v2;
	;;#ASMEND
	;;#ASMSTART
	v_cvt_f32_f16 v8, v8;
	;;#ASMEND
	;; [unrolled: 3-line block ×3, first 2 shown]
	v_and_b32_e32 v10, 0xffff, v26
	v_fmac_f32_e32 v32, v2, v9
	v_and_b32_e32 v9, 64, v22
	;;#ASMSTART
	v_cvt_f32_f16 v10, v10;
	;;#ASMEND
	v_add_u32_e32 v9, 64, v9
	v_fmac_f32_e32 v33, v8, v10
	v_xor_b32_e32 v8, 1, v22
	v_add_f32_e32 v2, v29, v30
	v_cmp_lt_i32_e64 s[0:1], v8, v9
	v_add_f32_e32 v2, v2, v32
	v_add_f32_e32 v2, v33, v2
	v_cndmask_b32_e64 v8, v22, v8, s[0:1]
	v_lshlrev_b32_e32 v8, 2, v8
	ds_bpermute_b32 v8, v8, v2
	s_and_saveexec_b64 s[40:41], vcc
	s_cbranch_execz .LBB254_11
; %bb.259:                              ;   in Loop: Header=BB254_13 Depth=1
	v_add_u32_e32 v9, v18, v17
	v_cvt_f32_i32_e32 v9, v9
	s_waitcnt lgkmcnt(0)
	v_add_f32_e32 v2, v2, v8
	v_add_u32_e32 v10, v13, v17
	v_cmp_gt_i32_e64 s[0:1], s33, v10
	v_mul_f32_e32 v8, s48, v9
	v_cndmask_b32_e64 v8, 0, v8, s[2:3]
	v_fmac_f32_e32 v8, s37, v2
	v_cndmask_b32_e64 v2, 0, v8, s[0:1]
	ds_write_b32 v19, v2
	v_max_f32_e32 v2, v15, v15
	v_max_f32_e32 v2, v2, v8
	v_cndmask_b32_e64 v15, v15, v2, s[0:1]
	s_branch .LBB254_11
.LBB254_260:
	s_or_b64 exec, exec, s[38:39]
.LBB254_261:
	s_or_b64 exec, exec, s[18:19]
	v_mbcnt_hi_u32_b32 v2, -1, v12
	v_and_b32_e32 v9, 64, v2
	v_add_u32_e32 v10, 64, v9
	v_xor_b32_e32 v3, 32, v2
	v_cmp_lt_i32_e32 vcc, v3, v10
	v_xor_b32_e32 v6, 16, v2
	v_max_f32_e32 v5, v15, v15
	v_cndmask_b32_e32 v3, v2, v3, vcc
	v_lshlrev_b32_e32 v3, 2, v3
	ds_bpermute_b32 v4, v3, v15
	v_cmp_lt_i32_e32 vcc, v6, v10
	v_xor_b32_e32 v7, 8, v2
	s_waitcnt lgkmcnt(1)
	v_xor_b32_e32 v8, 4, v2
	v_xor_b32_e32 v12, 2, v2
	s_waitcnt lgkmcnt(0)
	v_max_f32_e32 v4, v4, v4
	v_max_f32_e32 v5, v5, v4
	v_cndmask_b32_e32 v4, v2, v6, vcc
	v_lshlrev_b32_e32 v4, 2, v4
	ds_bpermute_b32 v6, v4, v5
	v_cmp_lt_i32_e32 vcc, v7, v10
	v_and_b32_e32 v26, 63, v0
	s_waitcnt lgkmcnt(0)
	v_max_f32_e32 v6, v6, v6
	v_max_f32_e32 v6, v5, v6
	v_cndmask_b32_e32 v5, v2, v7, vcc
	v_lshlrev_b32_e32 v5, 2, v5
	ds_bpermute_b32 v7, v5, v6
	v_cmp_lt_i32_e32 vcc, v8, v10
	s_waitcnt lgkmcnt(0)
	v_max_f32_e32 v7, v7, v7
	v_max_f32_e32 v7, v6, v7
	v_cndmask_b32_e32 v6, v2, v8, vcc
	v_lshlrev_b32_e32 v6, 2, v6
	ds_bpermute_b32 v8, v6, v7
	v_cmp_lt_i32_e32 vcc, v12, v10
	s_waitcnt lgkmcnt(0)
	v_max_f32_e32 v8, v8, v8
	v_max_f32_e32 v8, v7, v8
	v_cndmask_b32_e32 v7, v2, v12, vcc
	v_lshlrev_b32_e32 v27, 2, v7
	ds_bpermute_b32 v12, v27, v8
	v_cmp_eq_u32_e32 vcc, 0, v26
	v_lshlrev_b32_e32 v7, 2, v24
	s_and_saveexec_b64 s[0:1], vcc
	s_cbranch_execz .LBB254_263
; %bb.262:
	s_waitcnt lgkmcnt(0)
	v_max_f32_e32 v12, v12, v12
	v_max_f32_e32 v8, v8, v8
	;; [unrolled: 1-line block ×3, first 2 shown]
	ds_write_b32 v7, v8 offset:160
.LBB254_263:
	s_or_b64 exec, exec, s[0:1]
	v_cmp_gt_u32_e64 s[0:1], 2, v26
	s_waitcnt lgkmcnt(0)
	v_mov_b32_e32 v12, 0xff7fffff
	v_lshlrev_b32_e32 v8, 2, v26
	s_barrier
	s_and_saveexec_b64 s[2:3], s[0:1]
; %bb.264:
	ds_read_b32 v12, v8 offset:160
; %bb.265:
	s_or_b64 exec, exec, s[2:3]
	v_xor_b32_e32 v13, 1, v2
	v_cmp_lt_i32_e64 s[2:3], v13, v10
	v_lshlrev_b32_e32 v9, 2, v9
	s_nop 0
	v_cndmask_b32_e64 v10, v2, v13, s[2:3]
	v_lshlrev_b32_e32 v28, 2, v10
	s_waitcnt lgkmcnt(0)
	ds_bpermute_b32 v10, v28, v12
	v_max_f32_e32 v12, v12, v12
	s_lshl_b32 s2, s47, 5
	s_min_i32 s37, s2, s33
	v_cmp_gt_i32_e64 s[2:3], s37, v0
	s_waitcnt lgkmcnt(0)
	v_max_f32_e32 v10, v10, v10
	v_max_f32_e32 v10, v12, v10
	ds_bpermute_b32 v10, v9, v10
	v_mov_b32_e32 v9, 0
	s_and_saveexec_b64 s[12:13], s[2:3]
	s_cbranch_execz .LBB254_269
; %bb.266:
	v_mov_b32_e32 v9, 0xb0
	v_lshl_add_u32 v12, v0, 2, v9
	v_mov_b32_e32 v9, 0
	s_mov_b64 s[18:19], 0
	v_mov_b32_e32 v13, v0
.LBB254_267:                            ; =>This Inner Loop Header: Depth=1
	ds_read_b32 v14, v12
	v_add_u32_e32 v13, 0x80, v13
	v_cmp_le_i32_e64 s[8:9], s37, v13
	s_or_b64 s[18:19], s[8:9], s[18:19]
	s_waitcnt lgkmcnt(0)
	v_sub_f32_e32 v14, v14, v10
	v_mul_f32_e32 v14, 0x3fb8aa3b, v14
	v_exp_f32_e32 v14, v14
	ds_write_b32 v12, v14
	v_add_f32_e32 v9, v9, v14
	v_add_u32_e32 v12, 0x200, v12
	s_andn2_b64 exec, exec, s[18:19]
	s_cbranch_execnz .LBB254_267
; %bb.268:
	s_or_b64 exec, exec, s[18:19]
.LBB254_269:
	s_or_b64 exec, exec, s[12:13]
	ds_bpermute_b32 v3, v3, v9
	s_waitcnt lgkmcnt(0)
	v_add_f32_e32 v3, v9, v3
	ds_bpermute_b32 v4, v4, v3
	s_waitcnt lgkmcnt(0)
	v_add_f32_e32 v3, v3, v4
	;; [unrolled: 3-line block ×6, first 2 shown]
	s_and_saveexec_b64 s[8:9], vcc
; %bb.270:
	ds_write_b32 v7, v3 offset:168
; %bb.271:
	s_or_b64 exec, exec, s[8:9]
	s_waitcnt lgkmcnt(0)
	s_barrier
	s_and_saveexec_b64 s[8:9], s[0:1]
; %bb.272:
	ds_read_b32 v3, v8 offset:168
; %bb.273:
	s_or_b64 exec, exec, s[8:9]
	s_waitcnt lgkmcnt(0)
	ds_bpermute_b32 v4, v28, v3
	v_lshlrev_b32_e32 v2, 2, v2
	v_and_b32_e32 v2, 0x100, v2
	s_waitcnt lgkmcnt(0)
	v_add_f32_e32 v3, v3, v4
	ds_bpermute_b32 v2, v2, v3
	s_and_saveexec_b64 s[0:1], s[2:3]
	s_cbranch_execz .LBB254_286
; %bb.274:
	s_waitcnt lgkmcnt(0)
	v_add_f32_e32 v2, 0x358637bd, v2
	v_div_scale_f32 v3, s[2:3], v2, v2, 1.0
	v_rcp_f32_e32 v4, v3
	v_div_scale_f32 v5, vcc, 1.0, v2, 1.0
	s_movk_i32 s2, 0x7f
	v_fma_f32 v6, -v3, v4, 1.0
	v_fmac_f32_e32 v4, v6, v4
	v_mul_f32_e32 v6, v5, v4
	v_fma_f32 v7, -v3, v6, v5
	v_fmac_f32_e32 v6, v7, v4
	v_fma_f32 v3, -v3, v6, v5
	v_div_fmas_f32 v3, v3, v4, v6
	v_xad_u32 v4, v0, -1, s37
	v_div_fixup_f32 v2, v3, v2, 1.0
	v_cmp_lt_u32_e32 vcc, s2, v4
	s_mov_b64 s[8:9], -1
	v_mov_b32_e32 v3, v0
	s_and_saveexec_b64 s[2:3], vcc
	s_cbranch_execz .LBB254_283
; %bb.275:
	v_lshrrev_b32_e32 v4, 7, v4
	v_add_u32_e32 v6, -1, v4
	v_lshrrev_b32_e32 v5, 1, v6
	v_mov_b32_e32 v3, v2
	v_add_u32_e32 v5, 1, v5
	v_cmp_lt_u32_e32 vcc, 13, v6
	v_mov_b32_e32 v8, 0
	s_and_saveexec_b64 s[8:9], vcc
	s_cbranch_execz .LBB254_279
; %bb.276:
	v_mov_b32_e32 v7, 0xb0
	v_and_b32_e32 v6, -8, v5
	v_lshl_add_u32 v7, v0, 2, v7
	s_mov_b32 s18, 0
	s_mov_b64 s[12:13], 0
.LBB254_277:                            ; =>This Inner Loop Header: Depth=1
	ds_read2st64_b32 v[8:9], v7 offset1:2
	ds_read2st64_b32 v[12:13], v7 offset0:4 offset1:6
	ds_read2st64_b32 v[14:15], v7 offset0:8 offset1:10
	;; [unrolled: 1-line block ×3, first 2 shown]
	v_add_u32_e32 v6, -8, v6
	s_waitcnt lgkmcnt(3)
	v_pk_mul_f32 v[8:9], v[2:3], v[8:9]
	s_waitcnt lgkmcnt(2)
	v_pk_mul_f32 v[12:13], v[2:3], v[12:13]
	ds_write2st64_b32 v7, v8, v9 offset1:2
	ds_write2st64_b32 v7, v12, v13 offset0:4 offset1:6
	ds_read2st64_b32 v[12:13], v7 offset0:16 offset1:18
	s_waitcnt lgkmcnt(4)
	v_pk_mul_f32 v[8:9], v[2:3], v[14:15]
	ds_write2st64_b32 v7, v8, v9 offset0:8 offset1:10
	s_waitcnt lgkmcnt(4)
	v_pk_mul_f32 v[8:9], v[2:3], v[16:17]
	ds_write2st64_b32 v7, v8, v9 offset0:12 offset1:14
	ds_read2st64_b32 v[8:9], v7 offset0:20 offset1:22
	s_waitcnt lgkmcnt(3)
	v_pk_mul_f32 v[12:13], v[2:3], v[12:13]
	ds_read2st64_b32 v[14:15], v7 offset0:24 offset1:26
	ds_write2st64_b32 v7, v12, v13 offset0:16 offset1:18
	ds_read2st64_b32 v[12:13], v7 offset0:28 offset1:30
	s_waitcnt lgkmcnt(3)
	v_pk_mul_f32 v[8:9], v[2:3], v[8:9]
	ds_write2st64_b32 v7, v8, v9 offset0:20 offset1:22
	s_waitcnt lgkmcnt(3)
	v_pk_mul_f32 v[8:9], v[2:3], v[14:15]
	ds_write2st64_b32 v7, v8, v9 offset0:24 offset1:26
	s_waitcnt lgkmcnt(2)
	v_pk_mul_f32 v[8:9], v[2:3], v[12:13]
	s_add_i32 s18, s18, 16
	v_cmp_eq_u32_e32 vcc, 0, v6
	ds_write2st64_b32 v7, v8, v9 offset0:28 offset1:30
	v_add_u32_e32 v7, 0x2000, v7
	s_or_b64 s[12:13], vcc, s[12:13]
	v_mov_b32_e32 v8, s18
	s_andn2_b64 exec, exec, s[12:13]
	s_cbranch_execnz .LBB254_277
; %bb.278:
	s_or_b64 exec, exec, s[12:13]
.LBB254_279:
	s_or_b64 exec, exec, s[8:9]
	v_and_b32_e32 v5, 7, v5
	v_cmp_ne_u32_e32 vcc, 0, v5
	s_and_saveexec_b64 s[8:9], vcc
	s_cbranch_execz .LBB254_282
; %bb.280:
	v_lshlrev_b32_e32 v6, 9, v8
	v_lshlrev_b32_e32 v7, 2, v0
	s_movk_i32 s12, 0xb0
	v_add3_u32 v6, v6, v7, s12
	s_mov_b64 s[12:13], 0
.LBB254_281:                            ; =>This Inner Loop Header: Depth=1
	ds_read2st64_b32 v[8:9], v6 offset1:2
	v_add_u32_e32 v5, -1, v5
	v_cmp_eq_u32_e32 vcc, 0, v5
	s_or_b64 s[12:13], vcc, s[12:13]
	s_waitcnt lgkmcnt(0)
	v_pk_mul_f32 v[8:9], v[2:3], v[8:9]
	ds_write2st64_b32 v6, v8, v9 offset1:2
	v_add_u32_e32 v6, 0x400, v6
	s_andn2_b64 exec, exec, s[12:13]
	s_cbranch_execnz .LBB254_281
.LBB254_282:
	s_or_b64 exec, exec, s[8:9]
	v_add_u32_e32 v4, 1, v4
	v_and_b32_e32 v5, 0x3fffffe, v4
	v_cmp_ne_u32_e32 vcc, v4, v5
	v_lshl_add_u32 v3, v5, 7, v0
	s_orn2_b64 s[8:9], vcc, exec
.LBB254_283:
	s_or_b64 exec, exec, s[2:3]
	s_and_b64 exec, exec, s[8:9]
	s_cbranch_execz .LBB254_286
; %bb.284:
	v_mov_b32_e32 v4, 0xb0
	v_lshl_add_u32 v4, v3, 2, v4
	s_mov_b64 s[2:3], 0
.LBB254_285:                            ; =>This Inner Loop Header: Depth=1
	ds_read_b32 v5, v4
	v_add_u32_e32 v3, 0x80, v3
	v_cmp_le_i32_e32 vcc, s37, v3
	s_or_b64 s[2:3], vcc, s[2:3]
	s_waitcnt lgkmcnt(0)
	v_mul_f32_e32 v5, v2, v5
	ds_write_b32 v4, v5
	v_add_u32_e32 v4, 0x200, v4
	s_andn2_b64 exec, exec, s[2:3]
	s_cbranch_execnz .LBB254_285
.LBB254_286:
	s_or_b64 exec, exec, s[0:1]
	v_mov_b32_e32 v3, 0
	v_and_b32_e32 v29, 3, v0
	s_waitcnt lgkmcnt(0)
	v_mov_b32_e32 v2, 0
	v_mov_b32_e32 v5, 0
	;; [unrolled: 1-line block ×4, first 2 shown]
	s_barrier
	s_and_saveexec_b64 s[2:3], s[6:7]
	s_cbranch_execz .LBB254_542
; %bb.287:
	s_sub_i32 s37, s16, s21
	s_ashr_i32 s1, s20, 31
	s_add_u32 s0, s34, s20
	s_addc_u32 s1, s35, s1
	s_abs_i32 s22, s22
	v_cvt_f32_u32_e32 v2, s22
	v_and_b32_e32 v31, 24, v1
	v_and_b32_e32 v6, 0x1f8, v1
	v_mov_b32_e32 v7, 0
	v_rcp_iflag_f32_e32 v1, v2
	v_lshl_add_u64 v[8:9], s[0:1], 0, v[6:7]
	s_sub_i32 s0, 0, s22
	s_add_i32 s35, s47, -1
	v_mul_f32_e32 v1, 0x4f7ffffe, v1
	v_cvt_u32_f32_e32 v1, v1
	s_mov_b32 s6, -1
	v_and_b32_e32 v6, 60, v11
	s_mov_b32 s34, s17
	v_mul_lo_u32 v2, s0, v1
	v_mul_hi_u32 v2, v1, v2
	s_lshl_b64 s[0:1], s[30:31], 2
	v_add_u32_e32 v32, v1, v2
	s_add_u32 s0, s28, s0
	v_lshlrev_b32_e32 v1, 5, v29
	s_addc_u32 s1, s29, s1
	v_lshl_or_b32 v1, v24, 7, v1
	s_mov_b32 s7, 0xffffff
	s_mov_b32 s38, s33
	v_lshl_add_u64 v[10:11], s[0:1], 0, v[6:7]
	v_add_u32_e32 v33, 0xb0, v1
	s_mov_b64 s[8:9], 0
	s_movk_i32 s28, 0x80
	s_movk_i32 s29, 0x7f
	s_mov_b32 s30, 0x8000
	v_mov_b32_e32 v34, 0x2000
	v_mov_b32_e32 v30, 0
	;; [unrolled: 1-line block ×6, first 2 shown]
	s_branch .LBB254_290
.LBB254_288:                            ;   in Loop: Header=BB254_290 Depth=1
	s_or_b64 exec, exec, s[0:1]
	v_add_f32_e32 v12, v22, v23
	v_add_f32_e32 v3, v3, v12
	;; [unrolled: 1-line block ×7, first 2 shown]
	;;#ASMSTART
	v_pk_mul_f16 v1, v46, v1;

	;;#ASMEND
	v_add_f32_e32 v4, v4, v12
	;;#ASMSTART
	v_pk_mul_f16 v6, v45, v6;

	;;#ASMEND
	;;#ASMSTART
	v_pk_mul_f16 v12, v44, v19;

	;;#ASMEND
	;; [unrolled: 4-line block ×3, first 2 shown]
	s_nop 0
	;;#ASMSTART
	v_pk_add_f16 v1, v1, v6;

	;;#ASMEND
	s_nop 0
	;;#ASMSTART
	v_pk_add_f16 v1, v1, v12;

	;;#ASMEND
	;; [unrolled: 5-line block ×3, first 2 shown]
	s_nop 0
	v_lshrrev_b32_e32 v6, 16, v1
	v_and_b32_e32 v1, 0xffff, v1
	;;#ASMSTART
	v_cvt_f32_f16 v1, v1;
	;;#ASMEND
	;;#ASMSTART
	v_cvt_f32_f16 v6, v6;
	;;#ASMEND
	s_nop 0
	v_add_f32_e32 v1, v1, v6
	v_add_f32_e32 v30, v30, v1
.LBB254_289:                            ;   in Loop: Header=BB254_290 Depth=1
	s_or_b64 exec, exec, s[12:13]
	v_add_u32_e32 v24, 2, v24
	v_cmp_le_i32_e32 vcc, s47, v24
	v_lshl_add_u64 v[10:11], v[10:11], 0, 8
	v_add_u32_e32 v25, 64, v25
	s_or_b64 s[8:9], vcc, s[8:9]
	v_add_u32_e32 v33, 0x100, v33
	s_andn2_b64 exec, exec, s[8:9]
	s_cbranch_execz .LBB254_541
.LBB254_290:                            ; =>This Inner Loop Header: Depth=1
	v_mul_hi_u32 v1, v25, s46
	v_mul_lo_u32 v6, v1, s25
	v_sub_u32_e32 v6, v25, v6
	v_add_u32_e32 v12, 1, v1
	v_cmp_le_u32_e32 vcc, s25, v6
	s_nop 1
	v_cndmask_b32_e32 v1, v1, v12, vcc
	v_subrev_u32_e32 v12, s25, v6
	v_cndmask_b32_e32 v6, v6, v12, vcc
	v_add_u32_e32 v12, 1, v1
	v_cmp_le_u32_e32 vcc, s25, v6
	s_nop 1
	v_cndmask_b32_e32 v1, v1, v12, vcc
	v_xor_b32_e32 v1, s23, v1
	v_subrev_u32_e32 v1, s23, v1
	v_add_u32_e32 v6, s36, v1
	v_sub_u32_e32 v13, 0, v6
	v_ashrrev_i32_e32 v12, 31, v6
	v_max_i32_e32 v6, v6, v13
	v_mul_hi_u32 v13, v6, v32
	v_mul_lo_u32 v13, v13, s22
	v_sub_u32_e32 v6, v6, v13
	v_subrev_u32_e32 v13, s22, v6
	v_cmp_le_u32_e32 vcc, s22, v6
	v_cmp_lt_i32_e64 s[0:1], s37, v1
	s_nop 0
	v_cndmask_b32_e32 v6, v6, v13, vcc
	v_subrev_u32_e32 v13, s22, v6
	v_cmp_le_u32_e32 vcc, s22, v6
	s_nop 1
	v_cndmask_b32_e32 v6, v6, v13, vcc
	v_xor_b32_e32 v6, v6, v12
	v_sub_u32_e32 v6, v6, v12
	v_cmp_eq_u32_e32 vcc, 0, v6
	s_or_b64 s[0:1], vcc, s[0:1]
	s_and_saveexec_b64 s[12:13], s[0:1]
	s_cbranch_execz .LBB254_289
; %bb.291:                              ;   in Loop: Header=BB254_290 Depth=1
	global_load_dword v1, v[10:11], off
	ds_read2_b64 v[12:15], v33 offset1:1
	ds_read2_b64 v[16:19], v33 offset0:2 offset1:3
	s_waitcnt lgkmcnt(1)
	;;#ASMSTART
	v_cvt_f16_f32 v43, v12;

	;;#ASMEND
	;;#ASMSTART
	v_cvt_f16_f32 v44, v13;

	;;#ASMEND
	;; [unrolled: 4-line block ×4, first 2 shown]
	s_waitcnt lgkmcnt(0)
	;;#ASMSTART
	v_cvt_f16_f32 v48, v16;

	;;#ASMEND
	;;#ASMSTART
	v_cvt_f16_f32 v49, v17;

	;;#ASMEND
	;; [unrolled: 4-line block ×4, first 2 shown]
	v_mov_b32_e32 v15, 0
	s_waitcnt vmcnt(0)
	v_mad_i64_i32 v[12:13], s[0:1], v1, s34, v[8:9]
	global_load_dwordx2 v[16:17], v[12:13], off
	v_mov_b32_e32 v1, 0
	global_load_dword v14, v1, s[14:15]
	s_waitcnt vmcnt(1)
	v_cmp_ne_u16_sdwa s[16:17], v16, v7 src0_sel:BYTE_0 src1_sel:DWORD
	s_and_saveexec_b64 s[0:1], s[16:17]
	s_cbranch_execz .LBB254_297
; %bb.292:                              ;   in Loop: Header=BB254_290 Depth=1
	v_cmp_ne_u16_sdwa s[18:19], v16, s28 src0_sel:BYTE_0 src1_sel:DWORD
	v_mov_b32_e32 v15, 0x8000
	s_and_saveexec_b64 s[16:17], s[18:19]
	s_cbranch_execz .LBB254_296
; %bb.293:                              ;   in Loop: Header=BB254_290 Depth=1
	v_and_b32_e32 v6, 0x7f, v16
	v_cmp_ne_u32_e32 vcc, s29, v6
	v_mov_b32_e32 v15, 0x7c01
	s_and_saveexec_b64 s[18:19], vcc
	s_cbranch_execz .LBB254_295
; %bb.294:                              ;   in Loop: Header=BB254_290 Depth=1
	v_and_b32_e32 v15, 7, v16
	v_ffbh_u32_e32 v18, v15
	v_min_u32_e32 v21, 32, v18
	v_subrev_u32_e32 v18, 28, v21
	v_lshlrev_b64 v[18:19], v18, v[16:17]
	v_lshrrev_b32_e32 v20, 3, v6
	v_sub_u32_e32 v19, 29, v21
	v_cmp_gt_u32_e32 vcc, 8, v6
	v_and_b32_e32 v18, 7, v18
	s_nop 0
	v_cndmask_b32_e32 v6, v20, v19, vcc
	v_lshl_add_u32 v6, v6, 10, v34
	v_lshlrev_b32_e32 v19, 8, v16
	v_and_b32_e32 v6, 0xfc00, v6
	v_cndmask_b32_e32 v15, v15, v18, vcc
	v_and_or_b32 v6, v19, s30, v6
	v_lshl_or_b32 v15, v15, 7, v6
.LBB254_295:                            ;   in Loop: Header=BB254_290 Depth=1
	s_or_b64 exec, exec, s[18:19]
.LBB254_296:                            ;   in Loop: Header=BB254_290 Depth=1
	s_or_b64 exec, exec, s[16:17]
.LBB254_297:                            ;   in Loop: Header=BB254_290 Depth=1
	s_or_b64 exec, exec, s[0:1]
	v_lshrrev_b16_e32 v6, 8, v16
	v_cmp_ne_u16_e32 vcc, 0, v6
	s_and_saveexec_b64 s[0:1], vcc
	s_cbranch_execz .LBB254_303
; %bb.298:                              ;   in Loop: Header=BB254_290 Depth=1
	v_cmp_ne_u16_e32 vcc, s28, v6
	v_bfrev_b32_e32 v1, 1
	s_and_saveexec_b64 s[16:17], vcc
	s_cbranch_execz .LBB254_302
; %bb.299:                              ;   in Loop: Header=BB254_290 Depth=1
	v_and_b32_e32 v18, 0x7f, v6
	v_cmp_ne_u32_e32 vcc, s29, v18
	v_mov_b32_e32 v1, 0x7c010000
	s_and_saveexec_b64 s[18:19], vcc
	s_cbranch_execz .LBB254_301
; %bb.300:                              ;   in Loop: Header=BB254_290 Depth=1
	v_and_b32_e32 v1, 7, v6
	v_ffbh_u32_e32 v20, v1
	v_min_u32_e32 v22, 32, v20
	v_subrev_u32_e32 v20, 28, v22
	v_lshlrev_b64 v[20:21], v20, v[6:7]
	v_lshrrev_b32_e32 v19, 3, v18
	v_sub_u32_e32 v21, 29, v22
	v_cmp_gt_u32_e32 vcc, 8, v18
	v_lshlrev_b32_e32 v6, 8, v6
	s_nop 0
	v_cndmask_b32_e32 v18, v19, v21, vcc
	v_lshl_add_u32 v18, v18, 10, v34
	v_and_b32_e32 v19, 7, v20
	v_and_or_b32 v6, v6, s30, v18
	v_cndmask_b32_e32 v1, v1, v19, vcc
	v_lshlrev_b32_e32 v6, 16, v6
	v_lshl_or_b32 v1, v1, 23, v6
.LBB254_301:                            ;   in Loop: Header=BB254_290 Depth=1
	s_or_b64 exec, exec, s[18:19]
.LBB254_302:                            ;   in Loop: Header=BB254_290 Depth=1
	s_or_b64 exec, exec, s[16:17]
.LBB254_303:                            ;   in Loop: Header=BB254_290 Depth=1
	s_or_b64 exec, exec, s[0:1]
	v_lshrrev_b32_e32 v6, 16, v16
	v_cmp_ne_u16_sdwa s[16:17], v6, v7 src0_sel:BYTE_0 src1_sel:DWORD
	v_mov_b32_e32 v19, 0
	v_mov_b32_e32 v18, 0
	s_and_saveexec_b64 s[0:1], s[16:17]
	s_cbranch_execz .LBB254_309
; %bb.304:                              ;   in Loop: Header=BB254_290 Depth=1
	v_cmp_ne_u16_sdwa s[18:19], v6, s28 src0_sel:BYTE_0 src1_sel:DWORD
	v_mov_b32_e32 v18, 0x8000
	s_and_saveexec_b64 s[16:17], s[18:19]
	s_cbranch_execz .LBB254_308
; %bb.305:                              ;   in Loop: Header=BB254_290 Depth=1
	v_bfe_u32 v20, v16, 16, 7
	v_cmp_ne_u32_e32 vcc, s29, v20
	v_mov_b32_e32 v18, 0x7c01
	s_and_saveexec_b64 s[18:19], vcc
	s_cbranch_execz .LBB254_307
; %bb.306:                              ;   in Loop: Header=BB254_290 Depth=1
	v_and_b32_e32 v18, 7, v6
	v_ffbh_u32_e32 v22, v18
	v_min_u32_e32 v35, 32, v22
	v_subrev_u32_e32 v22, 28, v35
	v_lshlrev_b64 v[22:23], v22, v[6:7]
	v_lshrrev_b32_e32 v21, 3, v20
	v_sub_u32_e32 v23, 29, v35
	v_cmp_gt_u32_e32 vcc, 8, v20
	v_lshlrev_b32_e32 v6, 8, v6
	s_nop 0
	v_cndmask_b32_e32 v20, v21, v23, vcc
	v_lshl_add_u32 v20, v20, 10, v34
	v_and_b32_e32 v21, 7, v22
	v_and_b32_e32 v20, 0xfc00, v20
	v_cndmask_b32_e32 v18, v18, v21, vcc
	v_and_or_b32 v6, v6, s30, v20
	v_lshl_or_b32 v18, v18, 7, v6
.LBB254_307:                            ;   in Loop: Header=BB254_290 Depth=1
	s_or_b64 exec, exec, s[18:19]
.LBB254_308:                            ;   in Loop: Header=BB254_290 Depth=1
	s_or_b64 exec, exec, s[16:17]
.LBB254_309:                            ;   in Loop: Header=BB254_290 Depth=1
	s_or_b64 exec, exec, s[0:1]
	v_cmp_lt_u32_e32 vcc, s7, v16
	s_and_saveexec_b64 s[0:1], vcc
	s_cbranch_execz .LBB254_315
; %bb.310:                              ;   in Loop: Header=BB254_290 Depth=1
	v_lshrrev_b32_e32 v6, 24, v16
	v_cmp_ne_u32_e32 vcc, s28, v6
	v_bfrev_b32_e32 v19, 1
	s_and_saveexec_b64 s[16:17], vcc
	s_cbranch_execz .LBB254_314
; %bb.311:                              ;   in Loop: Header=BB254_290 Depth=1
	v_and_b32_e32 v20, 0x7f, v6
	v_cmp_ne_u32_e32 vcc, s29, v20
	v_mov_b32_e32 v19, 0x7c010000
	s_and_saveexec_b64 s[18:19], vcc
	s_cbranch_execz .LBB254_313
; %bb.312:                              ;   in Loop: Header=BB254_290 Depth=1
	v_and_b32_e32 v19, 7, v6
	v_ffbh_u32_e32 v22, v19
	v_min_u32_e32 v35, 32, v22
	v_subrev_u32_e32 v22, 28, v35
	v_lshlrev_b64 v[22:23], v22, v[6:7]
	v_lshrrev_b32_e32 v21, 3, v20
	v_sub_u32_e32 v23, 29, v35
	v_cmp_gt_u32_e32 vcc, 8, v20
	v_lshlrev_b32_e32 v6, 8, v6
	s_nop 0
	v_cndmask_b32_e32 v20, v21, v23, vcc
	v_lshl_add_u32 v20, v20, 10, v34
	v_and_b32_e32 v21, 7, v22
	v_and_or_b32 v6, v6, s30, v20
	v_cndmask_b32_e32 v19, v19, v21, vcc
	v_lshlrev_b32_e32 v6, 16, v6
	v_lshl_or_b32 v19, v19, 23, v6
.LBB254_313:                            ;   in Loop: Header=BB254_290 Depth=1
	s_or_b64 exec, exec, s[18:19]
.LBB254_314:                            ;   in Loop: Header=BB254_290 Depth=1
	s_or_b64 exec, exec, s[16:17]
.LBB254_315:                            ;   in Loop: Header=BB254_290 Depth=1
	s_or_b64 exec, exec, s[0:1]
	v_mov_b32_e32 v6, v17
	v_cmp_ne_u16_sdwa s[16:17], v17, v7 src0_sel:BYTE_0 src1_sel:DWORD
	v_mov_b32_e32 v20, 0
	v_mov_b32_e32 v21, 0
	s_and_saveexec_b64 s[0:1], s[16:17]
	s_cbranch_execz .LBB254_321
; %bb.316:                              ;   in Loop: Header=BB254_290 Depth=1
	v_cmp_ne_u16_sdwa s[18:19], v17, s28 src0_sel:BYTE_0 src1_sel:DWORD
	v_mov_b32_e32 v21, 0x8000
	s_and_saveexec_b64 s[16:17], s[18:19]
	s_cbranch_execz .LBB254_320
; %bb.317:                              ;   in Loop: Header=BB254_290 Depth=1
	v_and_b32_e32 v22, 0x7f, v17
	v_cmp_ne_u32_e32 vcc, s29, v22
	v_mov_b32_e32 v21, 0x7c01
	s_and_saveexec_b64 s[18:19], vcc
	s_cbranch_execz .LBB254_319
; %bb.318:                              ;   in Loop: Header=BB254_290 Depth=1
	v_and_b32_e32 v21, 7, v17
	v_ffbh_u32_e32 v35, v21
	v_min_u32_e32 v35, 32, v35
	v_lshrrev_b32_e32 v23, 3, v22
	v_subrev_u32_e32 v36, 28, v35
	v_sub_u32_e32 v35, 29, v35
	v_cmp_gt_u32_e32 vcc, 8, v22
	v_lshlrev_b64 v[36:37], v36, v[6:7]
	s_nop 0
	v_cndmask_b32_e32 v22, v23, v35, vcc
	v_lshl_add_u32 v22, v22, 10, v34
	v_lshlrev_b32_e32 v23, 8, v17
	v_and_b32_e32 v35, 7, v36
	v_and_b32_e32 v22, 0xfc00, v22
	v_cndmask_b32_e32 v21, v21, v35, vcc
	v_and_or_b32 v22, v23, s30, v22
	v_lshl_or_b32 v21, v21, 7, v22
.LBB254_319:                            ;   in Loop: Header=BB254_290 Depth=1
	s_or_b64 exec, exec, s[18:19]
.LBB254_320:                            ;   in Loop: Header=BB254_290 Depth=1
	s_or_b64 exec, exec, s[16:17]
.LBB254_321:                            ;   in Loop: Header=BB254_290 Depth=1
	s_or_b64 exec, exec, s[0:1]
	v_lshrrev_b16_e32 v6, 8, v6
	v_cmp_ne_u16_e32 vcc, 0, v6
	v_mov_b32_e32 v22, 0
	s_and_saveexec_b64 s[0:1], vcc
	s_cbranch_execz .LBB254_327
; %bb.322:                              ;   in Loop: Header=BB254_290 Depth=1
	v_cmp_ne_u16_e32 vcc, s28, v6
	v_bfrev_b32_e32 v22, 1
	s_and_saveexec_b64 s[16:17], vcc
	s_cbranch_execz .LBB254_326
; %bb.323:                              ;   in Loop: Header=BB254_290 Depth=1
	v_and_b32_e32 v23, 0x7f, v6
	v_cmp_ne_u32_e32 vcc, s29, v23
	v_mov_b32_e32 v22, 0x7c010000
	s_and_saveexec_b64 s[18:19], vcc
	s_cbranch_execz .LBB254_325
; %bb.324:                              ;   in Loop: Header=BB254_290 Depth=1
	v_and_b32_e32 v22, 7, v6
	v_ffbh_u32_e32 v36, v22
	v_min_u32_e32 v38, 32, v36
	v_subrev_u32_e32 v36, 28, v38
	v_lshlrev_b64 v[36:37], v36, v[6:7]
	v_lshrrev_b32_e32 v35, 3, v23
	v_sub_u32_e32 v37, 29, v38
	v_cmp_gt_u32_e32 vcc, 8, v23
	v_lshlrev_b32_e32 v6, 8, v6
	s_nop 0
	v_cndmask_b32_e32 v23, v35, v37, vcc
	v_lshl_add_u32 v23, v23, 10, v34
	v_and_b32_e32 v35, 7, v36
	v_and_or_b32 v6, v6, s30, v23
	v_cndmask_b32_e32 v22, v22, v35, vcc
	v_lshlrev_b32_e32 v6, 16, v6
	v_lshl_or_b32 v22, v22, 23, v6
.LBB254_325:                            ;   in Loop: Header=BB254_290 Depth=1
	s_or_b64 exec, exec, s[18:19]
.LBB254_326:                            ;   in Loop: Header=BB254_290 Depth=1
	s_or_b64 exec, exec, s[16:17]
.LBB254_327:                            ;   in Loop: Header=BB254_290 Depth=1
	s_or_b64 exec, exec, s[0:1]
	v_lshrrev_b32_e32 v6, 16, v17
	v_cmp_ne_u16_sdwa s[16:17], v6, v7 src0_sel:BYTE_0 src1_sel:DWORD
	s_and_saveexec_b64 s[0:1], s[16:17]
	s_cbranch_execz .LBB254_333
; %bb.328:                              ;   in Loop: Header=BB254_290 Depth=1
	v_cmp_ne_u16_sdwa s[18:19], v6, s28 src0_sel:BYTE_0 src1_sel:DWORD
	v_mov_b32_e32 v20, 0x8000
	s_and_saveexec_b64 s[16:17], s[18:19]
	s_cbranch_execz .LBB254_332
; %bb.329:                              ;   in Loop: Header=BB254_290 Depth=1
	v_bfe_u32 v23, v17, 16, 7
	v_cmp_ne_u32_e32 vcc, s29, v23
	v_mov_b32_e32 v20, 0x7c01
	s_and_saveexec_b64 s[18:19], vcc
	s_cbranch_execz .LBB254_331
; %bb.330:                              ;   in Loop: Header=BB254_290 Depth=1
	v_and_b32_e32 v20, 7, v6
	v_ffbh_u32_e32 v36, v20
	v_min_u32_e32 v38, 32, v36
	v_subrev_u32_e32 v36, 28, v38
	v_lshlrev_b64 v[36:37], v36, v[6:7]
	v_lshrrev_b32_e32 v35, 3, v23
	v_sub_u32_e32 v37, 29, v38
	v_cmp_gt_u32_e32 vcc, 8, v23
	v_lshlrev_b32_e32 v6, 8, v6
	s_nop 0
	v_cndmask_b32_e32 v23, v35, v37, vcc
	v_lshl_add_u32 v23, v23, 10, v34
	v_and_b32_e32 v35, 7, v36
	v_and_b32_e32 v23, 0xfc00, v23
	v_cndmask_b32_e32 v20, v20, v35, vcc
	v_and_or_b32 v6, v6, s30, v23
	v_lshl_or_b32 v20, v20, 7, v6
.LBB254_331:                            ;   in Loop: Header=BB254_290 Depth=1
	s_or_b64 exec, exec, s[18:19]
.LBB254_332:                            ;   in Loop: Header=BB254_290 Depth=1
	s_or_b64 exec, exec, s[16:17]
.LBB254_333:                            ;   in Loop: Header=BB254_290 Depth=1
	s_or_b64 exec, exec, s[0:1]
	v_cmp_lt_u64_e32 vcc, s[6:7], v[16:17]
	v_mov_b32_e32 v23, 0
	s_and_saveexec_b64 s[0:1], vcc
	s_cbranch_execz .LBB254_339
; %bb.334:                              ;   in Loop: Header=BB254_290 Depth=1
	v_lshrrev_b32_e32 v6, 24, v17
	v_cmp_ne_u32_e32 vcc, s28, v6
	v_bfrev_b32_e32 v23, 1
	s_and_saveexec_b64 s[16:17], vcc
	s_cbranch_execz .LBB254_338
; %bb.335:                              ;   in Loop: Header=BB254_290 Depth=1
	v_and_b32_e32 v16, 0x7f, v6
	v_cmp_ne_u32_e32 vcc, s29, v16
	v_mov_b32_e32 v23, 0x7c010000
	s_and_saveexec_b64 s[18:19], vcc
	s_cbranch_execz .LBB254_337
; %bb.336:                              ;   in Loop: Header=BB254_290 Depth=1
	v_and_b32_e32 v17, 7, v6
	v_ffbh_u32_e32 v35, v17
	v_min_u32_e32 v35, 32, v35
	v_lshrrev_b32_e32 v23, 3, v16
	v_subrev_u32_e32 v36, 28, v35
	v_sub_u32_e32 v35, 29, v35
	v_cmp_gt_u32_e32 vcc, 8, v16
	v_lshlrev_b64 v[36:37], v36, v[6:7]
	v_lshlrev_b32_e32 v6, 8, v6
	v_cndmask_b32_e32 v16, v23, v35, vcc
	v_lshl_add_u32 v16, v16, 10, v34
	v_and_b32_e32 v23, 7, v36
	v_and_or_b32 v6, v6, s30, v16
	v_cndmask_b32_e32 v17, v17, v23, vcc
	v_lshlrev_b32_e32 v6, 16, v6
	v_lshl_or_b32 v23, v17, 23, v6
.LBB254_337:                            ;   in Loop: Header=BB254_290 Depth=1
	s_or_b64 exec, exec, s[18:19]
.LBB254_338:                            ;   in Loop: Header=BB254_290 Depth=1
	s_or_b64 exec, exec, s[16:17]
.LBB254_339:                            ;   in Loop: Header=BB254_290 Depth=1
	s_or_b64 exec, exec, s[0:1]
	v_cvt_f32_f16_sdwa v17, v1 dst_sel:DWORD dst_unused:UNUSED_PAD src0_sel:WORD_1
	v_cvt_f32_f16_sdwa v16, v19 dst_sel:DWORD dst_unused:UNUSED_PAD src0_sel:WORD_1
	v_or_b32_e32 v1, v1, v15
	v_or_b32_e32 v6, v19, v18
	v_cvt_f32_f16_e32 v18, v6
	v_cvt_f32_f16_e32 v19, v1
	s_waitcnt vmcnt(0)
	v_pk_mul_f32 v[16:17], v[14:15], v[16:17] op_sel_hi:[0,1]
	v_cvt_pk_f16_f32 v1, v16, v17
	v_and_b32_e32 v15, 0xffff0000, v1
	v_pk_mul_f32 v[18:19], v[14:15], v[18:19] op_sel_hi:[0,1]
	v_lshlrev_b32_e32 v16, 16, v1
	v_cvt_pk_f16_f32 v1, v18, v19
	v_or_b32_e32 v6, v22, v21
	v_or_b32_e32 v19, v23, v20
	v_cvt_f32_f16_e32 v20, v19
	v_cvt_f32_f16_e32 v21, v6
	v_cvt_f32_f16_sdwa v37, v22 dst_sel:DWORD dst_unused:UNUSED_PAD src0_sel:WORD_1
	v_cvt_f32_f16_sdwa v36, v23 dst_sel:DWORD dst_unused:UNUSED_PAD src0_sel:WORD_1
	v_add_u32_e32 v35, v31, v25
	v_pk_mul_f32 v[20:21], v[14:15], v[20:21] op_sel_hi:[0,1]
	v_cvt_pk_f16_f32 v22, v20, v21
	v_pk_mul_f32 v[20:21], v[14:15], v[36:37] op_sel_hi:[0,1]
	v_cvt_pk_f16_f32 v14, v20, v21
	v_lshrrev_b32_e32 v17, 16, v1
	v_and_b32_e32 v18, 0xffff, v1
	v_and_b32_e32 v19, 0xffff0000, v14
	v_lshlrev_b32_e32 v14, 16, v14
	v_lshrrev_b32_e32 v23, 16, v22
	v_and_b32_e32 v22, 0xffff, v22
	v_cmp_eq_u32_e32 vcc, s35, v24
	v_or_b32_e32 v1, v15, v17
	v_or_b32_e32 v6, v16, v18
	;; [unrolled: 1-line block ×4, first 2 shown]
	v_add_u32_e32 v42, 2, v35
	v_or_b32_e32 v41, 1, v35
	v_or_b32_e32 v40, 3, v35
	;; [unrolled: 1-line block ×6, first 2 shown]
	s_and_saveexec_b64 s[16:17], vcc
	s_cbranch_execz .LBB254_341
; %bb.340:                              ;   in Loop: Header=BB254_290 Depth=1
	v_cmp_gt_i32_e64 s[0:1], s38, v35
	s_nop 1
	v_cndmask_b32_e64 v1, 0, v17, s[0:1]
	v_cmp_gt_i32_e64 s[0:1], s33, v42
	s_nop 1
	v_cndmask_b32_e64 v6, 0, v18, s[0:1]
	v_cmp_gt_i32_e64 s[0:1], s38, v41
	s_nop 1
	v_cndmask_b32_e64 v15, 0, v15, s[0:1]
	v_cmp_gt_i32_e64 s[0:1], s33, v40
	v_or_b32_e32 v1, v15, v1
	s_nop 0
	v_cndmask_b32_e64 v16, 0, v16, s[0:1]
	v_cmp_gt_i32_e64 s[0:1], s38, v39
	v_or_b32_e32 v6, v16, v6
	s_nop 0
	v_cndmask_b32_e64 v15, 0, v23, s[0:1]
	v_cmp_gt_i32_e64 s[0:1], s33, v38
	s_nop 1
	v_cndmask_b32_e64 v16, 0, v22, s[0:1]
	v_cmp_gt_i32_e64 s[0:1], s38, v37
	;; [unrolled: 3-line block ×3, first 2 shown]
	v_or_b32_e32 v21, v17, v15
	s_nop 0
	v_cndmask_b32_e64 v14, 0, v14, s[0:1]
	v_or_b32_e32 v20, v14, v16
.LBB254_341:                            ;   in Loop: Header=BB254_290 Depth=1
	s_or_b64 exec, exec, s[16:17]
	v_and_b32_e32 v14, 0xffff, v43
	v_lshl_or_b32 v46, v44, 16, v14
	v_and_b32_e32 v14, 0xffff, v45
	v_lshl_or_b32 v45, v47, 16, v14
	;; [unrolled: 2-line block ×3, first 2 shown]
	v_and_b32_e32 v14, 0xffff, v50
	;;#ASMSTART
	v_pk_mul_f16 v1, v46, v1;

	;;#ASMEND
	v_lshl_or_b32 v43, v51, 16, v14
	;;#ASMSTART
	v_pk_mul_f16 v6, v45, v6;

	;;#ASMEND
	;;#ASMSTART
	v_pk_mul_f16 v14, v44, v21;

	;;#ASMEND
	;; [unrolled: 4-line block ×3, first 2 shown]
	s_nop 0
	;;#ASMSTART
	v_pk_add_f16 v1, v1, v6;

	;;#ASMEND
	s_nop 0
	;;#ASMSTART
	v_pk_add_f16 v1, v1, v14;

	;;#ASMEND
	;; [unrolled: 5-line block ×3, first 2 shown]
	v_mov_b32_e32 v15, 0
	v_lshrrev_b32_e32 v6, 16, v1
	v_and_b32_e32 v1, 0xffff, v1
	;;#ASMSTART
	v_cvt_f32_f16 v47, v1;
	;;#ASMEND
	;;#ASMSTART
	v_cvt_f32_f16 v48, v6;
	;;#ASMEND
	global_load_dwordx2 v[16:17], v[12:13], off offset:512
	v_mov_b32_e32 v1, 0
	global_load_dword v14, v1, s[14:15]
	s_waitcnt vmcnt(1)
	v_cmp_ne_u16_sdwa s[0:1], v16, v7 src0_sel:BYTE_0 src1_sel:DWORD
	s_and_saveexec_b64 s[16:17], s[0:1]
	s_cbranch_execz .LBB254_347
; %bb.342:                              ;   in Loop: Header=BB254_290 Depth=1
	v_cmp_ne_u16_sdwa s[0:1], v16, s28 src0_sel:BYTE_0 src1_sel:DWORD
	v_mov_b32_e32 v15, 0x8000
	s_and_saveexec_b64 s[18:19], s[0:1]
	s_cbranch_execz .LBB254_346
; %bb.343:                              ;   in Loop: Header=BB254_290 Depth=1
	v_and_b32_e32 v6, 0x7f, v16
	v_cmp_ne_u32_e64 s[0:1], s29, v6
	v_mov_b32_e32 v15, 0x7c01
	s_and_saveexec_b64 s[20:21], s[0:1]
	s_cbranch_execz .LBB254_345
; %bb.344:                              ;   in Loop: Header=BB254_290 Depth=1
	v_and_b32_e32 v15, 7, v16
	v_ffbh_u32_e32 v18, v15
	v_min_u32_e32 v21, 32, v18
	v_subrev_u32_e32 v18, 28, v21
	v_lshlrev_b64 v[18:19], v18, v[16:17]
	v_lshrrev_b32_e32 v20, 3, v6
	v_sub_u32_e32 v19, 29, v21
	v_cmp_gt_u32_e64 s[0:1], 8, v6
	v_and_b32_e32 v18, 7, v18
	s_nop 0
	v_cndmask_b32_e64 v6, v20, v19, s[0:1]
	v_lshl_add_u32 v6, v6, 10, v34
	v_lshlrev_b32_e32 v19, 8, v16
	v_and_b32_e32 v6, 0xfc00, v6
	v_cndmask_b32_e64 v15, v15, v18, s[0:1]
	v_and_or_b32 v6, v19, s30, v6
	v_lshl_or_b32 v15, v15, 7, v6
.LBB254_345:                            ;   in Loop: Header=BB254_290 Depth=1
	s_or_b64 exec, exec, s[20:21]
.LBB254_346:                            ;   in Loop: Header=BB254_290 Depth=1
	s_or_b64 exec, exec, s[18:19]
.LBB254_347:                            ;   in Loop: Header=BB254_290 Depth=1
	s_or_b64 exec, exec, s[16:17]
	v_lshrrev_b16_e32 v6, 8, v16
	v_cmp_ne_u16_e64 s[0:1], 0, v6
	s_and_saveexec_b64 s[16:17], s[0:1]
	s_cbranch_execz .LBB254_353
; %bb.348:                              ;   in Loop: Header=BB254_290 Depth=1
	v_cmp_ne_u16_e64 s[0:1], s28, v6
	v_bfrev_b32_e32 v1, 1
	s_and_saveexec_b64 s[18:19], s[0:1]
	s_cbranch_execz .LBB254_352
; %bb.349:                              ;   in Loop: Header=BB254_290 Depth=1
	v_and_b32_e32 v18, 0x7f, v6
	v_cmp_ne_u32_e64 s[0:1], s29, v18
	v_mov_b32_e32 v1, 0x7c010000
	s_and_saveexec_b64 s[20:21], s[0:1]
	s_cbranch_execz .LBB254_351
; %bb.350:                              ;   in Loop: Header=BB254_290 Depth=1
	v_and_b32_e32 v1, 7, v6
	v_ffbh_u32_e32 v20, v1
	v_min_u32_e32 v22, 32, v20
	v_subrev_u32_e32 v20, 28, v22
	v_lshlrev_b64 v[20:21], v20, v[6:7]
	v_lshrrev_b32_e32 v19, 3, v18
	v_sub_u32_e32 v21, 29, v22
	v_cmp_gt_u32_e64 s[0:1], 8, v18
	v_lshlrev_b32_e32 v6, 8, v6
	s_nop 0
	v_cndmask_b32_e64 v18, v19, v21, s[0:1]
	v_lshl_add_u32 v18, v18, 10, v34
	v_and_b32_e32 v19, 7, v20
	v_and_or_b32 v6, v6, s30, v18
	v_cndmask_b32_e64 v1, v1, v19, s[0:1]
	v_lshlrev_b32_e32 v6, 16, v6
	v_lshl_or_b32 v1, v1, 23, v6
.LBB254_351:                            ;   in Loop: Header=BB254_290 Depth=1
	s_or_b64 exec, exec, s[20:21]
.LBB254_352:                            ;   in Loop: Header=BB254_290 Depth=1
	s_or_b64 exec, exec, s[18:19]
.LBB254_353:                            ;   in Loop: Header=BB254_290 Depth=1
	s_or_b64 exec, exec, s[16:17]
	v_lshrrev_b32_e32 v6, 16, v16
	v_cmp_ne_u16_sdwa s[0:1], v6, v7 src0_sel:BYTE_0 src1_sel:DWORD
	v_mov_b32_e32 v19, 0
	v_mov_b32_e32 v18, 0
	s_and_saveexec_b64 s[16:17], s[0:1]
	s_cbranch_execz .LBB254_359
; %bb.354:                              ;   in Loop: Header=BB254_290 Depth=1
	v_cmp_ne_u16_sdwa s[0:1], v6, s28 src0_sel:BYTE_0 src1_sel:DWORD
	v_mov_b32_e32 v18, 0x8000
	s_and_saveexec_b64 s[18:19], s[0:1]
	s_cbranch_execz .LBB254_358
; %bb.355:                              ;   in Loop: Header=BB254_290 Depth=1
	v_bfe_u32 v20, v16, 16, 7
	v_cmp_ne_u32_e64 s[0:1], s29, v20
	v_mov_b32_e32 v18, 0x7c01
	s_and_saveexec_b64 s[20:21], s[0:1]
	s_cbranch_execz .LBB254_357
; %bb.356:                              ;   in Loop: Header=BB254_290 Depth=1
	v_and_b32_e32 v18, 7, v6
	v_ffbh_u32_e32 v22, v18
	v_min_u32_e32 v49, 32, v22
	v_subrev_u32_e32 v22, 28, v49
	v_lshlrev_b64 v[22:23], v22, v[6:7]
	v_lshrrev_b32_e32 v21, 3, v20
	v_sub_u32_e32 v23, 29, v49
	v_cmp_gt_u32_e64 s[0:1], 8, v20
	v_lshlrev_b32_e32 v6, 8, v6
	s_nop 0
	v_cndmask_b32_e64 v20, v21, v23, s[0:1]
	v_lshl_add_u32 v20, v20, 10, v34
	v_and_b32_e32 v21, 7, v22
	v_and_b32_e32 v20, 0xfc00, v20
	v_cndmask_b32_e64 v18, v18, v21, s[0:1]
	v_and_or_b32 v6, v6, s30, v20
	v_lshl_or_b32 v18, v18, 7, v6
.LBB254_357:                            ;   in Loop: Header=BB254_290 Depth=1
	s_or_b64 exec, exec, s[20:21]
.LBB254_358:                            ;   in Loop: Header=BB254_290 Depth=1
	s_or_b64 exec, exec, s[18:19]
.LBB254_359:                            ;   in Loop: Header=BB254_290 Depth=1
	s_or_b64 exec, exec, s[16:17]
	v_cmp_lt_u32_e64 s[0:1], s7, v16
	s_and_saveexec_b64 s[16:17], s[0:1]
	s_cbranch_execz .LBB254_365
; %bb.360:                              ;   in Loop: Header=BB254_290 Depth=1
	v_lshrrev_b32_e32 v6, 24, v16
	v_cmp_ne_u32_e64 s[0:1], s28, v6
	v_bfrev_b32_e32 v19, 1
	s_and_saveexec_b64 s[18:19], s[0:1]
	s_cbranch_execz .LBB254_364
; %bb.361:                              ;   in Loop: Header=BB254_290 Depth=1
	v_and_b32_e32 v20, 0x7f, v6
	v_cmp_ne_u32_e64 s[0:1], s29, v20
	v_mov_b32_e32 v19, 0x7c010000
	s_and_saveexec_b64 s[20:21], s[0:1]
	s_cbranch_execz .LBB254_363
; %bb.362:                              ;   in Loop: Header=BB254_290 Depth=1
	v_and_b32_e32 v19, 7, v6
	v_ffbh_u32_e32 v22, v19
	v_min_u32_e32 v49, 32, v22
	v_subrev_u32_e32 v22, 28, v49
	v_lshlrev_b64 v[22:23], v22, v[6:7]
	v_lshrrev_b32_e32 v21, 3, v20
	v_sub_u32_e32 v23, 29, v49
	v_cmp_gt_u32_e64 s[0:1], 8, v20
	v_lshlrev_b32_e32 v6, 8, v6
	s_nop 0
	v_cndmask_b32_e64 v20, v21, v23, s[0:1]
	v_lshl_add_u32 v20, v20, 10, v34
	v_and_b32_e32 v21, 7, v22
	v_and_or_b32 v6, v6, s30, v20
	v_cndmask_b32_e64 v19, v19, v21, s[0:1]
	v_lshlrev_b32_e32 v6, 16, v6
	v_lshl_or_b32 v19, v19, 23, v6
.LBB254_363:                            ;   in Loop: Header=BB254_290 Depth=1
	s_or_b64 exec, exec, s[20:21]
.LBB254_364:                            ;   in Loop: Header=BB254_290 Depth=1
	s_or_b64 exec, exec, s[18:19]
.LBB254_365:                            ;   in Loop: Header=BB254_290 Depth=1
	s_or_b64 exec, exec, s[16:17]
	v_mov_b32_e32 v6, v17
	v_cmp_ne_u16_sdwa s[0:1], v17, v7 src0_sel:BYTE_0 src1_sel:DWORD
	v_mov_b32_e32 v20, 0
	v_mov_b32_e32 v21, 0
	s_and_saveexec_b64 s[16:17], s[0:1]
	s_cbranch_execz .LBB254_371
; %bb.366:                              ;   in Loop: Header=BB254_290 Depth=1
	v_cmp_ne_u16_sdwa s[0:1], v17, s28 src0_sel:BYTE_0 src1_sel:DWORD
	v_mov_b32_e32 v21, 0x8000
	s_and_saveexec_b64 s[18:19], s[0:1]
	s_cbranch_execz .LBB254_370
; %bb.367:                              ;   in Loop: Header=BB254_290 Depth=1
	v_and_b32_e32 v22, 0x7f, v17
	v_cmp_ne_u32_e64 s[0:1], s29, v22
	v_mov_b32_e32 v21, 0x7c01
	s_and_saveexec_b64 s[20:21], s[0:1]
	s_cbranch_execz .LBB254_369
; %bb.368:                              ;   in Loop: Header=BB254_290 Depth=1
	v_and_b32_e32 v21, 7, v17
	v_ffbh_u32_e32 v49, v21
	v_min_u32_e32 v49, 32, v49
	v_lshrrev_b32_e32 v23, 3, v22
	v_subrev_u32_e32 v50, 28, v49
	v_sub_u32_e32 v49, 29, v49
	v_cmp_gt_u32_e64 s[0:1], 8, v22
	v_lshlrev_b64 v[50:51], v50, v[6:7]
	s_nop 0
	v_cndmask_b32_e64 v22, v23, v49, s[0:1]
	v_lshl_add_u32 v22, v22, 10, v34
	v_lshlrev_b32_e32 v23, 8, v17
	v_and_b32_e32 v49, 7, v50
	v_and_b32_e32 v22, 0xfc00, v22
	v_cndmask_b32_e64 v21, v21, v49, s[0:1]
	v_and_or_b32 v22, v23, s30, v22
	v_lshl_or_b32 v21, v21, 7, v22
.LBB254_369:                            ;   in Loop: Header=BB254_290 Depth=1
	s_or_b64 exec, exec, s[20:21]
.LBB254_370:                            ;   in Loop: Header=BB254_290 Depth=1
	s_or_b64 exec, exec, s[18:19]
.LBB254_371:                            ;   in Loop: Header=BB254_290 Depth=1
	s_or_b64 exec, exec, s[16:17]
	v_lshrrev_b16_e32 v6, 8, v6
	v_cmp_ne_u16_e64 s[0:1], 0, v6
	v_mov_b32_e32 v22, 0
	s_and_saveexec_b64 s[16:17], s[0:1]
	s_cbranch_execz .LBB254_377
; %bb.372:                              ;   in Loop: Header=BB254_290 Depth=1
	v_cmp_ne_u16_e64 s[0:1], s28, v6
	v_bfrev_b32_e32 v22, 1
	s_and_saveexec_b64 s[18:19], s[0:1]
	s_cbranch_execz .LBB254_376
; %bb.373:                              ;   in Loop: Header=BB254_290 Depth=1
	v_and_b32_e32 v23, 0x7f, v6
	v_cmp_ne_u32_e64 s[0:1], s29, v23
	v_mov_b32_e32 v22, 0x7c010000
	s_and_saveexec_b64 s[20:21], s[0:1]
	s_cbranch_execz .LBB254_375
; %bb.374:                              ;   in Loop: Header=BB254_290 Depth=1
	v_and_b32_e32 v22, 7, v6
	v_ffbh_u32_e32 v50, v22
	v_min_u32_e32 v52, 32, v50
	v_subrev_u32_e32 v50, 28, v52
	v_lshlrev_b64 v[50:51], v50, v[6:7]
	v_lshrrev_b32_e32 v49, 3, v23
	v_sub_u32_e32 v51, 29, v52
	v_cmp_gt_u32_e64 s[0:1], 8, v23
	v_lshlrev_b32_e32 v6, 8, v6
	s_nop 0
	v_cndmask_b32_e64 v23, v49, v51, s[0:1]
	v_lshl_add_u32 v23, v23, 10, v34
	v_and_b32_e32 v49, 7, v50
	v_and_or_b32 v6, v6, s30, v23
	v_cndmask_b32_e64 v22, v22, v49, s[0:1]
	v_lshlrev_b32_e32 v6, 16, v6
	v_lshl_or_b32 v22, v22, 23, v6
.LBB254_375:                            ;   in Loop: Header=BB254_290 Depth=1
	s_or_b64 exec, exec, s[20:21]
.LBB254_376:                            ;   in Loop: Header=BB254_290 Depth=1
	s_or_b64 exec, exec, s[18:19]
.LBB254_377:                            ;   in Loop: Header=BB254_290 Depth=1
	s_or_b64 exec, exec, s[16:17]
	v_lshrrev_b32_e32 v6, 16, v17
	v_cmp_ne_u16_sdwa s[0:1], v6, v7 src0_sel:BYTE_0 src1_sel:DWORD
	s_and_saveexec_b64 s[16:17], s[0:1]
	s_cbranch_execz .LBB254_383
; %bb.378:                              ;   in Loop: Header=BB254_290 Depth=1
	v_cmp_ne_u16_sdwa s[0:1], v6, s28 src0_sel:BYTE_0 src1_sel:DWORD
	v_mov_b32_e32 v20, 0x8000
	s_and_saveexec_b64 s[18:19], s[0:1]
	s_cbranch_execz .LBB254_382
; %bb.379:                              ;   in Loop: Header=BB254_290 Depth=1
	v_bfe_u32 v23, v17, 16, 7
	v_cmp_ne_u32_e64 s[0:1], s29, v23
	v_mov_b32_e32 v20, 0x7c01
	s_and_saveexec_b64 s[20:21], s[0:1]
	s_cbranch_execz .LBB254_381
; %bb.380:                              ;   in Loop: Header=BB254_290 Depth=1
	v_and_b32_e32 v20, 7, v6
	v_ffbh_u32_e32 v50, v20
	v_min_u32_e32 v52, 32, v50
	v_subrev_u32_e32 v50, 28, v52
	v_lshlrev_b64 v[50:51], v50, v[6:7]
	v_lshrrev_b32_e32 v49, 3, v23
	v_sub_u32_e32 v51, 29, v52
	v_cmp_gt_u32_e64 s[0:1], 8, v23
	v_lshlrev_b32_e32 v6, 8, v6
	s_nop 0
	v_cndmask_b32_e64 v23, v49, v51, s[0:1]
	v_lshl_add_u32 v23, v23, 10, v34
	v_and_b32_e32 v49, 7, v50
	v_and_b32_e32 v23, 0xfc00, v23
	v_cndmask_b32_e64 v20, v20, v49, s[0:1]
	v_and_or_b32 v6, v6, s30, v23
	v_lshl_or_b32 v20, v20, 7, v6
.LBB254_381:                            ;   in Loop: Header=BB254_290 Depth=1
	s_or_b64 exec, exec, s[20:21]
.LBB254_382:                            ;   in Loop: Header=BB254_290 Depth=1
	s_or_b64 exec, exec, s[18:19]
.LBB254_383:                            ;   in Loop: Header=BB254_290 Depth=1
	s_or_b64 exec, exec, s[16:17]
	v_cmp_lt_u64_e64 s[0:1], s[6:7], v[16:17]
	v_mov_b32_e32 v16, 0
	s_and_saveexec_b64 s[16:17], s[0:1]
	s_cbranch_execz .LBB254_389
; %bb.384:                              ;   in Loop: Header=BB254_290 Depth=1
	v_lshrrev_b32_e32 v6, 24, v17
	v_cmp_ne_u32_e64 s[0:1], s28, v6
	v_bfrev_b32_e32 v16, 1
	s_and_saveexec_b64 s[18:19], s[0:1]
	s_cbranch_execz .LBB254_388
; %bb.385:                              ;   in Loop: Header=BB254_290 Depth=1
	v_and_b32_e32 v17, 0x7f, v6
	v_cmp_ne_u32_e64 s[0:1], s29, v17
	v_mov_b32_e32 v16, 0x7c010000
	s_and_saveexec_b64 s[20:21], s[0:1]
	s_cbranch_execz .LBB254_387
; %bb.386:                              ;   in Loop: Header=BB254_290 Depth=1
	v_and_b32_e32 v16, 7, v6
	v_ffbh_u32_e32 v49, v16
	v_min_u32_e32 v49, 32, v49
	v_lshrrev_b32_e32 v23, 3, v17
	v_subrev_u32_e32 v50, 28, v49
	v_sub_u32_e32 v49, 29, v49
	v_cmp_gt_u32_e64 s[0:1], 8, v17
	v_lshlrev_b64 v[50:51], v50, v[6:7]
	v_lshlrev_b32_e32 v6, 8, v6
	v_cndmask_b32_e64 v17, v23, v49, s[0:1]
	v_lshl_add_u32 v17, v17, 10, v34
	v_and_b32_e32 v23, 7, v50
	v_and_or_b32 v6, v6, s30, v17
	v_cndmask_b32_e64 v16, v16, v23, s[0:1]
	v_lshlrev_b32_e32 v6, 16, v6
	v_lshl_or_b32 v16, v16, 23, v6
.LBB254_387:                            ;   in Loop: Header=BB254_290 Depth=1
	s_or_b64 exec, exec, s[20:21]
.LBB254_388:                            ;   in Loop: Header=BB254_290 Depth=1
	s_or_b64 exec, exec, s[18:19]
.LBB254_389:                            ;   in Loop: Header=BB254_290 Depth=1
	s_or_b64 exec, exec, s[16:17]
	v_cvt_f32_f16_sdwa v51, v1 dst_sel:DWORD dst_unused:UNUSED_PAD src0_sel:WORD_1
	v_cvt_f32_f16_sdwa v50, v19 dst_sel:DWORD dst_unused:UNUSED_PAD src0_sel:WORD_1
	v_or_b32_e32 v1, v1, v15
	v_or_b32_e32 v6, v19, v18
	;; [unrolled: 1-line block ×3, first 2 shown]
	s_waitcnt vmcnt(0)
	v_pk_mul_f32 v[18:19], v[14:15], v[50:51] op_sel_hi:[0,1]
	v_cvt_f32_f16_e32 v50, v6
	v_cvt_f32_f16_e32 v51, v1
	v_cvt_pk_f16_f32 v1, v18, v19
	v_and_b32_e32 v15, 0xffff0000, v1
	v_lshlrev_b32_e32 v6, 16, v1
	v_pk_mul_f32 v[18:19], v[14:15], v[50:51] op_sel_hi:[0,1]
	v_cvt_pk_f16_f32 v1, v18, v19
	v_or_b32_e32 v19, v22, v21
	v_cvt_f32_f16_e32 v20, v20
	v_cvt_f32_f16_e32 v21, v19
	v_cvt_f32_f16_sdwa v23, v22 dst_sel:DWORD dst_unused:UNUSED_PAD src0_sel:WORD_1
	v_cvt_f32_f16_sdwa v22, v16 dst_sel:DWORD dst_unused:UNUSED_PAD src0_sel:WORD_1
	v_lshrrev_b32_e32 v17, 16, v1
	v_pk_mul_f32 v[20:21], v[14:15], v[20:21] op_sel_hi:[0,1]
	v_cvt_pk_f16_f32 v49, v20, v21
	v_pk_mul_f32 v[20:21], v[14:15], v[22:23] op_sel_hi:[0,1]
	v_cvt_pk_f16_f32 v14, v20, v21
	v_and_b32_e32 v18, 0xffff, v1
	v_and_b32_e32 v19, 0xffff0000, v14
	v_lshlrev_b32_e32 v14, 16, v14
	v_lshrrev_b32_e32 v21, 16, v49
	v_and_b32_e32 v20, 0xffff, v49
	v_or_b32_e32 v1, v15, v17
	v_or_b32_e32 v16, v6, v18
	;; [unrolled: 1-line block ×4, first 2 shown]
	s_and_saveexec_b64 s[16:17], vcc
	s_cbranch_execz .LBB254_391
; %bb.390:                              ;   in Loop: Header=BB254_290 Depth=1
	v_cmp_gt_i32_e64 s[0:1], s38, v35
	s_nop 1
	v_cndmask_b32_e64 v1, 0, v17, s[0:1]
	v_cmp_gt_i32_e64 s[0:1], s33, v42
	s_nop 1
	v_cndmask_b32_e64 v16, 0, v18, s[0:1]
	;; [unrolled: 3-line block ×3, first 2 shown]
	v_cmp_gt_i32_e64 s[0:1], s33, v40
	v_or_b32_e32 v1, v15, v1
	s_nop 0
	v_cndmask_b32_e64 v6, 0, v6, s[0:1]
	v_cmp_gt_i32_e64 s[0:1], s38, v39
	v_or_b32_e32 v16, v6, v16
	s_nop 0
	v_cndmask_b32_e64 v6, 0, v21, s[0:1]
	v_cmp_gt_i32_e64 s[0:1], s33, v38
	s_nop 1
	v_cndmask_b32_e64 v15, 0, v20, s[0:1]
	v_cmp_gt_i32_e64 s[0:1], s38, v37
	;; [unrolled: 3-line block ×3, first 2 shown]
	v_or_b32_e32 v23, v17, v6
	s_nop 0
	v_cndmask_b32_e64 v14, 0, v14, s[0:1]
	v_or_b32_e32 v22, v14, v15
.LBB254_391:                            ;   in Loop: Header=BB254_290 Depth=1
	s_or_b64 exec, exec, s[16:17]
	;;#ASMSTART
	v_pk_mul_f16 v1, v46, v1;

	;;#ASMEND
	;;#ASMSTART
	v_pk_mul_f16 v6, v45, v16;

	;;#ASMEND
	;; [unrolled: 4-line block ×4, first 2 shown]
	s_nop 0
	;;#ASMSTART
	v_pk_add_f16 v1, v1, v6;

	;;#ASMEND
	s_nop 0
	;;#ASMSTART
	v_pk_add_f16 v1, v1, v14;

	;;#ASMEND
	;; [unrolled: 5-line block ×3, first 2 shown]
	v_mov_b32_e32 v15, 0
	v_lshrrev_b32_e32 v6, 16, v1
	v_and_b32_e32 v1, 0xffff, v1
	;;#ASMSTART
	v_cvt_f32_f16 v49, v1;
	;;#ASMEND
	;;#ASMSTART
	v_cvt_f32_f16 v50, v6;
	;;#ASMEND
	global_load_dwordx2 v[16:17], v[12:13], off offset:1024
	v_mov_b32_e32 v1, 0
	global_load_dword v14, v1, s[14:15]
	s_waitcnt vmcnt(1)
	v_cmp_ne_u16_sdwa s[0:1], v16, v7 src0_sel:BYTE_0 src1_sel:DWORD
	s_and_saveexec_b64 s[16:17], s[0:1]
	s_cbranch_execz .LBB254_397
; %bb.392:                              ;   in Loop: Header=BB254_290 Depth=1
	v_cmp_ne_u16_sdwa s[0:1], v16, s28 src0_sel:BYTE_0 src1_sel:DWORD
	v_mov_b32_e32 v15, 0x8000
	s_and_saveexec_b64 s[18:19], s[0:1]
	s_cbranch_execz .LBB254_396
; %bb.393:                              ;   in Loop: Header=BB254_290 Depth=1
	v_and_b32_e32 v6, 0x7f, v16
	v_cmp_ne_u32_e64 s[0:1], s29, v6
	v_mov_b32_e32 v15, 0x7c01
	s_and_saveexec_b64 s[20:21], s[0:1]
	s_cbranch_execz .LBB254_395
; %bb.394:                              ;   in Loop: Header=BB254_290 Depth=1
	v_and_b32_e32 v15, 7, v16
	v_ffbh_u32_e32 v18, v15
	v_min_u32_e32 v21, 32, v18
	v_subrev_u32_e32 v18, 28, v21
	v_lshlrev_b64 v[18:19], v18, v[16:17]
	v_lshrrev_b32_e32 v20, 3, v6
	v_sub_u32_e32 v19, 29, v21
	v_cmp_gt_u32_e64 s[0:1], 8, v6
	v_and_b32_e32 v18, 7, v18
	s_nop 0
	v_cndmask_b32_e64 v6, v20, v19, s[0:1]
	v_lshl_add_u32 v6, v6, 10, v34
	v_lshlrev_b32_e32 v19, 8, v16
	v_and_b32_e32 v6, 0xfc00, v6
	v_cndmask_b32_e64 v15, v15, v18, s[0:1]
	v_and_or_b32 v6, v19, s30, v6
	v_lshl_or_b32 v15, v15, 7, v6
.LBB254_395:                            ;   in Loop: Header=BB254_290 Depth=1
	s_or_b64 exec, exec, s[20:21]
.LBB254_396:                            ;   in Loop: Header=BB254_290 Depth=1
	s_or_b64 exec, exec, s[18:19]
.LBB254_397:                            ;   in Loop: Header=BB254_290 Depth=1
	s_or_b64 exec, exec, s[16:17]
	v_lshrrev_b16_e32 v6, 8, v16
	v_cmp_ne_u16_e64 s[0:1], 0, v6
	s_and_saveexec_b64 s[16:17], s[0:1]
	s_cbranch_execz .LBB254_403
; %bb.398:                              ;   in Loop: Header=BB254_290 Depth=1
	v_cmp_ne_u16_e64 s[0:1], s28, v6
	v_bfrev_b32_e32 v1, 1
	s_and_saveexec_b64 s[18:19], s[0:1]
	s_cbranch_execz .LBB254_402
; %bb.399:                              ;   in Loop: Header=BB254_290 Depth=1
	v_and_b32_e32 v18, 0x7f, v6
	v_cmp_ne_u32_e64 s[0:1], s29, v18
	v_mov_b32_e32 v1, 0x7c010000
	s_and_saveexec_b64 s[20:21], s[0:1]
	s_cbranch_execz .LBB254_401
; %bb.400:                              ;   in Loop: Header=BB254_290 Depth=1
	v_and_b32_e32 v1, 7, v6
	v_ffbh_u32_e32 v20, v1
	v_min_u32_e32 v22, 32, v20
	v_subrev_u32_e32 v20, 28, v22
	v_lshlrev_b64 v[20:21], v20, v[6:7]
	v_lshrrev_b32_e32 v19, 3, v18
	v_sub_u32_e32 v21, 29, v22
	v_cmp_gt_u32_e64 s[0:1], 8, v18
	v_lshlrev_b32_e32 v6, 8, v6
	s_nop 0
	v_cndmask_b32_e64 v18, v19, v21, s[0:1]
	v_lshl_add_u32 v18, v18, 10, v34
	v_and_b32_e32 v19, 7, v20
	v_and_or_b32 v6, v6, s30, v18
	v_cndmask_b32_e64 v1, v1, v19, s[0:1]
	v_lshlrev_b32_e32 v6, 16, v6
	v_lshl_or_b32 v1, v1, 23, v6
.LBB254_401:                            ;   in Loop: Header=BB254_290 Depth=1
	s_or_b64 exec, exec, s[20:21]
.LBB254_402:                            ;   in Loop: Header=BB254_290 Depth=1
	s_or_b64 exec, exec, s[18:19]
.LBB254_403:                            ;   in Loop: Header=BB254_290 Depth=1
	s_or_b64 exec, exec, s[16:17]
	v_lshrrev_b32_e32 v6, 16, v16
	v_cmp_ne_u16_sdwa s[0:1], v6, v7 src0_sel:BYTE_0 src1_sel:DWORD
	v_mov_b32_e32 v19, 0
	v_mov_b32_e32 v18, 0
	s_and_saveexec_b64 s[16:17], s[0:1]
	s_cbranch_execz .LBB254_409
; %bb.404:                              ;   in Loop: Header=BB254_290 Depth=1
	v_cmp_ne_u16_sdwa s[0:1], v6, s28 src0_sel:BYTE_0 src1_sel:DWORD
	v_mov_b32_e32 v18, 0x8000
	s_and_saveexec_b64 s[18:19], s[0:1]
	s_cbranch_execz .LBB254_408
; %bb.405:                              ;   in Loop: Header=BB254_290 Depth=1
	v_bfe_u32 v20, v16, 16, 7
	v_cmp_ne_u32_e64 s[0:1], s29, v20
	v_mov_b32_e32 v18, 0x7c01
	s_and_saveexec_b64 s[20:21], s[0:1]
	s_cbranch_execz .LBB254_407
; %bb.406:                              ;   in Loop: Header=BB254_290 Depth=1
	v_and_b32_e32 v18, 7, v6
	v_ffbh_u32_e32 v22, v18
	v_min_u32_e32 v51, 32, v22
	v_subrev_u32_e32 v22, 28, v51
	v_lshlrev_b64 v[22:23], v22, v[6:7]
	v_lshrrev_b32_e32 v21, 3, v20
	v_sub_u32_e32 v23, 29, v51
	v_cmp_gt_u32_e64 s[0:1], 8, v20
	v_lshlrev_b32_e32 v6, 8, v6
	s_nop 0
	v_cndmask_b32_e64 v20, v21, v23, s[0:1]
	v_lshl_add_u32 v20, v20, 10, v34
	v_and_b32_e32 v21, 7, v22
	v_and_b32_e32 v20, 0xfc00, v20
	v_cndmask_b32_e64 v18, v18, v21, s[0:1]
	v_and_or_b32 v6, v6, s30, v20
	v_lshl_or_b32 v18, v18, 7, v6
.LBB254_407:                            ;   in Loop: Header=BB254_290 Depth=1
	s_or_b64 exec, exec, s[20:21]
.LBB254_408:                            ;   in Loop: Header=BB254_290 Depth=1
	s_or_b64 exec, exec, s[18:19]
.LBB254_409:                            ;   in Loop: Header=BB254_290 Depth=1
	s_or_b64 exec, exec, s[16:17]
	v_cmp_lt_u32_e64 s[0:1], s7, v16
	s_and_saveexec_b64 s[16:17], s[0:1]
	s_cbranch_execz .LBB254_415
; %bb.410:                              ;   in Loop: Header=BB254_290 Depth=1
	v_lshrrev_b32_e32 v6, 24, v16
	v_cmp_ne_u32_e64 s[0:1], s28, v6
	v_bfrev_b32_e32 v19, 1
	s_and_saveexec_b64 s[18:19], s[0:1]
	s_cbranch_execz .LBB254_414
; %bb.411:                              ;   in Loop: Header=BB254_290 Depth=1
	v_and_b32_e32 v20, 0x7f, v6
	v_cmp_ne_u32_e64 s[0:1], s29, v20
	v_mov_b32_e32 v19, 0x7c010000
	s_and_saveexec_b64 s[20:21], s[0:1]
	s_cbranch_execz .LBB254_413
; %bb.412:                              ;   in Loop: Header=BB254_290 Depth=1
	v_and_b32_e32 v19, 7, v6
	v_ffbh_u32_e32 v22, v19
	v_min_u32_e32 v51, 32, v22
	v_subrev_u32_e32 v22, 28, v51
	v_lshlrev_b64 v[22:23], v22, v[6:7]
	v_lshrrev_b32_e32 v21, 3, v20
	v_sub_u32_e32 v23, 29, v51
	v_cmp_gt_u32_e64 s[0:1], 8, v20
	v_lshlrev_b32_e32 v6, 8, v6
	s_nop 0
	v_cndmask_b32_e64 v20, v21, v23, s[0:1]
	v_lshl_add_u32 v20, v20, 10, v34
	v_and_b32_e32 v21, 7, v22
	v_and_or_b32 v6, v6, s30, v20
	v_cndmask_b32_e64 v19, v19, v21, s[0:1]
	v_lshlrev_b32_e32 v6, 16, v6
	v_lshl_or_b32 v19, v19, 23, v6
.LBB254_413:                            ;   in Loop: Header=BB254_290 Depth=1
	s_or_b64 exec, exec, s[20:21]
.LBB254_414:                            ;   in Loop: Header=BB254_290 Depth=1
	s_or_b64 exec, exec, s[18:19]
.LBB254_415:                            ;   in Loop: Header=BB254_290 Depth=1
	s_or_b64 exec, exec, s[16:17]
	v_mov_b32_e32 v6, v17
	v_cmp_ne_u16_sdwa s[0:1], v17, v7 src0_sel:BYTE_0 src1_sel:DWORD
	v_mov_b32_e32 v20, 0
	v_mov_b32_e32 v21, 0
	s_and_saveexec_b64 s[16:17], s[0:1]
	s_cbranch_execz .LBB254_421
; %bb.416:                              ;   in Loop: Header=BB254_290 Depth=1
	v_cmp_ne_u16_sdwa s[0:1], v17, s28 src0_sel:BYTE_0 src1_sel:DWORD
	v_mov_b32_e32 v21, 0x8000
	s_and_saveexec_b64 s[18:19], s[0:1]
	s_cbranch_execz .LBB254_420
; %bb.417:                              ;   in Loop: Header=BB254_290 Depth=1
	v_and_b32_e32 v22, 0x7f, v17
	v_cmp_ne_u32_e64 s[0:1], s29, v22
	v_mov_b32_e32 v21, 0x7c01
	s_and_saveexec_b64 s[20:21], s[0:1]
	s_cbranch_execz .LBB254_419
; %bb.418:                              ;   in Loop: Header=BB254_290 Depth=1
	v_and_b32_e32 v21, 7, v17
	v_ffbh_u32_e32 v51, v21
	v_min_u32_e32 v51, 32, v51
	v_lshrrev_b32_e32 v23, 3, v22
	v_subrev_u32_e32 v52, 28, v51
	v_sub_u32_e32 v51, 29, v51
	v_cmp_gt_u32_e64 s[0:1], 8, v22
	v_lshlrev_b64 v[52:53], v52, v[6:7]
	s_nop 0
	v_cndmask_b32_e64 v22, v23, v51, s[0:1]
	v_lshl_add_u32 v22, v22, 10, v34
	v_lshlrev_b32_e32 v23, 8, v17
	v_and_b32_e32 v51, 7, v52
	v_and_b32_e32 v22, 0xfc00, v22
	v_cndmask_b32_e64 v21, v21, v51, s[0:1]
	v_and_or_b32 v22, v23, s30, v22
	v_lshl_or_b32 v21, v21, 7, v22
.LBB254_419:                            ;   in Loop: Header=BB254_290 Depth=1
	s_or_b64 exec, exec, s[20:21]
.LBB254_420:                            ;   in Loop: Header=BB254_290 Depth=1
	s_or_b64 exec, exec, s[18:19]
.LBB254_421:                            ;   in Loop: Header=BB254_290 Depth=1
	s_or_b64 exec, exec, s[16:17]
	v_lshrrev_b16_e32 v6, 8, v6
	v_cmp_ne_u16_e64 s[0:1], 0, v6
	v_mov_b32_e32 v22, 0
	s_and_saveexec_b64 s[16:17], s[0:1]
	s_cbranch_execz .LBB254_427
; %bb.422:                              ;   in Loop: Header=BB254_290 Depth=1
	v_cmp_ne_u16_e64 s[0:1], s28, v6
	v_bfrev_b32_e32 v22, 1
	s_and_saveexec_b64 s[18:19], s[0:1]
	s_cbranch_execz .LBB254_426
; %bb.423:                              ;   in Loop: Header=BB254_290 Depth=1
	v_and_b32_e32 v23, 0x7f, v6
	v_cmp_ne_u32_e64 s[0:1], s29, v23
	v_mov_b32_e32 v22, 0x7c010000
	s_and_saveexec_b64 s[20:21], s[0:1]
	s_cbranch_execz .LBB254_425
; %bb.424:                              ;   in Loop: Header=BB254_290 Depth=1
	v_and_b32_e32 v22, 7, v6
	v_ffbh_u32_e32 v52, v22
	v_min_u32_e32 v54, 32, v52
	v_subrev_u32_e32 v52, 28, v54
	v_lshlrev_b64 v[52:53], v52, v[6:7]
	v_lshrrev_b32_e32 v51, 3, v23
	v_sub_u32_e32 v53, 29, v54
	v_cmp_gt_u32_e64 s[0:1], 8, v23
	v_lshlrev_b32_e32 v6, 8, v6
	s_nop 0
	v_cndmask_b32_e64 v23, v51, v53, s[0:1]
	v_lshl_add_u32 v23, v23, 10, v34
	v_and_b32_e32 v51, 7, v52
	v_and_or_b32 v6, v6, s30, v23
	v_cndmask_b32_e64 v22, v22, v51, s[0:1]
	v_lshlrev_b32_e32 v6, 16, v6
	v_lshl_or_b32 v22, v22, 23, v6
.LBB254_425:                            ;   in Loop: Header=BB254_290 Depth=1
	s_or_b64 exec, exec, s[20:21]
.LBB254_426:                            ;   in Loop: Header=BB254_290 Depth=1
	s_or_b64 exec, exec, s[18:19]
.LBB254_427:                            ;   in Loop: Header=BB254_290 Depth=1
	s_or_b64 exec, exec, s[16:17]
	v_lshrrev_b32_e32 v6, 16, v17
	v_cmp_ne_u16_sdwa s[0:1], v6, v7 src0_sel:BYTE_0 src1_sel:DWORD
	s_and_saveexec_b64 s[16:17], s[0:1]
	s_cbranch_execz .LBB254_433
; %bb.428:                              ;   in Loop: Header=BB254_290 Depth=1
	v_cmp_ne_u16_sdwa s[0:1], v6, s28 src0_sel:BYTE_0 src1_sel:DWORD
	v_mov_b32_e32 v20, 0x8000
	s_and_saveexec_b64 s[18:19], s[0:1]
	s_cbranch_execz .LBB254_432
; %bb.429:                              ;   in Loop: Header=BB254_290 Depth=1
	v_bfe_u32 v23, v17, 16, 7
	v_cmp_ne_u32_e64 s[0:1], s29, v23
	v_mov_b32_e32 v20, 0x7c01
	s_and_saveexec_b64 s[20:21], s[0:1]
	s_cbranch_execz .LBB254_431
; %bb.430:                              ;   in Loop: Header=BB254_290 Depth=1
	v_and_b32_e32 v20, 7, v6
	v_ffbh_u32_e32 v52, v20
	v_min_u32_e32 v54, 32, v52
	v_subrev_u32_e32 v52, 28, v54
	v_lshlrev_b64 v[52:53], v52, v[6:7]
	v_lshrrev_b32_e32 v51, 3, v23
	v_sub_u32_e32 v53, 29, v54
	v_cmp_gt_u32_e64 s[0:1], 8, v23
	v_lshlrev_b32_e32 v6, 8, v6
	s_nop 0
	v_cndmask_b32_e64 v23, v51, v53, s[0:1]
	v_lshl_add_u32 v23, v23, 10, v34
	v_and_b32_e32 v51, 7, v52
	v_and_b32_e32 v23, 0xfc00, v23
	v_cndmask_b32_e64 v20, v20, v51, s[0:1]
	v_and_or_b32 v6, v6, s30, v23
	v_lshl_or_b32 v20, v20, 7, v6
.LBB254_431:                            ;   in Loop: Header=BB254_290 Depth=1
	s_or_b64 exec, exec, s[20:21]
.LBB254_432:                            ;   in Loop: Header=BB254_290 Depth=1
	s_or_b64 exec, exec, s[18:19]
.LBB254_433:                            ;   in Loop: Header=BB254_290 Depth=1
	s_or_b64 exec, exec, s[16:17]
	v_cmp_lt_u64_e64 s[0:1], s[6:7], v[16:17]
	v_mov_b32_e32 v16, 0
	s_and_saveexec_b64 s[16:17], s[0:1]
	s_cbranch_execz .LBB254_439
; %bb.434:                              ;   in Loop: Header=BB254_290 Depth=1
	v_lshrrev_b32_e32 v6, 24, v17
	v_cmp_ne_u32_e64 s[0:1], s28, v6
	v_bfrev_b32_e32 v16, 1
	s_and_saveexec_b64 s[18:19], s[0:1]
	s_cbranch_execz .LBB254_438
; %bb.435:                              ;   in Loop: Header=BB254_290 Depth=1
	v_and_b32_e32 v17, 0x7f, v6
	v_cmp_ne_u32_e64 s[0:1], s29, v17
	v_mov_b32_e32 v16, 0x7c010000
	s_and_saveexec_b64 s[20:21], s[0:1]
	s_cbranch_execz .LBB254_437
; %bb.436:                              ;   in Loop: Header=BB254_290 Depth=1
	v_and_b32_e32 v16, 7, v6
	v_ffbh_u32_e32 v51, v16
	v_min_u32_e32 v51, 32, v51
	v_lshrrev_b32_e32 v23, 3, v17
	v_subrev_u32_e32 v52, 28, v51
	v_sub_u32_e32 v51, 29, v51
	v_cmp_gt_u32_e64 s[0:1], 8, v17
	v_lshlrev_b64 v[52:53], v52, v[6:7]
	v_lshlrev_b32_e32 v6, 8, v6
	v_cndmask_b32_e64 v17, v23, v51, s[0:1]
	v_lshl_add_u32 v17, v17, 10, v34
	v_and_b32_e32 v23, 7, v52
	v_and_or_b32 v6, v6, s30, v17
	v_cndmask_b32_e64 v16, v16, v23, s[0:1]
	v_lshlrev_b32_e32 v6, 16, v6
	v_lshl_or_b32 v16, v16, 23, v6
.LBB254_437:                            ;   in Loop: Header=BB254_290 Depth=1
	s_or_b64 exec, exec, s[20:21]
.LBB254_438:                            ;   in Loop: Header=BB254_290 Depth=1
	s_or_b64 exec, exec, s[18:19]
.LBB254_439:                            ;   in Loop: Header=BB254_290 Depth=1
	s_or_b64 exec, exec, s[16:17]
	v_cvt_f32_f16_sdwa v53, v1 dst_sel:DWORD dst_unused:UNUSED_PAD src0_sel:WORD_1
	v_cvt_f32_f16_sdwa v52, v19 dst_sel:DWORD dst_unused:UNUSED_PAD src0_sel:WORD_1
	v_or_b32_e32 v1, v1, v15
	v_or_b32_e32 v6, v19, v18
	;; [unrolled: 1-line block ×3, first 2 shown]
	s_waitcnt vmcnt(0)
	v_pk_mul_f32 v[18:19], v[14:15], v[52:53] op_sel_hi:[0,1]
	v_cvt_f32_f16_e32 v52, v6
	v_cvt_f32_f16_e32 v53, v1
	v_cvt_pk_f16_f32 v1, v18, v19
	v_and_b32_e32 v15, 0xffff0000, v1
	v_lshlrev_b32_e32 v6, 16, v1
	v_pk_mul_f32 v[18:19], v[14:15], v[52:53] op_sel_hi:[0,1]
	v_cvt_pk_f16_f32 v1, v18, v19
	v_or_b32_e32 v19, v22, v21
	v_cvt_f32_f16_e32 v20, v20
	v_cvt_f32_f16_e32 v21, v19
	v_cvt_f32_f16_sdwa v23, v22 dst_sel:DWORD dst_unused:UNUSED_PAD src0_sel:WORD_1
	v_cvt_f32_f16_sdwa v22, v16 dst_sel:DWORD dst_unused:UNUSED_PAD src0_sel:WORD_1
	v_lshrrev_b32_e32 v17, 16, v1
	v_pk_mul_f32 v[20:21], v[14:15], v[20:21] op_sel_hi:[0,1]
	v_cvt_pk_f16_f32 v51, v20, v21
	v_pk_mul_f32 v[20:21], v[14:15], v[22:23] op_sel_hi:[0,1]
	v_cvt_pk_f16_f32 v14, v20, v21
	v_and_b32_e32 v18, 0xffff, v1
	v_and_b32_e32 v19, 0xffff0000, v14
	v_lshlrev_b32_e32 v14, 16, v14
	v_lshrrev_b32_e32 v21, 16, v51
	v_and_b32_e32 v20, 0xffff, v51
	v_or_b32_e32 v1, v15, v17
	v_or_b32_e32 v16, v6, v18
	;; [unrolled: 1-line block ×4, first 2 shown]
	s_and_saveexec_b64 s[16:17], vcc
	s_cbranch_execz .LBB254_441
; %bb.440:                              ;   in Loop: Header=BB254_290 Depth=1
	v_cmp_gt_i32_e64 s[0:1], s38, v35
	s_nop 1
	v_cndmask_b32_e64 v1, 0, v17, s[0:1]
	v_cmp_gt_i32_e64 s[0:1], s33, v42
	s_nop 1
	v_cndmask_b32_e64 v16, 0, v18, s[0:1]
	;; [unrolled: 3-line block ×3, first 2 shown]
	v_cmp_gt_i32_e64 s[0:1], s33, v40
	v_or_b32_e32 v1, v15, v1
	s_nop 0
	v_cndmask_b32_e64 v6, 0, v6, s[0:1]
	v_cmp_gt_i32_e64 s[0:1], s38, v39
	v_or_b32_e32 v16, v6, v16
	s_nop 0
	v_cndmask_b32_e64 v6, 0, v21, s[0:1]
	v_cmp_gt_i32_e64 s[0:1], s33, v38
	s_nop 1
	v_cndmask_b32_e64 v15, 0, v20, s[0:1]
	v_cmp_gt_i32_e64 s[0:1], s38, v37
	;; [unrolled: 3-line block ×3, first 2 shown]
	v_or_b32_e32 v23, v17, v6
	s_nop 0
	v_cndmask_b32_e64 v14, 0, v14, s[0:1]
	v_or_b32_e32 v22, v14, v15
.LBB254_441:                            ;   in Loop: Header=BB254_290 Depth=1
	s_or_b64 exec, exec, s[16:17]
	;;#ASMSTART
	v_pk_mul_f16 v1, v46, v1;

	;;#ASMEND
	;;#ASMSTART
	v_pk_mul_f16 v6, v45, v16;

	;;#ASMEND
	;; [unrolled: 4-line block ×4, first 2 shown]
	s_nop 0
	;;#ASMSTART
	v_pk_add_f16 v1, v1, v6;

	;;#ASMEND
	s_nop 0
	;;#ASMSTART
	v_pk_add_f16 v1, v1, v14;

	;;#ASMEND
	;; [unrolled: 5-line block ×3, first 2 shown]
	v_mov_b32_e32 v15, 0
	v_lshrrev_b32_e32 v6, 16, v1
	v_and_b32_e32 v1, 0xffff, v1
	;;#ASMSTART
	v_cvt_f32_f16 v51, v1;
	;;#ASMEND
	;;#ASMSTART
	v_cvt_f32_f16 v52, v6;
	;;#ASMEND
	global_load_dwordx2 v[16:17], v[12:13], off offset:1536
	v_mov_b32_e32 v1, 0
	global_load_dword v14, v1, s[14:15]
	s_waitcnt vmcnt(1)
	v_cmp_ne_u16_sdwa s[0:1], v16, v7 src0_sel:BYTE_0 src1_sel:DWORD
	s_and_saveexec_b64 s[16:17], s[0:1]
	s_cbranch_execz .LBB254_447
; %bb.442:                              ;   in Loop: Header=BB254_290 Depth=1
	v_cmp_ne_u16_sdwa s[0:1], v16, s28 src0_sel:BYTE_0 src1_sel:DWORD
	v_mov_b32_e32 v15, 0x8000
	s_and_saveexec_b64 s[18:19], s[0:1]
	s_cbranch_execz .LBB254_446
; %bb.443:                              ;   in Loop: Header=BB254_290 Depth=1
	v_and_b32_e32 v6, 0x7f, v16
	v_cmp_ne_u32_e64 s[0:1], s29, v6
	v_mov_b32_e32 v15, 0x7c01
	s_and_saveexec_b64 s[20:21], s[0:1]
	s_cbranch_execz .LBB254_445
; %bb.444:                              ;   in Loop: Header=BB254_290 Depth=1
	v_and_b32_e32 v15, 7, v16
	v_ffbh_u32_e32 v18, v15
	v_min_u32_e32 v21, 32, v18
	v_subrev_u32_e32 v18, 28, v21
	v_lshlrev_b64 v[18:19], v18, v[16:17]
	v_lshrrev_b32_e32 v20, 3, v6
	v_sub_u32_e32 v19, 29, v21
	v_cmp_gt_u32_e64 s[0:1], 8, v6
	v_and_b32_e32 v18, 7, v18
	s_nop 0
	v_cndmask_b32_e64 v6, v20, v19, s[0:1]
	v_lshl_add_u32 v6, v6, 10, v34
	v_lshlrev_b32_e32 v19, 8, v16
	v_and_b32_e32 v6, 0xfc00, v6
	v_cndmask_b32_e64 v15, v15, v18, s[0:1]
	v_and_or_b32 v6, v19, s30, v6
	v_lshl_or_b32 v15, v15, 7, v6
.LBB254_445:                            ;   in Loop: Header=BB254_290 Depth=1
	s_or_b64 exec, exec, s[20:21]
.LBB254_446:                            ;   in Loop: Header=BB254_290 Depth=1
	s_or_b64 exec, exec, s[18:19]
.LBB254_447:                            ;   in Loop: Header=BB254_290 Depth=1
	s_or_b64 exec, exec, s[16:17]
	v_lshrrev_b16_e32 v6, 8, v16
	v_cmp_ne_u16_e64 s[0:1], 0, v6
	s_and_saveexec_b64 s[16:17], s[0:1]
	s_cbranch_execz .LBB254_453
; %bb.448:                              ;   in Loop: Header=BB254_290 Depth=1
	v_cmp_ne_u16_e64 s[0:1], s28, v6
	v_bfrev_b32_e32 v1, 1
	s_and_saveexec_b64 s[18:19], s[0:1]
	s_cbranch_execz .LBB254_452
; %bb.449:                              ;   in Loop: Header=BB254_290 Depth=1
	v_and_b32_e32 v18, 0x7f, v6
	v_cmp_ne_u32_e64 s[0:1], s29, v18
	v_mov_b32_e32 v1, 0x7c010000
	s_and_saveexec_b64 s[20:21], s[0:1]
	s_cbranch_execz .LBB254_451
; %bb.450:                              ;   in Loop: Header=BB254_290 Depth=1
	v_and_b32_e32 v1, 7, v6
	v_ffbh_u32_e32 v20, v1
	v_min_u32_e32 v22, 32, v20
	v_subrev_u32_e32 v20, 28, v22
	v_lshlrev_b64 v[20:21], v20, v[6:7]
	v_lshrrev_b32_e32 v19, 3, v18
	v_sub_u32_e32 v21, 29, v22
	v_cmp_gt_u32_e64 s[0:1], 8, v18
	v_lshlrev_b32_e32 v6, 8, v6
	s_nop 0
	v_cndmask_b32_e64 v18, v19, v21, s[0:1]
	v_lshl_add_u32 v18, v18, 10, v34
	v_and_b32_e32 v19, 7, v20
	v_and_or_b32 v6, v6, s30, v18
	v_cndmask_b32_e64 v1, v1, v19, s[0:1]
	v_lshlrev_b32_e32 v6, 16, v6
	v_lshl_or_b32 v1, v1, 23, v6
.LBB254_451:                            ;   in Loop: Header=BB254_290 Depth=1
	s_or_b64 exec, exec, s[20:21]
.LBB254_452:                            ;   in Loop: Header=BB254_290 Depth=1
	s_or_b64 exec, exec, s[18:19]
.LBB254_453:                            ;   in Loop: Header=BB254_290 Depth=1
	s_or_b64 exec, exec, s[16:17]
	v_lshrrev_b32_e32 v6, 16, v16
	v_cmp_ne_u16_sdwa s[0:1], v6, v7 src0_sel:BYTE_0 src1_sel:DWORD
	v_mov_b32_e32 v19, 0
	v_mov_b32_e32 v18, 0
	s_and_saveexec_b64 s[16:17], s[0:1]
	s_cbranch_execz .LBB254_459
; %bb.454:                              ;   in Loop: Header=BB254_290 Depth=1
	v_cmp_ne_u16_sdwa s[0:1], v6, s28 src0_sel:BYTE_0 src1_sel:DWORD
	v_mov_b32_e32 v18, 0x8000
	s_and_saveexec_b64 s[18:19], s[0:1]
	s_cbranch_execz .LBB254_458
; %bb.455:                              ;   in Loop: Header=BB254_290 Depth=1
	v_bfe_u32 v20, v16, 16, 7
	v_cmp_ne_u32_e64 s[0:1], s29, v20
	v_mov_b32_e32 v18, 0x7c01
	s_and_saveexec_b64 s[20:21], s[0:1]
	s_cbranch_execz .LBB254_457
; %bb.456:                              ;   in Loop: Header=BB254_290 Depth=1
	v_and_b32_e32 v18, 7, v6
	v_ffbh_u32_e32 v22, v18
	v_min_u32_e32 v53, 32, v22
	v_subrev_u32_e32 v22, 28, v53
	v_lshlrev_b64 v[22:23], v22, v[6:7]
	v_lshrrev_b32_e32 v21, 3, v20
	v_sub_u32_e32 v23, 29, v53
	v_cmp_gt_u32_e64 s[0:1], 8, v20
	v_lshlrev_b32_e32 v6, 8, v6
	s_nop 0
	v_cndmask_b32_e64 v20, v21, v23, s[0:1]
	v_lshl_add_u32 v20, v20, 10, v34
	v_and_b32_e32 v21, 7, v22
	v_and_b32_e32 v20, 0xfc00, v20
	v_cndmask_b32_e64 v18, v18, v21, s[0:1]
	v_and_or_b32 v6, v6, s30, v20
	v_lshl_or_b32 v18, v18, 7, v6
.LBB254_457:                            ;   in Loop: Header=BB254_290 Depth=1
	s_or_b64 exec, exec, s[20:21]
.LBB254_458:                            ;   in Loop: Header=BB254_290 Depth=1
	s_or_b64 exec, exec, s[18:19]
.LBB254_459:                            ;   in Loop: Header=BB254_290 Depth=1
	s_or_b64 exec, exec, s[16:17]
	v_cmp_lt_u32_e64 s[0:1], s7, v16
	s_and_saveexec_b64 s[16:17], s[0:1]
	s_cbranch_execz .LBB254_465
; %bb.460:                              ;   in Loop: Header=BB254_290 Depth=1
	v_lshrrev_b32_e32 v6, 24, v16
	v_cmp_ne_u32_e64 s[0:1], s28, v6
	v_bfrev_b32_e32 v19, 1
	s_and_saveexec_b64 s[18:19], s[0:1]
	s_cbranch_execz .LBB254_464
; %bb.461:                              ;   in Loop: Header=BB254_290 Depth=1
	v_and_b32_e32 v20, 0x7f, v6
	v_cmp_ne_u32_e64 s[0:1], s29, v20
	v_mov_b32_e32 v19, 0x7c010000
	s_and_saveexec_b64 s[20:21], s[0:1]
	s_cbranch_execz .LBB254_463
; %bb.462:                              ;   in Loop: Header=BB254_290 Depth=1
	v_and_b32_e32 v19, 7, v6
	v_ffbh_u32_e32 v22, v19
	v_min_u32_e32 v53, 32, v22
	v_subrev_u32_e32 v22, 28, v53
	v_lshlrev_b64 v[22:23], v22, v[6:7]
	v_lshrrev_b32_e32 v21, 3, v20
	v_sub_u32_e32 v23, 29, v53
	v_cmp_gt_u32_e64 s[0:1], 8, v20
	v_lshlrev_b32_e32 v6, 8, v6
	s_nop 0
	v_cndmask_b32_e64 v20, v21, v23, s[0:1]
	v_lshl_add_u32 v20, v20, 10, v34
	v_and_b32_e32 v21, 7, v22
	v_and_or_b32 v6, v6, s30, v20
	v_cndmask_b32_e64 v19, v19, v21, s[0:1]
	v_lshlrev_b32_e32 v6, 16, v6
	v_lshl_or_b32 v19, v19, 23, v6
.LBB254_463:                            ;   in Loop: Header=BB254_290 Depth=1
	s_or_b64 exec, exec, s[20:21]
.LBB254_464:                            ;   in Loop: Header=BB254_290 Depth=1
	s_or_b64 exec, exec, s[18:19]
.LBB254_465:                            ;   in Loop: Header=BB254_290 Depth=1
	s_or_b64 exec, exec, s[16:17]
	v_mov_b32_e32 v6, v17
	v_cmp_ne_u16_sdwa s[0:1], v17, v7 src0_sel:BYTE_0 src1_sel:DWORD
	v_mov_b32_e32 v20, 0
	v_mov_b32_e32 v21, 0
	s_and_saveexec_b64 s[16:17], s[0:1]
	s_cbranch_execz .LBB254_471
; %bb.466:                              ;   in Loop: Header=BB254_290 Depth=1
	v_cmp_ne_u16_sdwa s[0:1], v17, s28 src0_sel:BYTE_0 src1_sel:DWORD
	v_mov_b32_e32 v21, 0x8000
	s_and_saveexec_b64 s[18:19], s[0:1]
	s_cbranch_execz .LBB254_470
; %bb.467:                              ;   in Loop: Header=BB254_290 Depth=1
	v_and_b32_e32 v22, 0x7f, v17
	v_cmp_ne_u32_e64 s[0:1], s29, v22
	v_mov_b32_e32 v21, 0x7c01
	s_and_saveexec_b64 s[20:21], s[0:1]
	s_cbranch_execz .LBB254_469
; %bb.468:                              ;   in Loop: Header=BB254_290 Depth=1
	v_and_b32_e32 v21, 7, v17
	v_ffbh_u32_e32 v53, v21
	v_min_u32_e32 v53, 32, v53
	v_lshrrev_b32_e32 v23, 3, v22
	v_subrev_u32_e32 v54, 28, v53
	v_sub_u32_e32 v53, 29, v53
	v_cmp_gt_u32_e64 s[0:1], 8, v22
	v_lshlrev_b64 v[54:55], v54, v[6:7]
	s_nop 0
	v_cndmask_b32_e64 v22, v23, v53, s[0:1]
	v_lshl_add_u32 v22, v22, 10, v34
	v_lshlrev_b32_e32 v23, 8, v17
	v_and_b32_e32 v53, 7, v54
	v_and_b32_e32 v22, 0xfc00, v22
	v_cndmask_b32_e64 v21, v21, v53, s[0:1]
	v_and_or_b32 v22, v23, s30, v22
	v_lshl_or_b32 v21, v21, 7, v22
.LBB254_469:                            ;   in Loop: Header=BB254_290 Depth=1
	s_or_b64 exec, exec, s[20:21]
.LBB254_470:                            ;   in Loop: Header=BB254_290 Depth=1
	s_or_b64 exec, exec, s[18:19]
.LBB254_471:                            ;   in Loop: Header=BB254_290 Depth=1
	s_or_b64 exec, exec, s[16:17]
	v_lshrrev_b16_e32 v6, 8, v6
	v_cmp_ne_u16_e64 s[0:1], 0, v6
	v_mov_b32_e32 v22, 0
	s_and_saveexec_b64 s[16:17], s[0:1]
	s_cbranch_execz .LBB254_477
; %bb.472:                              ;   in Loop: Header=BB254_290 Depth=1
	v_cmp_ne_u16_e64 s[0:1], s28, v6
	v_bfrev_b32_e32 v22, 1
	s_and_saveexec_b64 s[18:19], s[0:1]
	s_cbranch_execz .LBB254_476
; %bb.473:                              ;   in Loop: Header=BB254_290 Depth=1
	v_and_b32_e32 v23, 0x7f, v6
	v_cmp_ne_u32_e64 s[0:1], s29, v23
	v_mov_b32_e32 v22, 0x7c010000
	s_and_saveexec_b64 s[20:21], s[0:1]
	s_cbranch_execz .LBB254_475
; %bb.474:                              ;   in Loop: Header=BB254_290 Depth=1
	v_and_b32_e32 v22, 7, v6
	v_ffbh_u32_e32 v54, v22
	v_min_u32_e32 v56, 32, v54
	v_subrev_u32_e32 v54, 28, v56
	v_lshlrev_b64 v[54:55], v54, v[6:7]
	v_lshrrev_b32_e32 v53, 3, v23
	v_sub_u32_e32 v55, 29, v56
	v_cmp_gt_u32_e64 s[0:1], 8, v23
	v_lshlrev_b32_e32 v6, 8, v6
	s_nop 0
	v_cndmask_b32_e64 v23, v53, v55, s[0:1]
	v_lshl_add_u32 v23, v23, 10, v34
	v_and_b32_e32 v53, 7, v54
	v_and_or_b32 v6, v6, s30, v23
	v_cndmask_b32_e64 v22, v22, v53, s[0:1]
	v_lshlrev_b32_e32 v6, 16, v6
	v_lshl_or_b32 v22, v22, 23, v6
.LBB254_475:                            ;   in Loop: Header=BB254_290 Depth=1
	s_or_b64 exec, exec, s[20:21]
.LBB254_476:                            ;   in Loop: Header=BB254_290 Depth=1
	s_or_b64 exec, exec, s[18:19]
.LBB254_477:                            ;   in Loop: Header=BB254_290 Depth=1
	s_or_b64 exec, exec, s[16:17]
	v_lshrrev_b32_e32 v6, 16, v17
	v_cmp_ne_u16_sdwa s[0:1], v6, v7 src0_sel:BYTE_0 src1_sel:DWORD
	s_and_saveexec_b64 s[16:17], s[0:1]
	s_cbranch_execz .LBB254_483
; %bb.478:                              ;   in Loop: Header=BB254_290 Depth=1
	v_cmp_ne_u16_sdwa s[0:1], v6, s28 src0_sel:BYTE_0 src1_sel:DWORD
	v_mov_b32_e32 v20, 0x8000
	s_and_saveexec_b64 s[18:19], s[0:1]
	s_cbranch_execz .LBB254_482
; %bb.479:                              ;   in Loop: Header=BB254_290 Depth=1
	v_bfe_u32 v23, v17, 16, 7
	v_cmp_ne_u32_e64 s[0:1], s29, v23
	v_mov_b32_e32 v20, 0x7c01
	s_and_saveexec_b64 s[20:21], s[0:1]
	s_cbranch_execz .LBB254_481
; %bb.480:                              ;   in Loop: Header=BB254_290 Depth=1
	v_and_b32_e32 v20, 7, v6
	v_ffbh_u32_e32 v54, v20
	v_min_u32_e32 v56, 32, v54
	v_subrev_u32_e32 v54, 28, v56
	v_lshlrev_b64 v[54:55], v54, v[6:7]
	v_lshrrev_b32_e32 v53, 3, v23
	v_sub_u32_e32 v55, 29, v56
	v_cmp_gt_u32_e64 s[0:1], 8, v23
	v_lshlrev_b32_e32 v6, 8, v6
	s_nop 0
	v_cndmask_b32_e64 v23, v53, v55, s[0:1]
	v_lshl_add_u32 v23, v23, 10, v34
	v_and_b32_e32 v53, 7, v54
	v_and_b32_e32 v23, 0xfc00, v23
	v_cndmask_b32_e64 v20, v20, v53, s[0:1]
	v_and_or_b32 v6, v6, s30, v23
	v_lshl_or_b32 v20, v20, 7, v6
.LBB254_481:                            ;   in Loop: Header=BB254_290 Depth=1
	s_or_b64 exec, exec, s[20:21]
.LBB254_482:                            ;   in Loop: Header=BB254_290 Depth=1
	s_or_b64 exec, exec, s[18:19]
.LBB254_483:                            ;   in Loop: Header=BB254_290 Depth=1
	s_or_b64 exec, exec, s[16:17]
	v_cmp_lt_u64_e64 s[0:1], s[6:7], v[16:17]
	v_mov_b32_e32 v16, 0
	s_and_saveexec_b64 s[16:17], s[0:1]
	s_cbranch_execz .LBB254_489
; %bb.484:                              ;   in Loop: Header=BB254_290 Depth=1
	v_lshrrev_b32_e32 v6, 24, v17
	v_cmp_ne_u32_e64 s[0:1], s28, v6
	v_bfrev_b32_e32 v16, 1
	s_and_saveexec_b64 s[18:19], s[0:1]
	s_cbranch_execz .LBB254_488
; %bb.485:                              ;   in Loop: Header=BB254_290 Depth=1
	v_and_b32_e32 v17, 0x7f, v6
	v_cmp_ne_u32_e64 s[0:1], s29, v17
	v_mov_b32_e32 v16, 0x7c010000
	s_and_saveexec_b64 s[20:21], s[0:1]
	s_cbranch_execz .LBB254_487
; %bb.486:                              ;   in Loop: Header=BB254_290 Depth=1
	v_and_b32_e32 v16, 7, v6
	v_ffbh_u32_e32 v53, v16
	v_min_u32_e32 v53, 32, v53
	v_lshrrev_b32_e32 v23, 3, v17
	v_subrev_u32_e32 v54, 28, v53
	v_sub_u32_e32 v53, 29, v53
	v_cmp_gt_u32_e64 s[0:1], 8, v17
	v_lshlrev_b64 v[54:55], v54, v[6:7]
	v_lshlrev_b32_e32 v6, 8, v6
	v_cndmask_b32_e64 v17, v23, v53, s[0:1]
	v_lshl_add_u32 v17, v17, 10, v34
	v_and_b32_e32 v23, 7, v54
	v_and_or_b32 v6, v6, s30, v17
	v_cndmask_b32_e64 v16, v16, v23, s[0:1]
	v_lshlrev_b32_e32 v6, 16, v6
	v_lshl_or_b32 v16, v16, 23, v6
.LBB254_487:                            ;   in Loop: Header=BB254_290 Depth=1
	s_or_b64 exec, exec, s[20:21]
.LBB254_488:                            ;   in Loop: Header=BB254_290 Depth=1
	s_or_b64 exec, exec, s[18:19]
.LBB254_489:                            ;   in Loop: Header=BB254_290 Depth=1
	s_or_b64 exec, exec, s[16:17]
	v_cvt_f32_f16_sdwa v55, v1 dst_sel:DWORD dst_unused:UNUSED_PAD src0_sel:WORD_1
	v_cvt_f32_f16_sdwa v54, v19 dst_sel:DWORD dst_unused:UNUSED_PAD src0_sel:WORD_1
	v_or_b32_e32 v1, v1, v15
	v_or_b32_e32 v6, v19, v18
	v_or_b32_e32 v20, v16, v20
	s_waitcnt vmcnt(0)
	v_pk_mul_f32 v[18:19], v[14:15], v[54:55] op_sel_hi:[0,1]
	v_cvt_f32_f16_e32 v54, v6
	v_cvt_f32_f16_e32 v55, v1
	v_cvt_pk_f16_f32 v1, v18, v19
	v_and_b32_e32 v15, 0xffff0000, v1
	v_lshlrev_b32_e32 v6, 16, v1
	v_pk_mul_f32 v[18:19], v[14:15], v[54:55] op_sel_hi:[0,1]
	v_cvt_pk_f16_f32 v1, v18, v19
	v_or_b32_e32 v19, v22, v21
	v_cvt_f32_f16_e32 v20, v20
	v_cvt_f32_f16_e32 v21, v19
	v_cvt_f32_f16_sdwa v23, v22 dst_sel:DWORD dst_unused:UNUSED_PAD src0_sel:WORD_1
	v_cvt_f32_f16_sdwa v22, v16 dst_sel:DWORD dst_unused:UNUSED_PAD src0_sel:WORD_1
	v_lshrrev_b32_e32 v17, 16, v1
	v_pk_mul_f32 v[20:21], v[14:15], v[20:21] op_sel_hi:[0,1]
	v_cvt_pk_f16_f32 v53, v20, v21
	v_pk_mul_f32 v[20:21], v[14:15], v[22:23] op_sel_hi:[0,1]
	v_cvt_pk_f16_f32 v14, v20, v21
	v_and_b32_e32 v18, 0xffff, v1
	v_and_b32_e32 v19, 0xffff0000, v14
	v_lshlrev_b32_e32 v14, 16, v14
	v_lshrrev_b32_e32 v21, 16, v53
	v_and_b32_e32 v20, 0xffff, v53
	v_or_b32_e32 v1, v15, v17
	v_or_b32_e32 v16, v6, v18
	;; [unrolled: 1-line block ×4, first 2 shown]
	s_and_saveexec_b64 s[16:17], vcc
	s_cbranch_execz .LBB254_491
; %bb.490:                              ;   in Loop: Header=BB254_290 Depth=1
	v_cmp_gt_i32_e64 s[0:1], s38, v35
	s_nop 1
	v_cndmask_b32_e64 v1, 0, v17, s[0:1]
	v_cmp_gt_i32_e64 s[0:1], s33, v42
	s_nop 1
	v_cndmask_b32_e64 v16, 0, v18, s[0:1]
	;; [unrolled: 3-line block ×3, first 2 shown]
	v_cmp_gt_i32_e64 s[0:1], s33, v40
	v_or_b32_e32 v1, v15, v1
	s_nop 0
	v_cndmask_b32_e64 v6, 0, v6, s[0:1]
	v_cmp_gt_i32_e64 s[0:1], s38, v39
	v_or_b32_e32 v16, v6, v16
	s_nop 0
	v_cndmask_b32_e64 v6, 0, v21, s[0:1]
	v_cmp_gt_i32_e64 s[0:1], s33, v38
	s_nop 1
	v_cndmask_b32_e64 v15, 0, v20, s[0:1]
	v_cmp_gt_i32_e64 s[0:1], s38, v37
	;; [unrolled: 3-line block ×3, first 2 shown]
	v_or_b32_e32 v23, v17, v6
	s_nop 0
	v_cndmask_b32_e64 v14, 0, v14, s[0:1]
	v_or_b32_e32 v22, v14, v15
.LBB254_491:                            ;   in Loop: Header=BB254_290 Depth=1
	s_or_b64 exec, exec, s[16:17]
	;;#ASMSTART
	v_pk_mul_f16 v1, v46, v1;

	;;#ASMEND
	;;#ASMSTART
	v_pk_mul_f16 v6, v45, v16;

	;;#ASMEND
	;; [unrolled: 4-line block ×4, first 2 shown]
	s_nop 0
	;;#ASMSTART
	v_pk_add_f16 v1, v1, v6;

	;;#ASMEND
	s_nop 0
	;;#ASMSTART
	v_pk_add_f16 v1, v1, v14;

	;;#ASMEND
	;; [unrolled: 5-line block ×3, first 2 shown]
	s_nop 0
	v_lshrrev_b32_e32 v6, 16, v1
	v_and_b32_e32 v1, 0xffff, v1
	;;#ASMSTART
	v_cvt_f32_f16 v22, v1;
	;;#ASMEND
	;;#ASMSTART
	v_cvt_f32_f16 v23, v6;
	;;#ASMEND
	global_load_dwordx2 v[14:15], v[12:13], off offset:2048
	v_mov_b32_e32 v1, 0
	global_load_dword v12, v1, s[14:15]
	v_mov_b32_e32 v13, 0
	s_waitcnt vmcnt(1)
	v_cmp_ne_u16_sdwa s[0:1], v14, v7 src0_sel:BYTE_0 src1_sel:DWORD
	s_and_saveexec_b64 s[16:17], s[0:1]
	s_cbranch_execz .LBB254_497
; %bb.492:                              ;   in Loop: Header=BB254_290 Depth=1
	v_cmp_ne_u16_sdwa s[0:1], v14, s28 src0_sel:BYTE_0 src1_sel:DWORD
	v_mov_b32_e32 v13, 0x8000
	s_and_saveexec_b64 s[18:19], s[0:1]
	s_cbranch_execz .LBB254_496
; %bb.493:                              ;   in Loop: Header=BB254_290 Depth=1
	v_and_b32_e32 v6, 0x7f, v14
	v_cmp_ne_u32_e64 s[0:1], s29, v6
	v_mov_b32_e32 v13, 0x7c01
	s_and_saveexec_b64 s[20:21], s[0:1]
	s_cbranch_execz .LBB254_495
; %bb.494:                              ;   in Loop: Header=BB254_290 Depth=1
	v_and_b32_e32 v13, 7, v14
	v_ffbh_u32_e32 v16, v13
	v_min_u32_e32 v19, 32, v16
	v_subrev_u32_e32 v16, 28, v19
	v_lshlrev_b64 v[16:17], v16, v[14:15]
	v_lshrrev_b32_e32 v18, 3, v6
	v_sub_u32_e32 v17, 29, v19
	v_cmp_gt_u32_e64 s[0:1], 8, v6
	v_and_b32_e32 v16, 7, v16
	s_nop 0
	v_cndmask_b32_e64 v6, v18, v17, s[0:1]
	v_lshl_add_u32 v6, v6, 10, v34
	v_lshlrev_b32_e32 v17, 8, v14
	v_and_b32_e32 v6, 0xfc00, v6
	v_cndmask_b32_e64 v13, v13, v16, s[0:1]
	v_and_or_b32 v6, v17, s30, v6
	v_lshl_or_b32 v13, v13, 7, v6
.LBB254_495:                            ;   in Loop: Header=BB254_290 Depth=1
	s_or_b64 exec, exec, s[20:21]
.LBB254_496:                            ;   in Loop: Header=BB254_290 Depth=1
	s_or_b64 exec, exec, s[18:19]
.LBB254_497:                            ;   in Loop: Header=BB254_290 Depth=1
	s_or_b64 exec, exec, s[16:17]
	v_lshrrev_b16_e32 v6, 8, v14
	v_cmp_ne_u16_e64 s[0:1], 0, v6
	s_and_saveexec_b64 s[16:17], s[0:1]
	s_cbranch_execz .LBB254_503
; %bb.498:                              ;   in Loop: Header=BB254_290 Depth=1
	v_cmp_ne_u16_e64 s[0:1], s28, v6
	v_bfrev_b32_e32 v1, 1
	s_and_saveexec_b64 s[18:19], s[0:1]
	s_cbranch_execz .LBB254_502
; %bb.499:                              ;   in Loop: Header=BB254_290 Depth=1
	v_and_b32_e32 v16, 0x7f, v6
	v_cmp_ne_u32_e64 s[0:1], s29, v16
	v_mov_b32_e32 v1, 0x7c010000
	s_and_saveexec_b64 s[20:21], s[0:1]
	s_cbranch_execz .LBB254_501
; %bb.500:                              ;   in Loop: Header=BB254_290 Depth=1
	v_and_b32_e32 v1, 7, v6
	v_ffbh_u32_e32 v18, v1
	v_min_u32_e32 v20, 32, v18
	v_subrev_u32_e32 v18, 28, v20
	v_lshlrev_b64 v[18:19], v18, v[6:7]
	v_lshrrev_b32_e32 v17, 3, v16
	v_sub_u32_e32 v19, 29, v20
	v_cmp_gt_u32_e64 s[0:1], 8, v16
	v_lshlrev_b32_e32 v6, 8, v6
	s_nop 0
	v_cndmask_b32_e64 v16, v17, v19, s[0:1]
	v_lshl_add_u32 v16, v16, 10, v34
	v_and_b32_e32 v17, 7, v18
	v_and_or_b32 v6, v6, s30, v16
	v_cndmask_b32_e64 v1, v1, v17, s[0:1]
	v_lshlrev_b32_e32 v6, 16, v6
	v_lshl_or_b32 v1, v1, 23, v6
.LBB254_501:                            ;   in Loop: Header=BB254_290 Depth=1
	s_or_b64 exec, exec, s[20:21]
.LBB254_502:                            ;   in Loop: Header=BB254_290 Depth=1
	s_or_b64 exec, exec, s[18:19]
.LBB254_503:                            ;   in Loop: Header=BB254_290 Depth=1
	s_or_b64 exec, exec, s[16:17]
	v_lshrrev_b32_e32 v6, 16, v14
	v_cmp_ne_u16_sdwa s[0:1], v6, v7 src0_sel:BYTE_0 src1_sel:DWORD
	v_mov_b32_e32 v17, 0
	v_mov_b32_e32 v16, 0
	s_and_saveexec_b64 s[16:17], s[0:1]
	s_cbranch_execz .LBB254_509
; %bb.504:                              ;   in Loop: Header=BB254_290 Depth=1
	v_cmp_ne_u16_sdwa s[0:1], v6, s28 src0_sel:BYTE_0 src1_sel:DWORD
	v_mov_b32_e32 v16, 0x8000
	s_and_saveexec_b64 s[18:19], s[0:1]
	s_cbranch_execz .LBB254_508
; %bb.505:                              ;   in Loop: Header=BB254_290 Depth=1
	v_bfe_u32 v18, v14, 16, 7
	v_cmp_ne_u32_e64 s[0:1], s29, v18
	v_mov_b32_e32 v16, 0x7c01
	s_and_saveexec_b64 s[20:21], s[0:1]
	s_cbranch_execz .LBB254_507
; %bb.506:                              ;   in Loop: Header=BB254_290 Depth=1
	v_and_b32_e32 v16, 7, v6
	v_ffbh_u32_e32 v20, v16
	v_min_u32_e32 v53, 32, v20
	v_subrev_u32_e32 v20, 28, v53
	v_lshlrev_b64 v[20:21], v20, v[6:7]
	v_lshrrev_b32_e32 v19, 3, v18
	v_sub_u32_e32 v21, 29, v53
	v_cmp_gt_u32_e64 s[0:1], 8, v18
	v_lshlrev_b32_e32 v6, 8, v6
	s_nop 0
	v_cndmask_b32_e64 v18, v19, v21, s[0:1]
	v_lshl_add_u32 v18, v18, 10, v34
	v_and_b32_e32 v19, 7, v20
	v_and_b32_e32 v18, 0xfc00, v18
	v_cndmask_b32_e64 v16, v16, v19, s[0:1]
	v_and_or_b32 v6, v6, s30, v18
	v_lshl_or_b32 v16, v16, 7, v6
.LBB254_507:                            ;   in Loop: Header=BB254_290 Depth=1
	s_or_b64 exec, exec, s[20:21]
.LBB254_508:                            ;   in Loop: Header=BB254_290 Depth=1
	s_or_b64 exec, exec, s[18:19]
.LBB254_509:                            ;   in Loop: Header=BB254_290 Depth=1
	s_or_b64 exec, exec, s[16:17]
	v_cmp_lt_u32_e64 s[0:1], s7, v14
	s_and_saveexec_b64 s[16:17], s[0:1]
	s_cbranch_execz .LBB254_515
; %bb.510:                              ;   in Loop: Header=BB254_290 Depth=1
	v_lshrrev_b32_e32 v6, 24, v14
	v_cmp_ne_u32_e64 s[0:1], s28, v6
	v_bfrev_b32_e32 v17, 1
	s_and_saveexec_b64 s[18:19], s[0:1]
	s_cbranch_execz .LBB254_514
; %bb.511:                              ;   in Loop: Header=BB254_290 Depth=1
	v_and_b32_e32 v18, 0x7f, v6
	v_cmp_ne_u32_e64 s[0:1], s29, v18
	v_mov_b32_e32 v17, 0x7c010000
	s_and_saveexec_b64 s[20:21], s[0:1]
	s_cbranch_execz .LBB254_513
; %bb.512:                              ;   in Loop: Header=BB254_290 Depth=1
	v_and_b32_e32 v17, 7, v6
	v_ffbh_u32_e32 v20, v17
	v_min_u32_e32 v53, 32, v20
	v_subrev_u32_e32 v20, 28, v53
	v_lshlrev_b64 v[20:21], v20, v[6:7]
	v_lshrrev_b32_e32 v19, 3, v18
	v_sub_u32_e32 v21, 29, v53
	v_cmp_gt_u32_e64 s[0:1], 8, v18
	v_lshlrev_b32_e32 v6, 8, v6
	s_nop 0
	v_cndmask_b32_e64 v18, v19, v21, s[0:1]
	v_lshl_add_u32 v18, v18, 10, v34
	v_and_b32_e32 v19, 7, v20
	v_and_or_b32 v6, v6, s30, v18
	v_cndmask_b32_e64 v17, v17, v19, s[0:1]
	v_lshlrev_b32_e32 v6, 16, v6
	v_lshl_or_b32 v17, v17, 23, v6
.LBB254_513:                            ;   in Loop: Header=BB254_290 Depth=1
	s_or_b64 exec, exec, s[20:21]
.LBB254_514:                            ;   in Loop: Header=BB254_290 Depth=1
	s_or_b64 exec, exec, s[18:19]
.LBB254_515:                            ;   in Loop: Header=BB254_290 Depth=1
	s_or_b64 exec, exec, s[16:17]
	v_mov_b32_e32 v6, v15
	v_cmp_ne_u16_sdwa s[0:1], v15, v7 src0_sel:BYTE_0 src1_sel:DWORD
	v_mov_b32_e32 v18, 0
	v_mov_b32_e32 v19, 0
	s_and_saveexec_b64 s[16:17], s[0:1]
	s_cbranch_execz .LBB254_521
; %bb.516:                              ;   in Loop: Header=BB254_290 Depth=1
	v_cmp_ne_u16_sdwa s[0:1], v15, s28 src0_sel:BYTE_0 src1_sel:DWORD
	v_mov_b32_e32 v19, 0x8000
	s_and_saveexec_b64 s[18:19], s[0:1]
	s_cbranch_execz .LBB254_520
; %bb.517:                              ;   in Loop: Header=BB254_290 Depth=1
	v_and_b32_e32 v20, 0x7f, v15
	v_cmp_ne_u32_e64 s[0:1], s29, v20
	v_mov_b32_e32 v19, 0x7c01
	s_and_saveexec_b64 s[20:21], s[0:1]
	s_cbranch_execz .LBB254_519
; %bb.518:                              ;   in Loop: Header=BB254_290 Depth=1
	v_and_b32_e32 v19, 7, v15
	v_ffbh_u32_e32 v53, v19
	v_min_u32_e32 v53, 32, v53
	v_lshrrev_b32_e32 v21, 3, v20
	v_subrev_u32_e32 v54, 28, v53
	v_sub_u32_e32 v53, 29, v53
	v_cmp_gt_u32_e64 s[0:1], 8, v20
	v_lshlrev_b64 v[54:55], v54, v[6:7]
	s_nop 0
	v_cndmask_b32_e64 v20, v21, v53, s[0:1]
	v_lshl_add_u32 v20, v20, 10, v34
	v_lshlrev_b32_e32 v21, 8, v15
	v_and_b32_e32 v53, 7, v54
	v_and_b32_e32 v20, 0xfc00, v20
	v_cndmask_b32_e64 v19, v19, v53, s[0:1]
	v_and_or_b32 v20, v21, s30, v20
	v_lshl_or_b32 v19, v19, 7, v20
.LBB254_519:                            ;   in Loop: Header=BB254_290 Depth=1
	s_or_b64 exec, exec, s[20:21]
.LBB254_520:                            ;   in Loop: Header=BB254_290 Depth=1
	s_or_b64 exec, exec, s[18:19]
.LBB254_521:                            ;   in Loop: Header=BB254_290 Depth=1
	s_or_b64 exec, exec, s[16:17]
	v_lshrrev_b16_e32 v6, 8, v6
	v_cmp_ne_u16_e64 s[0:1], 0, v6
	v_mov_b32_e32 v20, 0
	s_and_saveexec_b64 s[16:17], s[0:1]
	s_cbranch_execz .LBB254_527
; %bb.522:                              ;   in Loop: Header=BB254_290 Depth=1
	v_cmp_ne_u16_e64 s[0:1], s28, v6
	v_bfrev_b32_e32 v20, 1
	s_and_saveexec_b64 s[18:19], s[0:1]
	s_cbranch_execz .LBB254_526
; %bb.523:                              ;   in Loop: Header=BB254_290 Depth=1
	v_and_b32_e32 v21, 0x7f, v6
	v_cmp_ne_u32_e64 s[0:1], s29, v21
	v_mov_b32_e32 v20, 0x7c010000
	s_and_saveexec_b64 s[20:21], s[0:1]
	s_cbranch_execz .LBB254_525
; %bb.524:                              ;   in Loop: Header=BB254_290 Depth=1
	v_and_b32_e32 v20, 7, v6
	v_ffbh_u32_e32 v54, v20
	v_min_u32_e32 v56, 32, v54
	v_subrev_u32_e32 v54, 28, v56
	v_lshlrev_b64 v[54:55], v54, v[6:7]
	v_lshrrev_b32_e32 v53, 3, v21
	v_sub_u32_e32 v55, 29, v56
	v_cmp_gt_u32_e64 s[0:1], 8, v21
	v_lshlrev_b32_e32 v6, 8, v6
	s_nop 0
	v_cndmask_b32_e64 v21, v53, v55, s[0:1]
	v_lshl_add_u32 v21, v21, 10, v34
	v_and_b32_e32 v53, 7, v54
	v_and_or_b32 v6, v6, s30, v21
	v_cndmask_b32_e64 v20, v20, v53, s[0:1]
	v_lshlrev_b32_e32 v6, 16, v6
	v_lshl_or_b32 v20, v20, 23, v6
.LBB254_525:                            ;   in Loop: Header=BB254_290 Depth=1
	s_or_b64 exec, exec, s[20:21]
.LBB254_526:                            ;   in Loop: Header=BB254_290 Depth=1
	s_or_b64 exec, exec, s[18:19]
.LBB254_527:                            ;   in Loop: Header=BB254_290 Depth=1
	s_or_b64 exec, exec, s[16:17]
	v_lshrrev_b32_e32 v6, 16, v15
	v_cmp_ne_u16_sdwa s[0:1], v6, v7 src0_sel:BYTE_0 src1_sel:DWORD
	s_and_saveexec_b64 s[16:17], s[0:1]
	s_cbranch_execz .LBB254_533
; %bb.528:                              ;   in Loop: Header=BB254_290 Depth=1
	v_cmp_ne_u16_sdwa s[0:1], v6, s28 src0_sel:BYTE_0 src1_sel:DWORD
	v_mov_b32_e32 v18, 0x8000
	s_and_saveexec_b64 s[18:19], s[0:1]
	s_cbranch_execz .LBB254_532
; %bb.529:                              ;   in Loop: Header=BB254_290 Depth=1
	v_bfe_u32 v21, v15, 16, 7
	v_cmp_ne_u32_e64 s[0:1], s29, v21
	v_mov_b32_e32 v18, 0x7c01
	s_and_saveexec_b64 s[20:21], s[0:1]
	s_cbranch_execz .LBB254_531
; %bb.530:                              ;   in Loop: Header=BB254_290 Depth=1
	v_and_b32_e32 v18, 7, v6
	v_ffbh_u32_e32 v54, v18
	v_min_u32_e32 v56, 32, v54
	v_subrev_u32_e32 v54, 28, v56
	v_lshlrev_b64 v[54:55], v54, v[6:7]
	v_lshrrev_b32_e32 v53, 3, v21
	v_sub_u32_e32 v55, 29, v56
	v_cmp_gt_u32_e64 s[0:1], 8, v21
	v_lshlrev_b32_e32 v6, 8, v6
	s_nop 0
	v_cndmask_b32_e64 v21, v53, v55, s[0:1]
	v_lshl_add_u32 v21, v21, 10, v34
	v_and_b32_e32 v53, 7, v54
	v_and_b32_e32 v21, 0xfc00, v21
	v_cndmask_b32_e64 v18, v18, v53, s[0:1]
	v_and_or_b32 v6, v6, s30, v21
	v_lshl_or_b32 v18, v18, 7, v6
.LBB254_531:                            ;   in Loop: Header=BB254_290 Depth=1
	s_or_b64 exec, exec, s[20:21]
.LBB254_532:                            ;   in Loop: Header=BB254_290 Depth=1
	s_or_b64 exec, exec, s[18:19]
.LBB254_533:                            ;   in Loop: Header=BB254_290 Depth=1
	s_or_b64 exec, exec, s[16:17]
	v_cmp_lt_u64_e64 s[0:1], s[6:7], v[14:15]
	v_mov_b32_e32 v21, 0
	s_and_saveexec_b64 s[16:17], s[0:1]
	s_cbranch_execz .LBB254_539
; %bb.534:                              ;   in Loop: Header=BB254_290 Depth=1
	v_lshrrev_b32_e32 v6, 24, v15
	v_cmp_ne_u32_e64 s[0:1], s28, v6
	v_bfrev_b32_e32 v21, 1
	s_and_saveexec_b64 s[18:19], s[0:1]
	s_cbranch_execz .LBB254_538
; %bb.535:                              ;   in Loop: Header=BB254_290 Depth=1
	v_and_b32_e32 v14, 0x7f, v6
	v_cmp_ne_u32_e64 s[0:1], s29, v14
	v_mov_b32_e32 v21, 0x7c010000
	s_and_saveexec_b64 s[20:21], s[0:1]
	s_cbranch_execz .LBB254_537
; %bb.536:                              ;   in Loop: Header=BB254_290 Depth=1
	v_and_b32_e32 v15, 7, v6
	v_ffbh_u32_e32 v53, v15
	v_min_u32_e32 v53, 32, v53
	v_lshrrev_b32_e32 v21, 3, v14
	v_subrev_u32_e32 v54, 28, v53
	v_sub_u32_e32 v53, 29, v53
	v_cmp_gt_u32_e64 s[0:1], 8, v14
	v_lshlrev_b64 v[54:55], v54, v[6:7]
	v_lshlrev_b32_e32 v6, 8, v6
	v_cndmask_b32_e64 v14, v21, v53, s[0:1]
	v_lshl_add_u32 v14, v14, 10, v34
	v_and_b32_e32 v21, 7, v54
	v_and_or_b32 v6, v6, s30, v14
	v_cndmask_b32_e64 v15, v15, v21, s[0:1]
	v_lshlrev_b32_e32 v6, 16, v6
	v_lshl_or_b32 v21, v15, 23, v6
.LBB254_537:                            ;   in Loop: Header=BB254_290 Depth=1
	s_or_b64 exec, exec, s[20:21]
.LBB254_538:                            ;   in Loop: Header=BB254_290 Depth=1
	s_or_b64 exec, exec, s[18:19]
.LBB254_539:                            ;   in Loop: Header=BB254_290 Depth=1
	s_or_b64 exec, exec, s[16:17]
	v_cvt_f32_f16_sdwa v15, v1 dst_sel:DWORD dst_unused:UNUSED_PAD src0_sel:WORD_1
	v_cvt_f32_f16_sdwa v14, v17 dst_sel:DWORD dst_unused:UNUSED_PAD src0_sel:WORD_1
	v_or_b32_e32 v1, v1, v13
	v_or_b32_e32 v6, v17, v16
	v_cvt_f32_f16_e32 v16, v6
	v_cvt_f32_f16_e32 v17, v1
	s_waitcnt vmcnt(0)
	v_pk_mul_f32 v[14:15], v[12:13], v[14:15] op_sel_hi:[0,1]
	v_cvt_pk_f16_f32 v1, v14, v15
	v_and_b32_e32 v13, 0xffff0000, v1
	v_pk_mul_f32 v[16:17], v[12:13], v[16:17] op_sel_hi:[0,1]
	v_lshlrev_b32_e32 v14, 16, v1
	v_cvt_pk_f16_f32 v1, v16, v17
	v_or_b32_e32 v6, v20, v19
	v_or_b32_e32 v17, v21, v18
	v_cvt_f32_f16_e32 v18, v17
	v_cvt_f32_f16_e32 v19, v6
	v_cvt_f32_f16_sdwa v55, v20 dst_sel:DWORD dst_unused:UNUSED_PAD src0_sel:WORD_1
	v_cvt_f32_f16_sdwa v54, v21 dst_sel:DWORD dst_unused:UNUSED_PAD src0_sel:WORD_1
	v_lshrrev_b32_e32 v15, 16, v1
	v_pk_mul_f32 v[18:19], v[12:13], v[18:19] op_sel_hi:[0,1]
	v_cvt_pk_f16_f32 v20, v18, v19
	v_pk_mul_f32 v[18:19], v[12:13], v[54:55] op_sel_hi:[0,1]
	v_cvt_pk_f16_f32 v12, v18, v19
	v_and_b32_e32 v16, 0xffff, v1
	v_and_b32_e32 v17, 0xffff0000, v12
	v_lshlrev_b32_e32 v12, 16, v12
	v_lshrrev_b32_e32 v21, 16, v20
	v_and_b32_e32 v20, 0xffff, v20
	v_or_b32_e32 v1, v13, v15
	v_or_b32_e32 v6, v14, v16
	;; [unrolled: 1-line block ×4, first 2 shown]
	s_and_saveexec_b64 s[0:1], vcc
	s_cbranch_execz .LBB254_288
; %bb.540:                              ;   in Loop: Header=BB254_290 Depth=1
	v_cmp_gt_i32_e32 vcc, s38, v35
	s_nop 1
	v_cndmask_b32_e32 v1, 0, v15, vcc
	v_cmp_gt_i32_e32 vcc, s33, v42
	s_nop 1
	v_cndmask_b32_e32 v6, 0, v16, vcc
	;; [unrolled: 3-line block ×3, first 2 shown]
	v_cmp_gt_i32_e32 vcc, s33, v40
	v_or_b32_e32 v1, v13, v1
	s_nop 0
	v_cndmask_b32_e32 v14, 0, v14, vcc
	v_cmp_gt_i32_e32 vcc, s38, v39
	v_or_b32_e32 v6, v14, v6
	s_nop 0
	v_cndmask_b32_e32 v13, 0, v21, vcc
	v_cmp_gt_i32_e32 vcc, s33, v38
	s_nop 1
	v_cndmask_b32_e32 v14, 0, v20, vcc
	v_cmp_gt_i32_e32 vcc, s38, v37
	;; [unrolled: 3-line block ×3, first 2 shown]
	v_or_b32_e32 v19, v15, v13
	s_nop 0
	v_cndmask_b32_e32 v12, 0, v12, vcc
	v_or_b32_e32 v18, v12, v14
	s_branch .LBB254_288
.LBB254_541:
	s_or_b64 exec, exec, s[8:9]
.LBB254_542:
	s_or_b64 exec, exec, s[2:3]
	ds_bpermute_b32 v6, v27, v4
	ds_bpermute_b32 v7, v27, v5
	;; [unrolled: 1-line block ×5, first 2 shown]
	s_waitcnt lgkmcnt(0)
	v_pk_add_f32 v[4:5], v[4:5], v[6:7]
	ds_bpermute_b32 v6, v28, v4
	ds_bpermute_b32 v7, v28, v5
	v_pk_add_f32 v[2:3], v[2:3], v[8:9]
	ds_bpermute_b32 v8, v28, v2
	ds_bpermute_b32 v9, v28, v3
	v_add_f32_e32 v1, v30, v1
	s_waitcnt lgkmcnt(2)
	v_pk_add_f32 v[4:5], v[4:5], v[6:7]
	ds_bpermute_b32 v7, v28, v1
	v_and_b32_e32 v6, 0x3c3, v0
	s_waitcnt lgkmcnt(1)
	v_pk_add_f32 v[2:3], v[2:3], v[8:9]
	v_cmp_ne_u32_e32 vcc, 64, v6
	s_barrier
	s_waitcnt lgkmcnt(0)
	s_and_saveexec_b64 s[0:1], vcc
	s_xor_b64 s[0:1], exec, s[0:1]
; %bb.543:
                                        ; implicit-def: $vgpr26
; %bb.544:
	s_or_saveexec_b64 s[0:1], s[0:1]
	v_add_f32_e32 v1, v1, v7
	s_xor_b64 exec, exec, s[0:1]
	s_cbranch_execz .LBB254_546
; %bb.545:
	v_add_u32_e32 v7, 0xb0, v26
	ds_write2_b32 v7, v4, v5 offset1:16
	ds_write2_b32 v7, v2, v3 offset0:32 offset1:48
	ds_write_b32 v7, v1 offset:256
.LBB254_546:
	s_or_b64 exec, exec, s[0:1]
	v_cmp_gt_u32_e32 vcc, 64, v0
	v_lshrrev_b32_e32 v0, 2, v0
	s_waitcnt lgkmcnt(0)
	s_barrier
	s_and_saveexec_b64 s[0:1], vcc
	s_cbranch_execz .LBB254_554
; %bb.547:
	v_mov_b32_e32 v7, 0xb0
	v_cmp_eq_u32_e32 vcc, 0, v29
	v_lshl_add_u32 v7, v0, 2, v7
	s_and_saveexec_b64 s[2:3], vcc
	s_cbranch_execnz .LBB254_557
; %bb.548:
	s_or_b64 exec, exec, s[2:3]
	s_and_saveexec_b64 s[2:3], vcc
	s_cbranch_execnz .LBB254_558
.LBB254_549:
	s_or_b64 exec, exec, s[2:3]
	s_and_saveexec_b64 s[2:3], vcc
	s_cbranch_execnz .LBB254_559
.LBB254_550:
	s_or_b64 exec, exec, s[2:3]
	s_and_saveexec_b64 s[2:3], vcc
	s_cbranch_execnz .LBB254_560
.LBB254_551:
	s_or_b64 exec, exec, s[2:3]
	s_and_saveexec_b64 s[2:3], vcc
	s_cbranch_execz .LBB254_553
.LBB254_552:
	ds_read_b32 v7, v7 offset:256
	s_waitcnt lgkmcnt(0)
	v_add_f32_e32 v1, v1, v7
.LBB254_553:
	s_or_b64 exec, exec, s[2:3]
.LBB254_554:
	s_or_b64 exec, exec, s[0:1]
	v_cmp_eq_u32_e32 vcc, 0, v6
	s_barrier
	s_and_saveexec_b64 s[0:1], vcc
	s_cbranch_execz .LBB254_556
; %bb.555:
	s_mul_i32 s0, s10, s11
	s_mul_i32 s0, s0, s5
	s_mulk_i32 s0, 0x50
	s_ashr_i32 s1, s0, 31
	s_lshl_b64 s[0:1], s[0:1], 1
	s_add_u32 s2, s26, s0
	s_mul_i32 s0, s11, s24
	s_addc_u32 s3, s27, s1
	s_ashr_i32 s1, s0, 31
	s_lshl_b64 s[0:1], s[0:1], 1
	s_add_u32 s2, s2, s0
	s_mul_i32 s0, s4, 0x50
	s_addc_u32 s3, s3, s1
	s_ashr_i32 s1, s0, 31
	s_lshl_b64 s[0:1], s[0:1], 1
	s_add_u32 s0, s2, s0
	s_addc_u32 s1, s3, s1
	v_lshlrev_b32_e32 v0, 1, v0
	;;#ASMSTART
	v_cvt_f16_f32 v4, v4;

	;;#ASMEND
	global_store_short v0, v4, s[0:1]
	;;#ASMSTART
	v_cvt_f16_f32 v4, v5;

	;;#ASMEND
	global_store_short v0, v4, s[0:1] offset:32
	;;#ASMSTART
	v_cvt_f16_f32 v2, v2;

	;;#ASMEND
	global_store_short v0, v2, s[0:1] offset:64
	;; [unrolled: 5-line block ×4, first 2 shown]
.LBB254_556:
	s_endpgm
.LBB254_557:
	ds_read_b32 v8, v7
	s_waitcnt lgkmcnt(0)
	v_add_f32_e32 v4, v4, v8
	s_or_b64 exec, exec, s[2:3]
	s_and_saveexec_b64 s[2:3], vcc
	s_cbranch_execz .LBB254_549
.LBB254_558:
	ds_read_b32 v8, v7 offset:64
	s_waitcnt lgkmcnt(0)
	v_add_f32_e32 v5, v5, v8
	s_or_b64 exec, exec, s[2:3]
	s_and_saveexec_b64 s[2:3], vcc
	s_cbranch_execz .LBB254_550
.LBB254_559:
	ds_read_b32 v8, v7 offset:128
	s_waitcnt lgkmcnt(0)
	v_add_f32_e32 v2, v2, v8
	s_or_b64 exec, exec, s[2:3]
	s_and_saveexec_b64 s[2:3], vcc
	s_cbranch_execz .LBB254_551
.LBB254_560:
	ds_read_b32 v8, v7 offset:192
	s_waitcnt lgkmcnt(0)
	v_add_f32_e32 v3, v3, v8
	s_or_b64 exec, exec, s[2:3]
	s_and_saveexec_b64 s[2:3], vcc
	s_cbranch_execnz .LBB254_552
	s_branch .LBB254_553
	.section	.rodata,"a",@progbits
	.p2align	6, 0x0
	.amdhsa_kernel _ZN4vllm25paged_attention_v1_kernelIthLi80ELi32ELi128ELNS_18Fp8KVCacheDataTypeE1ELb1EEEvPT_PKS2_PKT0_S8_ifPKiSA_iPKfiiiSC_SC_iiiii
		.amdhsa_group_segment_fixed_size 176
		.amdhsa_private_segment_fixed_size 0
		.amdhsa_kernarg_size 384
		.amdhsa_user_sgpr_count 2
		.amdhsa_user_sgpr_dispatch_ptr 0
		.amdhsa_user_sgpr_queue_ptr 0
		.amdhsa_user_sgpr_kernarg_segment_ptr 1
		.amdhsa_user_sgpr_dispatch_id 0
		.amdhsa_user_sgpr_kernarg_preload_length 0
		.amdhsa_user_sgpr_kernarg_preload_offset 0
		.amdhsa_user_sgpr_private_segment_size 0
		.amdhsa_uses_dynamic_stack 0
		.amdhsa_enable_private_segment 0
		.amdhsa_system_sgpr_workgroup_id_x 1
		.amdhsa_system_sgpr_workgroup_id_y 1
		.amdhsa_system_sgpr_workgroup_id_z 1
		.amdhsa_system_sgpr_workgroup_info 0
		.amdhsa_system_vgpr_workitem_id 0
		.amdhsa_next_free_vgpr 72
		.amdhsa_next_free_sgpr 56
		.amdhsa_accum_offset 72
		.amdhsa_reserve_vcc 1
		.amdhsa_float_round_mode_32 0
		.amdhsa_float_round_mode_16_64 0
		.amdhsa_float_denorm_mode_32 3
		.amdhsa_float_denorm_mode_16_64 3
		.amdhsa_dx10_clamp 1
		.amdhsa_ieee_mode 1
		.amdhsa_fp16_overflow 0
		.amdhsa_tg_split 0
		.amdhsa_exception_fp_ieee_invalid_op 0
		.amdhsa_exception_fp_denorm_src 0
		.amdhsa_exception_fp_ieee_div_zero 0
		.amdhsa_exception_fp_ieee_overflow 0
		.amdhsa_exception_fp_ieee_underflow 0
		.amdhsa_exception_fp_ieee_inexact 0
		.amdhsa_exception_int_div_zero 0
	.end_amdhsa_kernel
	.section	.text._ZN4vllm25paged_attention_v1_kernelIthLi80ELi32ELi128ELNS_18Fp8KVCacheDataTypeE1ELb1EEEvPT_PKS2_PKT0_S8_ifPKiSA_iPKfiiiSC_SC_iiiii,"axG",@progbits,_ZN4vllm25paged_attention_v1_kernelIthLi80ELi32ELi128ELNS_18Fp8KVCacheDataTypeE1ELb1EEEvPT_PKS2_PKT0_S8_ifPKiSA_iPKfiiiSC_SC_iiiii,comdat
.Lfunc_end254:
	.size	_ZN4vllm25paged_attention_v1_kernelIthLi80ELi32ELi128ELNS_18Fp8KVCacheDataTypeE1ELb1EEEvPT_PKS2_PKT0_S8_ifPKiSA_iPKfiiiSC_SC_iiiii, .Lfunc_end254-_ZN4vllm25paged_attention_v1_kernelIthLi80ELi32ELi128ELNS_18Fp8KVCacheDataTypeE1ELb1EEEvPT_PKS2_PKT0_S8_ifPKiSA_iPKfiiiSC_SC_iiiii
                                        ; -- End function
	.set _ZN4vllm25paged_attention_v1_kernelIthLi80ELi32ELi128ELNS_18Fp8KVCacheDataTypeE1ELb1EEEvPT_PKS2_PKT0_S8_ifPKiSA_iPKfiiiSC_SC_iiiii.num_vgpr, 72
	.set _ZN4vllm25paged_attention_v1_kernelIthLi80ELi32ELi128ELNS_18Fp8KVCacheDataTypeE1ELb1EEEvPT_PKS2_PKT0_S8_ifPKiSA_iPKfiiiSC_SC_iiiii.num_agpr, 0
	.set _ZN4vllm25paged_attention_v1_kernelIthLi80ELi32ELi128ELNS_18Fp8KVCacheDataTypeE1ELb1EEEvPT_PKS2_PKT0_S8_ifPKiSA_iPKfiiiSC_SC_iiiii.numbered_sgpr, 56
	.set _ZN4vllm25paged_attention_v1_kernelIthLi80ELi32ELi128ELNS_18Fp8KVCacheDataTypeE1ELb1EEEvPT_PKS2_PKT0_S8_ifPKiSA_iPKfiiiSC_SC_iiiii.num_named_barrier, 0
	.set _ZN4vllm25paged_attention_v1_kernelIthLi80ELi32ELi128ELNS_18Fp8KVCacheDataTypeE1ELb1EEEvPT_PKS2_PKT0_S8_ifPKiSA_iPKfiiiSC_SC_iiiii.private_seg_size, 0
	.set _ZN4vllm25paged_attention_v1_kernelIthLi80ELi32ELi128ELNS_18Fp8KVCacheDataTypeE1ELb1EEEvPT_PKS2_PKT0_S8_ifPKiSA_iPKfiiiSC_SC_iiiii.uses_vcc, 1
	.set _ZN4vllm25paged_attention_v1_kernelIthLi80ELi32ELi128ELNS_18Fp8KVCacheDataTypeE1ELb1EEEvPT_PKS2_PKT0_S8_ifPKiSA_iPKfiiiSC_SC_iiiii.uses_flat_scratch, 0
	.set _ZN4vllm25paged_attention_v1_kernelIthLi80ELi32ELi128ELNS_18Fp8KVCacheDataTypeE1ELb1EEEvPT_PKS2_PKT0_S8_ifPKiSA_iPKfiiiSC_SC_iiiii.has_dyn_sized_stack, 0
	.set _ZN4vllm25paged_attention_v1_kernelIthLi80ELi32ELi128ELNS_18Fp8KVCacheDataTypeE1ELb1EEEvPT_PKS2_PKT0_S8_ifPKiSA_iPKfiiiSC_SC_iiiii.has_recursion, 0
	.set _ZN4vllm25paged_attention_v1_kernelIthLi80ELi32ELi128ELNS_18Fp8KVCacheDataTypeE1ELb1EEEvPT_PKS2_PKT0_S8_ifPKiSA_iPKfiiiSC_SC_iiiii.has_indirect_call, 0
	.section	.AMDGPU.csdata,"",@progbits
; Kernel info:
; codeLenInByte = 24480
; TotalNumSgprs: 62
; NumVgprs: 72
; NumAgprs: 0
; TotalNumVgprs: 72
; ScratchSize: 0
; MemoryBound: 0
; FloatMode: 240
; IeeeMode: 1
; LDSByteSize: 176 bytes/workgroup (compile time only)
; SGPRBlocks: 7
; VGPRBlocks: 8
; NumSGPRsForWavesPerEU: 62
; NumVGPRsForWavesPerEU: 72
; AccumOffset: 72
; Occupancy: 7
; WaveLimiterHint : 1
; COMPUTE_PGM_RSRC2:SCRATCH_EN: 0
; COMPUTE_PGM_RSRC2:USER_SGPR: 2
; COMPUTE_PGM_RSRC2:TRAP_HANDLER: 0
; COMPUTE_PGM_RSRC2:TGID_X_EN: 1
; COMPUTE_PGM_RSRC2:TGID_Y_EN: 1
; COMPUTE_PGM_RSRC2:TGID_Z_EN: 1
; COMPUTE_PGM_RSRC2:TIDIG_COMP_CNT: 0
; COMPUTE_PGM_RSRC3_GFX90A:ACCUM_OFFSET: 17
; COMPUTE_PGM_RSRC3_GFX90A:TG_SPLIT: 0
	.section	.text._ZN4vllm25paged_attention_v1_kernelIthLi96ELi32ELi128ELNS_18Fp8KVCacheDataTypeE1ELb1EEEvPT_PKS2_PKT0_S8_ifPKiSA_iPKfiiiSC_SC_iiiii,"axG",@progbits,_ZN4vllm25paged_attention_v1_kernelIthLi96ELi32ELi128ELNS_18Fp8KVCacheDataTypeE1ELb1EEEvPT_PKS2_PKT0_S8_ifPKiSA_iPKfiiiSC_SC_iiiii,comdat
	.protected	_ZN4vllm25paged_attention_v1_kernelIthLi96ELi32ELi128ELNS_18Fp8KVCacheDataTypeE1ELb1EEEvPT_PKS2_PKT0_S8_ifPKiSA_iPKfiiiSC_SC_iiiii ; -- Begin function _ZN4vllm25paged_attention_v1_kernelIthLi96ELi32ELi128ELNS_18Fp8KVCacheDataTypeE1ELb1EEEvPT_PKS2_PKT0_S8_ifPKiSA_iPKfiiiSC_SC_iiiii
	.globl	_ZN4vllm25paged_attention_v1_kernelIthLi96ELi32ELi128ELNS_18Fp8KVCacheDataTypeE1ELb1EEEvPT_PKS2_PKT0_S8_ifPKiSA_iPKfiiiSC_SC_iiiii
	.p2align	8
	.type	_ZN4vllm25paged_attention_v1_kernelIthLi96ELi32ELi128ELNS_18Fp8KVCacheDataTypeE1ELb1EEEvPT_PKS2_PKT0_S8_ifPKiSA_iPKfiiiSC_SC_iiiii,@function
_ZN4vllm25paged_attention_v1_kernelIthLi96ELi32ELi128ELNS_18Fp8KVCacheDataTypeE1ELb1EEEvPT_PKS2_PKT0_S8_ifPKiSA_iPKfiiiSC_SC_iiiii: ; @_ZN4vllm25paged_attention_v1_kernelIthLi96ELi32ELi128ELNS_18Fp8KVCacheDataTypeE1ELb1EEEvPT_PKS2_PKT0_S8_ifPKiSA_iPKfiiiSC_SC_iiiii
; %bb.0:
	s_load_dword s5, s[0:1], 0x80
	s_load_dwordx2 s[6:7], s[0:1], 0x30
	s_load_dwordx2 s[36:37], s[0:1], 0x20
	s_mov_b32 s10, s3
	s_ashr_i32 s11, s3, 31
	s_lshl_b64 s[8:9], s[10:11], 2
	s_waitcnt lgkmcnt(0)
	s_add_u32 s6, s6, s8
	s_addc_u32 s7, s7, s9
	s_abs_i32 s3, s36
	v_cvt_f32_u32_e32 v1, s3
	s_sub_i32 s11, 0, s3
	s_abs_i32 s9, s5
	s_xor_b32 s8, s5, s36
	v_rcp_iflag_f32_e32 v1, v1
	s_ashr_i32 s8, s8, 31
	s_mov_b32 s48, 0
	v_mul_f32_e32 v1, 0x4f7ffffe, v1
	v_cvt_u32_f32_e32 v1, v1
	s_nop 0
	v_readfirstlane_b32 s12, v1
	s_mul_i32 s11, s11, s12
	s_mul_hi_u32 s11, s12, s11
	s_add_i32 s12, s12, s11
	s_mul_hi_u32 s11, s9, s12
	s_mul_i32 s12, s11, s3
	s_sub_i32 s9, s9, s12
	s_add_i32 s12, s11, 1
	s_sub_i32 s13, s9, s3
	s_cmp_ge_u32 s9, s3
	s_cselect_b32 s11, s12, s11
	s_cselect_b32 s9, s13, s9
	s_add_i32 s12, s11, 1
	s_cmp_ge_u32 s9, s3
	s_cselect_b32 s3, s12, s11
	s_xor_b32 s3, s3, s8
	s_sub_i32 s14, s3, s8
	s_abs_i32 s11, s14
	v_cvt_f32_u32_e32 v1, s11
	s_load_dwordx2 s[8:9], s[0:1], 0x40
	s_sub_i32 s3, 0, s11
	s_abs_i32 s12, s2
	v_rcp_iflag_f32_e32 v1, v1
	s_nop 0
	v_mul_f32_e32 v1, 0x4f7ffffe, v1
	v_cvt_u32_f32_e32 v1, v1
	s_nop 0
	v_readfirstlane_b32 s13, v1
	s_mul_i32 s3, s3, s13
	s_mul_hi_u32 s3, s13, s3
	s_add_i32 s13, s13, s3
	s_waitcnt lgkmcnt(0)
	s_cmp_eq_u64 s[8:9], 0
	s_mul_hi_u32 s13, s12, s13
	s_cbranch_scc1 .LBB255_2
; %bb.1:
	s_ashr_i32 s3, s2, 31
	s_lshl_b64 s[16:17], s[2:3], 2
	s_add_u32 s8, s8, s16
	s_addc_u32 s9, s9, s17
	s_load_dword s48, s[8:9], 0x0
.LBB255_2:
	s_load_dword s33, s[6:7], 0x0
	s_load_dwordx4 s[16:19], s[0:1], 0x48
	s_ashr_i32 s3, s2, 31
	s_ashr_i32 s9, s14, 31
	v_and_b32_e32 v4, 1, v0
	s_movk_i32 s8, 0x60
	s_mul_i32 s24, s2, 0x60
	v_cmp_gt_u32_e32 vcc, 24, v0
	v_lshlrev_b32_e32 v1, 3, v0
	s_and_saveexec_b64 s[6:7], vcc
	s_cbranch_execz .LBB255_4
; %bb.3:
	s_load_dwordx2 s[14:15], s[0:1], 0x8
	s_waitcnt lgkmcnt(0)
	s_mul_i32 s20, s16, s10
	s_ashr_i32 s21, s20, 31
	s_lshl_b64 s[20:21], s[20:21], 1
	v_lshlrev_b32_e32 v5, 2, v0
	s_add_u32 s16, s14, s20
	s_addc_u32 s19, s15, s21
	s_ashr_i32 s25, s24, 31
	s_lshl_b64 s[14:15], s[24:25], 1
	s_add_u32 s14, s16, s14
	s_addc_u32 s15, s19, s15
	global_load_dwordx2 v[2:3], v1, s[14:15]
	v_and_b32_e32 v5, 0xff8, v5
	v_mad_u32_u24 v5, v4, s8, v5
	s_waitcnt vmcnt(0)
	ds_write_b64 v5, v[2:3]
.LBB255_4:
	s_or_b64 exec, exec, s[6:7]
	s_mul_i32 s6, s13, s11
	s_sub_i32 s6, s12, s6
	s_xor_b32 s3, s3, s9
	s_add_i32 s7, s13, 1
	s_sub_i32 s9, s6, s11
	s_load_dwordx4 s[20:23], s[0:1], 0x68
	s_load_dword s8, s[0:1], 0x78
	s_cmp_ge_u32 s6, s11
	s_cselect_b32 s7, s7, s13
	s_cselect_b32 s6, s9, s6
	s_add_i32 s9, s7, 1
	s_cmp_ge_u32 s6, s11
	s_cselect_b32 s6, s9, s7
	s_waitcnt lgkmcnt(0)
	s_abs_i32 s25, s23
	v_cvt_f32_u32_e32 v2, s25
	s_xor_b32 s6, s6, s3
	s_sub_i32 s3, s6, s3
	s_sub_i32 s6, 0, s25
	v_rcp_iflag_f32_e32 v2, v2
	s_add_i32 s11, s33, -1
	s_abs_i32 s9, s11
	v_mul_f32_e32 v2, 0x4f7ffffe, v2
	v_cvt_u32_f32_e32 v2, v2
	s_barrier
	v_readfirstlane_b32 s46, v2
	s_mul_i32 s6, s6, s46
	s_mul_hi_u32 s6, s46, s6
	s_add_i32 s46, s46, s6
	s_cmp_lt_i32 s8, 0
	s_mul_hi_u32 s16, s9, s46
	s_cbranch_scc0 .LBB255_6
; %bb.5:
	s_mul_i32 s6, s20, s36
	s_add_i32 s6, s3, s6
	s_mul_i32 s6, s6, s8
	s_sub_i32 s36, 1, s6
	s_mov_b64 s[6:7], 0
	s_branch .LBB255_7
.LBB255_6:
	s_mov_b64 s[6:7], -1
                                        ; implicit-def: $sgpr36
.LBB255_7:
	s_load_dwordx2 s[28:29], s[0:1], 0x28
	s_ashr_i32 s19, s11, 31
	s_andn2_b64 vcc, exec, s[6:7]
	s_ashr_i32 s23, s23, 31
	s_cbranch_vccnz .LBB255_9
; %bb.8:
	s_mul_i32 s6, s5, s20
	s_add_i32 s2, s6, s2
	s_mul_i32 s2, s2, s8
	s_add_i32 s36, s2, 1
.LBB255_9:
	s_load_dword s2, s[0:1], 0x38
	s_load_dwordx2 s[26:27], s[0:1], 0x0
	s_load_dwordx2 s[34:35], s[0:1], 0x18
	s_load_dword s11, s[0:1], 0x88
	s_load_dwordx4 s[12:15], s[0:1], 0x58
	s_mul_i32 s6, s16, s25
	s_waitcnt lgkmcnt(0)
	s_mul_i32 s30, s2, s10
	s_sub_i32 s6, s9, s6
	s_ashr_i32 s31, s30, 31
	s_xor_b32 s2, s19, s23
	s_add_i32 s7, s16, 1
	s_sub_i32 s8, s6, s25
	s_cmp_ge_u32 s6, s25
	s_cselect_b32 s7, s7, s16
	s_cselect_b32 s6, s8, s6
	s_add_i32 s8, s7, 1
	s_cmp_ge_u32 s6, s25
	s_cselect_b32 s6, s8, s7
	s_xor_b32 s6, s6, s2
	s_sub_i32 s16, s6, s2
	s_add_i32 s2, s33, 31
	s_ashr_i32 s6, s2, 31
	s_lshr_b32 s6, s6, 27
	s_add_i32 s2, s2, s6
	s_ashr_i32 s47, s2, 5
	v_lshrrev_b32_e32 v26, 6, v0
	v_cmp_gt_i32_e64 s[6:7], s47, v26
	v_mov_b32_e32 v15, 0xff7fffff
	s_mul_i32 s20, s3, s18
	v_lshrrev_b32_e32 v12, 4, v0
	v_lshlrev_b32_e32 v27, 5, v26
	v_mbcnt_lo_u32_b32 v11, -1, 0
	s_and_saveexec_b64 s[18:19], s[6:7]
	s_cbranch_execz .LBB255_309
; %bb.10:
	s_load_dwordx2 s[0:1], s[0:1], 0x10
	s_sub_i32 s49, s16, s21
	s_ashr_i32 s2, s20, 31
	v_bfe_u32 v13, v0, 1, 5
	v_mov_b32_e32 v3, 0
	s_waitcnt lgkmcnt(0)
	s_add_u32 s0, s0, s20
	s_addc_u32 s1, s1, s2
	s_abs_i32 s50, s22
	v_cvt_f32_u32_e32 v2, s50
	v_cmp_eq_u32_e32 vcc, 0, v4
	v_mul_u32_u24_e32 v14, 0x60, v4
	s_mov_b32 s51, s17
	v_rcp_iflag_f32_e32 v5, v2
	v_lshlrev_b32_e32 v2, 4, v13
	v_lshl_add_u64 v[6:7], s[0:1], 0, v[2:3]
	s_sub_i32 s0, 0, s50
	v_mul_f32_e32 v5, 0x4f7ffffe, v5
	v_cvt_u32_f32_e32 v5, v5
	v_lshlrev_b32_e32 v2, 2, v4
	v_cmp_neq_f32_e64 s[2:3], s48, 0
	v_lshlrev_b32_e32 v17, 5, v26
	v_mul_lo_u32 v4, s0, v5
	s_lshl_b64 s[0:1], s[30:31], 2
	v_mul_hi_u32 v4, v5, v4
	s_add_u32 s0, s28, s0
	v_add_u32_e32 v16, v5, v4
	v_lshl_add_u64 v[4:5], v[6:7], 0, v[2:3]
	v_and_b32_e32 v2, 60, v12
	s_addc_u32 s1, s29, s1
	v_lshl_add_u64 v[6:7], s[0:1], 0, v[2:3]
	v_subrev_u32_e32 v2, s33, v13
	v_add_u32_e32 v18, 1, v2
	v_lshlrev_b32_e32 v2, 2, v13
	v_lshl_or_b32 v2, v26, 7, v2
	v_add_u32_e32 v19, 0xd0, v2
	v_mov_b32_e32 v20, 0xff7fffff
	s_mov_b64 s[38:39], 0
	s_movk_i32 s52, 0x80
	s_movk_i32 s53, 0x7f
	s_mov_b32 s54, 0x8000
	s_mov_b32 s55, 0xffffff
	v_mov_b32_e32 v21, 0x2000
	v_mbcnt_hi_u32_b32 v22, -1, v11
	v_mov_b32_e32 v15, 0xff7fffff
	v_mov_b32_e32 v23, v26
	s_branch .LBB255_13
.LBB255_11:                             ;   in Loop: Header=BB255_13 Depth=1
	s_or_b64 exec, exec, s[40:41]
.LBB255_12:                             ;   in Loop: Header=BB255_13 Depth=1
	s_or_b64 exec, exec, s[8:9]
	v_add_u32_e32 v23, 2, v23
	v_cmp_le_i32_e64 s[0:1], s47, v23
	v_lshl_add_u64 v[6:7], v[6:7], 0, 8
	v_add_u32_e32 v17, 64, v17
	s_or_b64 s[38:39], s[0:1], s[38:39]
	v_add_u32_e32 v19, 0x100, v19
	s_andn2_b64 exec, exec, s[38:39]
	s_cbranch_execz .LBB255_308
.LBB255_13:                             ; =>This Inner Loop Header: Depth=1
	v_mul_hi_u32 v2, v17, s46
	s_waitcnt lgkmcnt(0)
	v_mul_lo_u32 v8, v2, s25
	v_sub_u32_e32 v8, v17, v8
	v_add_u32_e32 v9, 1, v2
	v_cmp_le_u32_e64 s[0:1], s25, v8
	s_nop 1
	v_cndmask_b32_e64 v2, v2, v9, s[0:1]
	v_subrev_u32_e32 v9, s25, v8
	v_cndmask_b32_e64 v8, v8, v9, s[0:1]
	v_add_u32_e32 v9, 1, v2
	v_cmp_le_u32_e64 s[0:1], s25, v8
	s_nop 1
	v_cndmask_b32_e64 v2, v2, v9, s[0:1]
	v_xor_b32_e32 v2, s23, v2
	v_subrev_u32_e32 v2, s23, v2
	v_add_u32_e32 v8, s36, v2
	v_sub_u32_e32 v10, 0, v8
	v_ashrrev_i32_e32 v9, 31, v8
	v_max_i32_e32 v8, v8, v10
	v_mul_hi_u32 v10, v8, v16
	v_mul_lo_u32 v10, v10, s50
	v_sub_u32_e32 v8, v8, v10
	v_subrev_u32_e32 v10, s50, v8
	v_cmp_le_u32_e64 s[0:1], s50, v8
	v_cmp_ge_i32_e64 s[8:9], s49, v2
	s_nop 0
	v_cndmask_b32_e64 v8, v8, v10, s[0:1]
	v_subrev_u32_e32 v10, s50, v8
	v_cmp_le_u32_e64 s[0:1], s50, v8
	s_nop 1
	v_cndmask_b32_e64 v8, v8, v10, s[0:1]
	v_xor_b32_e32 v8, v8, v9
	v_sub_u32_e32 v8, v8, v9
	v_cmp_ne_u32_e64 s[0:1], 0, v8
	s_and_b64 s[0:1], s[0:1], s[8:9]
	s_and_saveexec_b64 s[8:9], s[0:1]
	s_xor_b64 s[0:1], exec, s[8:9]
	s_cbranch_execz .LBB255_17
; %bb.14:                               ;   in Loop: Header=BB255_13 Depth=1
	s_and_saveexec_b64 s[8:9], vcc
; %bb.15:                               ;   in Loop: Header=BB255_13 Depth=1
	ds_write_b32 v19, v20
; %bb.16:                               ;   in Loop: Header=BB255_13 Depth=1
	s_or_b64 exec, exec, s[8:9]
.LBB255_17:                             ;   in Loop: Header=BB255_13 Depth=1
	s_andn2_saveexec_b64 s[8:9], s[0:1]
	s_cbranch_execz .LBB255_12
; %bb.18:                               ;   in Loop: Header=BB255_13 Depth=1
	global_load_dword v2, v[6:7], off
	v_mov_b32_e32 v25, 0
	global_load_dword v24, v25, s[12:13]
	v_mov_b32_e32 v28, 0
	s_waitcnt vmcnt(1)
	v_mad_i64_i32 v[8:9], s[0:1], v2, s51, v[4:5]
	global_load_dword v10, v[8:9], off
	s_waitcnt vmcnt(0)
	v_cmp_ne_u16_sdwa s[0:1], v10, v3 src0_sel:BYTE_0 src1_sel:DWORD
	s_and_saveexec_b64 s[40:41], s[0:1]
	s_cbranch_execz .LBB255_24
; %bb.19:                               ;   in Loop: Header=BB255_13 Depth=1
	v_cmp_ne_u16_sdwa s[0:1], v10, s52 src0_sel:BYTE_0 src1_sel:DWORD
	v_mov_b32_e32 v28, 0x8000
	s_and_saveexec_b64 s[42:43], s[0:1]
	s_cbranch_execz .LBB255_23
; %bb.20:                               ;   in Loop: Header=BB255_13 Depth=1
	v_and_b32_e32 v2, 0x7f, v10
	v_cmp_ne_u32_e64 s[0:1], s53, v2
	v_mov_b32_e32 v28, 0x7c01
	s_and_saveexec_b64 s[44:45], s[0:1]
	s_cbranch_execz .LBB255_22
; %bb.21:                               ;   in Loop: Header=BB255_13 Depth=1
	v_and_b32_e32 v30, 7, v10
	v_ffbh_u32_e32 v28, v30
	v_min_u32_e32 v32, 32, v28
	v_subrev_u32_e32 v28, 28, v32
	v_lshlrev_b64 v[28:29], v28, v[10:11]
	v_lshrrev_b32_e32 v31, 3, v2
	v_sub_u32_e32 v29, 29, v32
	v_cmp_gt_u32_e64 s[0:1], 8, v2
	v_and_b32_e32 v28, 7, v28
	s_nop 0
	v_cndmask_b32_e64 v2, v31, v29, s[0:1]
	v_lshl_add_u32 v2, v2, 10, v21
	v_lshlrev_b32_e32 v29, 8, v10
	v_and_b32_e32 v2, 0xfc00, v2
	v_cndmask_b32_e64 v28, v30, v28, s[0:1]
	v_and_or_b32 v2, v29, s54, v2
	v_lshl_or_b32 v28, v28, 7, v2
.LBB255_22:                             ;   in Loop: Header=BB255_13 Depth=1
	s_or_b64 exec, exec, s[44:45]
.LBB255_23:                             ;   in Loop: Header=BB255_13 Depth=1
	s_or_b64 exec, exec, s[42:43]
.LBB255_24:                             ;   in Loop: Header=BB255_13 Depth=1
	s_or_b64 exec, exec, s[40:41]
	v_lshrrev_b16_e32 v2, 8, v10
	v_cmp_ne_u16_e64 s[0:1], 0, v2
	s_and_saveexec_b64 s[40:41], s[0:1]
	s_cbranch_execz .LBB255_30
; %bb.25:                               ;   in Loop: Header=BB255_13 Depth=1
	v_cmp_ne_u16_e64 s[0:1], s52, v2
	v_bfrev_b32_e32 v25, 1
	s_and_saveexec_b64 s[42:43], s[0:1]
	s_cbranch_execz .LBB255_29
; %bb.26:                               ;   in Loop: Header=BB255_13 Depth=1
	v_and_b32_e32 v29, 0x7f, v2
	v_cmp_ne_u32_e64 s[0:1], s53, v29
	v_mov_b32_e32 v25, 0x7c010000
	s_and_saveexec_b64 s[44:45], s[0:1]
	s_cbranch_execz .LBB255_28
; %bb.27:                               ;   in Loop: Header=BB255_13 Depth=1
	v_and_b32_e32 v25, 7, v2
	v_ffbh_u32_e32 v30, v25
	v_min_u32_e32 v33, 32, v30
	v_subrev_u32_e32 v30, 28, v33
	v_lshlrev_b64 v[30:31], v30, v[2:3]
	v_lshrrev_b32_e32 v32, 3, v29
	v_sub_u32_e32 v31, 29, v33
	v_cmp_gt_u32_e64 s[0:1], 8, v29
	v_lshlrev_b32_e32 v2, 8, v2
	v_and_b32_e32 v30, 7, v30
	v_cndmask_b32_e64 v29, v32, v31, s[0:1]
	v_lshl_add_u32 v29, v29, 10, v21
	v_and_or_b32 v2, v2, s54, v29
	v_cndmask_b32_e64 v25, v25, v30, s[0:1]
	v_lshlrev_b32_e32 v2, 16, v2
	v_lshl_or_b32 v25, v25, 23, v2
.LBB255_28:                             ;   in Loop: Header=BB255_13 Depth=1
	s_or_b64 exec, exec, s[44:45]
.LBB255_29:                             ;   in Loop: Header=BB255_13 Depth=1
	s_or_b64 exec, exec, s[42:43]
.LBB255_30:                             ;   in Loop: Header=BB255_13 Depth=1
	s_or_b64 exec, exec, s[40:41]
	v_lshrrev_b32_e32 v2, 16, v10
	v_cmp_ne_u16_sdwa s[0:1], v2, v3 src0_sel:BYTE_0 src1_sel:DWORD
	v_mov_b32_e32 v29, 0
	v_mov_b32_e32 v30, 0
	s_and_saveexec_b64 s[40:41], s[0:1]
	s_cbranch_execz .LBB255_36
; %bb.31:                               ;   in Loop: Header=BB255_13 Depth=1
	v_cmp_ne_u16_sdwa s[0:1], v2, s52 src0_sel:BYTE_0 src1_sel:DWORD
	v_mov_b32_e32 v30, 0x8000
	s_and_saveexec_b64 s[42:43], s[0:1]
	s_cbranch_execz .LBB255_35
; %bb.32:                               ;   in Loop: Header=BB255_13 Depth=1
	v_bfe_u32 v31, v10, 16, 7
	v_cmp_ne_u32_e64 s[0:1], s53, v31
	v_mov_b32_e32 v30, 0x7c01
	s_and_saveexec_b64 s[44:45], s[0:1]
	s_cbranch_execz .LBB255_34
; %bb.33:                               ;   in Loop: Header=BB255_13 Depth=1
	v_and_b32_e32 v30, 7, v2
	v_ffbh_u32_e32 v32, v30
	v_min_u32_e32 v35, 32, v32
	v_subrev_u32_e32 v32, 28, v35
	v_lshlrev_b64 v[32:33], v32, v[2:3]
	v_lshrrev_b32_e32 v34, 3, v31
	v_sub_u32_e32 v33, 29, v35
	v_cmp_gt_u32_e64 s[0:1], 8, v31
	v_lshlrev_b32_e32 v2, 8, v2
	v_and_b32_e32 v32, 7, v32
	v_cndmask_b32_e64 v31, v34, v33, s[0:1]
	v_lshl_add_u32 v31, v31, 10, v21
	v_and_b32_e32 v31, 0xfc00, v31
	v_cndmask_b32_e64 v30, v30, v32, s[0:1]
	v_and_or_b32 v2, v2, s54, v31
	v_lshl_or_b32 v30, v30, 7, v2
.LBB255_34:                             ;   in Loop: Header=BB255_13 Depth=1
	s_or_b64 exec, exec, s[44:45]
.LBB255_35:                             ;   in Loop: Header=BB255_13 Depth=1
	s_or_b64 exec, exec, s[42:43]
.LBB255_36:                             ;   in Loop: Header=BB255_13 Depth=1
	s_or_b64 exec, exec, s[40:41]
	v_cmp_lt_u32_e64 s[0:1], s55, v10
	s_and_saveexec_b64 s[40:41], s[0:1]
	s_cbranch_execz .LBB255_42
; %bb.37:                               ;   in Loop: Header=BB255_13 Depth=1
	v_lshrrev_b32_e32 v2, 24, v10
	v_cmp_ne_u32_e64 s[0:1], s52, v2
	v_bfrev_b32_e32 v29, 1
	s_and_saveexec_b64 s[42:43], s[0:1]
	s_cbranch_execz .LBB255_41
; %bb.38:                               ;   in Loop: Header=BB255_13 Depth=1
	v_and_b32_e32 v10, 0x7f, v2
	v_cmp_ne_u32_e64 s[0:1], s53, v10
	v_mov_b32_e32 v29, 0x7c010000
	s_and_saveexec_b64 s[44:45], s[0:1]
	s_cbranch_execz .LBB255_40
; %bb.39:                               ;   in Loop: Header=BB255_13 Depth=1
	v_and_b32_e32 v29, 7, v2
	v_ffbh_u32_e32 v32, v29
	v_min_u32_e32 v34, 32, v32
	v_subrev_u32_e32 v32, 28, v34
	v_lshlrev_b64 v[32:33], v32, v[2:3]
	v_lshrrev_b32_e32 v31, 3, v10
	v_sub_u32_e32 v33, 29, v34
	v_cmp_gt_u32_e64 s[0:1], 8, v10
	v_lshlrev_b32_e32 v2, 8, v2
	s_nop 0
	v_cndmask_b32_e64 v10, v31, v33, s[0:1]
	v_lshl_add_u32 v10, v10, 10, v21
	v_and_b32_e32 v31, 7, v32
	v_and_or_b32 v2, v2, s54, v10
	v_cndmask_b32_e64 v29, v29, v31, s[0:1]
	v_lshlrev_b32_e32 v2, 16, v2
	v_lshl_or_b32 v29, v29, 23, v2
.LBB255_40:                             ;   in Loop: Header=BB255_13 Depth=1
	s_or_b64 exec, exec, s[44:45]
.LBB255_41:                             ;   in Loop: Header=BB255_13 Depth=1
	s_or_b64 exec, exec, s[42:43]
.LBB255_42:                             ;   in Loop: Header=BB255_13 Depth=1
	s_or_b64 exec, exec, s[40:41]
	global_load_dword v10, v[8:9], off offset:8
	v_mov_b32_e32 v31, 0
	v_mov_b32_e32 v32, 0
	s_waitcnt vmcnt(0)
	v_cmp_ne_u16_sdwa s[0:1], v10, v3 src0_sel:BYTE_0 src1_sel:DWORD
	s_and_saveexec_b64 s[40:41], s[0:1]
	s_cbranch_execz .LBB255_48
; %bb.43:                               ;   in Loop: Header=BB255_13 Depth=1
	v_cmp_ne_u16_sdwa s[0:1], v10, s52 src0_sel:BYTE_0 src1_sel:DWORD
	v_mov_b32_e32 v32, 0x8000
	s_and_saveexec_b64 s[42:43], s[0:1]
	s_cbranch_execz .LBB255_47
; %bb.44:                               ;   in Loop: Header=BB255_13 Depth=1
	v_and_b32_e32 v2, 0x7f, v10
	v_cmp_ne_u32_e64 s[0:1], s53, v2
	v_mov_b32_e32 v32, 0x7c01
	s_and_saveexec_b64 s[44:45], s[0:1]
	s_cbranch_execz .LBB255_46
; %bb.45:                               ;   in Loop: Header=BB255_13 Depth=1
	v_and_b32_e32 v34, 7, v10
	v_ffbh_u32_e32 v32, v34
	v_min_u32_e32 v36, 32, v32
	v_subrev_u32_e32 v32, 28, v36
	v_lshlrev_b64 v[32:33], v32, v[10:11]
	v_lshrrev_b32_e32 v35, 3, v2
	v_sub_u32_e32 v33, 29, v36
	v_cmp_gt_u32_e64 s[0:1], 8, v2
	v_and_b32_e32 v32, 7, v32
	s_nop 0
	v_cndmask_b32_e64 v2, v35, v33, s[0:1]
	v_lshl_add_u32 v2, v2, 10, v21
	v_lshlrev_b32_e32 v33, 8, v10
	v_and_b32_e32 v2, 0xfc00, v2
	v_cndmask_b32_e64 v32, v34, v32, s[0:1]
	v_and_or_b32 v2, v33, s54, v2
	v_lshl_or_b32 v32, v32, 7, v2
.LBB255_46:                             ;   in Loop: Header=BB255_13 Depth=1
	s_or_b64 exec, exec, s[44:45]
.LBB255_47:                             ;   in Loop: Header=BB255_13 Depth=1
	s_or_b64 exec, exec, s[42:43]
.LBB255_48:                             ;   in Loop: Header=BB255_13 Depth=1
	s_or_b64 exec, exec, s[40:41]
	v_lshrrev_b16_e32 v2, 8, v10
	v_cmp_ne_u16_e64 s[0:1], 0, v2
	s_and_saveexec_b64 s[40:41], s[0:1]
	s_cbranch_execz .LBB255_54
; %bb.49:                               ;   in Loop: Header=BB255_13 Depth=1
	v_cmp_ne_u16_e64 s[0:1], s52, v2
	v_bfrev_b32_e32 v31, 1
	s_and_saveexec_b64 s[42:43], s[0:1]
	s_cbranch_execz .LBB255_53
; %bb.50:                               ;   in Loop: Header=BB255_13 Depth=1
	v_and_b32_e32 v33, 0x7f, v2
	v_cmp_ne_u32_e64 s[0:1], s53, v33
	v_mov_b32_e32 v31, 0x7c010000
	s_and_saveexec_b64 s[44:45], s[0:1]
	s_cbranch_execz .LBB255_52
; %bb.51:                               ;   in Loop: Header=BB255_13 Depth=1
	v_and_b32_e32 v31, 7, v2
	v_ffbh_u32_e32 v34, v31
	v_min_u32_e32 v37, 32, v34
	v_subrev_u32_e32 v34, 28, v37
	v_lshlrev_b64 v[34:35], v34, v[2:3]
	v_lshrrev_b32_e32 v36, 3, v33
	v_sub_u32_e32 v35, 29, v37
	v_cmp_gt_u32_e64 s[0:1], 8, v33
	v_lshlrev_b32_e32 v2, 8, v2
	v_and_b32_e32 v34, 7, v34
	v_cndmask_b32_e64 v33, v36, v35, s[0:1]
	v_lshl_add_u32 v33, v33, 10, v21
	v_and_or_b32 v2, v2, s54, v33
	v_cndmask_b32_e64 v31, v31, v34, s[0:1]
	v_lshlrev_b32_e32 v2, 16, v2
	v_lshl_or_b32 v31, v31, 23, v2
.LBB255_52:                             ;   in Loop: Header=BB255_13 Depth=1
	s_or_b64 exec, exec, s[44:45]
.LBB255_53:                             ;   in Loop: Header=BB255_13 Depth=1
	s_or_b64 exec, exec, s[42:43]
.LBB255_54:                             ;   in Loop: Header=BB255_13 Depth=1
	s_or_b64 exec, exec, s[40:41]
	v_lshrrev_b32_e32 v2, 16, v10
	v_cmp_ne_u16_sdwa s[0:1], v2, v3 src0_sel:BYTE_0 src1_sel:DWORD
	v_mov_b32_e32 v33, 0
	v_mov_b32_e32 v34, 0
	s_and_saveexec_b64 s[40:41], s[0:1]
	s_cbranch_execz .LBB255_60
; %bb.55:                               ;   in Loop: Header=BB255_13 Depth=1
	v_cmp_ne_u16_sdwa s[0:1], v2, s52 src0_sel:BYTE_0 src1_sel:DWORD
	v_mov_b32_e32 v34, 0x8000
	s_and_saveexec_b64 s[42:43], s[0:1]
	s_cbranch_execz .LBB255_59
; %bb.56:                               ;   in Loop: Header=BB255_13 Depth=1
	v_bfe_u32 v35, v10, 16, 7
	v_cmp_ne_u32_e64 s[0:1], s53, v35
	v_mov_b32_e32 v34, 0x7c01
	s_and_saveexec_b64 s[44:45], s[0:1]
	s_cbranch_execz .LBB255_58
; %bb.57:                               ;   in Loop: Header=BB255_13 Depth=1
	v_and_b32_e32 v34, 7, v2
	v_ffbh_u32_e32 v36, v34
	v_min_u32_e32 v39, 32, v36
	v_subrev_u32_e32 v36, 28, v39
	v_lshlrev_b64 v[36:37], v36, v[2:3]
	v_lshrrev_b32_e32 v38, 3, v35
	v_sub_u32_e32 v37, 29, v39
	v_cmp_gt_u32_e64 s[0:1], 8, v35
	v_lshlrev_b32_e32 v2, 8, v2
	v_and_b32_e32 v36, 7, v36
	v_cndmask_b32_e64 v35, v38, v37, s[0:1]
	v_lshl_add_u32 v35, v35, 10, v21
	v_and_b32_e32 v35, 0xfc00, v35
	v_cndmask_b32_e64 v34, v34, v36, s[0:1]
	v_and_or_b32 v2, v2, s54, v35
	v_lshl_or_b32 v34, v34, 7, v2
.LBB255_58:                             ;   in Loop: Header=BB255_13 Depth=1
	s_or_b64 exec, exec, s[44:45]
.LBB255_59:                             ;   in Loop: Header=BB255_13 Depth=1
	s_or_b64 exec, exec, s[42:43]
.LBB255_60:                             ;   in Loop: Header=BB255_13 Depth=1
	s_or_b64 exec, exec, s[40:41]
	v_cmp_lt_u32_e64 s[0:1], s55, v10
	s_and_saveexec_b64 s[40:41], s[0:1]
	s_cbranch_execz .LBB255_66
; %bb.61:                               ;   in Loop: Header=BB255_13 Depth=1
	v_lshrrev_b32_e32 v2, 24, v10
	v_cmp_ne_u32_e64 s[0:1], s52, v2
	v_bfrev_b32_e32 v33, 1
	s_and_saveexec_b64 s[42:43], s[0:1]
	s_cbranch_execz .LBB255_65
; %bb.62:                               ;   in Loop: Header=BB255_13 Depth=1
	v_and_b32_e32 v10, 0x7f, v2
	v_cmp_ne_u32_e64 s[0:1], s53, v10
	v_mov_b32_e32 v33, 0x7c010000
	s_and_saveexec_b64 s[44:45], s[0:1]
	s_cbranch_execz .LBB255_64
; %bb.63:                               ;   in Loop: Header=BB255_13 Depth=1
	v_and_b32_e32 v33, 7, v2
	v_ffbh_u32_e32 v36, v33
	v_min_u32_e32 v38, 32, v36
	v_subrev_u32_e32 v36, 28, v38
	v_lshlrev_b64 v[36:37], v36, v[2:3]
	v_lshrrev_b32_e32 v35, 3, v10
	v_sub_u32_e32 v37, 29, v38
	v_cmp_gt_u32_e64 s[0:1], 8, v10
	v_lshlrev_b32_e32 v2, 8, v2
	s_nop 0
	v_cndmask_b32_e64 v10, v35, v37, s[0:1]
	v_lshl_add_u32 v10, v10, 10, v21
	v_and_b32_e32 v35, 7, v36
	v_and_or_b32 v2, v2, s54, v10
	v_cndmask_b32_e64 v33, v33, v35, s[0:1]
	v_lshlrev_b32_e32 v2, 16, v2
	v_lshl_or_b32 v33, v33, 23, v2
.LBB255_64:                             ;   in Loop: Header=BB255_13 Depth=1
	s_or_b64 exec, exec, s[44:45]
.LBB255_65:                             ;   in Loop: Header=BB255_13 Depth=1
	s_or_b64 exec, exec, s[42:43]
.LBB255_66:                             ;   in Loop: Header=BB255_13 Depth=1
	s_or_b64 exec, exec, s[40:41]
	global_load_dword v10, v[8:9], off offset:512
	v_mov_b32_e32 v35, 0
	v_mov_b32_e32 v36, 0
	s_waitcnt vmcnt(0)
	v_cmp_ne_u16_sdwa s[0:1], v10, v3 src0_sel:BYTE_0 src1_sel:DWORD
	s_and_saveexec_b64 s[40:41], s[0:1]
	s_cbranch_execz .LBB255_72
; %bb.67:                               ;   in Loop: Header=BB255_13 Depth=1
	v_cmp_ne_u16_sdwa s[0:1], v10, s52 src0_sel:BYTE_0 src1_sel:DWORD
	v_mov_b32_e32 v36, 0x8000
	s_and_saveexec_b64 s[42:43], s[0:1]
	s_cbranch_execz .LBB255_71
; %bb.68:                               ;   in Loop: Header=BB255_13 Depth=1
	v_and_b32_e32 v2, 0x7f, v10
	v_cmp_ne_u32_e64 s[0:1], s53, v2
	v_mov_b32_e32 v36, 0x7c01
	s_and_saveexec_b64 s[44:45], s[0:1]
	s_cbranch_execz .LBB255_70
; %bb.69:                               ;   in Loop: Header=BB255_13 Depth=1
	v_and_b32_e32 v38, 7, v10
	v_ffbh_u32_e32 v36, v38
	v_min_u32_e32 v40, 32, v36
	v_subrev_u32_e32 v36, 28, v40
	v_lshlrev_b64 v[36:37], v36, v[10:11]
	v_lshrrev_b32_e32 v39, 3, v2
	v_sub_u32_e32 v37, 29, v40
	v_cmp_gt_u32_e64 s[0:1], 8, v2
	v_and_b32_e32 v36, 7, v36
	s_nop 0
	v_cndmask_b32_e64 v2, v39, v37, s[0:1]
	v_lshl_add_u32 v2, v2, 10, v21
	v_lshlrev_b32_e32 v37, 8, v10
	v_and_b32_e32 v2, 0xfc00, v2
	v_cndmask_b32_e64 v36, v38, v36, s[0:1]
	v_and_or_b32 v2, v37, s54, v2
	v_lshl_or_b32 v36, v36, 7, v2
.LBB255_70:                             ;   in Loop: Header=BB255_13 Depth=1
	s_or_b64 exec, exec, s[44:45]
.LBB255_71:                             ;   in Loop: Header=BB255_13 Depth=1
	s_or_b64 exec, exec, s[42:43]
.LBB255_72:                             ;   in Loop: Header=BB255_13 Depth=1
	s_or_b64 exec, exec, s[40:41]
	v_lshrrev_b16_e32 v2, 8, v10
	v_cmp_ne_u16_e64 s[0:1], 0, v2
	s_and_saveexec_b64 s[40:41], s[0:1]
	s_cbranch_execz .LBB255_78
; %bb.73:                               ;   in Loop: Header=BB255_13 Depth=1
	v_cmp_ne_u16_e64 s[0:1], s52, v2
	v_bfrev_b32_e32 v35, 1
	s_and_saveexec_b64 s[42:43], s[0:1]
	s_cbranch_execz .LBB255_77
; %bb.74:                               ;   in Loop: Header=BB255_13 Depth=1
	v_and_b32_e32 v37, 0x7f, v2
	v_cmp_ne_u32_e64 s[0:1], s53, v37
	v_mov_b32_e32 v35, 0x7c010000
	s_and_saveexec_b64 s[44:45], s[0:1]
	s_cbranch_execz .LBB255_76
; %bb.75:                               ;   in Loop: Header=BB255_13 Depth=1
	v_and_b32_e32 v35, 7, v2
	v_ffbh_u32_e32 v38, v35
	v_min_u32_e32 v41, 32, v38
	v_subrev_u32_e32 v38, 28, v41
	v_lshlrev_b64 v[38:39], v38, v[2:3]
	v_lshrrev_b32_e32 v40, 3, v37
	v_sub_u32_e32 v39, 29, v41
	v_cmp_gt_u32_e64 s[0:1], 8, v37
	v_lshlrev_b32_e32 v2, 8, v2
	v_and_b32_e32 v38, 7, v38
	v_cndmask_b32_e64 v37, v40, v39, s[0:1]
	v_lshl_add_u32 v37, v37, 10, v21
	v_and_or_b32 v2, v2, s54, v37
	v_cndmask_b32_e64 v35, v35, v38, s[0:1]
	v_lshlrev_b32_e32 v2, 16, v2
	v_lshl_or_b32 v35, v35, 23, v2
.LBB255_76:                             ;   in Loop: Header=BB255_13 Depth=1
	s_or_b64 exec, exec, s[44:45]
.LBB255_77:                             ;   in Loop: Header=BB255_13 Depth=1
	s_or_b64 exec, exec, s[42:43]
.LBB255_78:                             ;   in Loop: Header=BB255_13 Depth=1
	s_or_b64 exec, exec, s[40:41]
	v_lshrrev_b32_e32 v2, 16, v10
	v_cmp_ne_u16_sdwa s[0:1], v2, v3 src0_sel:BYTE_0 src1_sel:DWORD
	v_mov_b32_e32 v37, 0
	v_mov_b32_e32 v38, 0
	s_and_saveexec_b64 s[40:41], s[0:1]
	s_cbranch_execz .LBB255_84
; %bb.79:                               ;   in Loop: Header=BB255_13 Depth=1
	v_cmp_ne_u16_sdwa s[0:1], v2, s52 src0_sel:BYTE_0 src1_sel:DWORD
	v_mov_b32_e32 v38, 0x8000
	s_and_saveexec_b64 s[42:43], s[0:1]
	s_cbranch_execz .LBB255_83
; %bb.80:                               ;   in Loop: Header=BB255_13 Depth=1
	v_bfe_u32 v39, v10, 16, 7
	v_cmp_ne_u32_e64 s[0:1], s53, v39
	v_mov_b32_e32 v38, 0x7c01
	s_and_saveexec_b64 s[44:45], s[0:1]
	s_cbranch_execz .LBB255_82
; %bb.81:                               ;   in Loop: Header=BB255_13 Depth=1
	v_and_b32_e32 v38, 7, v2
	v_ffbh_u32_e32 v40, v38
	v_min_u32_e32 v43, 32, v40
	v_subrev_u32_e32 v40, 28, v43
	v_lshlrev_b64 v[40:41], v40, v[2:3]
	v_lshrrev_b32_e32 v42, 3, v39
	v_sub_u32_e32 v41, 29, v43
	v_cmp_gt_u32_e64 s[0:1], 8, v39
	v_lshlrev_b32_e32 v2, 8, v2
	v_and_b32_e32 v40, 7, v40
	v_cndmask_b32_e64 v39, v42, v41, s[0:1]
	v_lshl_add_u32 v39, v39, 10, v21
	v_and_b32_e32 v39, 0xfc00, v39
	v_cndmask_b32_e64 v38, v38, v40, s[0:1]
	v_and_or_b32 v2, v2, s54, v39
	v_lshl_or_b32 v38, v38, 7, v2
.LBB255_82:                             ;   in Loop: Header=BB255_13 Depth=1
	s_or_b64 exec, exec, s[44:45]
.LBB255_83:                             ;   in Loop: Header=BB255_13 Depth=1
	s_or_b64 exec, exec, s[42:43]
.LBB255_84:                             ;   in Loop: Header=BB255_13 Depth=1
	s_or_b64 exec, exec, s[40:41]
	v_cmp_lt_u32_e64 s[0:1], s55, v10
	s_and_saveexec_b64 s[40:41], s[0:1]
	s_cbranch_execz .LBB255_90
; %bb.85:                               ;   in Loop: Header=BB255_13 Depth=1
	v_lshrrev_b32_e32 v2, 24, v10
	v_cmp_ne_u32_e64 s[0:1], s52, v2
	v_bfrev_b32_e32 v37, 1
	s_and_saveexec_b64 s[42:43], s[0:1]
	s_cbranch_execz .LBB255_89
; %bb.86:                               ;   in Loop: Header=BB255_13 Depth=1
	v_and_b32_e32 v10, 0x7f, v2
	v_cmp_ne_u32_e64 s[0:1], s53, v10
	v_mov_b32_e32 v37, 0x7c010000
	s_and_saveexec_b64 s[44:45], s[0:1]
	s_cbranch_execz .LBB255_88
; %bb.87:                               ;   in Loop: Header=BB255_13 Depth=1
	v_and_b32_e32 v37, 7, v2
	v_ffbh_u32_e32 v40, v37
	v_min_u32_e32 v42, 32, v40
	v_subrev_u32_e32 v40, 28, v42
	v_lshlrev_b64 v[40:41], v40, v[2:3]
	v_lshrrev_b32_e32 v39, 3, v10
	v_sub_u32_e32 v41, 29, v42
	v_cmp_gt_u32_e64 s[0:1], 8, v10
	v_lshlrev_b32_e32 v2, 8, v2
	s_nop 0
	v_cndmask_b32_e64 v10, v39, v41, s[0:1]
	v_lshl_add_u32 v10, v10, 10, v21
	v_and_b32_e32 v39, 7, v40
	v_and_or_b32 v2, v2, s54, v10
	v_cndmask_b32_e64 v37, v37, v39, s[0:1]
	v_lshlrev_b32_e32 v2, 16, v2
	v_lshl_or_b32 v37, v37, 23, v2
.LBB255_88:                             ;   in Loop: Header=BB255_13 Depth=1
	s_or_b64 exec, exec, s[44:45]
.LBB255_89:                             ;   in Loop: Header=BB255_13 Depth=1
	s_or_b64 exec, exec, s[42:43]
.LBB255_90:                             ;   in Loop: Header=BB255_13 Depth=1
	s_or_b64 exec, exec, s[40:41]
	global_load_dword v10, v[8:9], off offset:520
	v_mov_b32_e32 v39, 0
	v_mov_b32_e32 v40, 0
	s_waitcnt vmcnt(0)
	v_cmp_ne_u16_sdwa s[0:1], v10, v3 src0_sel:BYTE_0 src1_sel:DWORD
	s_and_saveexec_b64 s[40:41], s[0:1]
	s_cbranch_execz .LBB255_96
; %bb.91:                               ;   in Loop: Header=BB255_13 Depth=1
	v_cmp_ne_u16_sdwa s[0:1], v10, s52 src0_sel:BYTE_0 src1_sel:DWORD
	v_mov_b32_e32 v40, 0x8000
	s_and_saveexec_b64 s[42:43], s[0:1]
	s_cbranch_execz .LBB255_95
; %bb.92:                               ;   in Loop: Header=BB255_13 Depth=1
	v_and_b32_e32 v2, 0x7f, v10
	v_cmp_ne_u32_e64 s[0:1], s53, v2
	v_mov_b32_e32 v40, 0x7c01
	s_and_saveexec_b64 s[44:45], s[0:1]
	s_cbranch_execz .LBB255_94
; %bb.93:                               ;   in Loop: Header=BB255_13 Depth=1
	v_and_b32_e32 v42, 7, v10
	v_ffbh_u32_e32 v40, v42
	v_min_u32_e32 v44, 32, v40
	v_subrev_u32_e32 v40, 28, v44
	v_lshlrev_b64 v[40:41], v40, v[10:11]
	v_lshrrev_b32_e32 v43, 3, v2
	v_sub_u32_e32 v41, 29, v44
	v_cmp_gt_u32_e64 s[0:1], 8, v2
	v_and_b32_e32 v40, 7, v40
	s_nop 0
	v_cndmask_b32_e64 v2, v43, v41, s[0:1]
	v_lshl_add_u32 v2, v2, 10, v21
	v_lshlrev_b32_e32 v41, 8, v10
	v_and_b32_e32 v2, 0xfc00, v2
	v_cndmask_b32_e64 v40, v42, v40, s[0:1]
	v_and_or_b32 v2, v41, s54, v2
	v_lshl_or_b32 v40, v40, 7, v2
.LBB255_94:                             ;   in Loop: Header=BB255_13 Depth=1
	s_or_b64 exec, exec, s[44:45]
.LBB255_95:                             ;   in Loop: Header=BB255_13 Depth=1
	s_or_b64 exec, exec, s[42:43]
.LBB255_96:                             ;   in Loop: Header=BB255_13 Depth=1
	s_or_b64 exec, exec, s[40:41]
	v_lshrrev_b16_e32 v2, 8, v10
	v_cmp_ne_u16_e64 s[0:1], 0, v2
	s_and_saveexec_b64 s[40:41], s[0:1]
	s_cbranch_execz .LBB255_102
; %bb.97:                               ;   in Loop: Header=BB255_13 Depth=1
	v_cmp_ne_u16_e64 s[0:1], s52, v2
	v_bfrev_b32_e32 v39, 1
	s_and_saveexec_b64 s[42:43], s[0:1]
	s_cbranch_execz .LBB255_101
; %bb.98:                               ;   in Loop: Header=BB255_13 Depth=1
	v_and_b32_e32 v41, 0x7f, v2
	v_cmp_ne_u32_e64 s[0:1], s53, v41
	v_mov_b32_e32 v39, 0x7c010000
	s_and_saveexec_b64 s[44:45], s[0:1]
	s_cbranch_execz .LBB255_100
; %bb.99:                               ;   in Loop: Header=BB255_13 Depth=1
	v_and_b32_e32 v39, 7, v2
	v_ffbh_u32_e32 v42, v39
	v_min_u32_e32 v45, 32, v42
	v_subrev_u32_e32 v42, 28, v45
	v_lshlrev_b64 v[42:43], v42, v[2:3]
	v_lshrrev_b32_e32 v44, 3, v41
	v_sub_u32_e32 v43, 29, v45
	v_cmp_gt_u32_e64 s[0:1], 8, v41
	v_lshlrev_b32_e32 v2, 8, v2
	v_and_b32_e32 v42, 7, v42
	v_cndmask_b32_e64 v41, v44, v43, s[0:1]
	v_lshl_add_u32 v41, v41, 10, v21
	v_and_or_b32 v2, v2, s54, v41
	v_cndmask_b32_e64 v39, v39, v42, s[0:1]
	v_lshlrev_b32_e32 v2, 16, v2
	v_lshl_or_b32 v39, v39, 23, v2
.LBB255_100:                            ;   in Loop: Header=BB255_13 Depth=1
	s_or_b64 exec, exec, s[44:45]
.LBB255_101:                            ;   in Loop: Header=BB255_13 Depth=1
	s_or_b64 exec, exec, s[42:43]
.LBB255_102:                            ;   in Loop: Header=BB255_13 Depth=1
	s_or_b64 exec, exec, s[40:41]
	v_lshrrev_b32_e32 v2, 16, v10
	v_cmp_ne_u16_sdwa s[0:1], v2, v3 src0_sel:BYTE_0 src1_sel:DWORD
	v_mov_b32_e32 v41, 0
	v_mov_b32_e32 v42, 0
	s_and_saveexec_b64 s[40:41], s[0:1]
	s_cbranch_execz .LBB255_108
; %bb.103:                              ;   in Loop: Header=BB255_13 Depth=1
	v_cmp_ne_u16_sdwa s[0:1], v2, s52 src0_sel:BYTE_0 src1_sel:DWORD
	v_mov_b32_e32 v42, 0x8000
	s_and_saveexec_b64 s[42:43], s[0:1]
	s_cbranch_execz .LBB255_107
; %bb.104:                              ;   in Loop: Header=BB255_13 Depth=1
	v_bfe_u32 v43, v10, 16, 7
	v_cmp_ne_u32_e64 s[0:1], s53, v43
	v_mov_b32_e32 v42, 0x7c01
	s_and_saveexec_b64 s[44:45], s[0:1]
	s_cbranch_execz .LBB255_106
; %bb.105:                              ;   in Loop: Header=BB255_13 Depth=1
	v_and_b32_e32 v42, 7, v2
	v_ffbh_u32_e32 v44, v42
	v_min_u32_e32 v47, 32, v44
	v_subrev_u32_e32 v44, 28, v47
	v_lshlrev_b64 v[44:45], v44, v[2:3]
	v_lshrrev_b32_e32 v46, 3, v43
	v_sub_u32_e32 v45, 29, v47
	v_cmp_gt_u32_e64 s[0:1], 8, v43
	v_lshlrev_b32_e32 v2, 8, v2
	v_and_b32_e32 v44, 7, v44
	v_cndmask_b32_e64 v43, v46, v45, s[0:1]
	v_lshl_add_u32 v43, v43, 10, v21
	v_and_b32_e32 v43, 0xfc00, v43
	v_cndmask_b32_e64 v42, v42, v44, s[0:1]
	v_and_or_b32 v2, v2, s54, v43
	v_lshl_or_b32 v42, v42, 7, v2
.LBB255_106:                            ;   in Loop: Header=BB255_13 Depth=1
	s_or_b64 exec, exec, s[44:45]
.LBB255_107:                            ;   in Loop: Header=BB255_13 Depth=1
	s_or_b64 exec, exec, s[42:43]
.LBB255_108:                            ;   in Loop: Header=BB255_13 Depth=1
	s_or_b64 exec, exec, s[40:41]
	v_cmp_lt_u32_e64 s[0:1], s55, v10
	s_and_saveexec_b64 s[40:41], s[0:1]
	s_cbranch_execz .LBB255_114
; %bb.109:                              ;   in Loop: Header=BB255_13 Depth=1
	v_lshrrev_b32_e32 v2, 24, v10
	v_cmp_ne_u32_e64 s[0:1], s52, v2
	v_bfrev_b32_e32 v41, 1
	s_and_saveexec_b64 s[42:43], s[0:1]
	s_cbranch_execz .LBB255_113
; %bb.110:                              ;   in Loop: Header=BB255_13 Depth=1
	v_and_b32_e32 v10, 0x7f, v2
	v_cmp_ne_u32_e64 s[0:1], s53, v10
	v_mov_b32_e32 v41, 0x7c010000
	s_and_saveexec_b64 s[44:45], s[0:1]
	s_cbranch_execz .LBB255_112
; %bb.111:                              ;   in Loop: Header=BB255_13 Depth=1
	v_and_b32_e32 v41, 7, v2
	v_ffbh_u32_e32 v44, v41
	v_min_u32_e32 v46, 32, v44
	v_subrev_u32_e32 v44, 28, v46
	v_lshlrev_b64 v[44:45], v44, v[2:3]
	v_lshrrev_b32_e32 v43, 3, v10
	v_sub_u32_e32 v45, 29, v46
	v_cmp_gt_u32_e64 s[0:1], 8, v10
	v_lshlrev_b32_e32 v2, 8, v2
	s_nop 0
	v_cndmask_b32_e64 v10, v43, v45, s[0:1]
	v_lshl_add_u32 v10, v10, 10, v21
	v_and_b32_e32 v43, 7, v44
	v_and_or_b32 v2, v2, s54, v10
	v_cndmask_b32_e64 v41, v41, v43, s[0:1]
	v_lshlrev_b32_e32 v2, 16, v2
	v_lshl_or_b32 v41, v41, 23, v2
.LBB255_112:                            ;   in Loop: Header=BB255_13 Depth=1
	s_or_b64 exec, exec, s[44:45]
.LBB255_113:                            ;   in Loop: Header=BB255_13 Depth=1
	s_or_b64 exec, exec, s[42:43]
.LBB255_114:                            ;   in Loop: Header=BB255_13 Depth=1
	s_or_b64 exec, exec, s[40:41]
	global_load_dword v10, v[8:9], off offset:1024
	v_mov_b32_e32 v43, 0
	v_mov_b32_e32 v44, 0
	s_waitcnt vmcnt(0)
	v_cmp_ne_u16_sdwa s[0:1], v10, v3 src0_sel:BYTE_0 src1_sel:DWORD
	s_and_saveexec_b64 s[40:41], s[0:1]
	s_cbranch_execz .LBB255_120
; %bb.115:                              ;   in Loop: Header=BB255_13 Depth=1
	v_cmp_ne_u16_sdwa s[0:1], v10, s52 src0_sel:BYTE_0 src1_sel:DWORD
	v_mov_b32_e32 v44, 0x8000
	s_and_saveexec_b64 s[42:43], s[0:1]
	s_cbranch_execz .LBB255_119
; %bb.116:                              ;   in Loop: Header=BB255_13 Depth=1
	v_and_b32_e32 v2, 0x7f, v10
	v_cmp_ne_u32_e64 s[0:1], s53, v2
	v_mov_b32_e32 v44, 0x7c01
	s_and_saveexec_b64 s[44:45], s[0:1]
	s_cbranch_execz .LBB255_118
; %bb.117:                              ;   in Loop: Header=BB255_13 Depth=1
	v_and_b32_e32 v46, 7, v10
	v_ffbh_u32_e32 v44, v46
	v_min_u32_e32 v48, 32, v44
	v_subrev_u32_e32 v44, 28, v48
	v_lshlrev_b64 v[44:45], v44, v[10:11]
	v_lshrrev_b32_e32 v47, 3, v2
	v_sub_u32_e32 v45, 29, v48
	v_cmp_gt_u32_e64 s[0:1], 8, v2
	v_and_b32_e32 v44, 7, v44
	s_nop 0
	v_cndmask_b32_e64 v2, v47, v45, s[0:1]
	v_lshl_add_u32 v2, v2, 10, v21
	v_lshlrev_b32_e32 v45, 8, v10
	v_and_b32_e32 v2, 0xfc00, v2
	v_cndmask_b32_e64 v44, v46, v44, s[0:1]
	v_and_or_b32 v2, v45, s54, v2
	v_lshl_or_b32 v44, v44, 7, v2
.LBB255_118:                            ;   in Loop: Header=BB255_13 Depth=1
	s_or_b64 exec, exec, s[44:45]
.LBB255_119:                            ;   in Loop: Header=BB255_13 Depth=1
	s_or_b64 exec, exec, s[42:43]
.LBB255_120:                            ;   in Loop: Header=BB255_13 Depth=1
	s_or_b64 exec, exec, s[40:41]
	v_lshrrev_b16_e32 v2, 8, v10
	v_cmp_ne_u16_e64 s[0:1], 0, v2
	s_and_saveexec_b64 s[40:41], s[0:1]
	s_cbranch_execz .LBB255_126
; %bb.121:                              ;   in Loop: Header=BB255_13 Depth=1
	v_cmp_ne_u16_e64 s[0:1], s52, v2
	v_bfrev_b32_e32 v43, 1
	s_and_saveexec_b64 s[42:43], s[0:1]
	s_cbranch_execz .LBB255_125
; %bb.122:                              ;   in Loop: Header=BB255_13 Depth=1
	v_and_b32_e32 v45, 0x7f, v2
	v_cmp_ne_u32_e64 s[0:1], s53, v45
	v_mov_b32_e32 v43, 0x7c010000
	s_and_saveexec_b64 s[44:45], s[0:1]
	s_cbranch_execz .LBB255_124
; %bb.123:                              ;   in Loop: Header=BB255_13 Depth=1
	v_and_b32_e32 v43, 7, v2
	v_ffbh_u32_e32 v46, v43
	v_min_u32_e32 v49, 32, v46
	v_subrev_u32_e32 v46, 28, v49
	v_lshlrev_b64 v[46:47], v46, v[2:3]
	v_lshrrev_b32_e32 v48, 3, v45
	v_sub_u32_e32 v47, 29, v49
	v_cmp_gt_u32_e64 s[0:1], 8, v45
	v_lshlrev_b32_e32 v2, 8, v2
	v_and_b32_e32 v46, 7, v46
	v_cndmask_b32_e64 v45, v48, v47, s[0:1]
	v_lshl_add_u32 v45, v45, 10, v21
	v_and_or_b32 v2, v2, s54, v45
	v_cndmask_b32_e64 v43, v43, v46, s[0:1]
	v_lshlrev_b32_e32 v2, 16, v2
	v_lshl_or_b32 v43, v43, 23, v2
.LBB255_124:                            ;   in Loop: Header=BB255_13 Depth=1
	s_or_b64 exec, exec, s[44:45]
.LBB255_125:                            ;   in Loop: Header=BB255_13 Depth=1
	s_or_b64 exec, exec, s[42:43]
.LBB255_126:                            ;   in Loop: Header=BB255_13 Depth=1
	s_or_b64 exec, exec, s[40:41]
	v_lshrrev_b32_e32 v2, 16, v10
	v_cmp_ne_u16_sdwa s[0:1], v2, v3 src0_sel:BYTE_0 src1_sel:DWORD
	v_mov_b32_e32 v45, 0
	v_mov_b32_e32 v46, 0
	s_and_saveexec_b64 s[40:41], s[0:1]
	s_cbranch_execz .LBB255_132
; %bb.127:                              ;   in Loop: Header=BB255_13 Depth=1
	v_cmp_ne_u16_sdwa s[0:1], v2, s52 src0_sel:BYTE_0 src1_sel:DWORD
	v_mov_b32_e32 v46, 0x8000
	s_and_saveexec_b64 s[42:43], s[0:1]
	s_cbranch_execz .LBB255_131
; %bb.128:                              ;   in Loop: Header=BB255_13 Depth=1
	v_bfe_u32 v47, v10, 16, 7
	v_cmp_ne_u32_e64 s[0:1], s53, v47
	v_mov_b32_e32 v46, 0x7c01
	s_and_saveexec_b64 s[44:45], s[0:1]
	s_cbranch_execz .LBB255_130
; %bb.129:                              ;   in Loop: Header=BB255_13 Depth=1
	v_and_b32_e32 v46, 7, v2
	v_ffbh_u32_e32 v48, v46
	v_min_u32_e32 v51, 32, v48
	v_subrev_u32_e32 v48, 28, v51
	v_lshlrev_b64 v[48:49], v48, v[2:3]
	v_lshrrev_b32_e32 v50, 3, v47
	v_sub_u32_e32 v49, 29, v51
	v_cmp_gt_u32_e64 s[0:1], 8, v47
	v_lshlrev_b32_e32 v2, 8, v2
	v_and_b32_e32 v48, 7, v48
	v_cndmask_b32_e64 v47, v50, v49, s[0:1]
	v_lshl_add_u32 v47, v47, 10, v21
	v_and_b32_e32 v47, 0xfc00, v47
	v_cndmask_b32_e64 v46, v46, v48, s[0:1]
	v_and_or_b32 v2, v2, s54, v47
	v_lshl_or_b32 v46, v46, 7, v2
.LBB255_130:                            ;   in Loop: Header=BB255_13 Depth=1
	s_or_b64 exec, exec, s[44:45]
.LBB255_131:                            ;   in Loop: Header=BB255_13 Depth=1
	s_or_b64 exec, exec, s[42:43]
.LBB255_132:                            ;   in Loop: Header=BB255_13 Depth=1
	s_or_b64 exec, exec, s[40:41]
	v_cmp_lt_u32_e64 s[0:1], s55, v10
	s_and_saveexec_b64 s[40:41], s[0:1]
	s_cbranch_execz .LBB255_138
; %bb.133:                              ;   in Loop: Header=BB255_13 Depth=1
	v_lshrrev_b32_e32 v2, 24, v10
	v_cmp_ne_u32_e64 s[0:1], s52, v2
	v_bfrev_b32_e32 v45, 1
	s_and_saveexec_b64 s[42:43], s[0:1]
	s_cbranch_execz .LBB255_137
; %bb.134:                              ;   in Loop: Header=BB255_13 Depth=1
	v_and_b32_e32 v10, 0x7f, v2
	v_cmp_ne_u32_e64 s[0:1], s53, v10
	v_mov_b32_e32 v45, 0x7c010000
	s_and_saveexec_b64 s[44:45], s[0:1]
	s_cbranch_execz .LBB255_136
; %bb.135:                              ;   in Loop: Header=BB255_13 Depth=1
	v_and_b32_e32 v45, 7, v2
	v_ffbh_u32_e32 v48, v45
	v_min_u32_e32 v50, 32, v48
	v_subrev_u32_e32 v48, 28, v50
	v_lshlrev_b64 v[48:49], v48, v[2:3]
	v_lshrrev_b32_e32 v47, 3, v10
	v_sub_u32_e32 v49, 29, v50
	v_cmp_gt_u32_e64 s[0:1], 8, v10
	v_lshlrev_b32_e32 v2, 8, v2
	s_nop 0
	v_cndmask_b32_e64 v10, v47, v49, s[0:1]
	v_lshl_add_u32 v10, v10, 10, v21
	v_and_b32_e32 v47, 7, v48
	v_and_or_b32 v2, v2, s54, v10
	v_cndmask_b32_e64 v45, v45, v47, s[0:1]
	v_lshlrev_b32_e32 v2, 16, v2
	v_lshl_or_b32 v45, v45, 23, v2
.LBB255_136:                            ;   in Loop: Header=BB255_13 Depth=1
	s_or_b64 exec, exec, s[44:45]
.LBB255_137:                            ;   in Loop: Header=BB255_13 Depth=1
	s_or_b64 exec, exec, s[42:43]
.LBB255_138:                            ;   in Loop: Header=BB255_13 Depth=1
	s_or_b64 exec, exec, s[40:41]
	global_load_dword v10, v[8:9], off offset:1032
	v_mov_b32_e32 v47, 0
	v_mov_b32_e32 v48, 0
	s_waitcnt vmcnt(0)
	v_cmp_ne_u16_sdwa s[0:1], v10, v3 src0_sel:BYTE_0 src1_sel:DWORD
	s_and_saveexec_b64 s[40:41], s[0:1]
	s_cbranch_execz .LBB255_144
; %bb.139:                              ;   in Loop: Header=BB255_13 Depth=1
	v_cmp_ne_u16_sdwa s[0:1], v10, s52 src0_sel:BYTE_0 src1_sel:DWORD
	v_mov_b32_e32 v48, 0x8000
	s_and_saveexec_b64 s[42:43], s[0:1]
	s_cbranch_execz .LBB255_143
; %bb.140:                              ;   in Loop: Header=BB255_13 Depth=1
	v_and_b32_e32 v2, 0x7f, v10
	v_cmp_ne_u32_e64 s[0:1], s53, v2
	v_mov_b32_e32 v48, 0x7c01
	s_and_saveexec_b64 s[44:45], s[0:1]
	s_cbranch_execz .LBB255_142
; %bb.141:                              ;   in Loop: Header=BB255_13 Depth=1
	v_and_b32_e32 v50, 7, v10
	v_ffbh_u32_e32 v48, v50
	v_min_u32_e32 v52, 32, v48
	v_subrev_u32_e32 v48, 28, v52
	v_lshlrev_b64 v[48:49], v48, v[10:11]
	v_lshrrev_b32_e32 v51, 3, v2
	v_sub_u32_e32 v49, 29, v52
	v_cmp_gt_u32_e64 s[0:1], 8, v2
	v_and_b32_e32 v48, 7, v48
	s_nop 0
	v_cndmask_b32_e64 v2, v51, v49, s[0:1]
	v_lshl_add_u32 v2, v2, 10, v21
	v_lshlrev_b32_e32 v49, 8, v10
	v_and_b32_e32 v2, 0xfc00, v2
	v_cndmask_b32_e64 v48, v50, v48, s[0:1]
	v_and_or_b32 v2, v49, s54, v2
	v_lshl_or_b32 v48, v48, 7, v2
.LBB255_142:                            ;   in Loop: Header=BB255_13 Depth=1
	s_or_b64 exec, exec, s[44:45]
.LBB255_143:                            ;   in Loop: Header=BB255_13 Depth=1
	s_or_b64 exec, exec, s[42:43]
.LBB255_144:                            ;   in Loop: Header=BB255_13 Depth=1
	s_or_b64 exec, exec, s[40:41]
	v_lshrrev_b16_e32 v2, 8, v10
	v_cmp_ne_u16_e64 s[0:1], 0, v2
	s_and_saveexec_b64 s[40:41], s[0:1]
	s_cbranch_execz .LBB255_150
; %bb.145:                              ;   in Loop: Header=BB255_13 Depth=1
	v_cmp_ne_u16_e64 s[0:1], s52, v2
	v_bfrev_b32_e32 v47, 1
	s_and_saveexec_b64 s[42:43], s[0:1]
	s_cbranch_execz .LBB255_149
; %bb.146:                              ;   in Loop: Header=BB255_13 Depth=1
	v_and_b32_e32 v49, 0x7f, v2
	v_cmp_ne_u32_e64 s[0:1], s53, v49
	v_mov_b32_e32 v47, 0x7c010000
	s_and_saveexec_b64 s[44:45], s[0:1]
	s_cbranch_execz .LBB255_148
; %bb.147:                              ;   in Loop: Header=BB255_13 Depth=1
	v_and_b32_e32 v47, 7, v2
	v_ffbh_u32_e32 v50, v47
	v_min_u32_e32 v53, 32, v50
	v_subrev_u32_e32 v50, 28, v53
	v_lshlrev_b64 v[50:51], v50, v[2:3]
	v_lshrrev_b32_e32 v52, 3, v49
	v_sub_u32_e32 v51, 29, v53
	v_cmp_gt_u32_e64 s[0:1], 8, v49
	v_lshlrev_b32_e32 v2, 8, v2
	v_and_b32_e32 v50, 7, v50
	v_cndmask_b32_e64 v49, v52, v51, s[0:1]
	v_lshl_add_u32 v49, v49, 10, v21
	v_and_or_b32 v2, v2, s54, v49
	v_cndmask_b32_e64 v47, v47, v50, s[0:1]
	v_lshlrev_b32_e32 v2, 16, v2
	v_lshl_or_b32 v47, v47, 23, v2
.LBB255_148:                            ;   in Loop: Header=BB255_13 Depth=1
	s_or_b64 exec, exec, s[44:45]
.LBB255_149:                            ;   in Loop: Header=BB255_13 Depth=1
	s_or_b64 exec, exec, s[42:43]
.LBB255_150:                            ;   in Loop: Header=BB255_13 Depth=1
	s_or_b64 exec, exec, s[40:41]
	v_lshrrev_b32_e32 v2, 16, v10
	v_cmp_ne_u16_sdwa s[0:1], v2, v3 src0_sel:BYTE_0 src1_sel:DWORD
	v_mov_b32_e32 v49, 0
	v_mov_b32_e32 v50, 0
	s_and_saveexec_b64 s[40:41], s[0:1]
	s_cbranch_execz .LBB255_156
; %bb.151:                              ;   in Loop: Header=BB255_13 Depth=1
	v_cmp_ne_u16_sdwa s[0:1], v2, s52 src0_sel:BYTE_0 src1_sel:DWORD
	v_mov_b32_e32 v50, 0x8000
	s_and_saveexec_b64 s[42:43], s[0:1]
	s_cbranch_execz .LBB255_155
; %bb.152:                              ;   in Loop: Header=BB255_13 Depth=1
	v_bfe_u32 v51, v10, 16, 7
	v_cmp_ne_u32_e64 s[0:1], s53, v51
	v_mov_b32_e32 v50, 0x7c01
	s_and_saveexec_b64 s[44:45], s[0:1]
	s_cbranch_execz .LBB255_154
; %bb.153:                              ;   in Loop: Header=BB255_13 Depth=1
	v_and_b32_e32 v50, 7, v2
	v_ffbh_u32_e32 v52, v50
	v_min_u32_e32 v55, 32, v52
	v_subrev_u32_e32 v52, 28, v55
	v_lshlrev_b64 v[52:53], v52, v[2:3]
	v_lshrrev_b32_e32 v54, 3, v51
	v_sub_u32_e32 v53, 29, v55
	v_cmp_gt_u32_e64 s[0:1], 8, v51
	v_lshlrev_b32_e32 v2, 8, v2
	v_and_b32_e32 v52, 7, v52
	v_cndmask_b32_e64 v51, v54, v53, s[0:1]
	v_lshl_add_u32 v51, v51, 10, v21
	v_and_b32_e32 v51, 0xfc00, v51
	v_cndmask_b32_e64 v50, v50, v52, s[0:1]
	v_and_or_b32 v2, v2, s54, v51
	v_lshl_or_b32 v50, v50, 7, v2
.LBB255_154:                            ;   in Loop: Header=BB255_13 Depth=1
	s_or_b64 exec, exec, s[44:45]
.LBB255_155:                            ;   in Loop: Header=BB255_13 Depth=1
	s_or_b64 exec, exec, s[42:43]
.LBB255_156:                            ;   in Loop: Header=BB255_13 Depth=1
	s_or_b64 exec, exec, s[40:41]
	v_cmp_lt_u32_e64 s[0:1], s55, v10
	s_and_saveexec_b64 s[40:41], s[0:1]
	s_cbranch_execz .LBB255_162
; %bb.157:                              ;   in Loop: Header=BB255_13 Depth=1
	v_lshrrev_b32_e32 v2, 24, v10
	v_cmp_ne_u32_e64 s[0:1], s52, v2
	v_bfrev_b32_e32 v49, 1
	s_and_saveexec_b64 s[42:43], s[0:1]
	s_cbranch_execz .LBB255_161
; %bb.158:                              ;   in Loop: Header=BB255_13 Depth=1
	v_and_b32_e32 v10, 0x7f, v2
	v_cmp_ne_u32_e64 s[0:1], s53, v10
	v_mov_b32_e32 v49, 0x7c010000
	s_and_saveexec_b64 s[44:45], s[0:1]
	s_cbranch_execz .LBB255_160
; %bb.159:                              ;   in Loop: Header=BB255_13 Depth=1
	v_and_b32_e32 v49, 7, v2
	v_ffbh_u32_e32 v52, v49
	v_min_u32_e32 v54, 32, v52
	v_subrev_u32_e32 v52, 28, v54
	v_lshlrev_b64 v[52:53], v52, v[2:3]
	v_lshrrev_b32_e32 v51, 3, v10
	v_sub_u32_e32 v53, 29, v54
	v_cmp_gt_u32_e64 s[0:1], 8, v10
	v_lshlrev_b32_e32 v2, 8, v2
	s_nop 0
	v_cndmask_b32_e64 v10, v51, v53, s[0:1]
	v_lshl_add_u32 v10, v10, 10, v21
	v_and_b32_e32 v51, 7, v52
	v_and_or_b32 v2, v2, s54, v10
	v_cndmask_b32_e64 v49, v49, v51, s[0:1]
	v_lshlrev_b32_e32 v2, 16, v2
	v_lshl_or_b32 v49, v49, 23, v2
.LBB255_160:                            ;   in Loop: Header=BB255_13 Depth=1
	s_or_b64 exec, exec, s[44:45]
.LBB255_161:                            ;   in Loop: Header=BB255_13 Depth=1
	s_or_b64 exec, exec, s[42:43]
.LBB255_162:                            ;   in Loop: Header=BB255_13 Depth=1
	s_or_b64 exec, exec, s[40:41]
	global_load_dword v10, v[8:9], off offset:1536
	v_mov_b32_e32 v51, 0
	v_mov_b32_e32 v52, 0
	s_waitcnt vmcnt(0)
	v_cmp_ne_u16_sdwa s[0:1], v10, v3 src0_sel:BYTE_0 src1_sel:DWORD
	s_and_saveexec_b64 s[40:41], s[0:1]
	s_cbranch_execz .LBB255_168
; %bb.163:                              ;   in Loop: Header=BB255_13 Depth=1
	v_cmp_ne_u16_sdwa s[0:1], v10, s52 src0_sel:BYTE_0 src1_sel:DWORD
	v_mov_b32_e32 v52, 0x8000
	s_and_saveexec_b64 s[42:43], s[0:1]
	s_cbranch_execz .LBB255_167
; %bb.164:                              ;   in Loop: Header=BB255_13 Depth=1
	v_and_b32_e32 v2, 0x7f, v10
	v_cmp_ne_u32_e64 s[0:1], s53, v2
	v_mov_b32_e32 v52, 0x7c01
	s_and_saveexec_b64 s[44:45], s[0:1]
	s_cbranch_execz .LBB255_166
; %bb.165:                              ;   in Loop: Header=BB255_13 Depth=1
	v_and_b32_e32 v54, 7, v10
	v_ffbh_u32_e32 v52, v54
	v_min_u32_e32 v56, 32, v52
	v_subrev_u32_e32 v52, 28, v56
	v_lshlrev_b64 v[52:53], v52, v[10:11]
	v_lshrrev_b32_e32 v55, 3, v2
	v_sub_u32_e32 v53, 29, v56
	v_cmp_gt_u32_e64 s[0:1], 8, v2
	v_and_b32_e32 v52, 7, v52
	s_nop 0
	v_cndmask_b32_e64 v2, v55, v53, s[0:1]
	v_lshl_add_u32 v2, v2, 10, v21
	v_lshlrev_b32_e32 v53, 8, v10
	v_and_b32_e32 v2, 0xfc00, v2
	v_cndmask_b32_e64 v52, v54, v52, s[0:1]
	v_and_or_b32 v2, v53, s54, v2
	v_lshl_or_b32 v52, v52, 7, v2
.LBB255_166:                            ;   in Loop: Header=BB255_13 Depth=1
	s_or_b64 exec, exec, s[44:45]
.LBB255_167:                            ;   in Loop: Header=BB255_13 Depth=1
	s_or_b64 exec, exec, s[42:43]
.LBB255_168:                            ;   in Loop: Header=BB255_13 Depth=1
	s_or_b64 exec, exec, s[40:41]
	v_lshrrev_b16_e32 v2, 8, v10
	v_cmp_ne_u16_e64 s[0:1], 0, v2
	s_and_saveexec_b64 s[40:41], s[0:1]
	s_cbranch_execz .LBB255_174
; %bb.169:                              ;   in Loop: Header=BB255_13 Depth=1
	v_cmp_ne_u16_e64 s[0:1], s52, v2
	v_bfrev_b32_e32 v51, 1
	s_and_saveexec_b64 s[42:43], s[0:1]
	s_cbranch_execz .LBB255_173
; %bb.170:                              ;   in Loop: Header=BB255_13 Depth=1
	v_and_b32_e32 v53, 0x7f, v2
	v_cmp_ne_u32_e64 s[0:1], s53, v53
	v_mov_b32_e32 v51, 0x7c010000
	s_and_saveexec_b64 s[44:45], s[0:1]
	s_cbranch_execz .LBB255_172
; %bb.171:                              ;   in Loop: Header=BB255_13 Depth=1
	v_and_b32_e32 v51, 7, v2
	v_ffbh_u32_e32 v54, v51
	v_min_u32_e32 v57, 32, v54
	v_subrev_u32_e32 v54, 28, v57
	v_lshlrev_b64 v[54:55], v54, v[2:3]
	v_lshrrev_b32_e32 v56, 3, v53
	v_sub_u32_e32 v55, 29, v57
	v_cmp_gt_u32_e64 s[0:1], 8, v53
	v_lshlrev_b32_e32 v2, 8, v2
	v_and_b32_e32 v54, 7, v54
	v_cndmask_b32_e64 v53, v56, v55, s[0:1]
	v_lshl_add_u32 v53, v53, 10, v21
	v_and_or_b32 v2, v2, s54, v53
	v_cndmask_b32_e64 v51, v51, v54, s[0:1]
	v_lshlrev_b32_e32 v2, 16, v2
	v_lshl_or_b32 v51, v51, 23, v2
.LBB255_172:                            ;   in Loop: Header=BB255_13 Depth=1
	s_or_b64 exec, exec, s[44:45]
.LBB255_173:                            ;   in Loop: Header=BB255_13 Depth=1
	s_or_b64 exec, exec, s[42:43]
.LBB255_174:                            ;   in Loop: Header=BB255_13 Depth=1
	s_or_b64 exec, exec, s[40:41]
	v_lshrrev_b32_e32 v2, 16, v10
	v_cmp_ne_u16_sdwa s[0:1], v2, v3 src0_sel:BYTE_0 src1_sel:DWORD
	v_mov_b32_e32 v53, 0
	v_mov_b32_e32 v54, 0
	s_and_saveexec_b64 s[40:41], s[0:1]
	s_cbranch_execz .LBB255_180
; %bb.175:                              ;   in Loop: Header=BB255_13 Depth=1
	v_cmp_ne_u16_sdwa s[0:1], v2, s52 src0_sel:BYTE_0 src1_sel:DWORD
	v_mov_b32_e32 v54, 0x8000
	s_and_saveexec_b64 s[42:43], s[0:1]
	s_cbranch_execz .LBB255_179
; %bb.176:                              ;   in Loop: Header=BB255_13 Depth=1
	v_bfe_u32 v55, v10, 16, 7
	v_cmp_ne_u32_e64 s[0:1], s53, v55
	v_mov_b32_e32 v54, 0x7c01
	s_and_saveexec_b64 s[44:45], s[0:1]
	s_cbranch_execz .LBB255_178
; %bb.177:                              ;   in Loop: Header=BB255_13 Depth=1
	v_and_b32_e32 v54, 7, v2
	v_ffbh_u32_e32 v56, v54
	v_min_u32_e32 v59, 32, v56
	v_subrev_u32_e32 v56, 28, v59
	v_lshlrev_b64 v[56:57], v56, v[2:3]
	v_lshrrev_b32_e32 v58, 3, v55
	v_sub_u32_e32 v57, 29, v59
	v_cmp_gt_u32_e64 s[0:1], 8, v55
	v_lshlrev_b32_e32 v2, 8, v2
	v_and_b32_e32 v56, 7, v56
	v_cndmask_b32_e64 v55, v58, v57, s[0:1]
	v_lshl_add_u32 v55, v55, 10, v21
	v_and_b32_e32 v55, 0xfc00, v55
	v_cndmask_b32_e64 v54, v54, v56, s[0:1]
	v_and_or_b32 v2, v2, s54, v55
	v_lshl_or_b32 v54, v54, 7, v2
.LBB255_178:                            ;   in Loop: Header=BB255_13 Depth=1
	s_or_b64 exec, exec, s[44:45]
.LBB255_179:                            ;   in Loop: Header=BB255_13 Depth=1
	s_or_b64 exec, exec, s[42:43]
.LBB255_180:                            ;   in Loop: Header=BB255_13 Depth=1
	s_or_b64 exec, exec, s[40:41]
	v_cmp_lt_u32_e64 s[0:1], s55, v10
	s_and_saveexec_b64 s[40:41], s[0:1]
	s_cbranch_execz .LBB255_186
; %bb.181:                              ;   in Loop: Header=BB255_13 Depth=1
	v_lshrrev_b32_e32 v2, 24, v10
	v_cmp_ne_u32_e64 s[0:1], s52, v2
	v_bfrev_b32_e32 v53, 1
	s_and_saveexec_b64 s[42:43], s[0:1]
	s_cbranch_execz .LBB255_185
; %bb.182:                              ;   in Loop: Header=BB255_13 Depth=1
	v_and_b32_e32 v10, 0x7f, v2
	v_cmp_ne_u32_e64 s[0:1], s53, v10
	v_mov_b32_e32 v53, 0x7c010000
	s_and_saveexec_b64 s[44:45], s[0:1]
	s_cbranch_execz .LBB255_184
; %bb.183:                              ;   in Loop: Header=BB255_13 Depth=1
	v_and_b32_e32 v53, 7, v2
	v_ffbh_u32_e32 v56, v53
	v_min_u32_e32 v58, 32, v56
	v_subrev_u32_e32 v56, 28, v58
	v_lshlrev_b64 v[56:57], v56, v[2:3]
	v_lshrrev_b32_e32 v55, 3, v10
	v_sub_u32_e32 v57, 29, v58
	v_cmp_gt_u32_e64 s[0:1], 8, v10
	v_lshlrev_b32_e32 v2, 8, v2
	s_nop 0
	v_cndmask_b32_e64 v10, v55, v57, s[0:1]
	v_lshl_add_u32 v10, v10, 10, v21
	v_and_b32_e32 v55, 7, v56
	v_and_or_b32 v2, v2, s54, v10
	v_cndmask_b32_e64 v53, v53, v55, s[0:1]
	v_lshlrev_b32_e32 v2, 16, v2
	v_lshl_or_b32 v53, v53, 23, v2
.LBB255_184:                            ;   in Loop: Header=BB255_13 Depth=1
	s_or_b64 exec, exec, s[44:45]
.LBB255_185:                            ;   in Loop: Header=BB255_13 Depth=1
	s_or_b64 exec, exec, s[42:43]
.LBB255_186:                            ;   in Loop: Header=BB255_13 Depth=1
	s_or_b64 exec, exec, s[40:41]
	global_load_dword v10, v[8:9], off offset:1544
	v_mov_b32_e32 v55, 0
	v_mov_b32_e32 v56, 0
	s_waitcnt vmcnt(0)
	v_cmp_ne_u16_sdwa s[0:1], v10, v3 src0_sel:BYTE_0 src1_sel:DWORD
	s_and_saveexec_b64 s[40:41], s[0:1]
	s_cbranch_execz .LBB255_192
; %bb.187:                              ;   in Loop: Header=BB255_13 Depth=1
	v_cmp_ne_u16_sdwa s[0:1], v10, s52 src0_sel:BYTE_0 src1_sel:DWORD
	v_mov_b32_e32 v56, 0x8000
	s_and_saveexec_b64 s[42:43], s[0:1]
	s_cbranch_execz .LBB255_191
; %bb.188:                              ;   in Loop: Header=BB255_13 Depth=1
	v_and_b32_e32 v2, 0x7f, v10
	v_cmp_ne_u32_e64 s[0:1], s53, v2
	v_mov_b32_e32 v56, 0x7c01
	s_and_saveexec_b64 s[44:45], s[0:1]
	s_cbranch_execz .LBB255_190
; %bb.189:                              ;   in Loop: Header=BB255_13 Depth=1
	v_and_b32_e32 v58, 7, v10
	v_ffbh_u32_e32 v56, v58
	v_min_u32_e32 v60, 32, v56
	v_subrev_u32_e32 v56, 28, v60
	v_lshlrev_b64 v[56:57], v56, v[10:11]
	v_lshrrev_b32_e32 v59, 3, v2
	v_sub_u32_e32 v57, 29, v60
	v_cmp_gt_u32_e64 s[0:1], 8, v2
	v_and_b32_e32 v56, 7, v56
	s_nop 0
	v_cndmask_b32_e64 v2, v59, v57, s[0:1]
	v_lshl_add_u32 v2, v2, 10, v21
	v_lshlrev_b32_e32 v57, 8, v10
	v_and_b32_e32 v2, 0xfc00, v2
	v_cndmask_b32_e64 v56, v58, v56, s[0:1]
	v_and_or_b32 v2, v57, s54, v2
	v_lshl_or_b32 v56, v56, 7, v2
.LBB255_190:                            ;   in Loop: Header=BB255_13 Depth=1
	s_or_b64 exec, exec, s[44:45]
.LBB255_191:                            ;   in Loop: Header=BB255_13 Depth=1
	s_or_b64 exec, exec, s[42:43]
.LBB255_192:                            ;   in Loop: Header=BB255_13 Depth=1
	s_or_b64 exec, exec, s[40:41]
	v_lshrrev_b16_e32 v2, 8, v10
	v_cmp_ne_u16_e64 s[0:1], 0, v2
	s_and_saveexec_b64 s[40:41], s[0:1]
	s_cbranch_execz .LBB255_198
; %bb.193:                              ;   in Loop: Header=BB255_13 Depth=1
	v_cmp_ne_u16_e64 s[0:1], s52, v2
	v_bfrev_b32_e32 v55, 1
	s_and_saveexec_b64 s[42:43], s[0:1]
	s_cbranch_execz .LBB255_197
; %bb.194:                              ;   in Loop: Header=BB255_13 Depth=1
	v_and_b32_e32 v57, 0x7f, v2
	v_cmp_ne_u32_e64 s[0:1], s53, v57
	v_mov_b32_e32 v55, 0x7c010000
	s_and_saveexec_b64 s[44:45], s[0:1]
	s_cbranch_execz .LBB255_196
; %bb.195:                              ;   in Loop: Header=BB255_13 Depth=1
	v_and_b32_e32 v55, 7, v2
	v_ffbh_u32_e32 v58, v55
	v_min_u32_e32 v61, 32, v58
	v_subrev_u32_e32 v58, 28, v61
	v_lshlrev_b64 v[58:59], v58, v[2:3]
	v_lshrrev_b32_e32 v60, 3, v57
	v_sub_u32_e32 v59, 29, v61
	v_cmp_gt_u32_e64 s[0:1], 8, v57
	v_lshlrev_b32_e32 v2, 8, v2
	v_and_b32_e32 v58, 7, v58
	v_cndmask_b32_e64 v57, v60, v59, s[0:1]
	v_lshl_add_u32 v57, v57, 10, v21
	v_and_or_b32 v2, v2, s54, v57
	v_cndmask_b32_e64 v55, v55, v58, s[0:1]
	v_lshlrev_b32_e32 v2, 16, v2
	v_lshl_or_b32 v55, v55, 23, v2
.LBB255_196:                            ;   in Loop: Header=BB255_13 Depth=1
	s_or_b64 exec, exec, s[44:45]
.LBB255_197:                            ;   in Loop: Header=BB255_13 Depth=1
	s_or_b64 exec, exec, s[42:43]
.LBB255_198:                            ;   in Loop: Header=BB255_13 Depth=1
	s_or_b64 exec, exec, s[40:41]
	v_lshrrev_b32_e32 v2, 16, v10
	v_cmp_ne_u16_sdwa s[0:1], v2, v3 src0_sel:BYTE_0 src1_sel:DWORD
	v_mov_b32_e32 v57, 0
	v_mov_b32_e32 v58, 0
	s_and_saveexec_b64 s[40:41], s[0:1]
	s_cbranch_execz .LBB255_204
; %bb.199:                              ;   in Loop: Header=BB255_13 Depth=1
	v_cmp_ne_u16_sdwa s[0:1], v2, s52 src0_sel:BYTE_0 src1_sel:DWORD
	v_mov_b32_e32 v58, 0x8000
	s_and_saveexec_b64 s[42:43], s[0:1]
	s_cbranch_execz .LBB255_203
; %bb.200:                              ;   in Loop: Header=BB255_13 Depth=1
	v_bfe_u32 v59, v10, 16, 7
	v_cmp_ne_u32_e64 s[0:1], s53, v59
	v_mov_b32_e32 v58, 0x7c01
	s_and_saveexec_b64 s[44:45], s[0:1]
	s_cbranch_execz .LBB255_202
; %bb.201:                              ;   in Loop: Header=BB255_13 Depth=1
	v_and_b32_e32 v58, 7, v2
	v_ffbh_u32_e32 v60, v58
	v_min_u32_e32 v63, 32, v60
	v_subrev_u32_e32 v60, 28, v63
	v_lshlrev_b64 v[60:61], v60, v[2:3]
	v_lshrrev_b32_e32 v62, 3, v59
	v_sub_u32_e32 v61, 29, v63
	v_cmp_gt_u32_e64 s[0:1], 8, v59
	v_lshlrev_b32_e32 v2, 8, v2
	v_and_b32_e32 v60, 7, v60
	v_cndmask_b32_e64 v59, v62, v61, s[0:1]
	v_lshl_add_u32 v59, v59, 10, v21
	v_and_b32_e32 v59, 0xfc00, v59
	v_cndmask_b32_e64 v58, v58, v60, s[0:1]
	v_and_or_b32 v2, v2, s54, v59
	v_lshl_or_b32 v58, v58, 7, v2
.LBB255_202:                            ;   in Loop: Header=BB255_13 Depth=1
	s_or_b64 exec, exec, s[44:45]
.LBB255_203:                            ;   in Loop: Header=BB255_13 Depth=1
	s_or_b64 exec, exec, s[42:43]
.LBB255_204:                            ;   in Loop: Header=BB255_13 Depth=1
	s_or_b64 exec, exec, s[40:41]
	v_cmp_lt_u32_e64 s[0:1], s55, v10
	s_and_saveexec_b64 s[40:41], s[0:1]
	s_cbranch_execz .LBB255_210
; %bb.205:                              ;   in Loop: Header=BB255_13 Depth=1
	v_lshrrev_b32_e32 v2, 24, v10
	v_cmp_ne_u32_e64 s[0:1], s52, v2
	v_bfrev_b32_e32 v57, 1
	s_and_saveexec_b64 s[42:43], s[0:1]
	s_cbranch_execz .LBB255_209
; %bb.206:                              ;   in Loop: Header=BB255_13 Depth=1
	v_and_b32_e32 v10, 0x7f, v2
	v_cmp_ne_u32_e64 s[0:1], s53, v10
	v_mov_b32_e32 v57, 0x7c010000
	s_and_saveexec_b64 s[44:45], s[0:1]
	s_cbranch_execz .LBB255_208
; %bb.207:                              ;   in Loop: Header=BB255_13 Depth=1
	v_and_b32_e32 v57, 7, v2
	v_ffbh_u32_e32 v60, v57
	v_min_u32_e32 v62, 32, v60
	v_subrev_u32_e32 v60, 28, v62
	v_lshlrev_b64 v[60:61], v60, v[2:3]
	v_lshrrev_b32_e32 v59, 3, v10
	v_sub_u32_e32 v61, 29, v62
	v_cmp_gt_u32_e64 s[0:1], 8, v10
	v_lshlrev_b32_e32 v2, 8, v2
	s_nop 0
	v_cndmask_b32_e64 v10, v59, v61, s[0:1]
	v_lshl_add_u32 v10, v10, 10, v21
	v_and_b32_e32 v59, 7, v60
	v_and_or_b32 v2, v2, s54, v10
	v_cndmask_b32_e64 v57, v57, v59, s[0:1]
	v_lshlrev_b32_e32 v2, 16, v2
	v_lshl_or_b32 v57, v57, 23, v2
.LBB255_208:                            ;   in Loop: Header=BB255_13 Depth=1
	s_or_b64 exec, exec, s[44:45]
.LBB255_209:                            ;   in Loop: Header=BB255_13 Depth=1
	s_or_b64 exec, exec, s[42:43]
.LBB255_210:                            ;   in Loop: Header=BB255_13 Depth=1
	s_or_b64 exec, exec, s[40:41]
	global_load_dword v10, v[8:9], off offset:2048
	v_mov_b32_e32 v59, 0
	v_mov_b32_e32 v60, 0
	s_waitcnt vmcnt(0)
	v_cmp_ne_u16_sdwa s[0:1], v10, v3 src0_sel:BYTE_0 src1_sel:DWORD
	s_and_saveexec_b64 s[40:41], s[0:1]
	s_cbranch_execz .LBB255_216
; %bb.211:                              ;   in Loop: Header=BB255_13 Depth=1
	v_cmp_ne_u16_sdwa s[0:1], v10, s52 src0_sel:BYTE_0 src1_sel:DWORD
	v_mov_b32_e32 v60, 0x8000
	s_and_saveexec_b64 s[42:43], s[0:1]
	s_cbranch_execz .LBB255_215
; %bb.212:                              ;   in Loop: Header=BB255_13 Depth=1
	v_and_b32_e32 v2, 0x7f, v10
	v_cmp_ne_u32_e64 s[0:1], s53, v2
	v_mov_b32_e32 v60, 0x7c01
	s_and_saveexec_b64 s[44:45], s[0:1]
	s_cbranch_execz .LBB255_214
; %bb.213:                              ;   in Loop: Header=BB255_13 Depth=1
	v_and_b32_e32 v62, 7, v10
	v_ffbh_u32_e32 v60, v62
	v_min_u32_e32 v64, 32, v60
	v_subrev_u32_e32 v60, 28, v64
	v_lshlrev_b64 v[60:61], v60, v[10:11]
	v_lshrrev_b32_e32 v63, 3, v2
	v_sub_u32_e32 v61, 29, v64
	v_cmp_gt_u32_e64 s[0:1], 8, v2
	v_and_b32_e32 v60, 7, v60
	s_nop 0
	v_cndmask_b32_e64 v2, v63, v61, s[0:1]
	v_lshl_add_u32 v2, v2, 10, v21
	v_lshlrev_b32_e32 v61, 8, v10
	v_and_b32_e32 v2, 0xfc00, v2
	v_cndmask_b32_e64 v60, v62, v60, s[0:1]
	v_and_or_b32 v2, v61, s54, v2
	v_lshl_or_b32 v60, v60, 7, v2
.LBB255_214:                            ;   in Loop: Header=BB255_13 Depth=1
	s_or_b64 exec, exec, s[44:45]
.LBB255_215:                            ;   in Loop: Header=BB255_13 Depth=1
	s_or_b64 exec, exec, s[42:43]
.LBB255_216:                            ;   in Loop: Header=BB255_13 Depth=1
	s_or_b64 exec, exec, s[40:41]
	v_lshrrev_b16_e32 v2, 8, v10
	v_cmp_ne_u16_e64 s[0:1], 0, v2
	s_and_saveexec_b64 s[40:41], s[0:1]
	s_cbranch_execz .LBB255_222
; %bb.217:                              ;   in Loop: Header=BB255_13 Depth=1
	v_cmp_ne_u16_e64 s[0:1], s52, v2
	v_bfrev_b32_e32 v59, 1
	s_and_saveexec_b64 s[42:43], s[0:1]
	s_cbranch_execz .LBB255_221
; %bb.218:                              ;   in Loop: Header=BB255_13 Depth=1
	v_and_b32_e32 v61, 0x7f, v2
	v_cmp_ne_u32_e64 s[0:1], s53, v61
	v_mov_b32_e32 v59, 0x7c010000
	s_and_saveexec_b64 s[44:45], s[0:1]
	s_cbranch_execz .LBB255_220
; %bb.219:                              ;   in Loop: Header=BB255_13 Depth=1
	v_and_b32_e32 v59, 7, v2
	v_ffbh_u32_e32 v62, v59
	v_min_u32_e32 v65, 32, v62
	v_subrev_u32_e32 v62, 28, v65
	v_lshlrev_b64 v[62:63], v62, v[2:3]
	v_lshrrev_b32_e32 v64, 3, v61
	v_sub_u32_e32 v63, 29, v65
	v_cmp_gt_u32_e64 s[0:1], 8, v61
	v_lshlrev_b32_e32 v2, 8, v2
	v_and_b32_e32 v62, 7, v62
	v_cndmask_b32_e64 v61, v64, v63, s[0:1]
	v_lshl_add_u32 v61, v61, 10, v21
	v_and_or_b32 v2, v2, s54, v61
	v_cndmask_b32_e64 v59, v59, v62, s[0:1]
	v_lshlrev_b32_e32 v2, 16, v2
	v_lshl_or_b32 v59, v59, 23, v2
.LBB255_220:                            ;   in Loop: Header=BB255_13 Depth=1
	s_or_b64 exec, exec, s[44:45]
.LBB255_221:                            ;   in Loop: Header=BB255_13 Depth=1
	s_or_b64 exec, exec, s[42:43]
.LBB255_222:                            ;   in Loop: Header=BB255_13 Depth=1
	s_or_b64 exec, exec, s[40:41]
	v_lshrrev_b32_e32 v2, 16, v10
	v_cmp_ne_u16_sdwa s[0:1], v2, v3 src0_sel:BYTE_0 src1_sel:DWORD
	v_mov_b32_e32 v61, 0
	v_mov_b32_e32 v62, 0
	s_and_saveexec_b64 s[40:41], s[0:1]
	s_cbranch_execz .LBB255_228
; %bb.223:                              ;   in Loop: Header=BB255_13 Depth=1
	v_cmp_ne_u16_sdwa s[0:1], v2, s52 src0_sel:BYTE_0 src1_sel:DWORD
	v_mov_b32_e32 v62, 0x8000
	s_and_saveexec_b64 s[42:43], s[0:1]
	s_cbranch_execz .LBB255_227
; %bb.224:                              ;   in Loop: Header=BB255_13 Depth=1
	v_bfe_u32 v63, v10, 16, 7
	v_cmp_ne_u32_e64 s[0:1], s53, v63
	v_mov_b32_e32 v62, 0x7c01
	s_and_saveexec_b64 s[44:45], s[0:1]
	s_cbranch_execz .LBB255_226
; %bb.225:                              ;   in Loop: Header=BB255_13 Depth=1
	v_and_b32_e32 v62, 7, v2
	v_ffbh_u32_e32 v64, v62
	v_min_u32_e32 v67, 32, v64
	v_subrev_u32_e32 v64, 28, v67
	v_lshlrev_b64 v[64:65], v64, v[2:3]
	v_lshrrev_b32_e32 v66, 3, v63
	v_sub_u32_e32 v65, 29, v67
	v_cmp_gt_u32_e64 s[0:1], 8, v63
	v_lshlrev_b32_e32 v2, 8, v2
	v_and_b32_e32 v64, 7, v64
	v_cndmask_b32_e64 v63, v66, v65, s[0:1]
	v_lshl_add_u32 v63, v63, 10, v21
	v_and_b32_e32 v63, 0xfc00, v63
	v_cndmask_b32_e64 v62, v62, v64, s[0:1]
	v_and_or_b32 v2, v2, s54, v63
	v_lshl_or_b32 v62, v62, 7, v2
.LBB255_226:                            ;   in Loop: Header=BB255_13 Depth=1
	s_or_b64 exec, exec, s[44:45]
.LBB255_227:                            ;   in Loop: Header=BB255_13 Depth=1
	s_or_b64 exec, exec, s[42:43]
.LBB255_228:                            ;   in Loop: Header=BB255_13 Depth=1
	s_or_b64 exec, exec, s[40:41]
	v_cmp_lt_u32_e64 s[0:1], s55, v10
	s_and_saveexec_b64 s[40:41], s[0:1]
	s_cbranch_execz .LBB255_234
; %bb.229:                              ;   in Loop: Header=BB255_13 Depth=1
	v_lshrrev_b32_e32 v2, 24, v10
	v_cmp_ne_u32_e64 s[0:1], s52, v2
	v_bfrev_b32_e32 v61, 1
	s_and_saveexec_b64 s[42:43], s[0:1]
	s_cbranch_execz .LBB255_233
; %bb.230:                              ;   in Loop: Header=BB255_13 Depth=1
	v_and_b32_e32 v10, 0x7f, v2
	v_cmp_ne_u32_e64 s[0:1], s53, v10
	v_mov_b32_e32 v61, 0x7c010000
	s_and_saveexec_b64 s[44:45], s[0:1]
	s_cbranch_execz .LBB255_232
; %bb.231:                              ;   in Loop: Header=BB255_13 Depth=1
	v_and_b32_e32 v61, 7, v2
	v_ffbh_u32_e32 v64, v61
	v_min_u32_e32 v66, 32, v64
	v_subrev_u32_e32 v64, 28, v66
	v_lshlrev_b64 v[64:65], v64, v[2:3]
	v_lshrrev_b32_e32 v63, 3, v10
	v_sub_u32_e32 v65, 29, v66
	v_cmp_gt_u32_e64 s[0:1], 8, v10
	v_lshlrev_b32_e32 v2, 8, v2
	s_nop 0
	v_cndmask_b32_e64 v10, v63, v65, s[0:1]
	v_lshl_add_u32 v10, v10, 10, v21
	v_and_b32_e32 v63, 7, v64
	v_and_or_b32 v2, v2, s54, v10
	v_cndmask_b32_e64 v61, v61, v63, s[0:1]
	v_lshlrev_b32_e32 v2, 16, v2
	v_lshl_or_b32 v61, v61, 23, v2
.LBB255_232:                            ;   in Loop: Header=BB255_13 Depth=1
	s_or_b64 exec, exec, s[44:45]
.LBB255_233:                            ;   in Loop: Header=BB255_13 Depth=1
	s_or_b64 exec, exec, s[42:43]
.LBB255_234:                            ;   in Loop: Header=BB255_13 Depth=1
	s_or_b64 exec, exec, s[40:41]
	global_load_dword v10, v[8:9], off offset:2056
	v_mov_b32_e32 v63, 0
	v_mov_b32_e32 v64, 0
	s_waitcnt vmcnt(0)
	v_cmp_ne_u16_sdwa s[0:1], v10, v3 src0_sel:BYTE_0 src1_sel:DWORD
	s_and_saveexec_b64 s[40:41], s[0:1]
	s_cbranch_execz .LBB255_240
; %bb.235:                              ;   in Loop: Header=BB255_13 Depth=1
	v_cmp_ne_u16_sdwa s[0:1], v10, s52 src0_sel:BYTE_0 src1_sel:DWORD
	v_mov_b32_e32 v64, 0x8000
	s_and_saveexec_b64 s[42:43], s[0:1]
	s_cbranch_execz .LBB255_239
; %bb.236:                              ;   in Loop: Header=BB255_13 Depth=1
	v_and_b32_e32 v2, 0x7f, v10
	v_cmp_ne_u32_e64 s[0:1], s53, v2
	v_mov_b32_e32 v64, 0x7c01
	s_and_saveexec_b64 s[44:45], s[0:1]
	s_cbranch_execz .LBB255_238
; %bb.237:                              ;   in Loop: Header=BB255_13 Depth=1
	v_and_b32_e32 v66, 7, v10
	v_ffbh_u32_e32 v64, v66
	v_min_u32_e32 v68, 32, v64
	v_subrev_u32_e32 v64, 28, v68
	v_lshlrev_b64 v[64:65], v64, v[10:11]
	v_lshrrev_b32_e32 v67, 3, v2
	v_sub_u32_e32 v65, 29, v68
	v_cmp_gt_u32_e64 s[0:1], 8, v2
	v_and_b32_e32 v64, 7, v64
	s_nop 0
	v_cndmask_b32_e64 v2, v67, v65, s[0:1]
	v_lshl_add_u32 v2, v2, 10, v21
	v_lshlrev_b32_e32 v65, 8, v10
	v_and_b32_e32 v2, 0xfc00, v2
	v_cndmask_b32_e64 v64, v66, v64, s[0:1]
	v_and_or_b32 v2, v65, s54, v2
	v_lshl_or_b32 v64, v64, 7, v2
.LBB255_238:                            ;   in Loop: Header=BB255_13 Depth=1
	s_or_b64 exec, exec, s[44:45]
.LBB255_239:                            ;   in Loop: Header=BB255_13 Depth=1
	s_or_b64 exec, exec, s[42:43]
.LBB255_240:                            ;   in Loop: Header=BB255_13 Depth=1
	s_or_b64 exec, exec, s[40:41]
	v_lshrrev_b16_e32 v2, 8, v10
	v_cmp_ne_u16_e64 s[0:1], 0, v2
	s_and_saveexec_b64 s[40:41], s[0:1]
	s_cbranch_execz .LBB255_246
; %bb.241:                              ;   in Loop: Header=BB255_13 Depth=1
	v_cmp_ne_u16_e64 s[0:1], s52, v2
	v_bfrev_b32_e32 v63, 1
	s_and_saveexec_b64 s[42:43], s[0:1]
	s_cbranch_execz .LBB255_245
; %bb.242:                              ;   in Loop: Header=BB255_13 Depth=1
	v_and_b32_e32 v65, 0x7f, v2
	v_cmp_ne_u32_e64 s[0:1], s53, v65
	v_mov_b32_e32 v63, 0x7c010000
	s_and_saveexec_b64 s[44:45], s[0:1]
	s_cbranch_execz .LBB255_244
; %bb.243:                              ;   in Loop: Header=BB255_13 Depth=1
	v_and_b32_e32 v63, 7, v2
	v_ffbh_u32_e32 v66, v63
	v_min_u32_e32 v69, 32, v66
	v_subrev_u32_e32 v66, 28, v69
	v_lshlrev_b64 v[66:67], v66, v[2:3]
	v_lshrrev_b32_e32 v68, 3, v65
	v_sub_u32_e32 v67, 29, v69
	v_cmp_gt_u32_e64 s[0:1], 8, v65
	v_lshlrev_b32_e32 v2, 8, v2
	v_and_b32_e32 v66, 7, v66
	v_cndmask_b32_e64 v65, v68, v67, s[0:1]
	v_lshl_add_u32 v65, v65, 10, v21
	v_and_or_b32 v2, v2, s54, v65
	v_cndmask_b32_e64 v63, v63, v66, s[0:1]
	v_lshlrev_b32_e32 v2, 16, v2
	v_lshl_or_b32 v63, v63, 23, v2
.LBB255_244:                            ;   in Loop: Header=BB255_13 Depth=1
	s_or_b64 exec, exec, s[44:45]
.LBB255_245:                            ;   in Loop: Header=BB255_13 Depth=1
	s_or_b64 exec, exec, s[42:43]
.LBB255_246:                            ;   in Loop: Header=BB255_13 Depth=1
	s_or_b64 exec, exec, s[40:41]
	v_lshrrev_b32_e32 v2, 16, v10
	v_cmp_ne_u16_sdwa s[0:1], v2, v3 src0_sel:BYTE_0 src1_sel:DWORD
	v_mov_b32_e32 v65, 0
	v_mov_b32_e32 v66, 0
	s_and_saveexec_b64 s[40:41], s[0:1]
	s_cbranch_execz .LBB255_252
; %bb.247:                              ;   in Loop: Header=BB255_13 Depth=1
	v_cmp_ne_u16_sdwa s[0:1], v2, s52 src0_sel:BYTE_0 src1_sel:DWORD
	v_mov_b32_e32 v66, 0x8000
	s_and_saveexec_b64 s[42:43], s[0:1]
	s_cbranch_execz .LBB255_251
; %bb.248:                              ;   in Loop: Header=BB255_13 Depth=1
	v_bfe_u32 v67, v10, 16, 7
	v_cmp_ne_u32_e64 s[0:1], s53, v67
	v_mov_b32_e32 v66, 0x7c01
	s_and_saveexec_b64 s[44:45], s[0:1]
	s_cbranch_execz .LBB255_250
; %bb.249:                              ;   in Loop: Header=BB255_13 Depth=1
	v_and_b32_e32 v66, 7, v2
	v_ffbh_u32_e32 v68, v66
	v_min_u32_e32 v71, 32, v68
	v_subrev_u32_e32 v68, 28, v71
	v_lshlrev_b64 v[68:69], v68, v[2:3]
	v_lshrrev_b32_e32 v70, 3, v67
	v_sub_u32_e32 v69, 29, v71
	v_cmp_gt_u32_e64 s[0:1], 8, v67
	v_lshlrev_b32_e32 v2, 8, v2
	v_and_b32_e32 v68, 7, v68
	v_cndmask_b32_e64 v67, v70, v69, s[0:1]
	v_lshl_add_u32 v67, v67, 10, v21
	v_and_b32_e32 v67, 0xfc00, v67
	v_cndmask_b32_e64 v66, v66, v68, s[0:1]
	v_and_or_b32 v2, v2, s54, v67
	v_lshl_or_b32 v66, v66, 7, v2
.LBB255_250:                            ;   in Loop: Header=BB255_13 Depth=1
	s_or_b64 exec, exec, s[44:45]
.LBB255_251:                            ;   in Loop: Header=BB255_13 Depth=1
	s_or_b64 exec, exec, s[42:43]
.LBB255_252:                            ;   in Loop: Header=BB255_13 Depth=1
	s_or_b64 exec, exec, s[40:41]
	v_cmp_lt_u32_e64 s[0:1], s55, v10
	s_and_saveexec_b64 s[40:41], s[0:1]
	s_cbranch_execz .LBB255_258
; %bb.253:                              ;   in Loop: Header=BB255_13 Depth=1
	v_lshrrev_b32_e32 v2, 24, v10
	v_cmp_ne_u32_e64 s[0:1], s52, v2
	v_bfrev_b32_e32 v65, 1
	s_and_saveexec_b64 s[42:43], s[0:1]
	s_cbranch_execz .LBB255_257
; %bb.254:                              ;   in Loop: Header=BB255_13 Depth=1
	v_and_b32_e32 v10, 0x7f, v2
	v_cmp_ne_u32_e64 s[0:1], s53, v10
	v_mov_b32_e32 v65, 0x7c010000
	s_and_saveexec_b64 s[44:45], s[0:1]
	s_cbranch_execz .LBB255_256
; %bb.255:                              ;   in Loop: Header=BB255_13 Depth=1
	v_and_b32_e32 v65, 7, v2
	v_ffbh_u32_e32 v68, v65
	v_min_u32_e32 v70, 32, v68
	v_subrev_u32_e32 v68, 28, v70
	v_lshlrev_b64 v[68:69], v68, v[2:3]
	v_lshrrev_b32_e32 v67, 3, v10
	v_sub_u32_e32 v69, 29, v70
	v_cmp_gt_u32_e64 s[0:1], 8, v10
	v_lshlrev_b32_e32 v2, 8, v2
	s_nop 0
	v_cndmask_b32_e64 v10, v67, v69, s[0:1]
	v_lshl_add_u32 v10, v10, 10, v21
	v_and_b32_e32 v67, 7, v68
	v_and_or_b32 v2, v2, s54, v10
	v_cndmask_b32_e64 v65, v65, v67, s[0:1]
	v_lshlrev_b32_e32 v2, 16, v2
	v_lshl_or_b32 v65, v65, 23, v2
.LBB255_256:                            ;   in Loop: Header=BB255_13 Depth=1
	s_or_b64 exec, exec, s[44:45]
.LBB255_257:                            ;   in Loop: Header=BB255_13 Depth=1
	s_or_b64 exec, exec, s[42:43]
.LBB255_258:                            ;   in Loop: Header=BB255_13 Depth=1
	s_or_b64 exec, exec, s[40:41]
	global_load_dword v10, v[8:9], off offset:2560
	v_mov_b32_e32 v67, 0
	v_mov_b32_e32 v68, 0
	s_waitcnt vmcnt(0)
	v_cmp_ne_u16_sdwa s[0:1], v10, v3 src0_sel:BYTE_0 src1_sel:DWORD
	s_and_saveexec_b64 s[40:41], s[0:1]
	s_cbranch_execz .LBB255_264
; %bb.259:                              ;   in Loop: Header=BB255_13 Depth=1
	v_cmp_ne_u16_sdwa s[0:1], v10, s52 src0_sel:BYTE_0 src1_sel:DWORD
	v_mov_b32_e32 v68, 0x8000
	s_and_saveexec_b64 s[42:43], s[0:1]
	s_cbranch_execz .LBB255_263
; %bb.260:                              ;   in Loop: Header=BB255_13 Depth=1
	v_and_b32_e32 v2, 0x7f, v10
	v_cmp_ne_u32_e64 s[0:1], s53, v2
	v_mov_b32_e32 v68, 0x7c01
	s_and_saveexec_b64 s[44:45], s[0:1]
	s_cbranch_execz .LBB255_262
; %bb.261:                              ;   in Loop: Header=BB255_13 Depth=1
	v_and_b32_e32 v70, 7, v10
	v_ffbh_u32_e32 v68, v70
	v_min_u32_e32 v72, 32, v68
	v_subrev_u32_e32 v68, 28, v72
	v_lshlrev_b64 v[68:69], v68, v[10:11]
	v_lshrrev_b32_e32 v71, 3, v2
	v_sub_u32_e32 v69, 29, v72
	v_cmp_gt_u32_e64 s[0:1], 8, v2
	v_and_b32_e32 v68, 7, v68
	s_nop 0
	v_cndmask_b32_e64 v2, v71, v69, s[0:1]
	v_lshl_add_u32 v2, v2, 10, v21
	v_lshlrev_b32_e32 v69, 8, v10
	v_and_b32_e32 v2, 0xfc00, v2
	v_cndmask_b32_e64 v68, v70, v68, s[0:1]
	v_and_or_b32 v2, v69, s54, v2
	v_lshl_or_b32 v68, v68, 7, v2
.LBB255_262:                            ;   in Loop: Header=BB255_13 Depth=1
	s_or_b64 exec, exec, s[44:45]
.LBB255_263:                            ;   in Loop: Header=BB255_13 Depth=1
	s_or_b64 exec, exec, s[42:43]
.LBB255_264:                            ;   in Loop: Header=BB255_13 Depth=1
	s_or_b64 exec, exec, s[40:41]
	v_lshrrev_b16_e32 v2, 8, v10
	v_cmp_ne_u16_e64 s[0:1], 0, v2
	s_and_saveexec_b64 s[40:41], s[0:1]
	s_cbranch_execz .LBB255_270
; %bb.265:                              ;   in Loop: Header=BB255_13 Depth=1
	v_cmp_ne_u16_e64 s[0:1], s52, v2
	v_bfrev_b32_e32 v67, 1
	s_and_saveexec_b64 s[42:43], s[0:1]
	s_cbranch_execz .LBB255_269
; %bb.266:                              ;   in Loop: Header=BB255_13 Depth=1
	v_and_b32_e32 v69, 0x7f, v2
	v_cmp_ne_u32_e64 s[0:1], s53, v69
	v_mov_b32_e32 v67, 0x7c010000
	s_and_saveexec_b64 s[44:45], s[0:1]
	s_cbranch_execz .LBB255_268
; %bb.267:                              ;   in Loop: Header=BB255_13 Depth=1
	v_and_b32_e32 v67, 7, v2
	v_ffbh_u32_e32 v70, v67
	v_min_u32_e32 v73, 32, v70
	v_subrev_u32_e32 v70, 28, v73
	v_lshlrev_b64 v[70:71], v70, v[2:3]
	v_lshrrev_b32_e32 v72, 3, v69
	v_sub_u32_e32 v71, 29, v73
	v_cmp_gt_u32_e64 s[0:1], 8, v69
	v_lshlrev_b32_e32 v2, 8, v2
	v_and_b32_e32 v70, 7, v70
	v_cndmask_b32_e64 v69, v72, v71, s[0:1]
	v_lshl_add_u32 v69, v69, 10, v21
	v_and_or_b32 v2, v2, s54, v69
	v_cndmask_b32_e64 v67, v67, v70, s[0:1]
	v_lshlrev_b32_e32 v2, 16, v2
	v_lshl_or_b32 v67, v67, 23, v2
.LBB255_268:                            ;   in Loop: Header=BB255_13 Depth=1
	s_or_b64 exec, exec, s[44:45]
.LBB255_269:                            ;   in Loop: Header=BB255_13 Depth=1
	s_or_b64 exec, exec, s[42:43]
.LBB255_270:                            ;   in Loop: Header=BB255_13 Depth=1
	s_or_b64 exec, exec, s[40:41]
	v_lshrrev_b32_e32 v2, 16, v10
	v_cmp_ne_u16_sdwa s[0:1], v2, v3 src0_sel:BYTE_0 src1_sel:DWORD
	v_mov_b32_e32 v69, 0
	v_mov_b32_e32 v70, 0
	s_and_saveexec_b64 s[40:41], s[0:1]
	s_cbranch_execz .LBB255_276
; %bb.271:                              ;   in Loop: Header=BB255_13 Depth=1
	v_cmp_ne_u16_sdwa s[0:1], v2, s52 src0_sel:BYTE_0 src1_sel:DWORD
	v_mov_b32_e32 v70, 0x8000
	s_and_saveexec_b64 s[42:43], s[0:1]
	s_cbranch_execz .LBB255_275
; %bb.272:                              ;   in Loop: Header=BB255_13 Depth=1
	v_bfe_u32 v71, v10, 16, 7
	v_cmp_ne_u32_e64 s[0:1], s53, v71
	v_mov_b32_e32 v70, 0x7c01
	s_and_saveexec_b64 s[44:45], s[0:1]
	s_cbranch_execz .LBB255_274
; %bb.273:                              ;   in Loop: Header=BB255_13 Depth=1
	v_and_b32_e32 v70, 7, v2
	v_ffbh_u32_e32 v72, v70
	v_min_u32_e32 v75, 32, v72
	v_subrev_u32_e32 v72, 28, v75
	v_lshlrev_b64 v[72:73], v72, v[2:3]
	v_lshrrev_b32_e32 v74, 3, v71
	v_sub_u32_e32 v73, 29, v75
	v_cmp_gt_u32_e64 s[0:1], 8, v71
	v_lshlrev_b32_e32 v2, 8, v2
	v_and_b32_e32 v72, 7, v72
	v_cndmask_b32_e64 v71, v74, v73, s[0:1]
	v_lshl_add_u32 v71, v71, 10, v21
	v_and_b32_e32 v71, 0xfc00, v71
	v_cndmask_b32_e64 v70, v70, v72, s[0:1]
	v_and_or_b32 v2, v2, s54, v71
	v_lshl_or_b32 v70, v70, 7, v2
.LBB255_274:                            ;   in Loop: Header=BB255_13 Depth=1
	s_or_b64 exec, exec, s[44:45]
.LBB255_275:                            ;   in Loop: Header=BB255_13 Depth=1
	s_or_b64 exec, exec, s[42:43]
.LBB255_276:                            ;   in Loop: Header=BB255_13 Depth=1
	s_or_b64 exec, exec, s[40:41]
	v_cmp_lt_u32_e64 s[0:1], s55, v10
	s_and_saveexec_b64 s[40:41], s[0:1]
	s_cbranch_execz .LBB255_282
; %bb.277:                              ;   in Loop: Header=BB255_13 Depth=1
	v_lshrrev_b32_e32 v2, 24, v10
	v_cmp_ne_u32_e64 s[0:1], s52, v2
	v_bfrev_b32_e32 v69, 1
	s_and_saveexec_b64 s[42:43], s[0:1]
	s_cbranch_execz .LBB255_281
; %bb.278:                              ;   in Loop: Header=BB255_13 Depth=1
	v_and_b32_e32 v10, 0x7f, v2
	v_cmp_ne_u32_e64 s[0:1], s53, v10
	v_mov_b32_e32 v69, 0x7c010000
	s_and_saveexec_b64 s[44:45], s[0:1]
	s_cbranch_execz .LBB255_280
; %bb.279:                              ;   in Loop: Header=BB255_13 Depth=1
	v_and_b32_e32 v69, 7, v2
	v_ffbh_u32_e32 v72, v69
	v_min_u32_e32 v74, 32, v72
	v_subrev_u32_e32 v72, 28, v74
	v_lshlrev_b64 v[72:73], v72, v[2:3]
	v_lshrrev_b32_e32 v71, 3, v10
	v_sub_u32_e32 v73, 29, v74
	v_cmp_gt_u32_e64 s[0:1], 8, v10
	v_lshlrev_b32_e32 v2, 8, v2
	s_nop 0
	v_cndmask_b32_e64 v10, v71, v73, s[0:1]
	v_lshl_add_u32 v10, v10, 10, v21
	v_and_b32_e32 v71, 7, v72
	v_and_or_b32 v2, v2, s54, v10
	v_cndmask_b32_e64 v69, v69, v71, s[0:1]
	v_lshlrev_b32_e32 v2, 16, v2
	v_lshl_or_b32 v69, v69, 23, v2
.LBB255_280:                            ;   in Loop: Header=BB255_13 Depth=1
	s_or_b64 exec, exec, s[44:45]
.LBB255_281:                            ;   in Loop: Header=BB255_13 Depth=1
	s_or_b64 exec, exec, s[42:43]
.LBB255_282:                            ;   in Loop: Header=BB255_13 Depth=1
	s_or_b64 exec, exec, s[40:41]
	global_load_dword v8, v[8:9], off offset:2568
	v_mov_b32_e32 v71, 0
	v_mov_b32_e32 v72, 0
	s_waitcnt vmcnt(0)
	v_cmp_ne_u16_sdwa s[0:1], v8, v3 src0_sel:BYTE_0 src1_sel:DWORD
	s_and_saveexec_b64 s[40:41], s[0:1]
	s_cbranch_execz .LBB255_288
; %bb.283:                              ;   in Loop: Header=BB255_13 Depth=1
	v_cmp_ne_u16_sdwa s[0:1], v8, s52 src0_sel:BYTE_0 src1_sel:DWORD
	v_mov_b32_e32 v72, 0x8000
	s_and_saveexec_b64 s[42:43], s[0:1]
	s_cbranch_execz .LBB255_287
; %bb.284:                              ;   in Loop: Header=BB255_13 Depth=1
	v_and_b32_e32 v2, 0x7f, v8
	v_cmp_ne_u32_e64 s[0:1], s53, v2
	v_mov_b32_e32 v72, 0x7c01
	s_and_saveexec_b64 s[44:45], s[0:1]
	s_cbranch_execz .LBB255_286
; %bb.285:                              ;   in Loop: Header=BB255_13 Depth=1
	v_and_b32_e32 v9, 7, v8
	v_ffbh_u32_e32 v72, v9
	v_min_u32_e32 v74, 32, v72
	v_subrev_u32_e32 v72, 28, v74
	v_lshlrev_b64 v[72:73], v72, v[8:9]
	v_lshrrev_b32_e32 v10, 3, v2
	v_sub_u32_e32 v73, 29, v74
	v_cmp_gt_u32_e64 s[0:1], 8, v2
	v_and_b32_e32 v72, 7, v72
	s_nop 0
	v_cndmask_b32_e64 v2, v10, v73, s[0:1]
	v_lshl_add_u32 v2, v2, 10, v21
	v_lshlrev_b32_e32 v10, 8, v8
	v_and_b32_e32 v2, 0xfc00, v2
	v_cndmask_b32_e64 v9, v9, v72, s[0:1]
	v_and_or_b32 v2, v10, s54, v2
	v_lshl_or_b32 v72, v9, 7, v2
.LBB255_286:                            ;   in Loop: Header=BB255_13 Depth=1
	s_or_b64 exec, exec, s[44:45]
.LBB255_287:                            ;   in Loop: Header=BB255_13 Depth=1
	s_or_b64 exec, exec, s[42:43]
.LBB255_288:                            ;   in Loop: Header=BB255_13 Depth=1
	s_or_b64 exec, exec, s[40:41]
	v_lshrrev_b16_e32 v2, 8, v8
	v_cmp_ne_u16_e64 s[0:1], 0, v2
	s_and_saveexec_b64 s[40:41], s[0:1]
	s_cbranch_execz .LBB255_294
; %bb.289:                              ;   in Loop: Header=BB255_13 Depth=1
	v_cmp_ne_u16_e64 s[0:1], s52, v2
	v_bfrev_b32_e32 v71, 1
	s_and_saveexec_b64 s[42:43], s[0:1]
	s_cbranch_execz .LBB255_293
; %bb.290:                              ;   in Loop: Header=BB255_13 Depth=1
	v_and_b32_e32 v9, 0x7f, v2
	v_cmp_ne_u32_e64 s[0:1], s53, v9
	v_mov_b32_e32 v71, 0x7c010000
	s_and_saveexec_b64 s[44:45], s[0:1]
	s_cbranch_execz .LBB255_292
; %bb.291:                              ;   in Loop: Header=BB255_13 Depth=1
	v_and_b32_e32 v10, 7, v2
	v_ffbh_u32_e32 v73, v10
	v_min_u32_e32 v73, 32, v73
	v_lshrrev_b32_e32 v71, 3, v9
	v_subrev_u32_e32 v74, 28, v73
	v_sub_u32_e32 v73, 29, v73
	v_cmp_gt_u32_e64 s[0:1], 8, v9
	v_lshlrev_b64 v[74:75], v74, v[2:3]
	v_lshlrev_b32_e32 v2, 8, v2
	v_cndmask_b32_e64 v9, v71, v73, s[0:1]
	v_lshl_add_u32 v9, v9, 10, v21
	v_and_b32_e32 v71, 7, v74
	v_and_or_b32 v2, v2, s54, v9
	v_cndmask_b32_e64 v10, v10, v71, s[0:1]
	v_lshlrev_b32_e32 v2, 16, v2
	v_lshl_or_b32 v71, v10, 23, v2
.LBB255_292:                            ;   in Loop: Header=BB255_13 Depth=1
	s_or_b64 exec, exec, s[44:45]
.LBB255_293:                            ;   in Loop: Header=BB255_13 Depth=1
	s_or_b64 exec, exec, s[42:43]
.LBB255_294:                            ;   in Loop: Header=BB255_13 Depth=1
	s_or_b64 exec, exec, s[40:41]
	v_lshrrev_b32_e32 v2, 16, v8
	v_cmp_ne_u16_sdwa s[0:1], v2, v3 src0_sel:BYTE_0 src1_sel:DWORD
	v_mov_b32_e32 v73, 0
	v_mov_b32_e32 v74, 0
	s_and_saveexec_b64 s[40:41], s[0:1]
	s_cbranch_execz .LBB255_300
; %bb.295:                              ;   in Loop: Header=BB255_13 Depth=1
	v_cmp_ne_u16_sdwa s[0:1], v2, s52 src0_sel:BYTE_0 src1_sel:DWORD
	v_mov_b32_e32 v74, 0x8000
	s_and_saveexec_b64 s[42:43], s[0:1]
	s_cbranch_execz .LBB255_299
; %bb.296:                              ;   in Loop: Header=BB255_13 Depth=1
	v_bfe_u32 v9, v8, 16, 7
	v_cmp_ne_u32_e64 s[0:1], s53, v9
	v_mov_b32_e32 v74, 0x7c01
	s_and_saveexec_b64 s[44:45], s[0:1]
	s_cbranch_execz .LBB255_298
; %bb.297:                              ;   in Loop: Header=BB255_13 Depth=1
	v_and_b32_e32 v10, 7, v2
	v_ffbh_u32_e32 v74, v10
	v_min_u32_e32 v77, 32, v74
	v_subrev_u32_e32 v74, 28, v77
	v_lshlrev_b64 v[74:75], v74, v[2:3]
	v_lshrrev_b32_e32 v76, 3, v9
	v_sub_u32_e32 v75, 29, v77
	v_cmp_gt_u32_e64 s[0:1], 8, v9
	v_lshlrev_b32_e32 v2, 8, v2
	v_and_b32_e32 v74, 7, v74
	v_cndmask_b32_e64 v9, v76, v75, s[0:1]
	v_lshl_add_u32 v9, v9, 10, v21
	v_and_b32_e32 v9, 0xfc00, v9
	v_cndmask_b32_e64 v10, v10, v74, s[0:1]
	v_and_or_b32 v2, v2, s54, v9
	v_lshl_or_b32 v74, v10, 7, v2
.LBB255_298:                            ;   in Loop: Header=BB255_13 Depth=1
	s_or_b64 exec, exec, s[44:45]
.LBB255_299:                            ;   in Loop: Header=BB255_13 Depth=1
	s_or_b64 exec, exec, s[42:43]
.LBB255_300:                            ;   in Loop: Header=BB255_13 Depth=1
	s_or_b64 exec, exec, s[40:41]
	v_cmp_lt_u32_e64 s[0:1], s55, v8
	s_and_saveexec_b64 s[40:41], s[0:1]
	s_cbranch_execz .LBB255_306
; %bb.301:                              ;   in Loop: Header=BB255_13 Depth=1
	v_lshrrev_b32_e32 v2, 24, v8
	v_cmp_ne_u32_e64 s[0:1], s52, v2
	v_bfrev_b32_e32 v73, 1
	s_and_saveexec_b64 s[42:43], s[0:1]
	s_cbranch_execz .LBB255_305
; %bb.302:                              ;   in Loop: Header=BB255_13 Depth=1
	v_and_b32_e32 v8, 0x7f, v2
	v_cmp_ne_u32_e64 s[0:1], s53, v8
	v_mov_b32_e32 v73, 0x7c010000
	s_and_saveexec_b64 s[44:45], s[0:1]
	s_cbranch_execz .LBB255_304
; %bb.303:                              ;   in Loop: Header=BB255_13 Depth=1
	v_and_b32_e32 v9, 7, v2
	v_ffbh_u32_e32 v73, v9
	v_min_u32_e32 v73, 32, v73
	v_lshrrev_b32_e32 v10, 3, v8
	v_subrev_u32_e32 v75, 28, v73
	v_sub_u32_e32 v73, 29, v73
	v_cmp_gt_u32_e64 s[0:1], 8, v8
	v_lshlrev_b64 v[76:77], v75, v[2:3]
	v_lshlrev_b32_e32 v2, 8, v2
	v_cndmask_b32_e64 v8, v10, v73, s[0:1]
	v_lshl_add_u32 v8, v8, 10, v21
	v_and_b32_e32 v10, 7, v76
	v_and_or_b32 v2, v2, s54, v8
	v_cndmask_b32_e64 v9, v9, v10, s[0:1]
	v_lshlrev_b32_e32 v2, 16, v2
	v_lshl_or_b32 v73, v9, 23, v2
.LBB255_304:                            ;   in Loop: Header=BB255_13 Depth=1
	s_or_b64 exec, exec, s[44:45]
.LBB255_305:                            ;   in Loop: Header=BB255_13 Depth=1
	s_or_b64 exec, exec, s[42:43]
.LBB255_306:                            ;   in Loop: Header=BB255_13 Depth=1
	s_or_b64 exec, exec, s[40:41]
	v_or_b32_e32 v2, v67, v68
	v_fma_mixlo_f16 v9, v24, v67, 0 op_sel:[0,1,0] op_sel_hi:[0,1,0]
	v_or_b32_e32 v64, v63, v64
	v_fma_mixlo_f16 v67, v24, v63, 0 op_sel:[0,1,0] op_sel_hi:[0,1,0]
	v_or_b32_e32 v63, v65, v66
	v_fma_mixlo_f16 v68, v24, v64, 0 op_sel_hi:[0,1,0]
	v_fma_mixlo_f16 v64, v24, v63, 0 op_sel_hi:[0,1,0]
	v_fma_mixlo_f16 v63, v24, v65, 0 op_sel:[0,1,0] op_sel_hi:[0,1,0]
	v_or_b32_e32 v60, v59, v60
	v_fma_mixlo_f16 v65, v24, v59, 0 op_sel:[0,1,0] op_sel_hi:[0,1,0]
	v_or_b32_e32 v59, v61, v62
	v_fma_mixlo_f16 v66, v24, v60, 0 op_sel_hi:[0,1,0]
	v_fma_mixlo_f16 v60, v24, v59, 0 op_sel_hi:[0,1,0]
	;; [unrolled: 6-line block ×4, first 2 shown]
	v_fma_mixlo_f16 v51, v24, v53, 0 op_sel:[0,1,0] op_sel_hi:[0,1,0]
	v_or_b32_e32 v36, v35, v36
	v_fma_mixlo_f16 v53, v24, v35, 0 op_sel:[0,1,0] op_sel_hi:[0,1,0]
	v_or_b32_e32 v35, v37, v38
	v_fma_mixlo_f16 v38, v24, v35, 0 op_sel_hi:[0,1,0]
	v_or_b32_e32 v32, v31, v32
	v_fma_mixlo_f16 v35, v24, v31, 0 op_sel:[0,1,0] op_sel_hi:[0,1,0]
	v_or_b32_e32 v31, v33, v34
	v_fma_mixlo_f16 v54, v24, v32, 0 op_sel_hi:[0,1,0]
	v_fma_mixlo_f16 v34, v24, v31, 0 op_sel_hi:[0,1,0]
	v_or_b32_e32 v28, v25, v28
	v_fma_mixlo_f16 v32, v24, v25, 0 op_sel:[0,1,0] op_sel_hi:[0,1,0]
	v_or_b32_e32 v25, v29, v30
	ds_read_b64 v[30:31], v14
	v_fma_mixlo_f16 v10, v24, v2, 0 op_sel_hi:[0,1,0]
	v_or_b32_e32 v2, v69, v70
	v_fma_mixlo_f16 v28, v24, v28, 0 op_sel_hi:[0,1,0]
	v_fma_mixlo_f16 v8, v24, v2, 0 op_sel_hi:[0,1,0]
	v_fma_mixlo_f16 v2, v24, v69, 0 op_sel:[0,1,0] op_sel_hi:[0,1,0]
	v_fma_mixlo_f16 v69, v24, v33, 0 op_sel:[0,1,0] op_sel_hi:[0,1,0]
	v_fma_mixlo_f16 v33, v24, v25, 0 op_sel_hi:[0,1,0]
	v_or_b32_e32 v70, v71, v72
	v_fma_mixlo_f16 v25, v24, v71, 0 op_sel:[0,1,0] op_sel_hi:[0,1,0]
	s_waitcnt lgkmcnt(0)
	v_lshrrev_b32_e32 v71, 16, v30
	v_and_b32_e32 v30, 0xffff, v30
	v_and_b32_e32 v28, 0xffff, v28
	;;#ASMSTART
	v_cvt_f32_f16 v30, v30;
	;;#ASMEND
	;;#ASMSTART
	v_cvt_f32_f16 v71, v71;
	;;#ASMEND
	;;#ASMSTART
	v_cvt_f32_f16 v72, v28;
	;;#ASMEND
	v_and_b32_e32 v28, 0xffff, v32
	;;#ASMSTART
	v_cvt_f32_f16 v75, v28;
	;;#ASMEND
	v_lshrrev_b32_e32 v28, 16, v31
	v_fma_mixlo_f16 v29, v24, v29, 0 op_sel:[0,1,0] op_sel_hi:[0,1,0]
	v_and_b32_e32 v31, 0xffff, v31
	;;#ASMSTART
	v_cvt_f32_f16 v76, v31;
	;;#ASMEND
	;;#ASMSTART
	v_cvt_f32_f16 v77, v28;
	;;#ASMEND
	v_and_b32_e32 v28, 0xffff, v33
	;;#ASMSTART
	v_cvt_f32_f16 v78, v28;
	;;#ASMEND
	v_and_b32_e32 v28, 0xffff, v29
	;;#ASMSTART
	v_cvt_f32_f16 v79, v28;
	;;#ASMEND
	ds_read_b64 v[32:33], v14 offset:8
	v_and_b32_e32 v54, 0xffff, v54
	v_fma_mixlo_f16 v31, v24, v70, 0 op_sel_hi:[0,1,0]
	v_and_b32_e32 v35, 0xffff, v35
	v_and_b32_e32 v34, 0xffff, v34
	s_waitcnt lgkmcnt(0)
	v_and_b32_e32 v29, 0xffff, v32
	;;#ASMSTART
	v_cvt_f32_f16 v29, v29;
	;;#ASMEND
	v_lshrrev_b32_e32 v70, 16, v32
	;;#ASMSTART
	v_cvt_f32_f16 v32, v70;
	;;#ASMEND
	;;#ASMSTART
	v_cvt_f32_f16 v54, v54;
	;;#ASMEND
	;; [unrolled: 3-line block ×3, first 2 shown]
	v_fma_mixlo_f16 v36, v24, v36, 0 op_sel_hi:[0,1,0]
	v_mul_f32_e32 v29, v29, v54
	v_fmac_f32_e32 v29, v30, v72
	v_mul_f32_e32 v30, v32, v35
	v_and_b32_e32 v32, 0xffff, v33
	v_lshrrev_b32_e32 v35, 16, v33
	;;#ASMSTART
	v_cvt_f32_f16 v32, v32;
	;;#ASMEND
	;;#ASMSTART
	v_cvt_f32_f16 v33, v35;
	;;#ASMEND
	;; [unrolled: 3-line block ×3, first 2 shown]
	v_and_b32_e32 v34, 0xffff, v69
	;;#ASMSTART
	v_cvt_f32_f16 v69, v34;
	;;#ASMEND
	ds_read_b64 v[34:35], v14 offset:16
	v_mul_f32_e32 v33, v33, v69
	v_mul_f32_e32 v32, v32, v54
	v_fma_mixlo_f16 v37, v24, v37, 0 op_sel:[0,1,0] op_sel_hi:[0,1,0]
	v_fmac_f32_e32 v30, v71, v75
	s_waitcnt lgkmcnt(0)
	v_lshrrev_b32_e32 v69, 16, v34
	v_and_b32_e32 v34, 0xffff, v34
	;;#ASMSTART
	v_cvt_f32_f16 v54, v34;
	;;#ASMEND
	v_and_b32_e32 v34, 0xffff, v36
	;;#ASMSTART
	v_cvt_f32_f16 v69, v69;
	;;#ASMEND
	;;#ASMSTART
	v_cvt_f32_f16 v36, v34;
	;;#ASMEND
	v_and_b32_e32 v34, 0xffff, v53
	;;#ASMSTART
	v_cvt_f32_f16 v53, v34;
	;;#ASMEND
	v_lshrrev_b32_e32 v34, 16, v35
	v_and_b32_e32 v35, 0xffff, v35
	;;#ASMSTART
	v_cvt_f32_f16 v70, v35;
	;;#ASMEND
	;;#ASMSTART
	v_cvt_f32_f16 v71, v34;
	;;#ASMEND
	v_and_b32_e32 v34, 0xffff, v38
	;;#ASMSTART
	v_cvt_f32_f16 v38, v34;
	;;#ASMEND
	v_and_b32_e32 v34, 0xffff, v37
	;;#ASMSTART
	v_cvt_f32_f16 v37, v34;
	;;#ASMEND
	ds_read_b64 v[34:35], v14 offset:24
	v_or_b32_e32 v40, v39, v40
	v_fmac_f32_e32 v33, v77, v79
	v_fma_mixlo_f16 v40, v24, v40, 0 op_sel_hi:[0,1,0]
	v_fmac_f32_e32 v33, v71, v37
	s_waitcnt lgkmcnt(0)
	v_lshrrev_b32_e32 v37, 16, v34
	v_and_b32_e32 v34, 0xffff, v34
	v_fma_mixlo_f16 v39, v24, v39, 0 op_sel:[0,1,0] op_sel_hi:[0,1,0]
	v_fmac_f32_e32 v32, v76, v78
	v_fmac_f32_e32 v29, v54, v36
	;;#ASMSTART
	v_cvt_f32_f16 v36, v34;
	;;#ASMEND
	v_and_b32_e32 v34, 0xffff, v40
	v_or_b32_e32 v42, v41, v42
	v_fmac_f32_e32 v32, v70, v38
	;;#ASMSTART
	v_cvt_f32_f16 v37, v37;
	;;#ASMEND
	;;#ASMSTART
	v_cvt_f32_f16 v38, v34;
	;;#ASMEND
	v_and_b32_e32 v34, 0xffff, v39
	v_fma_mixlo_f16 v42, v24, v42, 0 op_sel_hi:[0,1,0]
	;;#ASMSTART
	v_cvt_f32_f16 v39, v34;
	;;#ASMEND
	v_lshrrev_b32_e32 v34, 16, v35
	v_fma_mixlo_f16 v41, v24, v41, 0 op_sel:[0,1,0] op_sel_hi:[0,1,0]
	v_fmac_f32_e32 v30, v69, v53
	v_and_b32_e32 v35, 0xffff, v35
	;;#ASMSTART
	v_cvt_f32_f16 v40, v35;
	;;#ASMEND
	;;#ASMSTART
	v_cvt_f32_f16 v53, v34;
	;;#ASMEND
	v_and_b32_e32 v34, 0xffff, v42
	;;#ASMSTART
	v_cvt_f32_f16 v42, v34;
	;;#ASMEND
	v_and_b32_e32 v34, 0xffff, v41
	;;#ASMSTART
	v_cvt_f32_f16 v41, v34;
	;;#ASMEND
	ds_read_b64 v[34:35], v14 offset:32
	v_or_b32_e32 v44, v43, v44
	v_fma_mixlo_f16 v44, v24, v44, 0 op_sel_hi:[0,1,0]
	v_fmac_f32_e32 v30, v37, v39
	v_fma_mixlo_f16 v43, v24, v43, 0 op_sel:[0,1,0] op_sel_hi:[0,1,0]
	s_waitcnt lgkmcnt(0)
	v_lshrrev_b32_e32 v37, 16, v34
	v_and_b32_e32 v34, 0xffff, v34
	v_fmac_f32_e32 v29, v36, v38
	;;#ASMSTART
	v_cvt_f32_f16 v36, v34;
	;;#ASMEND
	v_and_b32_e32 v34, 0xffff, v44
	v_or_b32_e32 v46, v45, v46
	;;#ASMSTART
	v_cvt_f32_f16 v37, v37;
	;;#ASMEND
	;;#ASMSTART
	v_cvt_f32_f16 v38, v34;
	;;#ASMEND
	v_and_b32_e32 v34, 0xffff, v43
	v_fma_mixlo_f16 v46, v24, v46, 0 op_sel_hi:[0,1,0]
	;;#ASMSTART
	v_cvt_f32_f16 v39, v34;
	;;#ASMEND
	v_lshrrev_b32_e32 v34, 16, v35
	v_fma_mixlo_f16 v45, v24, v45, 0 op_sel:[0,1,0] op_sel_hi:[0,1,0]
	v_fmac_f32_e32 v32, v40, v42
	v_fmac_f32_e32 v33, v53, v41
	v_and_b32_e32 v35, 0xffff, v35
	;;#ASMSTART
	v_cvt_f32_f16 v40, v35;
	;;#ASMEND
	;;#ASMSTART
	v_cvt_f32_f16 v41, v34;
	;;#ASMEND
	v_and_b32_e32 v34, 0xffff, v46
	;;#ASMSTART
	v_cvt_f32_f16 v42, v34;
	;;#ASMEND
	v_and_b32_e32 v34, 0xffff, v45
	;;#ASMSTART
	v_cvt_f32_f16 v43, v34;
	;;#ASMEND
	ds_read_b64 v[34:35], v14 offset:40
	v_or_b32_e32 v48, v47, v48
	v_fma_mixlo_f16 v48, v24, v48, 0 op_sel_hi:[0,1,0]
	v_fmac_f32_e32 v30, v37, v39
	v_fma_mixlo_f16 v47, v24, v47, 0 op_sel:[0,1,0] op_sel_hi:[0,1,0]
	s_waitcnt lgkmcnt(0)
	v_lshrrev_b32_e32 v37, 16, v34
	v_and_b32_e32 v34, 0xffff, v34
	v_fmac_f32_e32 v29, v36, v38
	;;#ASMSTART
	v_cvt_f32_f16 v36, v34;
	;;#ASMEND
	v_and_b32_e32 v34, 0xffff, v48
	v_or_b32_e32 v50, v49, v50
	;;#ASMSTART
	v_cvt_f32_f16 v37, v37;
	;;#ASMEND
	;;#ASMSTART
	v_cvt_f32_f16 v38, v34;
	;;#ASMEND
	v_and_b32_e32 v34, 0xffff, v47
	v_fma_mixlo_f16 v50, v24, v50, 0 op_sel_hi:[0,1,0]
	;;#ASMSTART
	v_cvt_f32_f16 v39, v34;
	;;#ASMEND
	v_lshrrev_b32_e32 v34, 16, v35
	v_fma_mixlo_f16 v49, v24, v49, 0 op_sel:[0,1,0] op_sel_hi:[0,1,0]
	v_fmac_f32_e32 v32, v40, v42
	v_fmac_f32_e32 v33, v41, v43
	v_and_b32_e32 v35, 0xffff, v35
	;;#ASMSTART
	v_cvt_f32_f16 v40, v35;
	;;#ASMEND
	;;#ASMSTART
	v_cvt_f32_f16 v41, v34;
	;;#ASMEND
	v_and_b32_e32 v34, 0xffff, v50
	;;#ASMSTART
	v_cvt_f32_f16 v42, v34;
	;;#ASMEND
	v_and_b32_e32 v34, 0xffff, v49
	;;#ASMSTART
	v_cvt_f32_f16 v43, v34;
	;;#ASMEND
	ds_read_b64 v[34:35], v14 offset:48
	v_fmac_f32_e32 v30, v37, v39
	v_fmac_f32_e32 v29, v36, v38
	v_fmac_f32_e32 v32, v40, v42
	v_fmac_f32_e32 v33, v41, v43
	s_waitcnt lgkmcnt(0)
	v_lshrrev_b32_e32 v37, 16, v34
	v_and_b32_e32 v34, 0xffff, v34
	;;#ASMSTART
	v_cvt_f32_f16 v36, v34;
	;;#ASMEND
	v_and_b32_e32 v34, 0xffff, v58
	;;#ASMSTART
	v_cvt_f32_f16 v37, v37;
	;;#ASMEND
	;;#ASMSTART
	v_cvt_f32_f16 v38, v34;
	;;#ASMEND
	v_and_b32_e32 v34, 0xffff, v57
	;;#ASMSTART
	v_cvt_f32_f16 v39, v34;
	;;#ASMEND
	v_lshrrev_b32_e32 v34, 16, v35
	v_and_b32_e32 v35, 0xffff, v35
	;;#ASMSTART
	v_cvt_f32_f16 v40, v35;
	;;#ASMEND
	;;#ASMSTART
	v_cvt_f32_f16 v41, v34;
	;;#ASMEND
	v_and_b32_e32 v34, 0xffff, v52
	;;#ASMSTART
	v_cvt_f32_f16 v42, v34;
	;;#ASMEND
	v_and_b32_e32 v34, 0xffff, v51
	;;#ASMSTART
	v_cvt_f32_f16 v43, v34;
	;;#ASMEND
	ds_read_b64 v[34:35], v14 offset:56
	v_fmac_f32_e32 v30, v37, v39
	v_fmac_f32_e32 v29, v36, v38
	v_fmac_f32_e32 v32, v40, v42
	v_fmac_f32_e32 v33, v41, v43
	s_waitcnt lgkmcnt(0)
	v_lshrrev_b32_e32 v37, 16, v34
	v_and_b32_e32 v34, 0xffff, v34
	;;#ASMSTART
	v_cvt_f32_f16 v36, v34;
	;;#ASMEND
	v_and_b32_e32 v34, 0xffff, v62
	;;#ASMSTART
	v_cvt_f32_f16 v37, v37;
	;;#ASMEND
	;;#ASMSTART
	v_cvt_f32_f16 v38, v34;
	;;#ASMEND
	v_and_b32_e32 v34, 0xffff, v61
	;;#ASMSTART
	v_cvt_f32_f16 v39, v34;
	;;#ASMEND
	v_lshrrev_b32_e32 v34, 16, v35
	;; [unrolled: 38-line block ×4, first 2 shown]
	v_and_b32_e32 v35, 0xffff, v35
	;;#ASMSTART
	v_cvt_f32_f16 v40, v35;
	;;#ASMEND
	;;#ASMSTART
	v_cvt_f32_f16 v41, v34;
	;;#ASMEND
	v_and_b32_e32 v34, 0xffff, v64
	;;#ASMSTART
	v_cvt_f32_f16 v42, v34;
	;;#ASMEND
	v_and_b32_e32 v34, 0xffff, v63
	;;#ASMSTART
	v_cvt_f32_f16 v43, v34;
	;;#ASMEND
	ds_read_b64 v[34:35], v14 offset:80
	v_fmac_f32_e32 v29, v36, v38
	v_and_b32_e32 v10, 0xffff, v10
	v_and_b32_e32 v9, 0xffff, v9
	v_fmac_f32_e32 v30, v37, v39
	s_waitcnt lgkmcnt(0)
	v_lshrrev_b32_e32 v36, 16, v34
	v_and_b32_e32 v34, 0xffff, v34
	;;#ASMSTART
	v_cvt_f32_f16 v34, v34;
	;;#ASMEND
	;;#ASMSTART
	v_cvt_f32_f16 v36, v36;
	;;#ASMEND
	;; [unrolled: 3-line block ×4, first 2 shown]
	v_lshrrev_b32_e32 v9, 16, v35
	v_and_b32_e32 v35, 0xffff, v35
	v_and_b32_e32 v8, 0xffff, v8
	;; [unrolled: 1-line block ×3, first 2 shown]
	;;#ASMSTART
	v_cvt_f32_f16 v35, v35;
	;;#ASMEND
	;;#ASMSTART
	v_cvt_f32_f16 v38, v9;
	;;#ASMEND
	;; [unrolled: 3-line block ×4, first 2 shown]
	ds_read_b64 v[8:9], v14 offset:88
	v_fmac_f32_e32 v33, v41, v43
	v_or_b32_e32 v28, v73, v74
	v_fmac_f32_e32 v29, v34, v10
	v_fmac_f32_e32 v33, v38, v2
	s_waitcnt lgkmcnt(0)
	v_lshrrev_b32_e32 v10, 16, v8
	v_and_b32_e32 v2, 0xffff, v8
	v_fma_mixlo_f16 v28, v24, v28, 0 op_sel_hi:[0,1,0]
	v_fmac_f32_e32 v30, v36, v37
	;;#ASMSTART
	v_cvt_f32_f16 v2, v2;
	;;#ASMEND
	;;#ASMSTART
	v_cvt_f32_f16 v8, v10;
	;;#ASMEND
	v_and_b32_e32 v10, 0xffff, v31
	v_and_b32_e32 v25, 0xffff, v25
	v_fmac_f32_e32 v32, v40, v42
	;;#ASMSTART
	v_cvt_f32_f16 v10, v10;
	;;#ASMEND
	;;#ASMSTART
	v_cvt_f32_f16 v25, v25;
	;;#ASMEND
	v_fma_mixlo_f16 v24, v24, v73, 0 op_sel:[0,1,0] op_sel_hi:[0,1,0]
	v_fmac_f32_e32 v29, v2, v10
	v_fmac_f32_e32 v30, v8, v25
	v_lshrrev_b32_e32 v8, 16, v9
	v_and_b32_e32 v2, 0xffff, v9
	v_and_b32_e32 v9, 0xffff, v28
	v_fmac_f32_e32 v32, v35, v39
	;;#ASMSTART
	v_cvt_f32_f16 v2, v2;
	;;#ASMEND
	;;#ASMSTART
	v_cvt_f32_f16 v8, v8;
	;;#ASMEND
	;; [unrolled: 3-line block ×3, first 2 shown]
	v_and_b32_e32 v10, 0xffff, v24
	v_fmac_f32_e32 v32, v2, v9
	v_and_b32_e32 v9, 64, v22
	;;#ASMSTART
	v_cvt_f32_f16 v10, v10;
	;;#ASMEND
	v_add_u32_e32 v9, 64, v9
	v_fmac_f32_e32 v33, v8, v10
	v_xor_b32_e32 v8, 1, v22
	v_add_f32_e32 v2, v29, v30
	v_cmp_lt_i32_e64 s[0:1], v8, v9
	v_add_f32_e32 v2, v2, v32
	v_add_f32_e32 v2, v33, v2
	v_cndmask_b32_e64 v8, v22, v8, s[0:1]
	v_lshlrev_b32_e32 v8, 2, v8
	ds_bpermute_b32 v8, v8, v2
	s_and_saveexec_b64 s[40:41], vcc
	s_cbranch_execz .LBB255_11
; %bb.307:                              ;   in Loop: Header=BB255_13 Depth=1
	v_add_u32_e32 v9, v18, v17
	v_cvt_f32_i32_e32 v9, v9
	s_waitcnt lgkmcnt(0)
	v_add_f32_e32 v2, v2, v8
	v_add_u32_e32 v10, v13, v17
	v_cmp_gt_i32_e64 s[0:1], s33, v10
	v_mul_f32_e32 v8, s48, v9
	v_cndmask_b32_e64 v8, 0, v8, s[2:3]
	v_fmac_f32_e32 v8, s37, v2
	v_cndmask_b32_e64 v2, 0, v8, s[0:1]
	ds_write_b32 v19, v2
	v_max_f32_e32 v2, v15, v15
	v_max_f32_e32 v2, v2, v8
	v_cndmask_b32_e64 v15, v15, v2, s[0:1]
	s_branch .LBB255_11
.LBB255_308:
	s_or_b64 exec, exec, s[38:39]
.LBB255_309:
	s_or_b64 exec, exec, s[18:19]
	v_mbcnt_hi_u32_b32 v2, -1, v11
	v_and_b32_e32 v9, 64, v2
	v_add_u32_e32 v10, 64, v9
	v_xor_b32_e32 v3, 32, v2
	v_cmp_lt_i32_e32 vcc, v3, v10
	v_xor_b32_e32 v6, 16, v2
	v_max_f32_e32 v5, v15, v15
	v_cndmask_b32_e32 v3, v2, v3, vcc
	v_lshlrev_b32_e32 v3, 2, v3
	ds_bpermute_b32 v4, v3, v15
	v_cmp_lt_i32_e32 vcc, v6, v10
	v_xor_b32_e32 v7, 8, v2
	s_waitcnt lgkmcnt(1)
	v_xor_b32_e32 v8, 4, v2
	v_xor_b32_e32 v11, 2, v2
	s_waitcnt lgkmcnt(0)
	v_max_f32_e32 v4, v4, v4
	v_max_f32_e32 v5, v5, v4
	v_cndmask_b32_e32 v4, v2, v6, vcc
	v_lshlrev_b32_e32 v4, 2, v4
	ds_bpermute_b32 v6, v4, v5
	v_cmp_lt_i32_e32 vcc, v7, v10
	v_and_b32_e32 v28, 63, v0
	s_waitcnt lgkmcnt(0)
	v_max_f32_e32 v6, v6, v6
	v_max_f32_e32 v6, v5, v6
	v_cndmask_b32_e32 v5, v2, v7, vcc
	v_lshlrev_b32_e32 v5, 2, v5
	ds_bpermute_b32 v7, v5, v6
	v_cmp_lt_i32_e32 vcc, v8, v10
	s_waitcnt lgkmcnt(0)
	v_max_f32_e32 v7, v7, v7
	v_max_f32_e32 v7, v6, v7
	v_cndmask_b32_e32 v6, v2, v8, vcc
	v_lshlrev_b32_e32 v6, 2, v6
	ds_bpermute_b32 v8, v6, v7
	v_cmp_lt_i32_e32 vcc, v11, v10
	s_waitcnt lgkmcnt(0)
	v_max_f32_e32 v8, v8, v8
	v_max_f32_e32 v8, v7, v8
	v_cndmask_b32_e32 v7, v2, v11, vcc
	v_lshlrev_b32_e32 v29, 2, v7
	ds_bpermute_b32 v11, v29, v8
	v_cmp_eq_u32_e32 vcc, 0, v28
	v_lshlrev_b32_e32 v7, 2, v26
	s_and_saveexec_b64 s[0:1], vcc
	s_cbranch_execz .LBB255_311
; %bb.310:
	s_waitcnt lgkmcnt(0)
	v_max_f32_e32 v11, v11, v11
	v_max_f32_e32 v8, v8, v8
	;; [unrolled: 1-line block ×3, first 2 shown]
	ds_write_b32 v7, v8 offset:192
.LBB255_311:
	s_or_b64 exec, exec, s[0:1]
	v_cmp_gt_u32_e64 s[0:1], 2, v28
	s_waitcnt lgkmcnt(0)
	v_mov_b32_e32 v11, 0xff7fffff
	v_lshlrev_b32_e32 v8, 2, v28
	s_barrier
	s_and_saveexec_b64 s[2:3], s[0:1]
; %bb.312:
	ds_read_b32 v11, v8 offset:192
; %bb.313:
	s_or_b64 exec, exec, s[2:3]
	v_xor_b32_e32 v13, 1, v2
	v_cmp_lt_i32_e64 s[2:3], v13, v10
	v_lshlrev_b32_e32 v9, 2, v9
	s_nop 0
	v_cndmask_b32_e64 v10, v2, v13, s[2:3]
	v_lshlrev_b32_e32 v30, 2, v10
	s_waitcnt lgkmcnt(0)
	ds_bpermute_b32 v10, v30, v11
	v_max_f32_e32 v11, v11, v11
	s_lshl_b32 s2, s47, 5
	s_min_i32 s37, s2, s33
	v_cmp_gt_i32_e64 s[2:3], s37, v0
	s_waitcnt lgkmcnt(0)
	v_max_f32_e32 v10, v10, v10
	v_max_f32_e32 v10, v11, v10
	ds_bpermute_b32 v10, v9, v10
	v_mov_b32_e32 v9, 0
	s_and_saveexec_b64 s[12:13], s[2:3]
	s_cbranch_execz .LBB255_317
; %bb.314:
	v_mov_b32_e32 v9, 0xd0
	v_lshl_add_u32 v11, v0, 2, v9
	v_mov_b32_e32 v9, 0
	s_mov_b64 s[18:19], 0
	v_mov_b32_e32 v13, v0
.LBB255_315:                            ; =>This Inner Loop Header: Depth=1
	ds_read_b32 v14, v11
	v_add_u32_e32 v13, 0x80, v13
	v_cmp_le_i32_e64 s[8:9], s37, v13
	s_or_b64 s[18:19], s[8:9], s[18:19]
	s_waitcnt lgkmcnt(0)
	v_sub_f32_e32 v14, v14, v10
	v_mul_f32_e32 v14, 0x3fb8aa3b, v14
	v_exp_f32_e32 v14, v14
	ds_write_b32 v11, v14
	v_add_f32_e32 v9, v9, v14
	v_add_u32_e32 v11, 0x200, v11
	s_andn2_b64 exec, exec, s[18:19]
	s_cbranch_execnz .LBB255_315
; %bb.316:
	s_or_b64 exec, exec, s[18:19]
.LBB255_317:
	s_or_b64 exec, exec, s[12:13]
	ds_bpermute_b32 v3, v3, v9
	s_waitcnt lgkmcnt(0)
	v_add_f32_e32 v3, v9, v3
	ds_bpermute_b32 v4, v4, v3
	s_waitcnt lgkmcnt(0)
	v_add_f32_e32 v3, v3, v4
	;; [unrolled: 3-line block ×6, first 2 shown]
	s_and_saveexec_b64 s[8:9], vcc
; %bb.318:
	ds_write_b32 v7, v3 offset:200
; %bb.319:
	s_or_b64 exec, exec, s[8:9]
	s_waitcnt lgkmcnt(0)
	s_barrier
	s_and_saveexec_b64 s[8:9], s[0:1]
; %bb.320:
	ds_read_b32 v3, v8 offset:200
; %bb.321:
	s_or_b64 exec, exec, s[8:9]
	s_waitcnt lgkmcnt(0)
	ds_bpermute_b32 v4, v30, v3
	v_lshlrev_b32_e32 v2, 2, v2
	v_and_b32_e32 v2, 0x100, v2
	s_waitcnt lgkmcnt(0)
	v_add_f32_e32 v3, v3, v4
	ds_bpermute_b32 v2, v2, v3
	s_and_saveexec_b64 s[0:1], s[2:3]
	s_cbranch_execz .LBB255_334
; %bb.322:
	s_waitcnt lgkmcnt(0)
	v_add_f32_e32 v2, 0x358637bd, v2
	v_div_scale_f32 v3, s[2:3], v2, v2, 1.0
	v_rcp_f32_e32 v4, v3
	v_div_scale_f32 v5, vcc, 1.0, v2, 1.0
	s_movk_i32 s2, 0x7f
	v_fma_f32 v6, -v3, v4, 1.0
	v_fmac_f32_e32 v4, v6, v4
	v_mul_f32_e32 v6, v5, v4
	v_fma_f32 v7, -v3, v6, v5
	v_fmac_f32_e32 v6, v7, v4
	v_fma_f32 v3, -v3, v6, v5
	v_div_fmas_f32 v3, v3, v4, v6
	v_xad_u32 v4, v0, -1, s37
	v_div_fixup_f32 v2, v3, v2, 1.0
	v_cmp_lt_u32_e32 vcc, s2, v4
	s_mov_b64 s[8:9], -1
	v_mov_b32_e32 v3, v0
	s_and_saveexec_b64 s[2:3], vcc
	s_cbranch_execz .LBB255_331
; %bb.323:
	v_lshrrev_b32_e32 v4, 7, v4
	v_add_u32_e32 v6, -1, v4
	v_lshrrev_b32_e32 v5, 1, v6
	v_mov_b32_e32 v3, v2
	v_add_u32_e32 v5, 1, v5
	v_cmp_lt_u32_e32 vcc, 13, v6
	v_mov_b32_e32 v8, 0
	s_and_saveexec_b64 s[8:9], vcc
	s_cbranch_execz .LBB255_327
; %bb.324:
	v_mov_b32_e32 v7, 0xd0
	v_and_b32_e32 v6, -8, v5
	v_lshl_add_u32 v7, v0, 2, v7
	s_mov_b32 s18, 0
	s_mov_b64 s[12:13], 0
.LBB255_325:                            ; =>This Inner Loop Header: Depth=1
	ds_read2st64_b32 v[8:9], v7 offset1:2
	ds_read2st64_b32 v[10:11], v7 offset0:4 offset1:6
	ds_read2st64_b32 v[14:15], v7 offset0:8 offset1:10
	;; [unrolled: 1-line block ×3, first 2 shown]
	v_add_u32_e32 v6, -8, v6
	s_waitcnt lgkmcnt(3)
	v_pk_mul_f32 v[8:9], v[2:3], v[8:9]
	s_waitcnt lgkmcnt(2)
	v_pk_mul_f32 v[10:11], v[2:3], v[10:11]
	ds_write2st64_b32 v7, v8, v9 offset1:2
	ds_write2st64_b32 v7, v10, v11 offset0:4 offset1:6
	ds_read2st64_b32 v[10:11], v7 offset0:16 offset1:18
	s_waitcnt lgkmcnt(4)
	v_pk_mul_f32 v[8:9], v[2:3], v[14:15]
	ds_write2st64_b32 v7, v8, v9 offset0:8 offset1:10
	s_waitcnt lgkmcnt(4)
	v_pk_mul_f32 v[8:9], v[2:3], v[16:17]
	ds_write2st64_b32 v7, v8, v9 offset0:12 offset1:14
	ds_read2st64_b32 v[8:9], v7 offset0:20 offset1:22
	s_waitcnt lgkmcnt(3)
	v_pk_mul_f32 v[10:11], v[2:3], v[10:11]
	ds_read2st64_b32 v[14:15], v7 offset0:24 offset1:26
	ds_write2st64_b32 v7, v10, v11 offset0:16 offset1:18
	ds_read2st64_b32 v[10:11], v7 offset0:28 offset1:30
	s_waitcnt lgkmcnt(3)
	v_pk_mul_f32 v[8:9], v[2:3], v[8:9]
	ds_write2st64_b32 v7, v8, v9 offset0:20 offset1:22
	s_waitcnt lgkmcnt(3)
	v_pk_mul_f32 v[8:9], v[2:3], v[14:15]
	ds_write2st64_b32 v7, v8, v9 offset0:24 offset1:26
	s_waitcnt lgkmcnt(2)
	v_pk_mul_f32 v[8:9], v[2:3], v[10:11]
	s_add_i32 s18, s18, 16
	v_cmp_eq_u32_e32 vcc, 0, v6
	ds_write2st64_b32 v7, v8, v9 offset0:28 offset1:30
	v_add_u32_e32 v7, 0x2000, v7
	s_or_b64 s[12:13], vcc, s[12:13]
	v_mov_b32_e32 v8, s18
	s_andn2_b64 exec, exec, s[12:13]
	s_cbranch_execnz .LBB255_325
; %bb.326:
	s_or_b64 exec, exec, s[12:13]
.LBB255_327:
	s_or_b64 exec, exec, s[8:9]
	v_and_b32_e32 v5, 7, v5
	v_cmp_ne_u32_e32 vcc, 0, v5
	s_and_saveexec_b64 s[8:9], vcc
	s_cbranch_execz .LBB255_330
; %bb.328:
	v_lshlrev_b32_e32 v6, 9, v8
	v_lshlrev_b32_e32 v7, 2, v0
	s_movk_i32 s12, 0xd0
	v_add3_u32 v6, v6, v7, s12
	s_mov_b64 s[12:13], 0
.LBB255_329:                            ; =>This Inner Loop Header: Depth=1
	ds_read2st64_b32 v[8:9], v6 offset1:2
	v_add_u32_e32 v5, -1, v5
	v_cmp_eq_u32_e32 vcc, 0, v5
	s_or_b64 s[12:13], vcc, s[12:13]
	s_waitcnt lgkmcnt(0)
	v_pk_mul_f32 v[8:9], v[2:3], v[8:9]
	ds_write2st64_b32 v6, v8, v9 offset1:2
	v_add_u32_e32 v6, 0x400, v6
	s_andn2_b64 exec, exec, s[12:13]
	s_cbranch_execnz .LBB255_329
.LBB255_330:
	s_or_b64 exec, exec, s[8:9]
	v_add_u32_e32 v4, 1, v4
	v_and_b32_e32 v5, 0x3fffffe, v4
	v_cmp_ne_u32_e32 vcc, v4, v5
	v_lshl_add_u32 v3, v5, 7, v0
	s_orn2_b64 s[8:9], vcc, exec
.LBB255_331:
	s_or_b64 exec, exec, s[2:3]
	s_and_b64 exec, exec, s[8:9]
	s_cbranch_execz .LBB255_334
; %bb.332:
	v_mov_b32_e32 v4, 0xd0
	v_lshl_add_u32 v4, v3, 2, v4
	s_mov_b64 s[2:3], 0
.LBB255_333:                            ; =>This Inner Loop Header: Depth=1
	ds_read_b32 v5, v4
	v_add_u32_e32 v3, 0x80, v3
	v_cmp_le_i32_e32 vcc, s37, v3
	s_or_b64 s[2:3], vcc, s[2:3]
	s_waitcnt lgkmcnt(0)
	v_mul_f32_e32 v5, v2, v5
	ds_write_b32 v4, v5
	v_add_u32_e32 v4, 0x200, v4
	s_andn2_b64 exec, exec, s[2:3]
	s_cbranch_execnz .LBB255_333
.LBB255_334:
	s_or_b64 exec, exec, s[0:1]
	v_mov_b32_e32 v3, 0
	v_and_b32_e32 v31, 3, v0
	s_waitcnt lgkmcnt(0)
	v_mov_b32_e32 v2, 0
	v_mov_b32_e32 v5, 0
	;; [unrolled: 1-line block ×5, first 2 shown]
	s_barrier
	s_and_saveexec_b64 s[2:3], s[6:7]
	s_cbranch_execz .LBB255_640
; %bb.335:
	s_sub_i32 s37, s16, s21
	s_ashr_i32 s1, s20, 31
	s_add_u32 s0, s34, s20
	s_addc_u32 s1, s35, s1
	s_abs_i32 s22, s22
	v_cvt_f32_u32_e32 v2, s22
	v_and_b32_e32 v32, 24, v1
	v_and_b32_e32 v8, 0x1f8, v1
	v_mov_b32_e32 v9, 0
	v_rcp_iflag_f32_e32 v1, v2
	v_lshl_add_u64 v[10:11], s[0:1], 0, v[8:9]
	s_sub_i32 s0, 0, s22
	s_add_i32 s35, s47, -1
	v_mul_f32_e32 v1, 0x4f7ffffe, v1
	v_cvt_u32_f32_e32 v1, v1
	s_mov_b32 s6, -1
	v_and_b32_e32 v8, 60, v12
	s_mov_b32 s34, s17
	v_mul_lo_u32 v2, s0, v1
	v_mul_hi_u32 v2, v1, v2
	s_lshl_b64 s[0:1], s[30:31], 2
	v_add_u32_e32 v33, v1, v2
	s_add_u32 s0, s28, s0
	v_lshlrev_b32_e32 v1, 5, v31
	s_addc_u32 s1, s29, s1
	v_lshl_or_b32 v1, v26, 7, v1
	s_mov_b32 s7, 0xffffff
	s_mov_b32 s38, s33
	v_lshl_add_u64 v[12:13], s[0:1], 0, v[8:9]
	v_add_u32_e32 v34, 0xd0, v1
	s_mov_b64 s[8:9], 0
	s_movk_i32 s28, 0x80
	s_movk_i32 s29, 0x7f
	s_mov_b32 s30, 0x8000
	v_mov_b32_e32 v35, 0x2000
	v_mov_b32_e32 v6, 0
	;; [unrolled: 1-line block ×7, first 2 shown]
	s_branch .LBB255_338
.LBB255_336:                            ;   in Loop: Header=BB255_338 Depth=1
	s_or_b64 exec, exec, s[0:1]
	v_add_f32_e32 v14, v24, v25
	v_add_f32_e32 v2, v2, v14
	;; [unrolled: 1-line block ×9, first 2 shown]
	;;#ASMSTART
	v_pk_mul_f16 v1, v47, v1;

	;;#ASMEND
	v_add_f32_e32 v6, v6, v14
	;;#ASMSTART
	v_pk_mul_f16 v8, v46, v8;

	;;#ASMEND
	;;#ASMSTART
	v_pk_mul_f16 v14, v45, v21;

	;;#ASMEND
	;; [unrolled: 4-line block ×3, first 2 shown]
	s_nop 0
	;;#ASMSTART
	v_pk_add_f16 v1, v1, v8;

	;;#ASMEND
	s_nop 0
	;;#ASMSTART
	v_pk_add_f16 v1, v1, v14;

	;;#ASMEND
	;; [unrolled: 5-line block ×3, first 2 shown]
	s_nop 0
	v_lshrrev_b32_e32 v8, 16, v1
	v_and_b32_e32 v1, 0xffff, v1
	;;#ASMSTART
	v_cvt_f32_f16 v1, v1;
	;;#ASMEND
	;;#ASMSTART
	v_cvt_f32_f16 v8, v8;
	;;#ASMEND
	s_nop 0
	v_add_f32_e32 v1, v1, v8
	v_add_f32_e32 v3, v3, v1
.LBB255_337:                            ;   in Loop: Header=BB255_338 Depth=1
	s_or_b64 exec, exec, s[12:13]
	v_add_u32_e32 v26, 2, v26
	v_cmp_le_i32_e32 vcc, s47, v26
	v_lshl_add_u64 v[12:13], v[12:13], 0, 8
	v_add_u32_e32 v27, 64, v27
	s_or_b64 s[8:9], vcc, s[8:9]
	v_add_u32_e32 v34, 0x100, v34
	s_andn2_b64 exec, exec, s[8:9]
	s_cbranch_execz .LBB255_639
.LBB255_338:                            ; =>This Inner Loop Header: Depth=1
	v_mul_hi_u32 v1, v27, s46
	v_mul_lo_u32 v8, v1, s25
	v_sub_u32_e32 v8, v27, v8
	v_add_u32_e32 v14, 1, v1
	v_cmp_le_u32_e32 vcc, s25, v8
	s_nop 1
	v_cndmask_b32_e32 v1, v1, v14, vcc
	v_subrev_u32_e32 v14, s25, v8
	v_cndmask_b32_e32 v8, v8, v14, vcc
	v_add_u32_e32 v14, 1, v1
	v_cmp_le_u32_e32 vcc, s25, v8
	s_nop 1
	v_cndmask_b32_e32 v1, v1, v14, vcc
	v_xor_b32_e32 v1, s23, v1
	v_subrev_u32_e32 v1, s23, v1
	v_add_u32_e32 v8, s36, v1
	v_sub_u32_e32 v15, 0, v8
	v_ashrrev_i32_e32 v14, 31, v8
	v_max_i32_e32 v8, v8, v15
	v_mul_hi_u32 v15, v8, v33
	v_mul_lo_u32 v15, v15, s22
	v_sub_u32_e32 v8, v8, v15
	v_subrev_u32_e32 v15, s22, v8
	v_cmp_le_u32_e32 vcc, s22, v8
	v_cmp_lt_i32_e64 s[0:1], s37, v1
	s_nop 0
	v_cndmask_b32_e32 v8, v8, v15, vcc
	v_subrev_u32_e32 v15, s22, v8
	v_cmp_le_u32_e32 vcc, s22, v8
	s_nop 1
	v_cndmask_b32_e32 v8, v8, v15, vcc
	v_xor_b32_e32 v8, v8, v14
	v_sub_u32_e32 v8, v8, v14
	v_cmp_eq_u32_e32 vcc, 0, v8
	s_or_b64 s[0:1], vcc, s[0:1]
	s_and_saveexec_b64 s[12:13], s[0:1]
	s_cbranch_execz .LBB255_337
; %bb.339:                              ;   in Loop: Header=BB255_338 Depth=1
	global_load_dword v1, v[12:13], off
	ds_read2_b64 v[14:17], v34 offset1:1
	ds_read2_b64 v[18:21], v34 offset0:2 offset1:3
	s_waitcnt lgkmcnt(1)
	;;#ASMSTART
	v_cvt_f16_f32 v44, v14;

	;;#ASMEND
	;;#ASMSTART
	v_cvt_f16_f32 v45, v15;

	;;#ASMEND
	;; [unrolled: 4-line block ×4, first 2 shown]
	s_waitcnt lgkmcnt(0)
	;;#ASMSTART
	v_cvt_f16_f32 v49, v18;

	;;#ASMEND
	;;#ASMSTART
	v_cvt_f16_f32 v50, v19;

	;;#ASMEND
	;; [unrolled: 4-line block ×4, first 2 shown]
	v_mov_b32_e32 v17, 0
	s_waitcnt vmcnt(0)
	v_mad_i64_i32 v[14:15], s[0:1], v1, s34, v[10:11]
	global_load_dwordx2 v[18:19], v[14:15], off
	v_mov_b32_e32 v1, 0
	global_load_dword v16, v1, s[14:15]
	s_waitcnt vmcnt(1)
	v_cmp_ne_u16_sdwa s[16:17], v18, v9 src0_sel:BYTE_0 src1_sel:DWORD
	s_and_saveexec_b64 s[0:1], s[16:17]
	s_cbranch_execz .LBB255_345
; %bb.340:                              ;   in Loop: Header=BB255_338 Depth=1
	v_cmp_ne_u16_sdwa s[18:19], v18, s28 src0_sel:BYTE_0 src1_sel:DWORD
	v_mov_b32_e32 v17, 0x8000
	s_and_saveexec_b64 s[16:17], s[18:19]
	s_cbranch_execz .LBB255_344
; %bb.341:                              ;   in Loop: Header=BB255_338 Depth=1
	v_and_b32_e32 v8, 0x7f, v18
	v_cmp_ne_u32_e32 vcc, s29, v8
	v_mov_b32_e32 v17, 0x7c01
	s_and_saveexec_b64 s[18:19], vcc
	s_cbranch_execz .LBB255_343
; %bb.342:                              ;   in Loop: Header=BB255_338 Depth=1
	v_and_b32_e32 v17, 7, v18
	v_ffbh_u32_e32 v20, v17
	v_min_u32_e32 v23, 32, v20
	v_subrev_u32_e32 v20, 28, v23
	v_lshlrev_b64 v[20:21], v20, v[18:19]
	v_lshrrev_b32_e32 v22, 3, v8
	v_sub_u32_e32 v21, 29, v23
	v_cmp_gt_u32_e32 vcc, 8, v8
	v_and_b32_e32 v20, 7, v20
	s_nop 0
	v_cndmask_b32_e32 v8, v22, v21, vcc
	v_lshl_add_u32 v8, v8, 10, v35
	v_lshlrev_b32_e32 v21, 8, v18
	v_and_b32_e32 v8, 0xfc00, v8
	v_cndmask_b32_e32 v17, v17, v20, vcc
	v_and_or_b32 v8, v21, s30, v8
	v_lshl_or_b32 v17, v17, 7, v8
.LBB255_343:                            ;   in Loop: Header=BB255_338 Depth=1
	s_or_b64 exec, exec, s[18:19]
.LBB255_344:                            ;   in Loop: Header=BB255_338 Depth=1
	s_or_b64 exec, exec, s[16:17]
.LBB255_345:                            ;   in Loop: Header=BB255_338 Depth=1
	s_or_b64 exec, exec, s[0:1]
	v_lshrrev_b16_e32 v8, 8, v18
	v_cmp_ne_u16_e32 vcc, 0, v8
	s_and_saveexec_b64 s[0:1], vcc
	s_cbranch_execz .LBB255_351
; %bb.346:                              ;   in Loop: Header=BB255_338 Depth=1
	v_cmp_ne_u16_e32 vcc, s28, v8
	v_bfrev_b32_e32 v1, 1
	s_and_saveexec_b64 s[16:17], vcc
	s_cbranch_execz .LBB255_350
; %bb.347:                              ;   in Loop: Header=BB255_338 Depth=1
	v_and_b32_e32 v20, 0x7f, v8
	v_cmp_ne_u32_e32 vcc, s29, v20
	v_mov_b32_e32 v1, 0x7c010000
	s_and_saveexec_b64 s[18:19], vcc
	s_cbranch_execz .LBB255_349
; %bb.348:                              ;   in Loop: Header=BB255_338 Depth=1
	v_and_b32_e32 v1, 7, v8
	v_ffbh_u32_e32 v22, v1
	v_min_u32_e32 v24, 32, v22
	v_subrev_u32_e32 v22, 28, v24
	v_lshlrev_b64 v[22:23], v22, v[8:9]
	v_lshrrev_b32_e32 v21, 3, v20
	v_sub_u32_e32 v23, 29, v24
	v_cmp_gt_u32_e32 vcc, 8, v20
	v_lshlrev_b32_e32 v8, 8, v8
	s_nop 0
	v_cndmask_b32_e32 v20, v21, v23, vcc
	v_lshl_add_u32 v20, v20, 10, v35
	v_and_b32_e32 v21, 7, v22
	v_and_or_b32 v8, v8, s30, v20
	v_cndmask_b32_e32 v1, v1, v21, vcc
	v_lshlrev_b32_e32 v8, 16, v8
	v_lshl_or_b32 v1, v1, 23, v8
.LBB255_349:                            ;   in Loop: Header=BB255_338 Depth=1
	s_or_b64 exec, exec, s[18:19]
.LBB255_350:                            ;   in Loop: Header=BB255_338 Depth=1
	s_or_b64 exec, exec, s[16:17]
.LBB255_351:                            ;   in Loop: Header=BB255_338 Depth=1
	s_or_b64 exec, exec, s[0:1]
	v_lshrrev_b32_e32 v8, 16, v18
	v_cmp_ne_u16_sdwa s[16:17], v8, v9 src0_sel:BYTE_0 src1_sel:DWORD
	v_mov_b32_e32 v21, 0
	v_mov_b32_e32 v20, 0
	s_and_saveexec_b64 s[0:1], s[16:17]
	s_cbranch_execz .LBB255_357
; %bb.352:                              ;   in Loop: Header=BB255_338 Depth=1
	v_cmp_ne_u16_sdwa s[18:19], v8, s28 src0_sel:BYTE_0 src1_sel:DWORD
	v_mov_b32_e32 v20, 0x8000
	s_and_saveexec_b64 s[16:17], s[18:19]
	s_cbranch_execz .LBB255_356
; %bb.353:                              ;   in Loop: Header=BB255_338 Depth=1
	v_bfe_u32 v22, v18, 16, 7
	v_cmp_ne_u32_e32 vcc, s29, v22
	v_mov_b32_e32 v20, 0x7c01
	s_and_saveexec_b64 s[18:19], vcc
	s_cbranch_execz .LBB255_355
; %bb.354:                              ;   in Loop: Header=BB255_338 Depth=1
	v_and_b32_e32 v20, 7, v8
	v_ffbh_u32_e32 v24, v20
	v_min_u32_e32 v36, 32, v24
	v_subrev_u32_e32 v24, 28, v36
	v_lshlrev_b64 v[24:25], v24, v[8:9]
	v_lshrrev_b32_e32 v23, 3, v22
	v_sub_u32_e32 v25, 29, v36
	v_cmp_gt_u32_e32 vcc, 8, v22
	v_lshlrev_b32_e32 v8, 8, v8
	s_nop 0
	v_cndmask_b32_e32 v22, v23, v25, vcc
	v_lshl_add_u32 v22, v22, 10, v35
	v_and_b32_e32 v23, 7, v24
	v_and_b32_e32 v22, 0xfc00, v22
	v_cndmask_b32_e32 v20, v20, v23, vcc
	v_and_or_b32 v8, v8, s30, v22
	v_lshl_or_b32 v20, v20, 7, v8
.LBB255_355:                            ;   in Loop: Header=BB255_338 Depth=1
	s_or_b64 exec, exec, s[18:19]
.LBB255_356:                            ;   in Loop: Header=BB255_338 Depth=1
	s_or_b64 exec, exec, s[16:17]
.LBB255_357:                            ;   in Loop: Header=BB255_338 Depth=1
	s_or_b64 exec, exec, s[0:1]
	v_cmp_lt_u32_e32 vcc, s7, v18
	s_and_saveexec_b64 s[0:1], vcc
	s_cbranch_execz .LBB255_363
; %bb.358:                              ;   in Loop: Header=BB255_338 Depth=1
	v_lshrrev_b32_e32 v8, 24, v18
	v_cmp_ne_u32_e32 vcc, s28, v8
	v_bfrev_b32_e32 v21, 1
	s_and_saveexec_b64 s[16:17], vcc
	s_cbranch_execz .LBB255_362
; %bb.359:                              ;   in Loop: Header=BB255_338 Depth=1
	v_and_b32_e32 v22, 0x7f, v8
	v_cmp_ne_u32_e32 vcc, s29, v22
	v_mov_b32_e32 v21, 0x7c010000
	s_and_saveexec_b64 s[18:19], vcc
	s_cbranch_execz .LBB255_361
; %bb.360:                              ;   in Loop: Header=BB255_338 Depth=1
	v_and_b32_e32 v21, 7, v8
	v_ffbh_u32_e32 v24, v21
	v_min_u32_e32 v36, 32, v24
	v_subrev_u32_e32 v24, 28, v36
	v_lshlrev_b64 v[24:25], v24, v[8:9]
	v_lshrrev_b32_e32 v23, 3, v22
	v_sub_u32_e32 v25, 29, v36
	v_cmp_gt_u32_e32 vcc, 8, v22
	v_lshlrev_b32_e32 v8, 8, v8
	s_nop 0
	v_cndmask_b32_e32 v22, v23, v25, vcc
	v_lshl_add_u32 v22, v22, 10, v35
	v_and_b32_e32 v23, 7, v24
	v_and_or_b32 v8, v8, s30, v22
	v_cndmask_b32_e32 v21, v21, v23, vcc
	v_lshlrev_b32_e32 v8, 16, v8
	v_lshl_or_b32 v21, v21, 23, v8
.LBB255_361:                            ;   in Loop: Header=BB255_338 Depth=1
	s_or_b64 exec, exec, s[18:19]
.LBB255_362:                            ;   in Loop: Header=BB255_338 Depth=1
	s_or_b64 exec, exec, s[16:17]
.LBB255_363:                            ;   in Loop: Header=BB255_338 Depth=1
	s_or_b64 exec, exec, s[0:1]
	v_mov_b32_e32 v8, v19
	v_cmp_ne_u16_sdwa s[16:17], v19, v9 src0_sel:BYTE_0 src1_sel:DWORD
	v_mov_b32_e32 v22, 0
	v_mov_b32_e32 v23, 0
	s_and_saveexec_b64 s[0:1], s[16:17]
	s_cbranch_execz .LBB255_369
; %bb.364:                              ;   in Loop: Header=BB255_338 Depth=1
	v_cmp_ne_u16_sdwa s[18:19], v19, s28 src0_sel:BYTE_0 src1_sel:DWORD
	v_mov_b32_e32 v23, 0x8000
	s_and_saveexec_b64 s[16:17], s[18:19]
	s_cbranch_execz .LBB255_368
; %bb.365:                              ;   in Loop: Header=BB255_338 Depth=1
	v_and_b32_e32 v24, 0x7f, v19
	v_cmp_ne_u32_e32 vcc, s29, v24
	v_mov_b32_e32 v23, 0x7c01
	s_and_saveexec_b64 s[18:19], vcc
	s_cbranch_execz .LBB255_367
; %bb.366:                              ;   in Loop: Header=BB255_338 Depth=1
	v_and_b32_e32 v23, 7, v19
	v_ffbh_u32_e32 v36, v23
	v_min_u32_e32 v38, 32, v36
	v_subrev_u32_e32 v36, 28, v38
	v_lshlrev_b64 v[36:37], v36, v[8:9]
	v_lshrrev_b32_e32 v25, 3, v24
	v_sub_u32_e32 v37, 29, v38
	v_cmp_gt_u32_e32 vcc, 8, v24
	v_and_b32_e32 v36, 7, v36
	s_nop 0
	v_cndmask_b32_e32 v24, v25, v37, vcc
	v_lshl_add_u32 v24, v24, 10, v35
	v_lshlrev_b32_e32 v25, 8, v19
	v_and_b32_e32 v24, 0xfc00, v24
	v_cndmask_b32_e32 v23, v23, v36, vcc
	v_and_or_b32 v24, v25, s30, v24
	v_lshl_or_b32 v23, v23, 7, v24
.LBB255_367:                            ;   in Loop: Header=BB255_338 Depth=1
	s_or_b64 exec, exec, s[18:19]
.LBB255_368:                            ;   in Loop: Header=BB255_338 Depth=1
	s_or_b64 exec, exec, s[16:17]
.LBB255_369:                            ;   in Loop: Header=BB255_338 Depth=1
	s_or_b64 exec, exec, s[0:1]
	v_lshrrev_b16_e32 v8, 8, v8
	v_cmp_ne_u16_e32 vcc, 0, v8
	v_mov_b32_e32 v24, 0
	s_and_saveexec_b64 s[0:1], vcc
	s_cbranch_execz .LBB255_375
; %bb.370:                              ;   in Loop: Header=BB255_338 Depth=1
	v_cmp_ne_u16_e32 vcc, s28, v8
	v_bfrev_b32_e32 v24, 1
	s_and_saveexec_b64 s[16:17], vcc
	s_cbranch_execz .LBB255_374
; %bb.371:                              ;   in Loop: Header=BB255_338 Depth=1
	v_and_b32_e32 v25, 0x7f, v8
	v_cmp_ne_u32_e32 vcc, s29, v25
	v_mov_b32_e32 v24, 0x7c010000
	s_and_saveexec_b64 s[18:19], vcc
	s_cbranch_execz .LBB255_373
; %bb.372:                              ;   in Loop: Header=BB255_338 Depth=1
	v_and_b32_e32 v24, 7, v8
	v_ffbh_u32_e32 v36, v24
	v_min_u32_e32 v39, 32, v36
	v_subrev_u32_e32 v36, 28, v39
	v_lshlrev_b64 v[36:37], v36, v[8:9]
	v_lshrrev_b32_e32 v38, 3, v25
	v_sub_u32_e32 v37, 29, v39
	v_cmp_gt_u32_e32 vcc, 8, v25
	v_lshlrev_b32_e32 v8, 8, v8
	v_and_b32_e32 v36, 7, v36
	v_cndmask_b32_e32 v25, v38, v37, vcc
	v_lshl_add_u32 v25, v25, 10, v35
	v_and_or_b32 v8, v8, s30, v25
	v_cndmask_b32_e32 v24, v24, v36, vcc
	v_lshlrev_b32_e32 v8, 16, v8
	v_lshl_or_b32 v24, v24, 23, v8
.LBB255_373:                            ;   in Loop: Header=BB255_338 Depth=1
	s_or_b64 exec, exec, s[18:19]
.LBB255_374:                            ;   in Loop: Header=BB255_338 Depth=1
	s_or_b64 exec, exec, s[16:17]
.LBB255_375:                            ;   in Loop: Header=BB255_338 Depth=1
	s_or_b64 exec, exec, s[0:1]
	v_lshrrev_b32_e32 v8, 16, v19
	v_cmp_ne_u16_sdwa s[16:17], v8, v9 src0_sel:BYTE_0 src1_sel:DWORD
	s_and_saveexec_b64 s[0:1], s[16:17]
	s_cbranch_execz .LBB255_381
; %bb.376:                              ;   in Loop: Header=BB255_338 Depth=1
	v_cmp_ne_u16_sdwa s[18:19], v8, s28 src0_sel:BYTE_0 src1_sel:DWORD
	v_mov_b32_e32 v22, 0x8000
	s_and_saveexec_b64 s[16:17], s[18:19]
	s_cbranch_execz .LBB255_380
; %bb.377:                              ;   in Loop: Header=BB255_338 Depth=1
	v_bfe_u32 v25, v19, 16, 7
	v_cmp_ne_u32_e32 vcc, s29, v25
	v_mov_b32_e32 v22, 0x7c01
	s_and_saveexec_b64 s[18:19], vcc
	s_cbranch_execz .LBB255_379
; %bb.378:                              ;   in Loop: Header=BB255_338 Depth=1
	v_and_b32_e32 v22, 7, v8
	v_ffbh_u32_e32 v36, v22
	v_min_u32_e32 v39, 32, v36
	v_subrev_u32_e32 v36, 28, v39
	v_lshlrev_b64 v[36:37], v36, v[8:9]
	v_lshrrev_b32_e32 v38, 3, v25
	v_sub_u32_e32 v37, 29, v39
	v_cmp_gt_u32_e32 vcc, 8, v25
	v_lshlrev_b32_e32 v8, 8, v8
	v_and_b32_e32 v36, 7, v36
	v_cndmask_b32_e32 v25, v38, v37, vcc
	v_lshl_add_u32 v25, v25, 10, v35
	v_and_b32_e32 v25, 0xfc00, v25
	v_cndmask_b32_e32 v22, v22, v36, vcc
	v_and_or_b32 v8, v8, s30, v25
	v_lshl_or_b32 v22, v22, 7, v8
.LBB255_379:                            ;   in Loop: Header=BB255_338 Depth=1
	s_or_b64 exec, exec, s[18:19]
.LBB255_380:                            ;   in Loop: Header=BB255_338 Depth=1
	s_or_b64 exec, exec, s[16:17]
.LBB255_381:                            ;   in Loop: Header=BB255_338 Depth=1
	s_or_b64 exec, exec, s[0:1]
	v_cmp_lt_u64_e32 vcc, s[6:7], v[18:19]
	v_mov_b32_e32 v25, 0
	s_and_saveexec_b64 s[0:1], vcc
	s_cbranch_execz .LBB255_387
; %bb.382:                              ;   in Loop: Header=BB255_338 Depth=1
	v_lshrrev_b32_e32 v8, 24, v19
	v_cmp_ne_u32_e32 vcc, s28, v8
	v_bfrev_b32_e32 v25, 1
	s_and_saveexec_b64 s[16:17], vcc
	s_cbranch_execz .LBB255_386
; %bb.383:                              ;   in Loop: Header=BB255_338 Depth=1
	v_and_b32_e32 v18, 0x7f, v8
	v_cmp_ne_u32_e32 vcc, s29, v18
	v_mov_b32_e32 v25, 0x7c010000
	s_and_saveexec_b64 s[18:19], vcc
	s_cbranch_execz .LBB255_385
; %bb.384:                              ;   in Loop: Header=BB255_338 Depth=1
	v_and_b32_e32 v19, 7, v8
	v_ffbh_u32_e32 v36, v19
	v_min_u32_e32 v38, 32, v36
	v_subrev_u32_e32 v36, 28, v38
	v_lshlrev_b64 v[36:37], v36, v[8:9]
	v_lshrrev_b32_e32 v25, 3, v18
	v_sub_u32_e32 v37, 29, v38
	v_cmp_gt_u32_e32 vcc, 8, v18
	v_lshlrev_b32_e32 v8, 8, v8
	s_nop 0
	v_cndmask_b32_e32 v18, v25, v37, vcc
	v_lshl_add_u32 v18, v18, 10, v35
	v_and_b32_e32 v25, 7, v36
	v_and_or_b32 v8, v8, s30, v18
	v_cndmask_b32_e32 v19, v19, v25, vcc
	v_lshlrev_b32_e32 v8, 16, v8
	v_lshl_or_b32 v25, v19, 23, v8
.LBB255_385:                            ;   in Loop: Header=BB255_338 Depth=1
	s_or_b64 exec, exec, s[18:19]
.LBB255_386:                            ;   in Loop: Header=BB255_338 Depth=1
	s_or_b64 exec, exec, s[16:17]
.LBB255_387:                            ;   in Loop: Header=BB255_338 Depth=1
	s_or_b64 exec, exec, s[0:1]
	v_cvt_f32_f16_sdwa v19, v1 dst_sel:DWORD dst_unused:UNUSED_PAD src0_sel:WORD_1
	v_cvt_f32_f16_sdwa v18, v21 dst_sel:DWORD dst_unused:UNUSED_PAD src0_sel:WORD_1
	v_or_b32_e32 v1, v1, v17
	v_or_b32_e32 v8, v21, v20
	v_cvt_f32_f16_e32 v20, v8
	v_cvt_f32_f16_e32 v21, v1
	s_waitcnt vmcnt(0)
	v_pk_mul_f32 v[18:19], v[16:17], v[18:19] op_sel_hi:[0,1]
	v_cvt_pk_f16_f32 v1, v18, v19
	v_and_b32_e32 v17, 0xffff0000, v1
	v_pk_mul_f32 v[20:21], v[16:17], v[20:21] op_sel_hi:[0,1]
	v_lshlrev_b32_e32 v18, 16, v1
	v_cvt_pk_f16_f32 v1, v20, v21
	v_or_b32_e32 v8, v24, v23
	v_or_b32_e32 v21, v25, v22
	v_cvt_f32_f16_e32 v22, v21
	v_cvt_f32_f16_e32 v23, v8
	v_cvt_f32_f16_sdwa v39, v24 dst_sel:DWORD dst_unused:UNUSED_PAD src0_sel:WORD_1
	v_cvt_f32_f16_sdwa v38, v25 dst_sel:DWORD dst_unused:UNUSED_PAD src0_sel:WORD_1
	v_add_u32_e32 v36, v32, v27
	v_pk_mul_f32 v[22:23], v[16:17], v[22:23] op_sel_hi:[0,1]
	v_cvt_pk_f16_f32 v24, v22, v23
	v_pk_mul_f32 v[22:23], v[16:17], v[38:39] op_sel_hi:[0,1]
	v_cvt_pk_f16_f32 v16, v22, v23
	v_lshrrev_b32_e32 v19, 16, v1
	v_and_b32_e32 v20, 0xffff, v1
	v_and_b32_e32 v21, 0xffff0000, v16
	v_lshlrev_b32_e32 v16, 16, v16
	v_lshrrev_b32_e32 v25, 16, v24
	v_and_b32_e32 v24, 0xffff, v24
	v_cmp_eq_u32_e32 vcc, s35, v26
	v_or_b32_e32 v1, v17, v19
	v_or_b32_e32 v8, v18, v20
	;; [unrolled: 1-line block ×4, first 2 shown]
	v_add_u32_e32 v43, 2, v36
	v_or_b32_e32 v42, 1, v36
	v_or_b32_e32 v41, 3, v36
	;; [unrolled: 1-line block ×6, first 2 shown]
	s_and_saveexec_b64 s[16:17], vcc
	s_cbranch_execz .LBB255_389
; %bb.388:                              ;   in Loop: Header=BB255_338 Depth=1
	v_cmp_gt_i32_e64 s[0:1], s38, v36
	s_nop 1
	v_cndmask_b32_e64 v1, 0, v19, s[0:1]
	v_cmp_gt_i32_e64 s[0:1], s33, v43
	s_nop 1
	v_cndmask_b32_e64 v8, 0, v20, s[0:1]
	;; [unrolled: 3-line block ×3, first 2 shown]
	v_cmp_gt_i32_e64 s[0:1], s33, v41
	v_or_b32_e32 v1, v17, v1
	s_nop 0
	v_cndmask_b32_e64 v18, 0, v18, s[0:1]
	v_cmp_gt_i32_e64 s[0:1], s38, v40
	v_or_b32_e32 v8, v18, v8
	s_nop 0
	v_cndmask_b32_e64 v17, 0, v25, s[0:1]
	v_cmp_gt_i32_e64 s[0:1], s33, v39
	s_nop 1
	v_cndmask_b32_e64 v18, 0, v24, s[0:1]
	v_cmp_gt_i32_e64 s[0:1], s38, v38
	;; [unrolled: 3-line block ×3, first 2 shown]
	v_or_b32_e32 v23, v19, v17
	s_nop 0
	v_cndmask_b32_e64 v16, 0, v16, s[0:1]
	v_or_b32_e32 v22, v16, v18
.LBB255_389:                            ;   in Loop: Header=BB255_338 Depth=1
	s_or_b64 exec, exec, s[16:17]
	v_and_b32_e32 v16, 0xffff, v44
	v_lshl_or_b32 v47, v45, 16, v16
	v_and_b32_e32 v16, 0xffff, v46
	v_lshl_or_b32 v46, v48, 16, v16
	;; [unrolled: 2-line block ×3, first 2 shown]
	v_and_b32_e32 v16, 0xffff, v51
	;;#ASMSTART
	v_pk_mul_f16 v1, v47, v1;

	;;#ASMEND
	v_lshl_or_b32 v44, v52, 16, v16
	;;#ASMSTART
	v_pk_mul_f16 v8, v46, v8;

	;;#ASMEND
	;;#ASMSTART
	v_pk_mul_f16 v16, v45, v23;

	;;#ASMEND
	;; [unrolled: 4-line block ×3, first 2 shown]
	s_nop 0
	;;#ASMSTART
	v_pk_add_f16 v1, v1, v8;

	;;#ASMEND
	s_nop 0
	;;#ASMSTART
	v_pk_add_f16 v1, v1, v16;

	;;#ASMEND
	;; [unrolled: 5-line block ×3, first 2 shown]
	v_mov_b32_e32 v17, 0
	v_lshrrev_b32_e32 v8, 16, v1
	v_and_b32_e32 v1, 0xffff, v1
	;;#ASMSTART
	v_cvt_f32_f16 v48, v1;
	;;#ASMEND
	;;#ASMSTART
	v_cvt_f32_f16 v49, v8;
	;;#ASMEND
	global_load_dwordx2 v[18:19], v[14:15], off offset:512
	v_mov_b32_e32 v1, 0
	global_load_dword v16, v1, s[14:15]
	s_waitcnt vmcnt(1)
	v_cmp_ne_u16_sdwa s[0:1], v18, v9 src0_sel:BYTE_0 src1_sel:DWORD
	s_and_saveexec_b64 s[16:17], s[0:1]
	s_cbranch_execz .LBB255_395
; %bb.390:                              ;   in Loop: Header=BB255_338 Depth=1
	v_cmp_ne_u16_sdwa s[0:1], v18, s28 src0_sel:BYTE_0 src1_sel:DWORD
	v_mov_b32_e32 v17, 0x8000
	s_and_saveexec_b64 s[18:19], s[0:1]
	s_cbranch_execz .LBB255_394
; %bb.391:                              ;   in Loop: Header=BB255_338 Depth=1
	v_and_b32_e32 v8, 0x7f, v18
	v_cmp_ne_u32_e64 s[0:1], s29, v8
	v_mov_b32_e32 v17, 0x7c01
	s_and_saveexec_b64 s[20:21], s[0:1]
	s_cbranch_execz .LBB255_393
; %bb.392:                              ;   in Loop: Header=BB255_338 Depth=1
	v_and_b32_e32 v17, 7, v18
	v_ffbh_u32_e32 v20, v17
	v_min_u32_e32 v23, 32, v20
	v_subrev_u32_e32 v20, 28, v23
	v_lshlrev_b64 v[20:21], v20, v[18:19]
	v_lshrrev_b32_e32 v22, 3, v8
	v_sub_u32_e32 v21, 29, v23
	v_cmp_gt_u32_e64 s[0:1], 8, v8
	v_and_b32_e32 v20, 7, v20
	s_nop 0
	v_cndmask_b32_e64 v8, v22, v21, s[0:1]
	v_lshl_add_u32 v8, v8, 10, v35
	v_lshlrev_b32_e32 v21, 8, v18
	v_and_b32_e32 v8, 0xfc00, v8
	v_cndmask_b32_e64 v17, v17, v20, s[0:1]
	v_and_or_b32 v8, v21, s30, v8
	v_lshl_or_b32 v17, v17, 7, v8
.LBB255_393:                            ;   in Loop: Header=BB255_338 Depth=1
	s_or_b64 exec, exec, s[20:21]
.LBB255_394:                            ;   in Loop: Header=BB255_338 Depth=1
	s_or_b64 exec, exec, s[18:19]
.LBB255_395:                            ;   in Loop: Header=BB255_338 Depth=1
	s_or_b64 exec, exec, s[16:17]
	v_lshrrev_b16_e32 v8, 8, v18
	v_cmp_ne_u16_e64 s[0:1], 0, v8
	s_and_saveexec_b64 s[16:17], s[0:1]
	s_cbranch_execz .LBB255_401
; %bb.396:                              ;   in Loop: Header=BB255_338 Depth=1
	v_cmp_ne_u16_e64 s[0:1], s28, v8
	v_bfrev_b32_e32 v1, 1
	s_and_saveexec_b64 s[18:19], s[0:1]
	s_cbranch_execz .LBB255_400
; %bb.397:                              ;   in Loop: Header=BB255_338 Depth=1
	v_and_b32_e32 v20, 0x7f, v8
	v_cmp_ne_u32_e64 s[0:1], s29, v20
	v_mov_b32_e32 v1, 0x7c010000
	s_and_saveexec_b64 s[20:21], s[0:1]
	s_cbranch_execz .LBB255_399
; %bb.398:                              ;   in Loop: Header=BB255_338 Depth=1
	v_and_b32_e32 v1, 7, v8
	v_ffbh_u32_e32 v22, v1
	v_min_u32_e32 v24, 32, v22
	v_subrev_u32_e32 v22, 28, v24
	v_lshlrev_b64 v[22:23], v22, v[8:9]
	v_lshrrev_b32_e32 v21, 3, v20
	v_sub_u32_e32 v23, 29, v24
	v_cmp_gt_u32_e64 s[0:1], 8, v20
	v_lshlrev_b32_e32 v8, 8, v8
	s_nop 0
	v_cndmask_b32_e64 v20, v21, v23, s[0:1]
	v_lshl_add_u32 v20, v20, 10, v35
	v_and_b32_e32 v21, 7, v22
	v_and_or_b32 v8, v8, s30, v20
	v_cndmask_b32_e64 v1, v1, v21, s[0:1]
	v_lshlrev_b32_e32 v8, 16, v8
	v_lshl_or_b32 v1, v1, 23, v8
.LBB255_399:                            ;   in Loop: Header=BB255_338 Depth=1
	s_or_b64 exec, exec, s[20:21]
.LBB255_400:                            ;   in Loop: Header=BB255_338 Depth=1
	s_or_b64 exec, exec, s[18:19]
.LBB255_401:                            ;   in Loop: Header=BB255_338 Depth=1
	s_or_b64 exec, exec, s[16:17]
	v_lshrrev_b32_e32 v8, 16, v18
	v_cmp_ne_u16_sdwa s[0:1], v8, v9 src0_sel:BYTE_0 src1_sel:DWORD
	v_mov_b32_e32 v21, 0
	v_mov_b32_e32 v20, 0
	s_and_saveexec_b64 s[16:17], s[0:1]
	s_cbranch_execz .LBB255_407
; %bb.402:                              ;   in Loop: Header=BB255_338 Depth=1
	v_cmp_ne_u16_sdwa s[0:1], v8, s28 src0_sel:BYTE_0 src1_sel:DWORD
	v_mov_b32_e32 v20, 0x8000
	s_and_saveexec_b64 s[18:19], s[0:1]
	s_cbranch_execz .LBB255_406
; %bb.403:                              ;   in Loop: Header=BB255_338 Depth=1
	v_bfe_u32 v22, v18, 16, 7
	v_cmp_ne_u32_e64 s[0:1], s29, v22
	v_mov_b32_e32 v20, 0x7c01
	s_and_saveexec_b64 s[20:21], s[0:1]
	s_cbranch_execz .LBB255_405
; %bb.404:                              ;   in Loop: Header=BB255_338 Depth=1
	v_and_b32_e32 v20, 7, v8
	v_ffbh_u32_e32 v24, v20
	v_min_u32_e32 v50, 32, v24
	v_subrev_u32_e32 v24, 28, v50
	v_lshlrev_b64 v[24:25], v24, v[8:9]
	v_lshrrev_b32_e32 v23, 3, v22
	v_sub_u32_e32 v25, 29, v50
	v_cmp_gt_u32_e64 s[0:1], 8, v22
	v_lshlrev_b32_e32 v8, 8, v8
	s_nop 0
	v_cndmask_b32_e64 v22, v23, v25, s[0:1]
	v_lshl_add_u32 v22, v22, 10, v35
	v_and_b32_e32 v23, 7, v24
	v_and_b32_e32 v22, 0xfc00, v22
	v_cndmask_b32_e64 v20, v20, v23, s[0:1]
	v_and_or_b32 v8, v8, s30, v22
	v_lshl_or_b32 v20, v20, 7, v8
.LBB255_405:                            ;   in Loop: Header=BB255_338 Depth=1
	s_or_b64 exec, exec, s[20:21]
.LBB255_406:                            ;   in Loop: Header=BB255_338 Depth=1
	s_or_b64 exec, exec, s[18:19]
.LBB255_407:                            ;   in Loop: Header=BB255_338 Depth=1
	s_or_b64 exec, exec, s[16:17]
	v_cmp_lt_u32_e64 s[0:1], s7, v18
	s_and_saveexec_b64 s[16:17], s[0:1]
	s_cbranch_execz .LBB255_413
; %bb.408:                              ;   in Loop: Header=BB255_338 Depth=1
	v_lshrrev_b32_e32 v8, 24, v18
	v_cmp_ne_u32_e64 s[0:1], s28, v8
	v_bfrev_b32_e32 v21, 1
	s_and_saveexec_b64 s[18:19], s[0:1]
	s_cbranch_execz .LBB255_412
; %bb.409:                              ;   in Loop: Header=BB255_338 Depth=1
	v_and_b32_e32 v22, 0x7f, v8
	v_cmp_ne_u32_e64 s[0:1], s29, v22
	v_mov_b32_e32 v21, 0x7c010000
	s_and_saveexec_b64 s[20:21], s[0:1]
	s_cbranch_execz .LBB255_411
; %bb.410:                              ;   in Loop: Header=BB255_338 Depth=1
	v_and_b32_e32 v21, 7, v8
	v_ffbh_u32_e32 v24, v21
	v_min_u32_e32 v50, 32, v24
	v_subrev_u32_e32 v24, 28, v50
	v_lshlrev_b64 v[24:25], v24, v[8:9]
	v_lshrrev_b32_e32 v23, 3, v22
	v_sub_u32_e32 v25, 29, v50
	v_cmp_gt_u32_e64 s[0:1], 8, v22
	v_lshlrev_b32_e32 v8, 8, v8
	s_nop 0
	v_cndmask_b32_e64 v22, v23, v25, s[0:1]
	v_lshl_add_u32 v22, v22, 10, v35
	v_and_b32_e32 v23, 7, v24
	v_and_or_b32 v8, v8, s30, v22
	v_cndmask_b32_e64 v21, v21, v23, s[0:1]
	v_lshlrev_b32_e32 v8, 16, v8
	v_lshl_or_b32 v21, v21, 23, v8
.LBB255_411:                            ;   in Loop: Header=BB255_338 Depth=1
	s_or_b64 exec, exec, s[20:21]
.LBB255_412:                            ;   in Loop: Header=BB255_338 Depth=1
	s_or_b64 exec, exec, s[18:19]
.LBB255_413:                            ;   in Loop: Header=BB255_338 Depth=1
	s_or_b64 exec, exec, s[16:17]
	v_mov_b32_e32 v8, v19
	v_cmp_ne_u16_sdwa s[0:1], v19, v9 src0_sel:BYTE_0 src1_sel:DWORD
	v_mov_b32_e32 v22, 0
	v_mov_b32_e32 v23, 0
	s_and_saveexec_b64 s[16:17], s[0:1]
	s_cbranch_execz .LBB255_419
; %bb.414:                              ;   in Loop: Header=BB255_338 Depth=1
	v_cmp_ne_u16_sdwa s[0:1], v19, s28 src0_sel:BYTE_0 src1_sel:DWORD
	v_mov_b32_e32 v23, 0x8000
	s_and_saveexec_b64 s[18:19], s[0:1]
	s_cbranch_execz .LBB255_418
; %bb.415:                              ;   in Loop: Header=BB255_338 Depth=1
	v_and_b32_e32 v24, 0x7f, v19
	v_cmp_ne_u32_e64 s[0:1], s29, v24
	v_mov_b32_e32 v23, 0x7c01
	s_and_saveexec_b64 s[20:21], s[0:1]
	s_cbranch_execz .LBB255_417
; %bb.416:                              ;   in Loop: Header=BB255_338 Depth=1
	v_and_b32_e32 v23, 7, v19
	v_ffbh_u32_e32 v50, v23
	v_min_u32_e32 v52, 32, v50
	v_subrev_u32_e32 v50, 28, v52
	v_lshlrev_b64 v[50:51], v50, v[8:9]
	v_lshrrev_b32_e32 v25, 3, v24
	v_sub_u32_e32 v51, 29, v52
	v_cmp_gt_u32_e64 s[0:1], 8, v24
	v_and_b32_e32 v50, 7, v50
	s_nop 0
	v_cndmask_b32_e64 v24, v25, v51, s[0:1]
	v_lshl_add_u32 v24, v24, 10, v35
	v_lshlrev_b32_e32 v25, 8, v19
	v_and_b32_e32 v24, 0xfc00, v24
	v_cndmask_b32_e64 v23, v23, v50, s[0:1]
	v_and_or_b32 v24, v25, s30, v24
	v_lshl_or_b32 v23, v23, 7, v24
.LBB255_417:                            ;   in Loop: Header=BB255_338 Depth=1
	s_or_b64 exec, exec, s[20:21]
.LBB255_418:                            ;   in Loop: Header=BB255_338 Depth=1
	s_or_b64 exec, exec, s[18:19]
.LBB255_419:                            ;   in Loop: Header=BB255_338 Depth=1
	s_or_b64 exec, exec, s[16:17]
	v_lshrrev_b16_e32 v8, 8, v8
	v_cmp_ne_u16_e64 s[0:1], 0, v8
	v_mov_b32_e32 v24, 0
	s_and_saveexec_b64 s[16:17], s[0:1]
	s_cbranch_execz .LBB255_425
; %bb.420:                              ;   in Loop: Header=BB255_338 Depth=1
	v_cmp_ne_u16_e64 s[0:1], s28, v8
	v_bfrev_b32_e32 v24, 1
	s_and_saveexec_b64 s[18:19], s[0:1]
	s_cbranch_execz .LBB255_424
; %bb.421:                              ;   in Loop: Header=BB255_338 Depth=1
	v_and_b32_e32 v25, 0x7f, v8
	v_cmp_ne_u32_e64 s[0:1], s29, v25
	v_mov_b32_e32 v24, 0x7c010000
	s_and_saveexec_b64 s[20:21], s[0:1]
	s_cbranch_execz .LBB255_423
; %bb.422:                              ;   in Loop: Header=BB255_338 Depth=1
	v_and_b32_e32 v24, 7, v8
	v_ffbh_u32_e32 v50, v24
	v_min_u32_e32 v53, 32, v50
	v_subrev_u32_e32 v50, 28, v53
	v_lshlrev_b64 v[50:51], v50, v[8:9]
	v_lshrrev_b32_e32 v52, 3, v25
	v_sub_u32_e32 v51, 29, v53
	v_cmp_gt_u32_e64 s[0:1], 8, v25
	v_lshlrev_b32_e32 v8, 8, v8
	v_and_b32_e32 v50, 7, v50
	v_cndmask_b32_e64 v25, v52, v51, s[0:1]
	v_lshl_add_u32 v25, v25, 10, v35
	v_and_or_b32 v8, v8, s30, v25
	v_cndmask_b32_e64 v24, v24, v50, s[0:1]
	v_lshlrev_b32_e32 v8, 16, v8
	v_lshl_or_b32 v24, v24, 23, v8
.LBB255_423:                            ;   in Loop: Header=BB255_338 Depth=1
	s_or_b64 exec, exec, s[20:21]
.LBB255_424:                            ;   in Loop: Header=BB255_338 Depth=1
	s_or_b64 exec, exec, s[18:19]
.LBB255_425:                            ;   in Loop: Header=BB255_338 Depth=1
	s_or_b64 exec, exec, s[16:17]
	v_lshrrev_b32_e32 v8, 16, v19
	v_cmp_ne_u16_sdwa s[0:1], v8, v9 src0_sel:BYTE_0 src1_sel:DWORD
	s_and_saveexec_b64 s[16:17], s[0:1]
	s_cbranch_execz .LBB255_431
; %bb.426:                              ;   in Loop: Header=BB255_338 Depth=1
	v_cmp_ne_u16_sdwa s[0:1], v8, s28 src0_sel:BYTE_0 src1_sel:DWORD
	v_mov_b32_e32 v22, 0x8000
	s_and_saveexec_b64 s[18:19], s[0:1]
	s_cbranch_execz .LBB255_430
; %bb.427:                              ;   in Loop: Header=BB255_338 Depth=1
	v_bfe_u32 v25, v19, 16, 7
	v_cmp_ne_u32_e64 s[0:1], s29, v25
	v_mov_b32_e32 v22, 0x7c01
	s_and_saveexec_b64 s[20:21], s[0:1]
	s_cbranch_execz .LBB255_429
; %bb.428:                              ;   in Loop: Header=BB255_338 Depth=1
	v_and_b32_e32 v22, 7, v8
	v_ffbh_u32_e32 v50, v22
	v_min_u32_e32 v53, 32, v50
	v_subrev_u32_e32 v50, 28, v53
	v_lshlrev_b64 v[50:51], v50, v[8:9]
	v_lshrrev_b32_e32 v52, 3, v25
	v_sub_u32_e32 v51, 29, v53
	v_cmp_gt_u32_e64 s[0:1], 8, v25
	v_lshlrev_b32_e32 v8, 8, v8
	v_and_b32_e32 v50, 7, v50
	v_cndmask_b32_e64 v25, v52, v51, s[0:1]
	v_lshl_add_u32 v25, v25, 10, v35
	v_and_b32_e32 v25, 0xfc00, v25
	v_cndmask_b32_e64 v22, v22, v50, s[0:1]
	v_and_or_b32 v8, v8, s30, v25
	v_lshl_or_b32 v22, v22, 7, v8
.LBB255_429:                            ;   in Loop: Header=BB255_338 Depth=1
	s_or_b64 exec, exec, s[20:21]
.LBB255_430:                            ;   in Loop: Header=BB255_338 Depth=1
	s_or_b64 exec, exec, s[18:19]
.LBB255_431:                            ;   in Loop: Header=BB255_338 Depth=1
	s_or_b64 exec, exec, s[16:17]
	v_cmp_lt_u64_e64 s[0:1], s[6:7], v[18:19]
	v_mov_b32_e32 v18, 0
	s_and_saveexec_b64 s[16:17], s[0:1]
	s_cbranch_execz .LBB255_437
; %bb.432:                              ;   in Loop: Header=BB255_338 Depth=1
	v_lshrrev_b32_e32 v8, 24, v19
	v_cmp_ne_u32_e64 s[0:1], s28, v8
	v_bfrev_b32_e32 v18, 1
	s_and_saveexec_b64 s[18:19], s[0:1]
	s_cbranch_execz .LBB255_436
; %bb.433:                              ;   in Loop: Header=BB255_338 Depth=1
	v_and_b32_e32 v19, 0x7f, v8
	v_cmp_ne_u32_e64 s[0:1], s29, v19
	v_mov_b32_e32 v18, 0x7c010000
	s_and_saveexec_b64 s[20:21], s[0:1]
	s_cbranch_execz .LBB255_435
; %bb.434:                              ;   in Loop: Header=BB255_338 Depth=1
	v_and_b32_e32 v18, 7, v8
	v_ffbh_u32_e32 v50, v18
	v_min_u32_e32 v52, 32, v50
	v_subrev_u32_e32 v50, 28, v52
	v_lshlrev_b64 v[50:51], v50, v[8:9]
	v_lshrrev_b32_e32 v25, 3, v19
	v_sub_u32_e32 v51, 29, v52
	v_cmp_gt_u32_e64 s[0:1], 8, v19
	v_lshlrev_b32_e32 v8, 8, v8
	s_nop 0
	v_cndmask_b32_e64 v19, v25, v51, s[0:1]
	v_lshl_add_u32 v19, v19, 10, v35
	v_and_b32_e32 v25, 7, v50
	v_and_or_b32 v8, v8, s30, v19
	v_cndmask_b32_e64 v18, v18, v25, s[0:1]
	v_lshlrev_b32_e32 v8, 16, v8
	v_lshl_or_b32 v18, v18, 23, v8
.LBB255_435:                            ;   in Loop: Header=BB255_338 Depth=1
	s_or_b64 exec, exec, s[20:21]
.LBB255_436:                            ;   in Loop: Header=BB255_338 Depth=1
	s_or_b64 exec, exec, s[18:19]
.LBB255_437:                            ;   in Loop: Header=BB255_338 Depth=1
	s_or_b64 exec, exec, s[16:17]
	v_cvt_f32_f16_sdwa v51, v1 dst_sel:DWORD dst_unused:UNUSED_PAD src0_sel:WORD_1
	v_cvt_f32_f16_sdwa v50, v21 dst_sel:DWORD dst_unused:UNUSED_PAD src0_sel:WORD_1
	v_or_b32_e32 v1, v1, v17
	v_or_b32_e32 v8, v21, v20
	;; [unrolled: 1-line block ×3, first 2 shown]
	s_waitcnt vmcnt(0)
	v_pk_mul_f32 v[20:21], v[16:17], v[50:51] op_sel_hi:[0,1]
	v_cvt_f32_f16_e32 v50, v8
	v_cvt_f32_f16_e32 v51, v1
	v_cvt_pk_f16_f32 v1, v20, v21
	v_and_b32_e32 v17, 0xffff0000, v1
	v_lshlrev_b32_e32 v8, 16, v1
	v_pk_mul_f32 v[20:21], v[16:17], v[50:51] op_sel_hi:[0,1]
	v_cvt_pk_f16_f32 v1, v20, v21
	v_or_b32_e32 v21, v24, v23
	v_cvt_f32_f16_e32 v22, v22
	v_cvt_f32_f16_e32 v23, v21
	v_cvt_f32_f16_sdwa v25, v24 dst_sel:DWORD dst_unused:UNUSED_PAD src0_sel:WORD_1
	v_cvt_f32_f16_sdwa v24, v18 dst_sel:DWORD dst_unused:UNUSED_PAD src0_sel:WORD_1
	v_lshrrev_b32_e32 v19, 16, v1
	v_pk_mul_f32 v[22:23], v[16:17], v[22:23] op_sel_hi:[0,1]
	v_cvt_pk_f16_f32 v50, v22, v23
	v_pk_mul_f32 v[22:23], v[16:17], v[24:25] op_sel_hi:[0,1]
	v_cvt_pk_f16_f32 v16, v22, v23
	v_and_b32_e32 v20, 0xffff, v1
	v_and_b32_e32 v21, 0xffff0000, v16
	v_lshlrev_b32_e32 v16, 16, v16
	v_lshrrev_b32_e32 v23, 16, v50
	v_and_b32_e32 v22, 0xffff, v50
	v_or_b32_e32 v1, v17, v19
	v_or_b32_e32 v18, v8, v20
	;; [unrolled: 1-line block ×4, first 2 shown]
	s_and_saveexec_b64 s[16:17], vcc
	s_cbranch_execz .LBB255_439
; %bb.438:                              ;   in Loop: Header=BB255_338 Depth=1
	v_cmp_gt_i32_e64 s[0:1], s38, v36
	s_nop 1
	v_cndmask_b32_e64 v1, 0, v19, s[0:1]
	v_cmp_gt_i32_e64 s[0:1], s33, v43
	s_nop 1
	v_cndmask_b32_e64 v18, 0, v20, s[0:1]
	v_cmp_gt_i32_e64 s[0:1], s38, v42
	s_nop 1
	v_cndmask_b32_e64 v17, 0, v17, s[0:1]
	v_cmp_gt_i32_e64 s[0:1], s33, v41
	v_or_b32_e32 v1, v17, v1
	s_nop 0
	v_cndmask_b32_e64 v8, 0, v8, s[0:1]
	v_cmp_gt_i32_e64 s[0:1], s38, v40
	v_or_b32_e32 v18, v8, v18
	s_nop 0
	v_cndmask_b32_e64 v8, 0, v23, s[0:1]
	v_cmp_gt_i32_e64 s[0:1], s33, v39
	s_nop 1
	v_cndmask_b32_e64 v17, 0, v22, s[0:1]
	v_cmp_gt_i32_e64 s[0:1], s38, v38
	;; [unrolled: 3-line block ×3, first 2 shown]
	v_or_b32_e32 v25, v19, v8
	s_nop 0
	v_cndmask_b32_e64 v16, 0, v16, s[0:1]
	v_or_b32_e32 v24, v16, v17
.LBB255_439:                            ;   in Loop: Header=BB255_338 Depth=1
	s_or_b64 exec, exec, s[16:17]
	;;#ASMSTART
	v_pk_mul_f16 v1, v47, v1;

	;;#ASMEND
	;;#ASMSTART
	v_pk_mul_f16 v8, v46, v18;

	;;#ASMEND
	;; [unrolled: 4-line block ×4, first 2 shown]
	s_nop 0
	;;#ASMSTART
	v_pk_add_f16 v1, v1, v8;

	;;#ASMEND
	s_nop 0
	;;#ASMSTART
	v_pk_add_f16 v1, v1, v16;

	;;#ASMEND
	;; [unrolled: 5-line block ×3, first 2 shown]
	v_mov_b32_e32 v17, 0
	v_lshrrev_b32_e32 v8, 16, v1
	v_and_b32_e32 v1, 0xffff, v1
	;;#ASMSTART
	v_cvt_f32_f16 v50, v1;
	;;#ASMEND
	;;#ASMSTART
	v_cvt_f32_f16 v51, v8;
	;;#ASMEND
	global_load_dwordx2 v[18:19], v[14:15], off offset:1024
	v_mov_b32_e32 v1, 0
	global_load_dword v16, v1, s[14:15]
	s_waitcnt vmcnt(1)
	v_cmp_ne_u16_sdwa s[0:1], v18, v9 src0_sel:BYTE_0 src1_sel:DWORD
	s_and_saveexec_b64 s[16:17], s[0:1]
	s_cbranch_execz .LBB255_445
; %bb.440:                              ;   in Loop: Header=BB255_338 Depth=1
	v_cmp_ne_u16_sdwa s[0:1], v18, s28 src0_sel:BYTE_0 src1_sel:DWORD
	v_mov_b32_e32 v17, 0x8000
	s_and_saveexec_b64 s[18:19], s[0:1]
	s_cbranch_execz .LBB255_444
; %bb.441:                              ;   in Loop: Header=BB255_338 Depth=1
	v_and_b32_e32 v8, 0x7f, v18
	v_cmp_ne_u32_e64 s[0:1], s29, v8
	v_mov_b32_e32 v17, 0x7c01
	s_and_saveexec_b64 s[20:21], s[0:1]
	s_cbranch_execz .LBB255_443
; %bb.442:                              ;   in Loop: Header=BB255_338 Depth=1
	v_and_b32_e32 v17, 7, v18
	v_ffbh_u32_e32 v20, v17
	v_min_u32_e32 v23, 32, v20
	v_subrev_u32_e32 v20, 28, v23
	v_lshlrev_b64 v[20:21], v20, v[18:19]
	v_lshrrev_b32_e32 v22, 3, v8
	v_sub_u32_e32 v21, 29, v23
	v_cmp_gt_u32_e64 s[0:1], 8, v8
	v_and_b32_e32 v20, 7, v20
	s_nop 0
	v_cndmask_b32_e64 v8, v22, v21, s[0:1]
	v_lshl_add_u32 v8, v8, 10, v35
	v_lshlrev_b32_e32 v21, 8, v18
	v_and_b32_e32 v8, 0xfc00, v8
	v_cndmask_b32_e64 v17, v17, v20, s[0:1]
	v_and_or_b32 v8, v21, s30, v8
	v_lshl_or_b32 v17, v17, 7, v8
.LBB255_443:                            ;   in Loop: Header=BB255_338 Depth=1
	s_or_b64 exec, exec, s[20:21]
.LBB255_444:                            ;   in Loop: Header=BB255_338 Depth=1
	s_or_b64 exec, exec, s[18:19]
.LBB255_445:                            ;   in Loop: Header=BB255_338 Depth=1
	s_or_b64 exec, exec, s[16:17]
	v_lshrrev_b16_e32 v8, 8, v18
	v_cmp_ne_u16_e64 s[0:1], 0, v8
	s_and_saveexec_b64 s[16:17], s[0:1]
	s_cbranch_execz .LBB255_451
; %bb.446:                              ;   in Loop: Header=BB255_338 Depth=1
	v_cmp_ne_u16_e64 s[0:1], s28, v8
	v_bfrev_b32_e32 v1, 1
	s_and_saveexec_b64 s[18:19], s[0:1]
	s_cbranch_execz .LBB255_450
; %bb.447:                              ;   in Loop: Header=BB255_338 Depth=1
	v_and_b32_e32 v20, 0x7f, v8
	v_cmp_ne_u32_e64 s[0:1], s29, v20
	v_mov_b32_e32 v1, 0x7c010000
	s_and_saveexec_b64 s[20:21], s[0:1]
	s_cbranch_execz .LBB255_449
; %bb.448:                              ;   in Loop: Header=BB255_338 Depth=1
	v_and_b32_e32 v1, 7, v8
	v_ffbh_u32_e32 v22, v1
	v_min_u32_e32 v24, 32, v22
	v_subrev_u32_e32 v22, 28, v24
	v_lshlrev_b64 v[22:23], v22, v[8:9]
	v_lshrrev_b32_e32 v21, 3, v20
	v_sub_u32_e32 v23, 29, v24
	v_cmp_gt_u32_e64 s[0:1], 8, v20
	v_lshlrev_b32_e32 v8, 8, v8
	s_nop 0
	v_cndmask_b32_e64 v20, v21, v23, s[0:1]
	v_lshl_add_u32 v20, v20, 10, v35
	v_and_b32_e32 v21, 7, v22
	v_and_or_b32 v8, v8, s30, v20
	v_cndmask_b32_e64 v1, v1, v21, s[0:1]
	v_lshlrev_b32_e32 v8, 16, v8
	v_lshl_or_b32 v1, v1, 23, v8
.LBB255_449:                            ;   in Loop: Header=BB255_338 Depth=1
	s_or_b64 exec, exec, s[20:21]
.LBB255_450:                            ;   in Loop: Header=BB255_338 Depth=1
	s_or_b64 exec, exec, s[18:19]
.LBB255_451:                            ;   in Loop: Header=BB255_338 Depth=1
	s_or_b64 exec, exec, s[16:17]
	v_lshrrev_b32_e32 v8, 16, v18
	v_cmp_ne_u16_sdwa s[0:1], v8, v9 src0_sel:BYTE_0 src1_sel:DWORD
	v_mov_b32_e32 v21, 0
	v_mov_b32_e32 v20, 0
	s_and_saveexec_b64 s[16:17], s[0:1]
	s_cbranch_execz .LBB255_457
; %bb.452:                              ;   in Loop: Header=BB255_338 Depth=1
	v_cmp_ne_u16_sdwa s[0:1], v8, s28 src0_sel:BYTE_0 src1_sel:DWORD
	v_mov_b32_e32 v20, 0x8000
	s_and_saveexec_b64 s[18:19], s[0:1]
	s_cbranch_execz .LBB255_456
; %bb.453:                              ;   in Loop: Header=BB255_338 Depth=1
	v_bfe_u32 v22, v18, 16, 7
	v_cmp_ne_u32_e64 s[0:1], s29, v22
	v_mov_b32_e32 v20, 0x7c01
	s_and_saveexec_b64 s[20:21], s[0:1]
	s_cbranch_execz .LBB255_455
; %bb.454:                              ;   in Loop: Header=BB255_338 Depth=1
	v_and_b32_e32 v20, 7, v8
	v_ffbh_u32_e32 v24, v20
	v_min_u32_e32 v52, 32, v24
	v_subrev_u32_e32 v24, 28, v52
	v_lshlrev_b64 v[24:25], v24, v[8:9]
	v_lshrrev_b32_e32 v23, 3, v22
	v_sub_u32_e32 v25, 29, v52
	v_cmp_gt_u32_e64 s[0:1], 8, v22
	v_lshlrev_b32_e32 v8, 8, v8
	s_nop 0
	v_cndmask_b32_e64 v22, v23, v25, s[0:1]
	v_lshl_add_u32 v22, v22, 10, v35
	v_and_b32_e32 v23, 7, v24
	v_and_b32_e32 v22, 0xfc00, v22
	v_cndmask_b32_e64 v20, v20, v23, s[0:1]
	v_and_or_b32 v8, v8, s30, v22
	v_lshl_or_b32 v20, v20, 7, v8
.LBB255_455:                            ;   in Loop: Header=BB255_338 Depth=1
	s_or_b64 exec, exec, s[20:21]
.LBB255_456:                            ;   in Loop: Header=BB255_338 Depth=1
	s_or_b64 exec, exec, s[18:19]
.LBB255_457:                            ;   in Loop: Header=BB255_338 Depth=1
	s_or_b64 exec, exec, s[16:17]
	v_cmp_lt_u32_e64 s[0:1], s7, v18
	s_and_saveexec_b64 s[16:17], s[0:1]
	s_cbranch_execz .LBB255_463
; %bb.458:                              ;   in Loop: Header=BB255_338 Depth=1
	v_lshrrev_b32_e32 v8, 24, v18
	v_cmp_ne_u32_e64 s[0:1], s28, v8
	v_bfrev_b32_e32 v21, 1
	s_and_saveexec_b64 s[18:19], s[0:1]
	s_cbranch_execz .LBB255_462
; %bb.459:                              ;   in Loop: Header=BB255_338 Depth=1
	v_and_b32_e32 v22, 0x7f, v8
	v_cmp_ne_u32_e64 s[0:1], s29, v22
	v_mov_b32_e32 v21, 0x7c010000
	s_and_saveexec_b64 s[20:21], s[0:1]
	s_cbranch_execz .LBB255_461
; %bb.460:                              ;   in Loop: Header=BB255_338 Depth=1
	v_and_b32_e32 v21, 7, v8
	v_ffbh_u32_e32 v24, v21
	v_min_u32_e32 v52, 32, v24
	v_subrev_u32_e32 v24, 28, v52
	v_lshlrev_b64 v[24:25], v24, v[8:9]
	v_lshrrev_b32_e32 v23, 3, v22
	v_sub_u32_e32 v25, 29, v52
	v_cmp_gt_u32_e64 s[0:1], 8, v22
	v_lshlrev_b32_e32 v8, 8, v8
	s_nop 0
	v_cndmask_b32_e64 v22, v23, v25, s[0:1]
	v_lshl_add_u32 v22, v22, 10, v35
	v_and_b32_e32 v23, 7, v24
	v_and_or_b32 v8, v8, s30, v22
	v_cndmask_b32_e64 v21, v21, v23, s[0:1]
	v_lshlrev_b32_e32 v8, 16, v8
	v_lshl_or_b32 v21, v21, 23, v8
.LBB255_461:                            ;   in Loop: Header=BB255_338 Depth=1
	s_or_b64 exec, exec, s[20:21]
.LBB255_462:                            ;   in Loop: Header=BB255_338 Depth=1
	s_or_b64 exec, exec, s[18:19]
.LBB255_463:                            ;   in Loop: Header=BB255_338 Depth=1
	s_or_b64 exec, exec, s[16:17]
	v_mov_b32_e32 v8, v19
	v_cmp_ne_u16_sdwa s[0:1], v19, v9 src0_sel:BYTE_0 src1_sel:DWORD
	v_mov_b32_e32 v22, 0
	v_mov_b32_e32 v23, 0
	s_and_saveexec_b64 s[16:17], s[0:1]
	s_cbranch_execz .LBB255_469
; %bb.464:                              ;   in Loop: Header=BB255_338 Depth=1
	v_cmp_ne_u16_sdwa s[0:1], v19, s28 src0_sel:BYTE_0 src1_sel:DWORD
	v_mov_b32_e32 v23, 0x8000
	s_and_saveexec_b64 s[18:19], s[0:1]
	s_cbranch_execz .LBB255_468
; %bb.465:                              ;   in Loop: Header=BB255_338 Depth=1
	v_and_b32_e32 v24, 0x7f, v19
	v_cmp_ne_u32_e64 s[0:1], s29, v24
	v_mov_b32_e32 v23, 0x7c01
	s_and_saveexec_b64 s[20:21], s[0:1]
	s_cbranch_execz .LBB255_467
; %bb.466:                              ;   in Loop: Header=BB255_338 Depth=1
	v_and_b32_e32 v23, 7, v19
	v_ffbh_u32_e32 v52, v23
	v_min_u32_e32 v54, 32, v52
	v_subrev_u32_e32 v52, 28, v54
	v_lshlrev_b64 v[52:53], v52, v[8:9]
	v_lshrrev_b32_e32 v25, 3, v24
	v_sub_u32_e32 v53, 29, v54
	v_cmp_gt_u32_e64 s[0:1], 8, v24
	v_and_b32_e32 v52, 7, v52
	s_nop 0
	v_cndmask_b32_e64 v24, v25, v53, s[0:1]
	v_lshl_add_u32 v24, v24, 10, v35
	v_lshlrev_b32_e32 v25, 8, v19
	v_and_b32_e32 v24, 0xfc00, v24
	v_cndmask_b32_e64 v23, v23, v52, s[0:1]
	v_and_or_b32 v24, v25, s30, v24
	v_lshl_or_b32 v23, v23, 7, v24
.LBB255_467:                            ;   in Loop: Header=BB255_338 Depth=1
	s_or_b64 exec, exec, s[20:21]
.LBB255_468:                            ;   in Loop: Header=BB255_338 Depth=1
	s_or_b64 exec, exec, s[18:19]
.LBB255_469:                            ;   in Loop: Header=BB255_338 Depth=1
	s_or_b64 exec, exec, s[16:17]
	v_lshrrev_b16_e32 v8, 8, v8
	v_cmp_ne_u16_e64 s[0:1], 0, v8
	v_mov_b32_e32 v24, 0
	s_and_saveexec_b64 s[16:17], s[0:1]
	s_cbranch_execz .LBB255_475
; %bb.470:                              ;   in Loop: Header=BB255_338 Depth=1
	v_cmp_ne_u16_e64 s[0:1], s28, v8
	v_bfrev_b32_e32 v24, 1
	s_and_saveexec_b64 s[18:19], s[0:1]
	s_cbranch_execz .LBB255_474
; %bb.471:                              ;   in Loop: Header=BB255_338 Depth=1
	v_and_b32_e32 v25, 0x7f, v8
	v_cmp_ne_u32_e64 s[0:1], s29, v25
	v_mov_b32_e32 v24, 0x7c010000
	s_and_saveexec_b64 s[20:21], s[0:1]
	s_cbranch_execz .LBB255_473
; %bb.472:                              ;   in Loop: Header=BB255_338 Depth=1
	v_and_b32_e32 v24, 7, v8
	v_ffbh_u32_e32 v52, v24
	v_min_u32_e32 v55, 32, v52
	v_subrev_u32_e32 v52, 28, v55
	v_lshlrev_b64 v[52:53], v52, v[8:9]
	v_lshrrev_b32_e32 v54, 3, v25
	v_sub_u32_e32 v53, 29, v55
	v_cmp_gt_u32_e64 s[0:1], 8, v25
	v_lshlrev_b32_e32 v8, 8, v8
	v_and_b32_e32 v52, 7, v52
	v_cndmask_b32_e64 v25, v54, v53, s[0:1]
	v_lshl_add_u32 v25, v25, 10, v35
	v_and_or_b32 v8, v8, s30, v25
	v_cndmask_b32_e64 v24, v24, v52, s[0:1]
	v_lshlrev_b32_e32 v8, 16, v8
	v_lshl_or_b32 v24, v24, 23, v8
.LBB255_473:                            ;   in Loop: Header=BB255_338 Depth=1
	s_or_b64 exec, exec, s[20:21]
.LBB255_474:                            ;   in Loop: Header=BB255_338 Depth=1
	s_or_b64 exec, exec, s[18:19]
.LBB255_475:                            ;   in Loop: Header=BB255_338 Depth=1
	s_or_b64 exec, exec, s[16:17]
	v_lshrrev_b32_e32 v8, 16, v19
	v_cmp_ne_u16_sdwa s[0:1], v8, v9 src0_sel:BYTE_0 src1_sel:DWORD
	s_and_saveexec_b64 s[16:17], s[0:1]
	s_cbranch_execz .LBB255_481
; %bb.476:                              ;   in Loop: Header=BB255_338 Depth=1
	v_cmp_ne_u16_sdwa s[0:1], v8, s28 src0_sel:BYTE_0 src1_sel:DWORD
	v_mov_b32_e32 v22, 0x8000
	s_and_saveexec_b64 s[18:19], s[0:1]
	s_cbranch_execz .LBB255_480
; %bb.477:                              ;   in Loop: Header=BB255_338 Depth=1
	v_bfe_u32 v25, v19, 16, 7
	v_cmp_ne_u32_e64 s[0:1], s29, v25
	v_mov_b32_e32 v22, 0x7c01
	s_and_saveexec_b64 s[20:21], s[0:1]
	s_cbranch_execz .LBB255_479
; %bb.478:                              ;   in Loop: Header=BB255_338 Depth=1
	v_and_b32_e32 v22, 7, v8
	v_ffbh_u32_e32 v52, v22
	v_min_u32_e32 v55, 32, v52
	v_subrev_u32_e32 v52, 28, v55
	v_lshlrev_b64 v[52:53], v52, v[8:9]
	v_lshrrev_b32_e32 v54, 3, v25
	v_sub_u32_e32 v53, 29, v55
	v_cmp_gt_u32_e64 s[0:1], 8, v25
	v_lshlrev_b32_e32 v8, 8, v8
	v_and_b32_e32 v52, 7, v52
	v_cndmask_b32_e64 v25, v54, v53, s[0:1]
	v_lshl_add_u32 v25, v25, 10, v35
	v_and_b32_e32 v25, 0xfc00, v25
	v_cndmask_b32_e64 v22, v22, v52, s[0:1]
	v_and_or_b32 v8, v8, s30, v25
	v_lshl_or_b32 v22, v22, 7, v8
.LBB255_479:                            ;   in Loop: Header=BB255_338 Depth=1
	s_or_b64 exec, exec, s[20:21]
.LBB255_480:                            ;   in Loop: Header=BB255_338 Depth=1
	s_or_b64 exec, exec, s[18:19]
.LBB255_481:                            ;   in Loop: Header=BB255_338 Depth=1
	s_or_b64 exec, exec, s[16:17]
	v_cmp_lt_u64_e64 s[0:1], s[6:7], v[18:19]
	v_mov_b32_e32 v18, 0
	s_and_saveexec_b64 s[16:17], s[0:1]
	s_cbranch_execz .LBB255_487
; %bb.482:                              ;   in Loop: Header=BB255_338 Depth=1
	v_lshrrev_b32_e32 v8, 24, v19
	v_cmp_ne_u32_e64 s[0:1], s28, v8
	v_bfrev_b32_e32 v18, 1
	s_and_saveexec_b64 s[18:19], s[0:1]
	s_cbranch_execz .LBB255_486
; %bb.483:                              ;   in Loop: Header=BB255_338 Depth=1
	v_and_b32_e32 v19, 0x7f, v8
	v_cmp_ne_u32_e64 s[0:1], s29, v19
	v_mov_b32_e32 v18, 0x7c010000
	s_and_saveexec_b64 s[20:21], s[0:1]
	s_cbranch_execz .LBB255_485
; %bb.484:                              ;   in Loop: Header=BB255_338 Depth=1
	v_and_b32_e32 v18, 7, v8
	v_ffbh_u32_e32 v52, v18
	v_min_u32_e32 v54, 32, v52
	v_subrev_u32_e32 v52, 28, v54
	v_lshlrev_b64 v[52:53], v52, v[8:9]
	v_lshrrev_b32_e32 v25, 3, v19
	v_sub_u32_e32 v53, 29, v54
	v_cmp_gt_u32_e64 s[0:1], 8, v19
	v_lshlrev_b32_e32 v8, 8, v8
	s_nop 0
	v_cndmask_b32_e64 v19, v25, v53, s[0:1]
	v_lshl_add_u32 v19, v19, 10, v35
	v_and_b32_e32 v25, 7, v52
	v_and_or_b32 v8, v8, s30, v19
	v_cndmask_b32_e64 v18, v18, v25, s[0:1]
	v_lshlrev_b32_e32 v8, 16, v8
	v_lshl_or_b32 v18, v18, 23, v8
.LBB255_485:                            ;   in Loop: Header=BB255_338 Depth=1
	s_or_b64 exec, exec, s[20:21]
.LBB255_486:                            ;   in Loop: Header=BB255_338 Depth=1
	s_or_b64 exec, exec, s[18:19]
.LBB255_487:                            ;   in Loop: Header=BB255_338 Depth=1
	s_or_b64 exec, exec, s[16:17]
	v_cvt_f32_f16_sdwa v53, v1 dst_sel:DWORD dst_unused:UNUSED_PAD src0_sel:WORD_1
	v_cvt_f32_f16_sdwa v52, v21 dst_sel:DWORD dst_unused:UNUSED_PAD src0_sel:WORD_1
	v_or_b32_e32 v1, v1, v17
	v_or_b32_e32 v8, v21, v20
	;; [unrolled: 1-line block ×3, first 2 shown]
	s_waitcnt vmcnt(0)
	v_pk_mul_f32 v[20:21], v[16:17], v[52:53] op_sel_hi:[0,1]
	v_cvt_f32_f16_e32 v52, v8
	v_cvt_f32_f16_e32 v53, v1
	v_cvt_pk_f16_f32 v1, v20, v21
	v_and_b32_e32 v17, 0xffff0000, v1
	v_lshlrev_b32_e32 v8, 16, v1
	v_pk_mul_f32 v[20:21], v[16:17], v[52:53] op_sel_hi:[0,1]
	v_cvt_pk_f16_f32 v1, v20, v21
	v_or_b32_e32 v21, v24, v23
	v_cvt_f32_f16_e32 v22, v22
	v_cvt_f32_f16_e32 v23, v21
	v_cvt_f32_f16_sdwa v25, v24 dst_sel:DWORD dst_unused:UNUSED_PAD src0_sel:WORD_1
	v_cvt_f32_f16_sdwa v24, v18 dst_sel:DWORD dst_unused:UNUSED_PAD src0_sel:WORD_1
	v_lshrrev_b32_e32 v19, 16, v1
	v_pk_mul_f32 v[22:23], v[16:17], v[22:23] op_sel_hi:[0,1]
	v_cvt_pk_f16_f32 v52, v22, v23
	v_pk_mul_f32 v[22:23], v[16:17], v[24:25] op_sel_hi:[0,1]
	v_cvt_pk_f16_f32 v16, v22, v23
	v_and_b32_e32 v20, 0xffff, v1
	v_and_b32_e32 v21, 0xffff0000, v16
	v_lshlrev_b32_e32 v16, 16, v16
	v_lshrrev_b32_e32 v23, 16, v52
	v_and_b32_e32 v22, 0xffff, v52
	v_or_b32_e32 v1, v17, v19
	v_or_b32_e32 v18, v8, v20
	;; [unrolled: 1-line block ×4, first 2 shown]
	s_and_saveexec_b64 s[16:17], vcc
	s_cbranch_execz .LBB255_489
; %bb.488:                              ;   in Loop: Header=BB255_338 Depth=1
	v_cmp_gt_i32_e64 s[0:1], s38, v36
	s_nop 1
	v_cndmask_b32_e64 v1, 0, v19, s[0:1]
	v_cmp_gt_i32_e64 s[0:1], s33, v43
	s_nop 1
	v_cndmask_b32_e64 v18, 0, v20, s[0:1]
	v_cmp_gt_i32_e64 s[0:1], s38, v42
	s_nop 1
	v_cndmask_b32_e64 v17, 0, v17, s[0:1]
	v_cmp_gt_i32_e64 s[0:1], s33, v41
	v_or_b32_e32 v1, v17, v1
	s_nop 0
	v_cndmask_b32_e64 v8, 0, v8, s[0:1]
	v_cmp_gt_i32_e64 s[0:1], s38, v40
	v_or_b32_e32 v18, v8, v18
	s_nop 0
	v_cndmask_b32_e64 v8, 0, v23, s[0:1]
	v_cmp_gt_i32_e64 s[0:1], s33, v39
	s_nop 1
	v_cndmask_b32_e64 v17, 0, v22, s[0:1]
	v_cmp_gt_i32_e64 s[0:1], s38, v38
	;; [unrolled: 3-line block ×3, first 2 shown]
	v_or_b32_e32 v25, v19, v8
	s_nop 0
	v_cndmask_b32_e64 v16, 0, v16, s[0:1]
	v_or_b32_e32 v24, v16, v17
.LBB255_489:                            ;   in Loop: Header=BB255_338 Depth=1
	s_or_b64 exec, exec, s[16:17]
	;;#ASMSTART
	v_pk_mul_f16 v1, v47, v1;

	;;#ASMEND
	;;#ASMSTART
	v_pk_mul_f16 v8, v46, v18;

	;;#ASMEND
	;; [unrolled: 4-line block ×4, first 2 shown]
	s_nop 0
	;;#ASMSTART
	v_pk_add_f16 v1, v1, v8;

	;;#ASMEND
	s_nop 0
	;;#ASMSTART
	v_pk_add_f16 v1, v1, v16;

	;;#ASMEND
	;; [unrolled: 5-line block ×3, first 2 shown]
	v_mov_b32_e32 v17, 0
	v_lshrrev_b32_e32 v8, 16, v1
	v_and_b32_e32 v1, 0xffff, v1
	;;#ASMSTART
	v_cvt_f32_f16 v52, v1;
	;;#ASMEND
	;;#ASMSTART
	v_cvt_f32_f16 v53, v8;
	;;#ASMEND
	global_load_dwordx2 v[18:19], v[14:15], off offset:1536
	v_mov_b32_e32 v1, 0
	global_load_dword v16, v1, s[14:15]
	s_waitcnt vmcnt(1)
	v_cmp_ne_u16_sdwa s[0:1], v18, v9 src0_sel:BYTE_0 src1_sel:DWORD
	s_and_saveexec_b64 s[16:17], s[0:1]
	s_cbranch_execz .LBB255_495
; %bb.490:                              ;   in Loop: Header=BB255_338 Depth=1
	v_cmp_ne_u16_sdwa s[0:1], v18, s28 src0_sel:BYTE_0 src1_sel:DWORD
	v_mov_b32_e32 v17, 0x8000
	s_and_saveexec_b64 s[18:19], s[0:1]
	s_cbranch_execz .LBB255_494
; %bb.491:                              ;   in Loop: Header=BB255_338 Depth=1
	v_and_b32_e32 v8, 0x7f, v18
	v_cmp_ne_u32_e64 s[0:1], s29, v8
	v_mov_b32_e32 v17, 0x7c01
	s_and_saveexec_b64 s[20:21], s[0:1]
	s_cbranch_execz .LBB255_493
; %bb.492:                              ;   in Loop: Header=BB255_338 Depth=1
	v_and_b32_e32 v17, 7, v18
	v_ffbh_u32_e32 v20, v17
	v_min_u32_e32 v23, 32, v20
	v_subrev_u32_e32 v20, 28, v23
	v_lshlrev_b64 v[20:21], v20, v[18:19]
	v_lshrrev_b32_e32 v22, 3, v8
	v_sub_u32_e32 v21, 29, v23
	v_cmp_gt_u32_e64 s[0:1], 8, v8
	v_and_b32_e32 v20, 7, v20
	s_nop 0
	v_cndmask_b32_e64 v8, v22, v21, s[0:1]
	v_lshl_add_u32 v8, v8, 10, v35
	v_lshlrev_b32_e32 v21, 8, v18
	v_and_b32_e32 v8, 0xfc00, v8
	v_cndmask_b32_e64 v17, v17, v20, s[0:1]
	v_and_or_b32 v8, v21, s30, v8
	v_lshl_or_b32 v17, v17, 7, v8
.LBB255_493:                            ;   in Loop: Header=BB255_338 Depth=1
	s_or_b64 exec, exec, s[20:21]
.LBB255_494:                            ;   in Loop: Header=BB255_338 Depth=1
	s_or_b64 exec, exec, s[18:19]
.LBB255_495:                            ;   in Loop: Header=BB255_338 Depth=1
	s_or_b64 exec, exec, s[16:17]
	v_lshrrev_b16_e32 v8, 8, v18
	v_cmp_ne_u16_e64 s[0:1], 0, v8
	s_and_saveexec_b64 s[16:17], s[0:1]
	s_cbranch_execz .LBB255_501
; %bb.496:                              ;   in Loop: Header=BB255_338 Depth=1
	v_cmp_ne_u16_e64 s[0:1], s28, v8
	v_bfrev_b32_e32 v1, 1
	s_and_saveexec_b64 s[18:19], s[0:1]
	s_cbranch_execz .LBB255_500
; %bb.497:                              ;   in Loop: Header=BB255_338 Depth=1
	v_and_b32_e32 v20, 0x7f, v8
	v_cmp_ne_u32_e64 s[0:1], s29, v20
	v_mov_b32_e32 v1, 0x7c010000
	s_and_saveexec_b64 s[20:21], s[0:1]
	s_cbranch_execz .LBB255_499
; %bb.498:                              ;   in Loop: Header=BB255_338 Depth=1
	v_and_b32_e32 v1, 7, v8
	v_ffbh_u32_e32 v22, v1
	v_min_u32_e32 v24, 32, v22
	v_subrev_u32_e32 v22, 28, v24
	v_lshlrev_b64 v[22:23], v22, v[8:9]
	v_lshrrev_b32_e32 v21, 3, v20
	v_sub_u32_e32 v23, 29, v24
	v_cmp_gt_u32_e64 s[0:1], 8, v20
	v_lshlrev_b32_e32 v8, 8, v8
	s_nop 0
	v_cndmask_b32_e64 v20, v21, v23, s[0:1]
	v_lshl_add_u32 v20, v20, 10, v35
	v_and_b32_e32 v21, 7, v22
	v_and_or_b32 v8, v8, s30, v20
	v_cndmask_b32_e64 v1, v1, v21, s[0:1]
	v_lshlrev_b32_e32 v8, 16, v8
	v_lshl_or_b32 v1, v1, 23, v8
.LBB255_499:                            ;   in Loop: Header=BB255_338 Depth=1
	s_or_b64 exec, exec, s[20:21]
.LBB255_500:                            ;   in Loop: Header=BB255_338 Depth=1
	s_or_b64 exec, exec, s[18:19]
.LBB255_501:                            ;   in Loop: Header=BB255_338 Depth=1
	s_or_b64 exec, exec, s[16:17]
	v_lshrrev_b32_e32 v8, 16, v18
	v_cmp_ne_u16_sdwa s[0:1], v8, v9 src0_sel:BYTE_0 src1_sel:DWORD
	v_mov_b32_e32 v21, 0
	v_mov_b32_e32 v20, 0
	s_and_saveexec_b64 s[16:17], s[0:1]
	s_cbranch_execz .LBB255_507
; %bb.502:                              ;   in Loop: Header=BB255_338 Depth=1
	v_cmp_ne_u16_sdwa s[0:1], v8, s28 src0_sel:BYTE_0 src1_sel:DWORD
	v_mov_b32_e32 v20, 0x8000
	s_and_saveexec_b64 s[18:19], s[0:1]
	s_cbranch_execz .LBB255_506
; %bb.503:                              ;   in Loop: Header=BB255_338 Depth=1
	v_bfe_u32 v22, v18, 16, 7
	v_cmp_ne_u32_e64 s[0:1], s29, v22
	v_mov_b32_e32 v20, 0x7c01
	s_and_saveexec_b64 s[20:21], s[0:1]
	s_cbranch_execz .LBB255_505
; %bb.504:                              ;   in Loop: Header=BB255_338 Depth=1
	v_and_b32_e32 v20, 7, v8
	v_ffbh_u32_e32 v24, v20
	v_min_u32_e32 v54, 32, v24
	v_subrev_u32_e32 v24, 28, v54
	v_lshlrev_b64 v[24:25], v24, v[8:9]
	v_lshrrev_b32_e32 v23, 3, v22
	v_sub_u32_e32 v25, 29, v54
	v_cmp_gt_u32_e64 s[0:1], 8, v22
	v_lshlrev_b32_e32 v8, 8, v8
	s_nop 0
	v_cndmask_b32_e64 v22, v23, v25, s[0:1]
	v_lshl_add_u32 v22, v22, 10, v35
	v_and_b32_e32 v23, 7, v24
	v_and_b32_e32 v22, 0xfc00, v22
	v_cndmask_b32_e64 v20, v20, v23, s[0:1]
	v_and_or_b32 v8, v8, s30, v22
	v_lshl_or_b32 v20, v20, 7, v8
.LBB255_505:                            ;   in Loop: Header=BB255_338 Depth=1
	s_or_b64 exec, exec, s[20:21]
.LBB255_506:                            ;   in Loop: Header=BB255_338 Depth=1
	s_or_b64 exec, exec, s[18:19]
.LBB255_507:                            ;   in Loop: Header=BB255_338 Depth=1
	s_or_b64 exec, exec, s[16:17]
	v_cmp_lt_u32_e64 s[0:1], s7, v18
	s_and_saveexec_b64 s[16:17], s[0:1]
	s_cbranch_execz .LBB255_513
; %bb.508:                              ;   in Loop: Header=BB255_338 Depth=1
	v_lshrrev_b32_e32 v8, 24, v18
	v_cmp_ne_u32_e64 s[0:1], s28, v8
	v_bfrev_b32_e32 v21, 1
	s_and_saveexec_b64 s[18:19], s[0:1]
	s_cbranch_execz .LBB255_512
; %bb.509:                              ;   in Loop: Header=BB255_338 Depth=1
	v_and_b32_e32 v22, 0x7f, v8
	v_cmp_ne_u32_e64 s[0:1], s29, v22
	v_mov_b32_e32 v21, 0x7c010000
	s_and_saveexec_b64 s[20:21], s[0:1]
	s_cbranch_execz .LBB255_511
; %bb.510:                              ;   in Loop: Header=BB255_338 Depth=1
	v_and_b32_e32 v21, 7, v8
	v_ffbh_u32_e32 v24, v21
	v_min_u32_e32 v54, 32, v24
	v_subrev_u32_e32 v24, 28, v54
	v_lshlrev_b64 v[24:25], v24, v[8:9]
	v_lshrrev_b32_e32 v23, 3, v22
	v_sub_u32_e32 v25, 29, v54
	v_cmp_gt_u32_e64 s[0:1], 8, v22
	v_lshlrev_b32_e32 v8, 8, v8
	s_nop 0
	v_cndmask_b32_e64 v22, v23, v25, s[0:1]
	v_lshl_add_u32 v22, v22, 10, v35
	v_and_b32_e32 v23, 7, v24
	v_and_or_b32 v8, v8, s30, v22
	v_cndmask_b32_e64 v21, v21, v23, s[0:1]
	v_lshlrev_b32_e32 v8, 16, v8
	v_lshl_or_b32 v21, v21, 23, v8
.LBB255_511:                            ;   in Loop: Header=BB255_338 Depth=1
	s_or_b64 exec, exec, s[20:21]
.LBB255_512:                            ;   in Loop: Header=BB255_338 Depth=1
	s_or_b64 exec, exec, s[18:19]
.LBB255_513:                            ;   in Loop: Header=BB255_338 Depth=1
	s_or_b64 exec, exec, s[16:17]
	v_mov_b32_e32 v8, v19
	v_cmp_ne_u16_sdwa s[0:1], v19, v9 src0_sel:BYTE_0 src1_sel:DWORD
	v_mov_b32_e32 v22, 0
	v_mov_b32_e32 v23, 0
	s_and_saveexec_b64 s[16:17], s[0:1]
	s_cbranch_execz .LBB255_519
; %bb.514:                              ;   in Loop: Header=BB255_338 Depth=1
	v_cmp_ne_u16_sdwa s[0:1], v19, s28 src0_sel:BYTE_0 src1_sel:DWORD
	v_mov_b32_e32 v23, 0x8000
	s_and_saveexec_b64 s[18:19], s[0:1]
	s_cbranch_execz .LBB255_518
; %bb.515:                              ;   in Loop: Header=BB255_338 Depth=1
	v_and_b32_e32 v24, 0x7f, v19
	v_cmp_ne_u32_e64 s[0:1], s29, v24
	v_mov_b32_e32 v23, 0x7c01
	s_and_saveexec_b64 s[20:21], s[0:1]
	s_cbranch_execz .LBB255_517
; %bb.516:                              ;   in Loop: Header=BB255_338 Depth=1
	v_and_b32_e32 v23, 7, v19
	v_ffbh_u32_e32 v54, v23
	v_min_u32_e32 v56, 32, v54
	v_subrev_u32_e32 v54, 28, v56
	v_lshlrev_b64 v[54:55], v54, v[8:9]
	v_lshrrev_b32_e32 v25, 3, v24
	v_sub_u32_e32 v55, 29, v56
	v_cmp_gt_u32_e64 s[0:1], 8, v24
	v_and_b32_e32 v54, 7, v54
	s_nop 0
	v_cndmask_b32_e64 v24, v25, v55, s[0:1]
	v_lshl_add_u32 v24, v24, 10, v35
	v_lshlrev_b32_e32 v25, 8, v19
	v_and_b32_e32 v24, 0xfc00, v24
	v_cndmask_b32_e64 v23, v23, v54, s[0:1]
	v_and_or_b32 v24, v25, s30, v24
	v_lshl_or_b32 v23, v23, 7, v24
.LBB255_517:                            ;   in Loop: Header=BB255_338 Depth=1
	s_or_b64 exec, exec, s[20:21]
.LBB255_518:                            ;   in Loop: Header=BB255_338 Depth=1
	s_or_b64 exec, exec, s[18:19]
.LBB255_519:                            ;   in Loop: Header=BB255_338 Depth=1
	s_or_b64 exec, exec, s[16:17]
	v_lshrrev_b16_e32 v8, 8, v8
	v_cmp_ne_u16_e64 s[0:1], 0, v8
	v_mov_b32_e32 v24, 0
	s_and_saveexec_b64 s[16:17], s[0:1]
	s_cbranch_execz .LBB255_525
; %bb.520:                              ;   in Loop: Header=BB255_338 Depth=1
	v_cmp_ne_u16_e64 s[0:1], s28, v8
	v_bfrev_b32_e32 v24, 1
	s_and_saveexec_b64 s[18:19], s[0:1]
	s_cbranch_execz .LBB255_524
; %bb.521:                              ;   in Loop: Header=BB255_338 Depth=1
	v_and_b32_e32 v25, 0x7f, v8
	v_cmp_ne_u32_e64 s[0:1], s29, v25
	v_mov_b32_e32 v24, 0x7c010000
	s_and_saveexec_b64 s[20:21], s[0:1]
	s_cbranch_execz .LBB255_523
; %bb.522:                              ;   in Loop: Header=BB255_338 Depth=1
	v_and_b32_e32 v24, 7, v8
	v_ffbh_u32_e32 v54, v24
	v_min_u32_e32 v57, 32, v54
	v_subrev_u32_e32 v54, 28, v57
	v_lshlrev_b64 v[54:55], v54, v[8:9]
	v_lshrrev_b32_e32 v56, 3, v25
	v_sub_u32_e32 v55, 29, v57
	v_cmp_gt_u32_e64 s[0:1], 8, v25
	v_lshlrev_b32_e32 v8, 8, v8
	v_and_b32_e32 v54, 7, v54
	v_cndmask_b32_e64 v25, v56, v55, s[0:1]
	v_lshl_add_u32 v25, v25, 10, v35
	v_and_or_b32 v8, v8, s30, v25
	v_cndmask_b32_e64 v24, v24, v54, s[0:1]
	v_lshlrev_b32_e32 v8, 16, v8
	v_lshl_or_b32 v24, v24, 23, v8
.LBB255_523:                            ;   in Loop: Header=BB255_338 Depth=1
	s_or_b64 exec, exec, s[20:21]
.LBB255_524:                            ;   in Loop: Header=BB255_338 Depth=1
	s_or_b64 exec, exec, s[18:19]
.LBB255_525:                            ;   in Loop: Header=BB255_338 Depth=1
	s_or_b64 exec, exec, s[16:17]
	v_lshrrev_b32_e32 v8, 16, v19
	v_cmp_ne_u16_sdwa s[0:1], v8, v9 src0_sel:BYTE_0 src1_sel:DWORD
	s_and_saveexec_b64 s[16:17], s[0:1]
	s_cbranch_execz .LBB255_531
; %bb.526:                              ;   in Loop: Header=BB255_338 Depth=1
	v_cmp_ne_u16_sdwa s[0:1], v8, s28 src0_sel:BYTE_0 src1_sel:DWORD
	v_mov_b32_e32 v22, 0x8000
	s_and_saveexec_b64 s[18:19], s[0:1]
	s_cbranch_execz .LBB255_530
; %bb.527:                              ;   in Loop: Header=BB255_338 Depth=1
	v_bfe_u32 v25, v19, 16, 7
	v_cmp_ne_u32_e64 s[0:1], s29, v25
	v_mov_b32_e32 v22, 0x7c01
	s_and_saveexec_b64 s[20:21], s[0:1]
	s_cbranch_execz .LBB255_529
; %bb.528:                              ;   in Loop: Header=BB255_338 Depth=1
	v_and_b32_e32 v22, 7, v8
	v_ffbh_u32_e32 v54, v22
	v_min_u32_e32 v57, 32, v54
	v_subrev_u32_e32 v54, 28, v57
	v_lshlrev_b64 v[54:55], v54, v[8:9]
	v_lshrrev_b32_e32 v56, 3, v25
	v_sub_u32_e32 v55, 29, v57
	v_cmp_gt_u32_e64 s[0:1], 8, v25
	v_lshlrev_b32_e32 v8, 8, v8
	v_and_b32_e32 v54, 7, v54
	v_cndmask_b32_e64 v25, v56, v55, s[0:1]
	v_lshl_add_u32 v25, v25, 10, v35
	v_and_b32_e32 v25, 0xfc00, v25
	v_cndmask_b32_e64 v22, v22, v54, s[0:1]
	v_and_or_b32 v8, v8, s30, v25
	v_lshl_or_b32 v22, v22, 7, v8
.LBB255_529:                            ;   in Loop: Header=BB255_338 Depth=1
	s_or_b64 exec, exec, s[20:21]
.LBB255_530:                            ;   in Loop: Header=BB255_338 Depth=1
	s_or_b64 exec, exec, s[18:19]
.LBB255_531:                            ;   in Loop: Header=BB255_338 Depth=1
	s_or_b64 exec, exec, s[16:17]
	v_cmp_lt_u64_e64 s[0:1], s[6:7], v[18:19]
	v_mov_b32_e32 v18, 0
	s_and_saveexec_b64 s[16:17], s[0:1]
	s_cbranch_execz .LBB255_537
; %bb.532:                              ;   in Loop: Header=BB255_338 Depth=1
	v_lshrrev_b32_e32 v8, 24, v19
	v_cmp_ne_u32_e64 s[0:1], s28, v8
	v_bfrev_b32_e32 v18, 1
	s_and_saveexec_b64 s[18:19], s[0:1]
	s_cbranch_execz .LBB255_536
; %bb.533:                              ;   in Loop: Header=BB255_338 Depth=1
	v_and_b32_e32 v19, 0x7f, v8
	v_cmp_ne_u32_e64 s[0:1], s29, v19
	v_mov_b32_e32 v18, 0x7c010000
	s_and_saveexec_b64 s[20:21], s[0:1]
	s_cbranch_execz .LBB255_535
; %bb.534:                              ;   in Loop: Header=BB255_338 Depth=1
	v_and_b32_e32 v18, 7, v8
	v_ffbh_u32_e32 v54, v18
	v_min_u32_e32 v56, 32, v54
	v_subrev_u32_e32 v54, 28, v56
	v_lshlrev_b64 v[54:55], v54, v[8:9]
	v_lshrrev_b32_e32 v25, 3, v19
	v_sub_u32_e32 v55, 29, v56
	v_cmp_gt_u32_e64 s[0:1], 8, v19
	v_lshlrev_b32_e32 v8, 8, v8
	s_nop 0
	v_cndmask_b32_e64 v19, v25, v55, s[0:1]
	v_lshl_add_u32 v19, v19, 10, v35
	v_and_b32_e32 v25, 7, v54
	v_and_or_b32 v8, v8, s30, v19
	v_cndmask_b32_e64 v18, v18, v25, s[0:1]
	v_lshlrev_b32_e32 v8, 16, v8
	v_lshl_or_b32 v18, v18, 23, v8
.LBB255_535:                            ;   in Loop: Header=BB255_338 Depth=1
	s_or_b64 exec, exec, s[20:21]
.LBB255_536:                            ;   in Loop: Header=BB255_338 Depth=1
	s_or_b64 exec, exec, s[18:19]
.LBB255_537:                            ;   in Loop: Header=BB255_338 Depth=1
	s_or_b64 exec, exec, s[16:17]
	v_cvt_f32_f16_sdwa v55, v1 dst_sel:DWORD dst_unused:UNUSED_PAD src0_sel:WORD_1
	v_cvt_f32_f16_sdwa v54, v21 dst_sel:DWORD dst_unused:UNUSED_PAD src0_sel:WORD_1
	v_or_b32_e32 v1, v1, v17
	v_or_b32_e32 v8, v21, v20
	;; [unrolled: 1-line block ×3, first 2 shown]
	s_waitcnt vmcnt(0)
	v_pk_mul_f32 v[20:21], v[16:17], v[54:55] op_sel_hi:[0,1]
	v_cvt_f32_f16_e32 v54, v8
	v_cvt_f32_f16_e32 v55, v1
	v_cvt_pk_f16_f32 v1, v20, v21
	v_and_b32_e32 v17, 0xffff0000, v1
	v_lshlrev_b32_e32 v8, 16, v1
	v_pk_mul_f32 v[20:21], v[16:17], v[54:55] op_sel_hi:[0,1]
	v_cvt_pk_f16_f32 v1, v20, v21
	v_or_b32_e32 v21, v24, v23
	v_cvt_f32_f16_e32 v22, v22
	v_cvt_f32_f16_e32 v23, v21
	v_cvt_f32_f16_sdwa v25, v24 dst_sel:DWORD dst_unused:UNUSED_PAD src0_sel:WORD_1
	v_cvt_f32_f16_sdwa v24, v18 dst_sel:DWORD dst_unused:UNUSED_PAD src0_sel:WORD_1
	v_lshrrev_b32_e32 v19, 16, v1
	v_pk_mul_f32 v[22:23], v[16:17], v[22:23] op_sel_hi:[0,1]
	v_cvt_pk_f16_f32 v54, v22, v23
	v_pk_mul_f32 v[22:23], v[16:17], v[24:25] op_sel_hi:[0,1]
	v_cvt_pk_f16_f32 v16, v22, v23
	v_and_b32_e32 v20, 0xffff, v1
	v_and_b32_e32 v21, 0xffff0000, v16
	v_lshlrev_b32_e32 v16, 16, v16
	v_lshrrev_b32_e32 v23, 16, v54
	v_and_b32_e32 v22, 0xffff, v54
	v_or_b32_e32 v1, v17, v19
	v_or_b32_e32 v18, v8, v20
	;; [unrolled: 1-line block ×4, first 2 shown]
	s_and_saveexec_b64 s[16:17], vcc
	s_cbranch_execz .LBB255_539
; %bb.538:                              ;   in Loop: Header=BB255_338 Depth=1
	v_cmp_gt_i32_e64 s[0:1], s38, v36
	s_nop 1
	v_cndmask_b32_e64 v1, 0, v19, s[0:1]
	v_cmp_gt_i32_e64 s[0:1], s33, v43
	s_nop 1
	v_cndmask_b32_e64 v18, 0, v20, s[0:1]
	v_cmp_gt_i32_e64 s[0:1], s38, v42
	s_nop 1
	v_cndmask_b32_e64 v17, 0, v17, s[0:1]
	v_cmp_gt_i32_e64 s[0:1], s33, v41
	v_or_b32_e32 v1, v17, v1
	s_nop 0
	v_cndmask_b32_e64 v8, 0, v8, s[0:1]
	v_cmp_gt_i32_e64 s[0:1], s38, v40
	v_or_b32_e32 v18, v8, v18
	s_nop 0
	v_cndmask_b32_e64 v8, 0, v23, s[0:1]
	v_cmp_gt_i32_e64 s[0:1], s33, v39
	s_nop 1
	v_cndmask_b32_e64 v17, 0, v22, s[0:1]
	v_cmp_gt_i32_e64 s[0:1], s38, v38
	;; [unrolled: 3-line block ×3, first 2 shown]
	v_or_b32_e32 v25, v19, v8
	s_nop 0
	v_cndmask_b32_e64 v16, 0, v16, s[0:1]
	v_or_b32_e32 v24, v16, v17
.LBB255_539:                            ;   in Loop: Header=BB255_338 Depth=1
	s_or_b64 exec, exec, s[16:17]
	;;#ASMSTART
	v_pk_mul_f16 v1, v47, v1;

	;;#ASMEND
	;;#ASMSTART
	v_pk_mul_f16 v8, v46, v18;

	;;#ASMEND
	;; [unrolled: 4-line block ×4, first 2 shown]
	s_nop 0
	;;#ASMSTART
	v_pk_add_f16 v1, v1, v8;

	;;#ASMEND
	s_nop 0
	;;#ASMSTART
	v_pk_add_f16 v1, v1, v16;

	;;#ASMEND
	;; [unrolled: 5-line block ×3, first 2 shown]
	v_mov_b32_e32 v17, 0
	v_lshrrev_b32_e32 v8, 16, v1
	v_and_b32_e32 v1, 0xffff, v1
	;;#ASMSTART
	v_cvt_f32_f16 v54, v1;
	;;#ASMEND
	;;#ASMSTART
	v_cvt_f32_f16 v55, v8;
	;;#ASMEND
	global_load_dwordx2 v[18:19], v[14:15], off offset:2048
	v_mov_b32_e32 v1, 0
	global_load_dword v16, v1, s[14:15]
	s_waitcnt vmcnt(1)
	v_cmp_ne_u16_sdwa s[0:1], v18, v9 src0_sel:BYTE_0 src1_sel:DWORD
	s_and_saveexec_b64 s[16:17], s[0:1]
	s_cbranch_execz .LBB255_545
; %bb.540:                              ;   in Loop: Header=BB255_338 Depth=1
	v_cmp_ne_u16_sdwa s[0:1], v18, s28 src0_sel:BYTE_0 src1_sel:DWORD
	v_mov_b32_e32 v17, 0x8000
	s_and_saveexec_b64 s[18:19], s[0:1]
	s_cbranch_execz .LBB255_544
; %bb.541:                              ;   in Loop: Header=BB255_338 Depth=1
	v_and_b32_e32 v8, 0x7f, v18
	v_cmp_ne_u32_e64 s[0:1], s29, v8
	v_mov_b32_e32 v17, 0x7c01
	s_and_saveexec_b64 s[20:21], s[0:1]
	s_cbranch_execz .LBB255_543
; %bb.542:                              ;   in Loop: Header=BB255_338 Depth=1
	v_and_b32_e32 v17, 7, v18
	v_ffbh_u32_e32 v20, v17
	v_min_u32_e32 v23, 32, v20
	v_subrev_u32_e32 v20, 28, v23
	v_lshlrev_b64 v[20:21], v20, v[18:19]
	v_lshrrev_b32_e32 v22, 3, v8
	v_sub_u32_e32 v21, 29, v23
	v_cmp_gt_u32_e64 s[0:1], 8, v8
	v_and_b32_e32 v20, 7, v20
	s_nop 0
	v_cndmask_b32_e64 v8, v22, v21, s[0:1]
	v_lshl_add_u32 v8, v8, 10, v35
	v_lshlrev_b32_e32 v21, 8, v18
	v_and_b32_e32 v8, 0xfc00, v8
	v_cndmask_b32_e64 v17, v17, v20, s[0:1]
	v_and_or_b32 v8, v21, s30, v8
	v_lshl_or_b32 v17, v17, 7, v8
.LBB255_543:                            ;   in Loop: Header=BB255_338 Depth=1
	s_or_b64 exec, exec, s[20:21]
.LBB255_544:                            ;   in Loop: Header=BB255_338 Depth=1
	s_or_b64 exec, exec, s[18:19]
.LBB255_545:                            ;   in Loop: Header=BB255_338 Depth=1
	s_or_b64 exec, exec, s[16:17]
	v_lshrrev_b16_e32 v8, 8, v18
	v_cmp_ne_u16_e64 s[0:1], 0, v8
	s_and_saveexec_b64 s[16:17], s[0:1]
	s_cbranch_execz .LBB255_551
; %bb.546:                              ;   in Loop: Header=BB255_338 Depth=1
	v_cmp_ne_u16_e64 s[0:1], s28, v8
	v_bfrev_b32_e32 v1, 1
	s_and_saveexec_b64 s[18:19], s[0:1]
	s_cbranch_execz .LBB255_550
; %bb.547:                              ;   in Loop: Header=BB255_338 Depth=1
	v_and_b32_e32 v20, 0x7f, v8
	v_cmp_ne_u32_e64 s[0:1], s29, v20
	v_mov_b32_e32 v1, 0x7c010000
	s_and_saveexec_b64 s[20:21], s[0:1]
	s_cbranch_execz .LBB255_549
; %bb.548:                              ;   in Loop: Header=BB255_338 Depth=1
	v_and_b32_e32 v1, 7, v8
	v_ffbh_u32_e32 v22, v1
	v_min_u32_e32 v24, 32, v22
	v_subrev_u32_e32 v22, 28, v24
	v_lshlrev_b64 v[22:23], v22, v[8:9]
	v_lshrrev_b32_e32 v21, 3, v20
	v_sub_u32_e32 v23, 29, v24
	v_cmp_gt_u32_e64 s[0:1], 8, v20
	v_lshlrev_b32_e32 v8, 8, v8
	s_nop 0
	v_cndmask_b32_e64 v20, v21, v23, s[0:1]
	v_lshl_add_u32 v20, v20, 10, v35
	v_and_b32_e32 v21, 7, v22
	v_and_or_b32 v8, v8, s30, v20
	v_cndmask_b32_e64 v1, v1, v21, s[0:1]
	v_lshlrev_b32_e32 v8, 16, v8
	v_lshl_or_b32 v1, v1, 23, v8
.LBB255_549:                            ;   in Loop: Header=BB255_338 Depth=1
	s_or_b64 exec, exec, s[20:21]
.LBB255_550:                            ;   in Loop: Header=BB255_338 Depth=1
	s_or_b64 exec, exec, s[18:19]
.LBB255_551:                            ;   in Loop: Header=BB255_338 Depth=1
	s_or_b64 exec, exec, s[16:17]
	v_lshrrev_b32_e32 v8, 16, v18
	v_cmp_ne_u16_sdwa s[0:1], v8, v9 src0_sel:BYTE_0 src1_sel:DWORD
	v_mov_b32_e32 v21, 0
	v_mov_b32_e32 v20, 0
	s_and_saveexec_b64 s[16:17], s[0:1]
	s_cbranch_execz .LBB255_557
; %bb.552:                              ;   in Loop: Header=BB255_338 Depth=1
	v_cmp_ne_u16_sdwa s[0:1], v8, s28 src0_sel:BYTE_0 src1_sel:DWORD
	v_mov_b32_e32 v20, 0x8000
	s_and_saveexec_b64 s[18:19], s[0:1]
	s_cbranch_execz .LBB255_556
; %bb.553:                              ;   in Loop: Header=BB255_338 Depth=1
	v_bfe_u32 v22, v18, 16, 7
	v_cmp_ne_u32_e64 s[0:1], s29, v22
	v_mov_b32_e32 v20, 0x7c01
	s_and_saveexec_b64 s[20:21], s[0:1]
	s_cbranch_execz .LBB255_555
; %bb.554:                              ;   in Loop: Header=BB255_338 Depth=1
	v_and_b32_e32 v20, 7, v8
	v_ffbh_u32_e32 v24, v20
	v_min_u32_e32 v56, 32, v24
	v_subrev_u32_e32 v24, 28, v56
	v_lshlrev_b64 v[24:25], v24, v[8:9]
	v_lshrrev_b32_e32 v23, 3, v22
	v_sub_u32_e32 v25, 29, v56
	v_cmp_gt_u32_e64 s[0:1], 8, v22
	v_lshlrev_b32_e32 v8, 8, v8
	s_nop 0
	v_cndmask_b32_e64 v22, v23, v25, s[0:1]
	v_lshl_add_u32 v22, v22, 10, v35
	v_and_b32_e32 v23, 7, v24
	v_and_b32_e32 v22, 0xfc00, v22
	v_cndmask_b32_e64 v20, v20, v23, s[0:1]
	v_and_or_b32 v8, v8, s30, v22
	v_lshl_or_b32 v20, v20, 7, v8
.LBB255_555:                            ;   in Loop: Header=BB255_338 Depth=1
	s_or_b64 exec, exec, s[20:21]
.LBB255_556:                            ;   in Loop: Header=BB255_338 Depth=1
	s_or_b64 exec, exec, s[18:19]
.LBB255_557:                            ;   in Loop: Header=BB255_338 Depth=1
	s_or_b64 exec, exec, s[16:17]
	v_cmp_lt_u32_e64 s[0:1], s7, v18
	s_and_saveexec_b64 s[16:17], s[0:1]
	s_cbranch_execz .LBB255_563
; %bb.558:                              ;   in Loop: Header=BB255_338 Depth=1
	v_lshrrev_b32_e32 v8, 24, v18
	v_cmp_ne_u32_e64 s[0:1], s28, v8
	v_bfrev_b32_e32 v21, 1
	s_and_saveexec_b64 s[18:19], s[0:1]
	s_cbranch_execz .LBB255_562
; %bb.559:                              ;   in Loop: Header=BB255_338 Depth=1
	v_and_b32_e32 v22, 0x7f, v8
	v_cmp_ne_u32_e64 s[0:1], s29, v22
	v_mov_b32_e32 v21, 0x7c010000
	s_and_saveexec_b64 s[20:21], s[0:1]
	s_cbranch_execz .LBB255_561
; %bb.560:                              ;   in Loop: Header=BB255_338 Depth=1
	v_and_b32_e32 v21, 7, v8
	v_ffbh_u32_e32 v24, v21
	v_min_u32_e32 v56, 32, v24
	v_subrev_u32_e32 v24, 28, v56
	v_lshlrev_b64 v[24:25], v24, v[8:9]
	v_lshrrev_b32_e32 v23, 3, v22
	v_sub_u32_e32 v25, 29, v56
	v_cmp_gt_u32_e64 s[0:1], 8, v22
	v_lshlrev_b32_e32 v8, 8, v8
	s_nop 0
	v_cndmask_b32_e64 v22, v23, v25, s[0:1]
	v_lshl_add_u32 v22, v22, 10, v35
	v_and_b32_e32 v23, 7, v24
	v_and_or_b32 v8, v8, s30, v22
	v_cndmask_b32_e64 v21, v21, v23, s[0:1]
	v_lshlrev_b32_e32 v8, 16, v8
	v_lshl_or_b32 v21, v21, 23, v8
.LBB255_561:                            ;   in Loop: Header=BB255_338 Depth=1
	s_or_b64 exec, exec, s[20:21]
.LBB255_562:                            ;   in Loop: Header=BB255_338 Depth=1
	s_or_b64 exec, exec, s[18:19]
.LBB255_563:                            ;   in Loop: Header=BB255_338 Depth=1
	s_or_b64 exec, exec, s[16:17]
	v_mov_b32_e32 v8, v19
	v_cmp_ne_u16_sdwa s[0:1], v19, v9 src0_sel:BYTE_0 src1_sel:DWORD
	v_mov_b32_e32 v22, 0
	v_mov_b32_e32 v23, 0
	s_and_saveexec_b64 s[16:17], s[0:1]
	s_cbranch_execz .LBB255_569
; %bb.564:                              ;   in Loop: Header=BB255_338 Depth=1
	v_cmp_ne_u16_sdwa s[0:1], v19, s28 src0_sel:BYTE_0 src1_sel:DWORD
	v_mov_b32_e32 v23, 0x8000
	s_and_saveexec_b64 s[18:19], s[0:1]
	s_cbranch_execz .LBB255_568
; %bb.565:                              ;   in Loop: Header=BB255_338 Depth=1
	v_and_b32_e32 v24, 0x7f, v19
	v_cmp_ne_u32_e64 s[0:1], s29, v24
	v_mov_b32_e32 v23, 0x7c01
	s_and_saveexec_b64 s[20:21], s[0:1]
	s_cbranch_execz .LBB255_567
; %bb.566:                              ;   in Loop: Header=BB255_338 Depth=1
	v_and_b32_e32 v23, 7, v19
	v_ffbh_u32_e32 v56, v23
	v_min_u32_e32 v58, 32, v56
	v_subrev_u32_e32 v56, 28, v58
	v_lshlrev_b64 v[56:57], v56, v[8:9]
	v_lshrrev_b32_e32 v25, 3, v24
	v_sub_u32_e32 v57, 29, v58
	v_cmp_gt_u32_e64 s[0:1], 8, v24
	v_and_b32_e32 v56, 7, v56
	s_nop 0
	v_cndmask_b32_e64 v24, v25, v57, s[0:1]
	v_lshl_add_u32 v24, v24, 10, v35
	v_lshlrev_b32_e32 v25, 8, v19
	v_and_b32_e32 v24, 0xfc00, v24
	v_cndmask_b32_e64 v23, v23, v56, s[0:1]
	v_and_or_b32 v24, v25, s30, v24
	v_lshl_or_b32 v23, v23, 7, v24
.LBB255_567:                            ;   in Loop: Header=BB255_338 Depth=1
	s_or_b64 exec, exec, s[20:21]
.LBB255_568:                            ;   in Loop: Header=BB255_338 Depth=1
	s_or_b64 exec, exec, s[18:19]
.LBB255_569:                            ;   in Loop: Header=BB255_338 Depth=1
	s_or_b64 exec, exec, s[16:17]
	v_lshrrev_b16_e32 v8, 8, v8
	v_cmp_ne_u16_e64 s[0:1], 0, v8
	v_mov_b32_e32 v24, 0
	s_and_saveexec_b64 s[16:17], s[0:1]
	s_cbranch_execz .LBB255_575
; %bb.570:                              ;   in Loop: Header=BB255_338 Depth=1
	v_cmp_ne_u16_e64 s[0:1], s28, v8
	v_bfrev_b32_e32 v24, 1
	s_and_saveexec_b64 s[18:19], s[0:1]
	s_cbranch_execz .LBB255_574
; %bb.571:                              ;   in Loop: Header=BB255_338 Depth=1
	v_and_b32_e32 v25, 0x7f, v8
	v_cmp_ne_u32_e64 s[0:1], s29, v25
	v_mov_b32_e32 v24, 0x7c010000
	s_and_saveexec_b64 s[20:21], s[0:1]
	s_cbranch_execz .LBB255_573
; %bb.572:                              ;   in Loop: Header=BB255_338 Depth=1
	v_and_b32_e32 v24, 7, v8
	v_ffbh_u32_e32 v56, v24
	v_min_u32_e32 v59, 32, v56
	v_subrev_u32_e32 v56, 28, v59
	v_lshlrev_b64 v[56:57], v56, v[8:9]
	v_lshrrev_b32_e32 v58, 3, v25
	v_sub_u32_e32 v57, 29, v59
	v_cmp_gt_u32_e64 s[0:1], 8, v25
	v_lshlrev_b32_e32 v8, 8, v8
	v_and_b32_e32 v56, 7, v56
	v_cndmask_b32_e64 v25, v58, v57, s[0:1]
	v_lshl_add_u32 v25, v25, 10, v35
	v_and_or_b32 v8, v8, s30, v25
	v_cndmask_b32_e64 v24, v24, v56, s[0:1]
	v_lshlrev_b32_e32 v8, 16, v8
	v_lshl_or_b32 v24, v24, 23, v8
.LBB255_573:                            ;   in Loop: Header=BB255_338 Depth=1
	s_or_b64 exec, exec, s[20:21]
.LBB255_574:                            ;   in Loop: Header=BB255_338 Depth=1
	s_or_b64 exec, exec, s[18:19]
.LBB255_575:                            ;   in Loop: Header=BB255_338 Depth=1
	s_or_b64 exec, exec, s[16:17]
	v_lshrrev_b32_e32 v8, 16, v19
	v_cmp_ne_u16_sdwa s[0:1], v8, v9 src0_sel:BYTE_0 src1_sel:DWORD
	s_and_saveexec_b64 s[16:17], s[0:1]
	s_cbranch_execz .LBB255_581
; %bb.576:                              ;   in Loop: Header=BB255_338 Depth=1
	v_cmp_ne_u16_sdwa s[0:1], v8, s28 src0_sel:BYTE_0 src1_sel:DWORD
	v_mov_b32_e32 v22, 0x8000
	s_and_saveexec_b64 s[18:19], s[0:1]
	s_cbranch_execz .LBB255_580
; %bb.577:                              ;   in Loop: Header=BB255_338 Depth=1
	v_bfe_u32 v25, v19, 16, 7
	v_cmp_ne_u32_e64 s[0:1], s29, v25
	v_mov_b32_e32 v22, 0x7c01
	s_and_saveexec_b64 s[20:21], s[0:1]
	s_cbranch_execz .LBB255_579
; %bb.578:                              ;   in Loop: Header=BB255_338 Depth=1
	v_and_b32_e32 v22, 7, v8
	v_ffbh_u32_e32 v56, v22
	v_min_u32_e32 v59, 32, v56
	v_subrev_u32_e32 v56, 28, v59
	v_lshlrev_b64 v[56:57], v56, v[8:9]
	v_lshrrev_b32_e32 v58, 3, v25
	v_sub_u32_e32 v57, 29, v59
	v_cmp_gt_u32_e64 s[0:1], 8, v25
	v_lshlrev_b32_e32 v8, 8, v8
	v_and_b32_e32 v56, 7, v56
	v_cndmask_b32_e64 v25, v58, v57, s[0:1]
	v_lshl_add_u32 v25, v25, 10, v35
	v_and_b32_e32 v25, 0xfc00, v25
	v_cndmask_b32_e64 v22, v22, v56, s[0:1]
	v_and_or_b32 v8, v8, s30, v25
	v_lshl_or_b32 v22, v22, 7, v8
.LBB255_579:                            ;   in Loop: Header=BB255_338 Depth=1
	s_or_b64 exec, exec, s[20:21]
.LBB255_580:                            ;   in Loop: Header=BB255_338 Depth=1
	s_or_b64 exec, exec, s[18:19]
.LBB255_581:                            ;   in Loop: Header=BB255_338 Depth=1
	s_or_b64 exec, exec, s[16:17]
	v_cmp_lt_u64_e64 s[0:1], s[6:7], v[18:19]
	v_mov_b32_e32 v18, 0
	s_and_saveexec_b64 s[16:17], s[0:1]
	s_cbranch_execz .LBB255_587
; %bb.582:                              ;   in Loop: Header=BB255_338 Depth=1
	v_lshrrev_b32_e32 v8, 24, v19
	v_cmp_ne_u32_e64 s[0:1], s28, v8
	v_bfrev_b32_e32 v18, 1
	s_and_saveexec_b64 s[18:19], s[0:1]
	s_cbranch_execz .LBB255_586
; %bb.583:                              ;   in Loop: Header=BB255_338 Depth=1
	v_and_b32_e32 v19, 0x7f, v8
	v_cmp_ne_u32_e64 s[0:1], s29, v19
	v_mov_b32_e32 v18, 0x7c010000
	s_and_saveexec_b64 s[20:21], s[0:1]
	s_cbranch_execz .LBB255_585
; %bb.584:                              ;   in Loop: Header=BB255_338 Depth=1
	v_and_b32_e32 v18, 7, v8
	v_ffbh_u32_e32 v56, v18
	v_min_u32_e32 v58, 32, v56
	v_subrev_u32_e32 v56, 28, v58
	v_lshlrev_b64 v[56:57], v56, v[8:9]
	v_lshrrev_b32_e32 v25, 3, v19
	v_sub_u32_e32 v57, 29, v58
	v_cmp_gt_u32_e64 s[0:1], 8, v19
	v_lshlrev_b32_e32 v8, 8, v8
	s_nop 0
	v_cndmask_b32_e64 v19, v25, v57, s[0:1]
	v_lshl_add_u32 v19, v19, 10, v35
	v_and_b32_e32 v25, 7, v56
	v_and_or_b32 v8, v8, s30, v19
	v_cndmask_b32_e64 v18, v18, v25, s[0:1]
	v_lshlrev_b32_e32 v8, 16, v8
	v_lshl_or_b32 v18, v18, 23, v8
.LBB255_585:                            ;   in Loop: Header=BB255_338 Depth=1
	s_or_b64 exec, exec, s[20:21]
.LBB255_586:                            ;   in Loop: Header=BB255_338 Depth=1
	s_or_b64 exec, exec, s[18:19]
.LBB255_587:                            ;   in Loop: Header=BB255_338 Depth=1
	s_or_b64 exec, exec, s[16:17]
	v_cvt_f32_f16_sdwa v57, v1 dst_sel:DWORD dst_unused:UNUSED_PAD src0_sel:WORD_1
	v_cvt_f32_f16_sdwa v56, v21 dst_sel:DWORD dst_unused:UNUSED_PAD src0_sel:WORD_1
	v_or_b32_e32 v1, v1, v17
	v_or_b32_e32 v8, v21, v20
	;; [unrolled: 1-line block ×3, first 2 shown]
	s_waitcnt vmcnt(0)
	v_pk_mul_f32 v[20:21], v[16:17], v[56:57] op_sel_hi:[0,1]
	v_cvt_f32_f16_e32 v56, v8
	v_cvt_f32_f16_e32 v57, v1
	v_cvt_pk_f16_f32 v1, v20, v21
	v_and_b32_e32 v17, 0xffff0000, v1
	v_lshlrev_b32_e32 v8, 16, v1
	v_pk_mul_f32 v[20:21], v[16:17], v[56:57] op_sel_hi:[0,1]
	v_cvt_pk_f16_f32 v1, v20, v21
	v_or_b32_e32 v21, v24, v23
	v_cvt_f32_f16_e32 v22, v22
	v_cvt_f32_f16_e32 v23, v21
	v_cvt_f32_f16_sdwa v25, v24 dst_sel:DWORD dst_unused:UNUSED_PAD src0_sel:WORD_1
	v_cvt_f32_f16_sdwa v24, v18 dst_sel:DWORD dst_unused:UNUSED_PAD src0_sel:WORD_1
	v_lshrrev_b32_e32 v19, 16, v1
	v_pk_mul_f32 v[22:23], v[16:17], v[22:23] op_sel_hi:[0,1]
	v_cvt_pk_f16_f32 v56, v22, v23
	v_pk_mul_f32 v[22:23], v[16:17], v[24:25] op_sel_hi:[0,1]
	v_cvt_pk_f16_f32 v16, v22, v23
	v_and_b32_e32 v20, 0xffff, v1
	v_and_b32_e32 v21, 0xffff0000, v16
	v_lshlrev_b32_e32 v16, 16, v16
	v_lshrrev_b32_e32 v23, 16, v56
	v_and_b32_e32 v22, 0xffff, v56
	v_or_b32_e32 v1, v17, v19
	v_or_b32_e32 v18, v8, v20
	;; [unrolled: 1-line block ×4, first 2 shown]
	s_and_saveexec_b64 s[16:17], vcc
	s_cbranch_execz .LBB255_589
; %bb.588:                              ;   in Loop: Header=BB255_338 Depth=1
	v_cmp_gt_i32_e64 s[0:1], s38, v36
	s_nop 1
	v_cndmask_b32_e64 v1, 0, v19, s[0:1]
	v_cmp_gt_i32_e64 s[0:1], s33, v43
	s_nop 1
	v_cndmask_b32_e64 v18, 0, v20, s[0:1]
	;; [unrolled: 3-line block ×3, first 2 shown]
	v_cmp_gt_i32_e64 s[0:1], s33, v41
	v_or_b32_e32 v1, v17, v1
	s_nop 0
	v_cndmask_b32_e64 v8, 0, v8, s[0:1]
	v_cmp_gt_i32_e64 s[0:1], s38, v40
	v_or_b32_e32 v18, v8, v18
	s_nop 0
	v_cndmask_b32_e64 v8, 0, v23, s[0:1]
	v_cmp_gt_i32_e64 s[0:1], s33, v39
	s_nop 1
	v_cndmask_b32_e64 v17, 0, v22, s[0:1]
	v_cmp_gt_i32_e64 s[0:1], s38, v38
	;; [unrolled: 3-line block ×3, first 2 shown]
	v_or_b32_e32 v25, v19, v8
	s_nop 0
	v_cndmask_b32_e64 v16, 0, v16, s[0:1]
	v_or_b32_e32 v24, v16, v17
.LBB255_589:                            ;   in Loop: Header=BB255_338 Depth=1
	s_or_b64 exec, exec, s[16:17]
	;;#ASMSTART
	v_pk_mul_f16 v1, v47, v1;

	;;#ASMEND
	;;#ASMSTART
	v_pk_mul_f16 v8, v46, v18;

	;;#ASMEND
	;; [unrolled: 4-line block ×4, first 2 shown]
	s_nop 0
	;;#ASMSTART
	v_pk_add_f16 v1, v1, v8;

	;;#ASMEND
	s_nop 0
	;;#ASMSTART
	v_pk_add_f16 v1, v1, v16;

	;;#ASMEND
	s_nop 0
	;;#ASMSTART
	v_pk_add_f16 v1, v1, v17;

	;;#ASMEND
	s_nop 0
	v_lshrrev_b32_e32 v8, 16, v1
	v_and_b32_e32 v1, 0xffff, v1
	;;#ASMSTART
	v_cvt_f32_f16 v24, v1;
	;;#ASMEND
	;;#ASMSTART
	v_cvt_f32_f16 v25, v8;
	;;#ASMEND
	global_load_dwordx2 v[16:17], v[14:15], off offset:2560
	v_mov_b32_e32 v1, 0
	global_load_dword v14, v1, s[14:15]
	v_mov_b32_e32 v15, 0
	s_waitcnt vmcnt(1)
	v_cmp_ne_u16_sdwa s[0:1], v16, v9 src0_sel:BYTE_0 src1_sel:DWORD
	s_and_saveexec_b64 s[16:17], s[0:1]
	s_cbranch_execz .LBB255_595
; %bb.590:                              ;   in Loop: Header=BB255_338 Depth=1
	v_cmp_ne_u16_sdwa s[0:1], v16, s28 src0_sel:BYTE_0 src1_sel:DWORD
	v_mov_b32_e32 v15, 0x8000
	s_and_saveexec_b64 s[18:19], s[0:1]
	s_cbranch_execz .LBB255_594
; %bb.591:                              ;   in Loop: Header=BB255_338 Depth=1
	v_and_b32_e32 v8, 0x7f, v16
	v_cmp_ne_u32_e64 s[0:1], s29, v8
	v_mov_b32_e32 v15, 0x7c01
	s_and_saveexec_b64 s[20:21], s[0:1]
	s_cbranch_execz .LBB255_593
; %bb.592:                              ;   in Loop: Header=BB255_338 Depth=1
	v_and_b32_e32 v15, 7, v16
	v_ffbh_u32_e32 v18, v15
	v_min_u32_e32 v21, 32, v18
	v_subrev_u32_e32 v18, 28, v21
	v_lshlrev_b64 v[18:19], v18, v[16:17]
	v_lshrrev_b32_e32 v20, 3, v8
	v_sub_u32_e32 v19, 29, v21
	v_cmp_gt_u32_e64 s[0:1], 8, v8
	v_and_b32_e32 v18, 7, v18
	s_nop 0
	v_cndmask_b32_e64 v8, v20, v19, s[0:1]
	v_lshl_add_u32 v8, v8, 10, v35
	v_lshlrev_b32_e32 v19, 8, v16
	v_and_b32_e32 v8, 0xfc00, v8
	v_cndmask_b32_e64 v15, v15, v18, s[0:1]
	v_and_or_b32 v8, v19, s30, v8
	v_lshl_or_b32 v15, v15, 7, v8
.LBB255_593:                            ;   in Loop: Header=BB255_338 Depth=1
	s_or_b64 exec, exec, s[20:21]
.LBB255_594:                            ;   in Loop: Header=BB255_338 Depth=1
	s_or_b64 exec, exec, s[18:19]
.LBB255_595:                            ;   in Loop: Header=BB255_338 Depth=1
	s_or_b64 exec, exec, s[16:17]
	v_lshrrev_b16_e32 v8, 8, v16
	v_cmp_ne_u16_e64 s[0:1], 0, v8
	s_and_saveexec_b64 s[16:17], s[0:1]
	s_cbranch_execz .LBB255_601
; %bb.596:                              ;   in Loop: Header=BB255_338 Depth=1
	v_cmp_ne_u16_e64 s[0:1], s28, v8
	v_bfrev_b32_e32 v1, 1
	s_and_saveexec_b64 s[18:19], s[0:1]
	s_cbranch_execz .LBB255_600
; %bb.597:                              ;   in Loop: Header=BB255_338 Depth=1
	v_and_b32_e32 v18, 0x7f, v8
	v_cmp_ne_u32_e64 s[0:1], s29, v18
	v_mov_b32_e32 v1, 0x7c010000
	s_and_saveexec_b64 s[20:21], s[0:1]
	s_cbranch_execz .LBB255_599
; %bb.598:                              ;   in Loop: Header=BB255_338 Depth=1
	v_and_b32_e32 v1, 7, v8
	v_ffbh_u32_e32 v20, v1
	v_min_u32_e32 v22, 32, v20
	v_subrev_u32_e32 v20, 28, v22
	v_lshlrev_b64 v[20:21], v20, v[8:9]
	v_lshrrev_b32_e32 v19, 3, v18
	v_sub_u32_e32 v21, 29, v22
	v_cmp_gt_u32_e64 s[0:1], 8, v18
	v_lshlrev_b32_e32 v8, 8, v8
	s_nop 0
	v_cndmask_b32_e64 v18, v19, v21, s[0:1]
	v_lshl_add_u32 v18, v18, 10, v35
	v_and_b32_e32 v19, 7, v20
	v_and_or_b32 v8, v8, s30, v18
	v_cndmask_b32_e64 v1, v1, v19, s[0:1]
	v_lshlrev_b32_e32 v8, 16, v8
	v_lshl_or_b32 v1, v1, 23, v8
.LBB255_599:                            ;   in Loop: Header=BB255_338 Depth=1
	s_or_b64 exec, exec, s[20:21]
.LBB255_600:                            ;   in Loop: Header=BB255_338 Depth=1
	s_or_b64 exec, exec, s[18:19]
.LBB255_601:                            ;   in Loop: Header=BB255_338 Depth=1
	s_or_b64 exec, exec, s[16:17]
	v_lshrrev_b32_e32 v8, 16, v16
	v_cmp_ne_u16_sdwa s[0:1], v8, v9 src0_sel:BYTE_0 src1_sel:DWORD
	v_mov_b32_e32 v19, 0
	v_mov_b32_e32 v18, 0
	s_and_saveexec_b64 s[16:17], s[0:1]
	s_cbranch_execz .LBB255_607
; %bb.602:                              ;   in Loop: Header=BB255_338 Depth=1
	v_cmp_ne_u16_sdwa s[0:1], v8, s28 src0_sel:BYTE_0 src1_sel:DWORD
	v_mov_b32_e32 v18, 0x8000
	s_and_saveexec_b64 s[18:19], s[0:1]
	s_cbranch_execz .LBB255_606
; %bb.603:                              ;   in Loop: Header=BB255_338 Depth=1
	v_bfe_u32 v20, v16, 16, 7
	v_cmp_ne_u32_e64 s[0:1], s29, v20
	v_mov_b32_e32 v18, 0x7c01
	s_and_saveexec_b64 s[20:21], s[0:1]
	s_cbranch_execz .LBB255_605
; %bb.604:                              ;   in Loop: Header=BB255_338 Depth=1
	v_and_b32_e32 v18, 7, v8
	v_ffbh_u32_e32 v22, v18
	v_min_u32_e32 v56, 32, v22
	v_subrev_u32_e32 v22, 28, v56
	v_lshlrev_b64 v[22:23], v22, v[8:9]
	v_lshrrev_b32_e32 v21, 3, v20
	v_sub_u32_e32 v23, 29, v56
	v_cmp_gt_u32_e64 s[0:1], 8, v20
	v_lshlrev_b32_e32 v8, 8, v8
	s_nop 0
	v_cndmask_b32_e64 v20, v21, v23, s[0:1]
	v_lshl_add_u32 v20, v20, 10, v35
	v_and_b32_e32 v21, 7, v22
	v_and_b32_e32 v20, 0xfc00, v20
	v_cndmask_b32_e64 v18, v18, v21, s[0:1]
	v_and_or_b32 v8, v8, s30, v20
	v_lshl_or_b32 v18, v18, 7, v8
.LBB255_605:                            ;   in Loop: Header=BB255_338 Depth=1
	s_or_b64 exec, exec, s[20:21]
.LBB255_606:                            ;   in Loop: Header=BB255_338 Depth=1
	s_or_b64 exec, exec, s[18:19]
.LBB255_607:                            ;   in Loop: Header=BB255_338 Depth=1
	s_or_b64 exec, exec, s[16:17]
	v_cmp_lt_u32_e64 s[0:1], s7, v16
	s_and_saveexec_b64 s[16:17], s[0:1]
	s_cbranch_execz .LBB255_613
; %bb.608:                              ;   in Loop: Header=BB255_338 Depth=1
	v_lshrrev_b32_e32 v8, 24, v16
	v_cmp_ne_u32_e64 s[0:1], s28, v8
	v_bfrev_b32_e32 v19, 1
	s_and_saveexec_b64 s[18:19], s[0:1]
	s_cbranch_execz .LBB255_612
; %bb.609:                              ;   in Loop: Header=BB255_338 Depth=1
	v_and_b32_e32 v20, 0x7f, v8
	v_cmp_ne_u32_e64 s[0:1], s29, v20
	v_mov_b32_e32 v19, 0x7c010000
	s_and_saveexec_b64 s[20:21], s[0:1]
	s_cbranch_execz .LBB255_611
; %bb.610:                              ;   in Loop: Header=BB255_338 Depth=1
	v_and_b32_e32 v19, 7, v8
	v_ffbh_u32_e32 v22, v19
	v_min_u32_e32 v56, 32, v22
	v_subrev_u32_e32 v22, 28, v56
	v_lshlrev_b64 v[22:23], v22, v[8:9]
	v_lshrrev_b32_e32 v21, 3, v20
	v_sub_u32_e32 v23, 29, v56
	v_cmp_gt_u32_e64 s[0:1], 8, v20
	v_lshlrev_b32_e32 v8, 8, v8
	s_nop 0
	v_cndmask_b32_e64 v20, v21, v23, s[0:1]
	v_lshl_add_u32 v20, v20, 10, v35
	v_and_b32_e32 v21, 7, v22
	v_and_or_b32 v8, v8, s30, v20
	v_cndmask_b32_e64 v19, v19, v21, s[0:1]
	v_lshlrev_b32_e32 v8, 16, v8
	v_lshl_or_b32 v19, v19, 23, v8
.LBB255_611:                            ;   in Loop: Header=BB255_338 Depth=1
	s_or_b64 exec, exec, s[20:21]
.LBB255_612:                            ;   in Loop: Header=BB255_338 Depth=1
	s_or_b64 exec, exec, s[18:19]
.LBB255_613:                            ;   in Loop: Header=BB255_338 Depth=1
	s_or_b64 exec, exec, s[16:17]
	v_mov_b32_e32 v8, v17
	v_cmp_ne_u16_sdwa s[0:1], v17, v9 src0_sel:BYTE_0 src1_sel:DWORD
	v_mov_b32_e32 v20, 0
	v_mov_b32_e32 v21, 0
	s_and_saveexec_b64 s[16:17], s[0:1]
	s_cbranch_execz .LBB255_619
; %bb.614:                              ;   in Loop: Header=BB255_338 Depth=1
	v_cmp_ne_u16_sdwa s[0:1], v17, s28 src0_sel:BYTE_0 src1_sel:DWORD
	v_mov_b32_e32 v21, 0x8000
	s_and_saveexec_b64 s[18:19], s[0:1]
	s_cbranch_execz .LBB255_618
; %bb.615:                              ;   in Loop: Header=BB255_338 Depth=1
	v_and_b32_e32 v22, 0x7f, v17
	v_cmp_ne_u32_e64 s[0:1], s29, v22
	v_mov_b32_e32 v21, 0x7c01
	s_and_saveexec_b64 s[20:21], s[0:1]
	s_cbranch_execz .LBB255_617
; %bb.616:                              ;   in Loop: Header=BB255_338 Depth=1
	v_and_b32_e32 v21, 7, v17
	v_ffbh_u32_e32 v56, v21
	v_min_u32_e32 v58, 32, v56
	v_subrev_u32_e32 v56, 28, v58
	v_lshlrev_b64 v[56:57], v56, v[8:9]
	v_lshrrev_b32_e32 v23, 3, v22
	v_sub_u32_e32 v57, 29, v58
	v_cmp_gt_u32_e64 s[0:1], 8, v22
	v_and_b32_e32 v56, 7, v56
	s_nop 0
	v_cndmask_b32_e64 v22, v23, v57, s[0:1]
	v_lshl_add_u32 v22, v22, 10, v35
	v_lshlrev_b32_e32 v23, 8, v17
	v_and_b32_e32 v22, 0xfc00, v22
	v_cndmask_b32_e64 v21, v21, v56, s[0:1]
	v_and_or_b32 v22, v23, s30, v22
	v_lshl_or_b32 v21, v21, 7, v22
.LBB255_617:                            ;   in Loop: Header=BB255_338 Depth=1
	s_or_b64 exec, exec, s[20:21]
.LBB255_618:                            ;   in Loop: Header=BB255_338 Depth=1
	s_or_b64 exec, exec, s[18:19]
.LBB255_619:                            ;   in Loop: Header=BB255_338 Depth=1
	s_or_b64 exec, exec, s[16:17]
	v_lshrrev_b16_e32 v8, 8, v8
	v_cmp_ne_u16_e64 s[0:1], 0, v8
	v_mov_b32_e32 v22, 0
	s_and_saveexec_b64 s[16:17], s[0:1]
	s_cbranch_execz .LBB255_625
; %bb.620:                              ;   in Loop: Header=BB255_338 Depth=1
	v_cmp_ne_u16_e64 s[0:1], s28, v8
	v_bfrev_b32_e32 v22, 1
	s_and_saveexec_b64 s[18:19], s[0:1]
	s_cbranch_execz .LBB255_624
; %bb.621:                              ;   in Loop: Header=BB255_338 Depth=1
	v_and_b32_e32 v23, 0x7f, v8
	v_cmp_ne_u32_e64 s[0:1], s29, v23
	v_mov_b32_e32 v22, 0x7c010000
	s_and_saveexec_b64 s[20:21], s[0:1]
	s_cbranch_execz .LBB255_623
; %bb.622:                              ;   in Loop: Header=BB255_338 Depth=1
	v_and_b32_e32 v22, 7, v8
	v_ffbh_u32_e32 v56, v22
	v_min_u32_e32 v59, 32, v56
	v_subrev_u32_e32 v56, 28, v59
	v_lshlrev_b64 v[56:57], v56, v[8:9]
	v_lshrrev_b32_e32 v58, 3, v23
	v_sub_u32_e32 v57, 29, v59
	v_cmp_gt_u32_e64 s[0:1], 8, v23
	v_lshlrev_b32_e32 v8, 8, v8
	v_and_b32_e32 v56, 7, v56
	v_cndmask_b32_e64 v23, v58, v57, s[0:1]
	v_lshl_add_u32 v23, v23, 10, v35
	v_and_or_b32 v8, v8, s30, v23
	v_cndmask_b32_e64 v22, v22, v56, s[0:1]
	v_lshlrev_b32_e32 v8, 16, v8
	v_lshl_or_b32 v22, v22, 23, v8
.LBB255_623:                            ;   in Loop: Header=BB255_338 Depth=1
	s_or_b64 exec, exec, s[20:21]
.LBB255_624:                            ;   in Loop: Header=BB255_338 Depth=1
	s_or_b64 exec, exec, s[18:19]
.LBB255_625:                            ;   in Loop: Header=BB255_338 Depth=1
	s_or_b64 exec, exec, s[16:17]
	v_lshrrev_b32_e32 v8, 16, v17
	v_cmp_ne_u16_sdwa s[0:1], v8, v9 src0_sel:BYTE_0 src1_sel:DWORD
	s_and_saveexec_b64 s[16:17], s[0:1]
	s_cbranch_execz .LBB255_631
; %bb.626:                              ;   in Loop: Header=BB255_338 Depth=1
	v_cmp_ne_u16_sdwa s[0:1], v8, s28 src0_sel:BYTE_0 src1_sel:DWORD
	v_mov_b32_e32 v20, 0x8000
	s_and_saveexec_b64 s[18:19], s[0:1]
	s_cbranch_execz .LBB255_630
; %bb.627:                              ;   in Loop: Header=BB255_338 Depth=1
	v_bfe_u32 v23, v17, 16, 7
	v_cmp_ne_u32_e64 s[0:1], s29, v23
	v_mov_b32_e32 v20, 0x7c01
	s_and_saveexec_b64 s[20:21], s[0:1]
	s_cbranch_execz .LBB255_629
; %bb.628:                              ;   in Loop: Header=BB255_338 Depth=1
	v_and_b32_e32 v20, 7, v8
	v_ffbh_u32_e32 v56, v20
	v_min_u32_e32 v59, 32, v56
	v_subrev_u32_e32 v56, 28, v59
	v_lshlrev_b64 v[56:57], v56, v[8:9]
	v_lshrrev_b32_e32 v58, 3, v23
	v_sub_u32_e32 v57, 29, v59
	v_cmp_gt_u32_e64 s[0:1], 8, v23
	v_lshlrev_b32_e32 v8, 8, v8
	v_and_b32_e32 v56, 7, v56
	v_cndmask_b32_e64 v23, v58, v57, s[0:1]
	v_lshl_add_u32 v23, v23, 10, v35
	v_and_b32_e32 v23, 0xfc00, v23
	v_cndmask_b32_e64 v20, v20, v56, s[0:1]
	v_and_or_b32 v8, v8, s30, v23
	v_lshl_or_b32 v20, v20, 7, v8
.LBB255_629:                            ;   in Loop: Header=BB255_338 Depth=1
	s_or_b64 exec, exec, s[20:21]
.LBB255_630:                            ;   in Loop: Header=BB255_338 Depth=1
	s_or_b64 exec, exec, s[18:19]
.LBB255_631:                            ;   in Loop: Header=BB255_338 Depth=1
	s_or_b64 exec, exec, s[16:17]
	v_cmp_lt_u64_e64 s[0:1], s[6:7], v[16:17]
	v_mov_b32_e32 v23, 0
	s_and_saveexec_b64 s[16:17], s[0:1]
	s_cbranch_execz .LBB255_637
; %bb.632:                              ;   in Loop: Header=BB255_338 Depth=1
	v_lshrrev_b32_e32 v8, 24, v17
	v_cmp_ne_u32_e64 s[0:1], s28, v8
	v_bfrev_b32_e32 v23, 1
	s_and_saveexec_b64 s[18:19], s[0:1]
	s_cbranch_execz .LBB255_636
; %bb.633:                              ;   in Loop: Header=BB255_338 Depth=1
	v_and_b32_e32 v16, 0x7f, v8
	v_cmp_ne_u32_e64 s[0:1], s29, v16
	v_mov_b32_e32 v23, 0x7c010000
	s_and_saveexec_b64 s[20:21], s[0:1]
	s_cbranch_execz .LBB255_635
; %bb.634:                              ;   in Loop: Header=BB255_338 Depth=1
	v_and_b32_e32 v17, 7, v8
	v_ffbh_u32_e32 v56, v17
	v_min_u32_e32 v58, 32, v56
	v_subrev_u32_e32 v56, 28, v58
	v_lshlrev_b64 v[56:57], v56, v[8:9]
	v_lshrrev_b32_e32 v23, 3, v16
	v_sub_u32_e32 v57, 29, v58
	v_cmp_gt_u32_e64 s[0:1], 8, v16
	v_lshlrev_b32_e32 v8, 8, v8
	s_nop 0
	v_cndmask_b32_e64 v16, v23, v57, s[0:1]
	v_lshl_add_u32 v16, v16, 10, v35
	v_and_b32_e32 v23, 7, v56
	v_and_or_b32 v8, v8, s30, v16
	v_cndmask_b32_e64 v17, v17, v23, s[0:1]
	v_lshlrev_b32_e32 v8, 16, v8
	v_lshl_or_b32 v23, v17, 23, v8
.LBB255_635:                            ;   in Loop: Header=BB255_338 Depth=1
	s_or_b64 exec, exec, s[20:21]
.LBB255_636:                            ;   in Loop: Header=BB255_338 Depth=1
	s_or_b64 exec, exec, s[18:19]
.LBB255_637:                            ;   in Loop: Header=BB255_338 Depth=1
	s_or_b64 exec, exec, s[16:17]
	v_cvt_f32_f16_sdwa v17, v1 dst_sel:DWORD dst_unused:UNUSED_PAD src0_sel:WORD_1
	v_cvt_f32_f16_sdwa v16, v19 dst_sel:DWORD dst_unused:UNUSED_PAD src0_sel:WORD_1
	v_or_b32_e32 v1, v1, v15
	v_or_b32_e32 v8, v19, v18
	v_cvt_f32_f16_e32 v18, v8
	v_cvt_f32_f16_e32 v19, v1
	s_waitcnt vmcnt(0)
	v_pk_mul_f32 v[16:17], v[14:15], v[16:17] op_sel_hi:[0,1]
	v_cvt_pk_f16_f32 v1, v16, v17
	v_and_b32_e32 v15, 0xffff0000, v1
	v_pk_mul_f32 v[18:19], v[14:15], v[18:19] op_sel_hi:[0,1]
	v_lshlrev_b32_e32 v16, 16, v1
	v_cvt_pk_f16_f32 v1, v18, v19
	v_or_b32_e32 v8, v22, v21
	v_or_b32_e32 v19, v23, v20
	v_cvt_f32_f16_e32 v20, v19
	v_cvt_f32_f16_e32 v21, v8
	v_cvt_f32_f16_sdwa v57, v22 dst_sel:DWORD dst_unused:UNUSED_PAD src0_sel:WORD_1
	v_cvt_f32_f16_sdwa v56, v23 dst_sel:DWORD dst_unused:UNUSED_PAD src0_sel:WORD_1
	v_lshrrev_b32_e32 v17, 16, v1
	v_pk_mul_f32 v[20:21], v[14:15], v[20:21] op_sel_hi:[0,1]
	v_cvt_pk_f16_f32 v22, v20, v21
	v_pk_mul_f32 v[20:21], v[14:15], v[56:57] op_sel_hi:[0,1]
	v_cvt_pk_f16_f32 v14, v20, v21
	v_and_b32_e32 v18, 0xffff, v1
	v_and_b32_e32 v19, 0xffff0000, v14
	v_lshlrev_b32_e32 v14, 16, v14
	v_lshrrev_b32_e32 v23, 16, v22
	v_and_b32_e32 v22, 0xffff, v22
	v_or_b32_e32 v1, v15, v17
	v_or_b32_e32 v8, v16, v18
	;; [unrolled: 1-line block ×4, first 2 shown]
	s_and_saveexec_b64 s[0:1], vcc
	s_cbranch_execz .LBB255_336
; %bb.638:                              ;   in Loop: Header=BB255_338 Depth=1
	v_cmp_gt_i32_e32 vcc, s38, v36
	s_nop 1
	v_cndmask_b32_e32 v1, 0, v17, vcc
	v_cmp_gt_i32_e32 vcc, s33, v43
	s_nop 1
	v_cndmask_b32_e32 v8, 0, v18, vcc
	;; [unrolled: 3-line block ×3, first 2 shown]
	v_cmp_gt_i32_e32 vcc, s33, v41
	v_or_b32_e32 v1, v15, v1
	s_nop 0
	v_cndmask_b32_e32 v16, 0, v16, vcc
	v_cmp_gt_i32_e32 vcc, s38, v40
	v_or_b32_e32 v8, v16, v8
	s_nop 0
	v_cndmask_b32_e32 v15, 0, v23, vcc
	v_cmp_gt_i32_e32 vcc, s33, v39
	s_nop 1
	v_cndmask_b32_e32 v16, 0, v22, vcc
	v_cmp_gt_i32_e32 vcc, s38, v38
	;; [unrolled: 3-line block ×3, first 2 shown]
	v_or_b32_e32 v21, v17, v15
	s_nop 0
	v_cndmask_b32_e32 v14, 0, v14, vcc
	v_or_b32_e32 v20, v14, v16
	s_branch .LBB255_336
.LBB255_639:
	s_or_b64 exec, exec, s[8:9]
.LBB255_640:
	s_or_b64 exec, exec, s[2:3]
	ds_bpermute_b32 v8, v29, v6
	ds_bpermute_b32 v9, v29, v7
	;; [unrolled: 1-line block ×6, first 2 shown]
	s_waitcnt lgkmcnt(4)
	v_pk_add_f32 v[6:7], v[6:7], v[8:9]
	ds_bpermute_b32 v8, v30, v6
	ds_bpermute_b32 v9, v30, v7
	s_waitcnt lgkmcnt(4)
	v_pk_add_f32 v[4:5], v[4:5], v[10:11]
	ds_bpermute_b32 v10, v30, v4
	ds_bpermute_b32 v11, v30, v5
	s_waitcnt lgkmcnt(4)
	v_pk_add_f32 v[2:3], v[2:3], v[12:13]
	s_waitcnt lgkmcnt(2)
	v_pk_add_f32 v[6:7], v[6:7], v[8:9]
	ds_bpermute_b32 v8, v30, v2
	ds_bpermute_b32 v9, v30, v3
	v_and_b32_e32 v1, 0x3c3, v0
	s_waitcnt lgkmcnt(2)
	v_pk_add_f32 v[4:5], v[4:5], v[10:11]
	v_cmp_ne_u32_e32 vcc, 64, v1
	s_waitcnt lgkmcnt(0)
	s_barrier
	s_and_saveexec_b64 s[0:1], vcc
	s_xor_b64 s[0:1], exec, s[0:1]
; %bb.641:
                                        ; implicit-def: $vgpr28
; %bb.642:
	s_or_saveexec_b64 s[0:1], s[0:1]
	v_pk_add_f32 v[2:3], v[2:3], v[8:9]
	s_xor_b64 exec, exec, s[0:1]
	s_cbranch_execz .LBB255_644
; %bb.643:
	v_add_u32_e32 v8, 0xd0, v28
	ds_write2_b32 v8, v6, v7 offset1:16
	ds_write2_b32 v8, v4, v5 offset0:32 offset1:48
	ds_write2_b32 v8, v2, v3 offset0:64 offset1:80
.LBB255_644:
	s_or_b64 exec, exec, s[0:1]
	v_cmp_gt_u32_e32 vcc, 64, v0
	v_lshrrev_b32_e32 v0, 2, v0
	s_waitcnt lgkmcnt(0)
	s_barrier
	s_and_saveexec_b64 s[0:1], vcc
	s_cbranch_execz .LBB255_653
; %bb.645:
	v_mov_b32_e32 v8, 0xd0
	v_cmp_eq_u32_e32 vcc, 0, v31
	v_lshl_add_u32 v8, v0, 2, v8
	s_and_saveexec_b64 s[2:3], vcc
	s_cbranch_execnz .LBB255_656
; %bb.646:
	s_or_b64 exec, exec, s[2:3]
	s_and_saveexec_b64 s[2:3], vcc
	s_cbranch_execnz .LBB255_657
.LBB255_647:
	s_or_b64 exec, exec, s[2:3]
	s_and_saveexec_b64 s[2:3], vcc
	s_cbranch_execnz .LBB255_658
.LBB255_648:
	s_or_b64 exec, exec, s[2:3]
	s_and_saveexec_b64 s[2:3], vcc
	s_cbranch_execnz .LBB255_659
.LBB255_649:
	s_or_b64 exec, exec, s[2:3]
	s_and_saveexec_b64 s[2:3], vcc
	s_cbranch_execnz .LBB255_660
.LBB255_650:
	s_or_b64 exec, exec, s[2:3]
	s_and_saveexec_b64 s[2:3], vcc
	s_cbranch_execz .LBB255_652
.LBB255_651:
	ds_read_b32 v8, v8 offset:320
	s_waitcnt lgkmcnt(0)
	v_add_f32_e32 v3, v3, v8
.LBB255_652:
	s_or_b64 exec, exec, s[2:3]
.LBB255_653:
	s_or_b64 exec, exec, s[0:1]
	v_cmp_eq_u32_e32 vcc, 0, v1
	s_barrier
	s_and_saveexec_b64 s[0:1], vcc
	s_cbranch_execz .LBB255_655
; %bb.654:
	s_mul_i32 s0, s10, s11
	s_mul_i32 s0, s0, s5
	s_mulk_i32 s0, 0x60
	s_ashr_i32 s1, s0, 31
	s_lshl_b64 s[0:1], s[0:1], 1
	s_add_u32 s2, s26, s0
	s_mul_i32 s0, s11, s24
	s_addc_u32 s3, s27, s1
	s_ashr_i32 s1, s0, 31
	s_lshl_b64 s[0:1], s[0:1], 1
	s_add_u32 s2, s2, s0
	s_mul_i32 s0, s4, 0x60
	s_addc_u32 s3, s3, s1
	s_ashr_i32 s1, s0, 31
	s_lshl_b64 s[0:1], s[0:1], 1
	s_add_u32 s0, s2, s0
	s_addc_u32 s1, s3, s1
	v_lshlrev_b32_e32 v0, 1, v0
	;;#ASMSTART
	v_cvt_f16_f32 v1, v6;

	;;#ASMEND
	global_store_short v0, v1, s[0:1]
	;;#ASMSTART
	v_cvt_f16_f32 v1, v7;

	;;#ASMEND
	global_store_short v0, v1, s[0:1] offset:32
	;;#ASMSTART
	v_cvt_f16_f32 v1, v4;

	;;#ASMEND
	global_store_short v0, v1, s[0:1] offset:64
	;; [unrolled: 5-line block ×5, first 2 shown]
.LBB255_655:
	s_endpgm
.LBB255_656:
	ds_read_b32 v9, v8
	s_waitcnt lgkmcnt(0)
	v_add_f32_e32 v6, v6, v9
	s_or_b64 exec, exec, s[2:3]
	s_and_saveexec_b64 s[2:3], vcc
	s_cbranch_execz .LBB255_647
.LBB255_657:
	ds_read_b32 v9, v8 offset:64
	s_waitcnt lgkmcnt(0)
	v_add_f32_e32 v7, v7, v9
	s_or_b64 exec, exec, s[2:3]
	s_and_saveexec_b64 s[2:3], vcc
	s_cbranch_execz .LBB255_648
.LBB255_658:
	ds_read_b32 v9, v8 offset:128
	s_waitcnt lgkmcnt(0)
	v_add_f32_e32 v4, v4, v9
	s_or_b64 exec, exec, s[2:3]
	s_and_saveexec_b64 s[2:3], vcc
	s_cbranch_execz .LBB255_649
.LBB255_659:
	ds_read_b32 v9, v8 offset:192
	s_waitcnt lgkmcnt(0)
	v_add_f32_e32 v5, v5, v9
	s_or_b64 exec, exec, s[2:3]
	s_and_saveexec_b64 s[2:3], vcc
	s_cbranch_execz .LBB255_650
.LBB255_660:
	ds_read_b32 v9, v8 offset:256
	s_waitcnt lgkmcnt(0)
	v_add_f32_e32 v2, v2, v9
	s_or_b64 exec, exec, s[2:3]
	s_and_saveexec_b64 s[2:3], vcc
	s_cbranch_execnz .LBB255_651
	s_branch .LBB255_652
	.section	.rodata,"a",@progbits
	.p2align	6, 0x0
	.amdhsa_kernel _ZN4vllm25paged_attention_v1_kernelIthLi96ELi32ELi128ELNS_18Fp8KVCacheDataTypeE1ELb1EEEvPT_PKS2_PKT0_S8_ifPKiSA_iPKfiiiSC_SC_iiiii
		.amdhsa_group_segment_fixed_size 208
		.amdhsa_private_segment_fixed_size 0
		.amdhsa_kernarg_size 384
		.amdhsa_user_sgpr_count 2
		.amdhsa_user_sgpr_dispatch_ptr 0
		.amdhsa_user_sgpr_queue_ptr 0
		.amdhsa_user_sgpr_kernarg_segment_ptr 1
		.amdhsa_user_sgpr_dispatch_id 0
		.amdhsa_user_sgpr_kernarg_preload_length 0
		.amdhsa_user_sgpr_kernarg_preload_offset 0
		.amdhsa_user_sgpr_private_segment_size 0
		.amdhsa_uses_dynamic_stack 0
		.amdhsa_enable_private_segment 0
		.amdhsa_system_sgpr_workgroup_id_x 1
		.amdhsa_system_sgpr_workgroup_id_y 1
		.amdhsa_system_sgpr_workgroup_id_z 1
		.amdhsa_system_sgpr_workgroup_info 0
		.amdhsa_system_vgpr_workitem_id 0
		.amdhsa_next_free_vgpr 80
		.amdhsa_next_free_sgpr 56
		.amdhsa_accum_offset 80
		.amdhsa_reserve_vcc 1
		.amdhsa_float_round_mode_32 0
		.amdhsa_float_round_mode_16_64 0
		.amdhsa_float_denorm_mode_32 3
		.amdhsa_float_denorm_mode_16_64 3
		.amdhsa_dx10_clamp 1
		.amdhsa_ieee_mode 1
		.amdhsa_fp16_overflow 0
		.amdhsa_tg_split 0
		.amdhsa_exception_fp_ieee_invalid_op 0
		.amdhsa_exception_fp_denorm_src 0
		.amdhsa_exception_fp_ieee_div_zero 0
		.amdhsa_exception_fp_ieee_overflow 0
		.amdhsa_exception_fp_ieee_underflow 0
		.amdhsa_exception_fp_ieee_inexact 0
		.amdhsa_exception_int_div_zero 0
	.end_amdhsa_kernel
	.section	.text._ZN4vllm25paged_attention_v1_kernelIthLi96ELi32ELi128ELNS_18Fp8KVCacheDataTypeE1ELb1EEEvPT_PKS2_PKT0_S8_ifPKiSA_iPKfiiiSC_SC_iiiii,"axG",@progbits,_ZN4vllm25paged_attention_v1_kernelIthLi96ELi32ELi128ELNS_18Fp8KVCacheDataTypeE1ELb1EEEvPT_PKS2_PKT0_S8_ifPKiSA_iPKfiiiSC_SC_iiiii,comdat
.Lfunc_end255:
	.size	_ZN4vllm25paged_attention_v1_kernelIthLi96ELi32ELi128ELNS_18Fp8KVCacheDataTypeE1ELb1EEEvPT_PKS2_PKT0_S8_ifPKiSA_iPKfiiiSC_SC_iiiii, .Lfunc_end255-_ZN4vllm25paged_attention_v1_kernelIthLi96ELi32ELi128ELNS_18Fp8KVCacheDataTypeE1ELb1EEEvPT_PKS2_PKT0_S8_ifPKiSA_iPKfiiiSC_SC_iiiii
                                        ; -- End function
	.set _ZN4vllm25paged_attention_v1_kernelIthLi96ELi32ELi128ELNS_18Fp8KVCacheDataTypeE1ELb1EEEvPT_PKS2_PKT0_S8_ifPKiSA_iPKfiiiSC_SC_iiiii.num_vgpr, 80
	.set _ZN4vllm25paged_attention_v1_kernelIthLi96ELi32ELi128ELNS_18Fp8KVCacheDataTypeE1ELb1EEEvPT_PKS2_PKT0_S8_ifPKiSA_iPKfiiiSC_SC_iiiii.num_agpr, 0
	.set _ZN4vllm25paged_attention_v1_kernelIthLi96ELi32ELi128ELNS_18Fp8KVCacheDataTypeE1ELb1EEEvPT_PKS2_PKT0_S8_ifPKiSA_iPKfiiiSC_SC_iiiii.numbered_sgpr, 56
	.set _ZN4vllm25paged_attention_v1_kernelIthLi96ELi32ELi128ELNS_18Fp8KVCacheDataTypeE1ELb1EEEvPT_PKS2_PKT0_S8_ifPKiSA_iPKfiiiSC_SC_iiiii.num_named_barrier, 0
	.set _ZN4vllm25paged_attention_v1_kernelIthLi96ELi32ELi128ELNS_18Fp8KVCacheDataTypeE1ELb1EEEvPT_PKS2_PKT0_S8_ifPKiSA_iPKfiiiSC_SC_iiiii.private_seg_size, 0
	.set _ZN4vllm25paged_attention_v1_kernelIthLi96ELi32ELi128ELNS_18Fp8KVCacheDataTypeE1ELb1EEEvPT_PKS2_PKT0_S8_ifPKiSA_iPKfiiiSC_SC_iiiii.uses_vcc, 1
	.set _ZN4vllm25paged_attention_v1_kernelIthLi96ELi32ELi128ELNS_18Fp8KVCacheDataTypeE1ELb1EEEvPT_PKS2_PKT0_S8_ifPKiSA_iPKfiiiSC_SC_iiiii.uses_flat_scratch, 0
	.set _ZN4vllm25paged_attention_v1_kernelIthLi96ELi32ELi128ELNS_18Fp8KVCacheDataTypeE1ELb1EEEvPT_PKS2_PKT0_S8_ifPKiSA_iPKfiiiSC_SC_iiiii.has_dyn_sized_stack, 0
	.set _ZN4vllm25paged_attention_v1_kernelIthLi96ELi32ELi128ELNS_18Fp8KVCacheDataTypeE1ELb1EEEvPT_PKS2_PKT0_S8_ifPKiSA_iPKfiiiSC_SC_iiiii.has_recursion, 0
	.set _ZN4vllm25paged_attention_v1_kernelIthLi96ELi32ELi128ELNS_18Fp8KVCacheDataTypeE1ELb1EEEvPT_PKS2_PKT0_S8_ifPKiSA_iPKfiiiSC_SC_iiiii.has_indirect_call, 0
	.section	.AMDGPU.csdata,"",@progbits
; Kernel info:
; codeLenInByte = 28644
; TotalNumSgprs: 62
; NumVgprs: 80
; NumAgprs: 0
; TotalNumVgprs: 80
; ScratchSize: 0
; MemoryBound: 0
; FloatMode: 240
; IeeeMode: 1
; LDSByteSize: 208 bytes/workgroup (compile time only)
; SGPRBlocks: 7
; VGPRBlocks: 9
; NumSGPRsForWavesPerEU: 62
; NumVGPRsForWavesPerEU: 80
; AccumOffset: 80
; Occupancy: 6
; WaveLimiterHint : 1
; COMPUTE_PGM_RSRC2:SCRATCH_EN: 0
; COMPUTE_PGM_RSRC2:USER_SGPR: 2
; COMPUTE_PGM_RSRC2:TRAP_HANDLER: 0
; COMPUTE_PGM_RSRC2:TGID_X_EN: 1
; COMPUTE_PGM_RSRC2:TGID_Y_EN: 1
; COMPUTE_PGM_RSRC2:TGID_Z_EN: 1
; COMPUTE_PGM_RSRC2:TIDIG_COMP_CNT: 0
; COMPUTE_PGM_RSRC3_GFX90A:ACCUM_OFFSET: 19
; COMPUTE_PGM_RSRC3_GFX90A:TG_SPLIT: 0
	.section	.text._ZN4vllm25paged_attention_v1_kernelIthLi112ELi32ELi128ELNS_18Fp8KVCacheDataTypeE1ELb1EEEvPT_PKS2_PKT0_S8_ifPKiSA_iPKfiiiSC_SC_iiiii,"axG",@progbits,_ZN4vllm25paged_attention_v1_kernelIthLi112ELi32ELi128ELNS_18Fp8KVCacheDataTypeE1ELb1EEEvPT_PKS2_PKT0_S8_ifPKiSA_iPKfiiiSC_SC_iiiii,comdat
	.protected	_ZN4vllm25paged_attention_v1_kernelIthLi112ELi32ELi128ELNS_18Fp8KVCacheDataTypeE1ELb1EEEvPT_PKS2_PKT0_S8_ifPKiSA_iPKfiiiSC_SC_iiiii ; -- Begin function _ZN4vllm25paged_attention_v1_kernelIthLi112ELi32ELi128ELNS_18Fp8KVCacheDataTypeE1ELb1EEEvPT_PKS2_PKT0_S8_ifPKiSA_iPKfiiiSC_SC_iiiii
	.globl	_ZN4vllm25paged_attention_v1_kernelIthLi112ELi32ELi128ELNS_18Fp8KVCacheDataTypeE1ELb1EEEvPT_PKS2_PKT0_S8_ifPKiSA_iPKfiiiSC_SC_iiiii
	.p2align	8
	.type	_ZN4vllm25paged_attention_v1_kernelIthLi112ELi32ELi128ELNS_18Fp8KVCacheDataTypeE1ELb1EEEvPT_PKS2_PKT0_S8_ifPKiSA_iPKfiiiSC_SC_iiiii,@function
_ZN4vllm25paged_attention_v1_kernelIthLi112ELi32ELi128ELNS_18Fp8KVCacheDataTypeE1ELb1EEEvPT_PKS2_PKT0_S8_ifPKiSA_iPKfiiiSC_SC_iiiii: ; @_ZN4vllm25paged_attention_v1_kernelIthLi112ELi32ELi128ELNS_18Fp8KVCacheDataTypeE1ELb1EEEvPT_PKS2_PKT0_S8_ifPKiSA_iPKfiiiSC_SC_iiiii
; %bb.0:
	s_load_dword s5, s[0:1], 0x80
	s_load_dwordx2 s[6:7], s[0:1], 0x30
	s_load_dwordx2 s[36:37], s[0:1], 0x20
	s_mov_b32 s10, s3
	s_ashr_i32 s11, s3, 31
	s_lshl_b64 s[8:9], s[10:11], 2
	s_waitcnt lgkmcnt(0)
	s_add_u32 s6, s6, s8
	s_addc_u32 s7, s7, s9
	s_abs_i32 s3, s36
	v_cvt_f32_u32_e32 v1, s3
	s_sub_i32 s11, 0, s3
	s_abs_i32 s9, s5
	s_xor_b32 s8, s5, s36
	v_rcp_iflag_f32_e32 v1, v1
	s_ashr_i32 s8, s8, 31
	s_mov_b32 s48, 0
	v_mul_f32_e32 v1, 0x4f7ffffe, v1
	v_cvt_u32_f32_e32 v1, v1
	s_nop 0
	v_readfirstlane_b32 s12, v1
	s_mul_i32 s11, s11, s12
	s_mul_hi_u32 s11, s12, s11
	s_add_i32 s12, s12, s11
	s_mul_hi_u32 s11, s9, s12
	s_mul_i32 s12, s11, s3
	s_sub_i32 s9, s9, s12
	s_add_i32 s12, s11, 1
	s_sub_i32 s13, s9, s3
	s_cmp_ge_u32 s9, s3
	s_cselect_b32 s11, s12, s11
	s_cselect_b32 s9, s13, s9
	s_add_i32 s12, s11, 1
	s_cmp_ge_u32 s9, s3
	s_cselect_b32 s3, s12, s11
	s_xor_b32 s3, s3, s8
	s_sub_i32 s14, s3, s8
	s_abs_i32 s11, s14
	v_cvt_f32_u32_e32 v1, s11
	s_load_dwordx2 s[8:9], s[0:1], 0x40
	s_sub_i32 s3, 0, s11
	s_abs_i32 s12, s2
	v_rcp_iflag_f32_e32 v1, v1
	s_nop 0
	v_mul_f32_e32 v1, 0x4f7ffffe, v1
	v_cvt_u32_f32_e32 v1, v1
	s_nop 0
	v_readfirstlane_b32 s13, v1
	s_mul_i32 s3, s3, s13
	s_mul_hi_u32 s3, s13, s3
	s_add_i32 s13, s13, s3
	s_waitcnt lgkmcnt(0)
	s_cmp_eq_u64 s[8:9], 0
	s_mul_hi_u32 s13, s12, s13
	s_cbranch_scc1 .LBB256_2
; %bb.1:
	s_ashr_i32 s3, s2, 31
	s_lshl_b64 s[16:17], s[2:3], 2
	s_add_u32 s8, s8, s16
	s_addc_u32 s9, s9, s17
	s_load_dword s48, s[8:9], 0x0
.LBB256_2:
	s_load_dword s33, s[6:7], 0x0
	s_load_dwordx4 s[16:19], s[0:1], 0x48
	s_ashr_i32 s3, s2, 31
	s_ashr_i32 s9, s14, 31
	v_and_b32_e32 v4, 1, v0
	s_movk_i32 s8, 0x70
	s_mul_i32 s24, s2, 0x70
	v_cmp_gt_u32_e32 vcc, 28, v0
	v_lshlrev_b32_e32 v1, 3, v0
	s_and_saveexec_b64 s[6:7], vcc
	s_cbranch_execz .LBB256_4
; %bb.3:
	s_load_dwordx2 s[14:15], s[0:1], 0x8
	s_waitcnt lgkmcnt(0)
	s_mul_i32 s20, s16, s10
	s_ashr_i32 s21, s20, 31
	s_lshl_b64 s[20:21], s[20:21], 1
	v_lshlrev_b32_e32 v5, 2, v0
	s_add_u32 s16, s14, s20
	s_addc_u32 s19, s15, s21
	s_ashr_i32 s25, s24, 31
	s_lshl_b64 s[14:15], s[24:25], 1
	s_add_u32 s14, s16, s14
	s_addc_u32 s15, s19, s15
	global_load_dwordx2 v[2:3], v1, s[14:15]
	v_and_b32_e32 v5, 0xff8, v5
	v_mad_u32_u24 v5, v4, s8, v5
	s_waitcnt vmcnt(0)
	ds_write_b64 v5, v[2:3]
.LBB256_4:
	s_or_b64 exec, exec, s[6:7]
	s_mul_i32 s6, s13, s11
	s_sub_i32 s6, s12, s6
	s_xor_b32 s3, s3, s9
	s_add_i32 s7, s13, 1
	s_sub_i32 s9, s6, s11
	s_load_dwordx4 s[20:23], s[0:1], 0x68
	s_load_dword s8, s[0:1], 0x78
	s_cmp_ge_u32 s6, s11
	s_cselect_b32 s7, s7, s13
	s_cselect_b32 s6, s9, s6
	s_add_i32 s9, s7, 1
	s_cmp_ge_u32 s6, s11
	s_cselect_b32 s6, s9, s7
	s_waitcnt lgkmcnt(0)
	s_abs_i32 s25, s23
	v_cvt_f32_u32_e32 v2, s25
	s_xor_b32 s6, s6, s3
	s_sub_i32 s3, s6, s3
	s_sub_i32 s6, 0, s25
	v_rcp_iflag_f32_e32 v2, v2
	s_add_i32 s11, s33, -1
	s_abs_i32 s9, s11
	v_mul_f32_e32 v2, 0x4f7ffffe, v2
	v_cvt_u32_f32_e32 v2, v2
	s_barrier
	v_readfirstlane_b32 s46, v2
	s_mul_i32 s6, s6, s46
	s_mul_hi_u32 s6, s46, s6
	s_add_i32 s46, s46, s6
	s_cmp_lt_i32 s8, 0
	s_mul_hi_u32 s16, s9, s46
	s_cbranch_scc0 .LBB256_6
; %bb.5:
	s_mul_i32 s6, s20, s36
	s_add_i32 s6, s3, s6
	s_mul_i32 s6, s6, s8
	s_sub_i32 s36, 1, s6
	s_mov_b64 s[6:7], 0
	s_branch .LBB256_7
.LBB256_6:
	s_mov_b64 s[6:7], -1
                                        ; implicit-def: $sgpr36
.LBB256_7:
	s_load_dwordx2 s[28:29], s[0:1], 0x28
	s_ashr_i32 s19, s11, 31
	s_andn2_b64 vcc, exec, s[6:7]
	s_ashr_i32 s23, s23, 31
	s_cbranch_vccnz .LBB256_9
; %bb.8:
	s_mul_i32 s6, s5, s20
	s_add_i32 s2, s6, s2
	s_mul_i32 s2, s2, s8
	s_add_i32 s36, s2, 1
.LBB256_9:
	s_load_dword s2, s[0:1], 0x38
	s_load_dwordx2 s[26:27], s[0:1], 0x0
	s_load_dwordx2 s[34:35], s[0:1], 0x18
	s_load_dword s11, s[0:1], 0x88
	s_load_dwordx4 s[12:15], s[0:1], 0x58
	s_mul_i32 s6, s16, s25
	s_waitcnt lgkmcnt(0)
	s_mul_i32 s30, s2, s10
	s_sub_i32 s6, s9, s6
	s_ashr_i32 s31, s30, 31
	s_xor_b32 s2, s19, s23
	s_add_i32 s7, s16, 1
	s_sub_i32 s8, s6, s25
	s_cmp_ge_u32 s6, s25
	s_cselect_b32 s7, s7, s16
	s_cselect_b32 s6, s8, s6
	s_add_i32 s8, s7, 1
	s_cmp_ge_u32 s6, s25
	s_cselect_b32 s6, s8, s7
	s_xor_b32 s6, s6, s2
	s_sub_i32 s16, s6, s2
	s_add_i32 s2, s33, 31
	s_ashr_i32 s6, s2, 31
	s_lshr_b32 s6, s6, 27
	s_add_i32 s2, s2, s6
	s_ashr_i32 s47, s2, 5
	v_lshrrev_b32_e32 v26, 6, v0
	v_cmp_gt_i32_e64 s[6:7], s47, v26
	v_mov_b32_e32 v15, 0xff7fffff
	s_mul_i32 s20, s3, s18
	v_lshrrev_b32_e32 v12, 4, v0
	v_lshlrev_b32_e32 v27, 5, v26
	v_mbcnt_lo_u32_b32 v11, -1, 0
	s_and_saveexec_b64 s[18:19], s[6:7]
	s_cbranch_execz .LBB256_357
; %bb.10:
	s_load_dwordx2 s[0:1], s[0:1], 0x10
	s_sub_i32 s49, s16, s21
	s_ashr_i32 s2, s20, 31
	v_bfe_u32 v13, v0, 1, 5
	v_mov_b32_e32 v3, 0
	s_waitcnt lgkmcnt(0)
	s_add_u32 s0, s0, s20
	s_addc_u32 s1, s1, s2
	s_abs_i32 s50, s22
	v_cvt_f32_u32_e32 v2, s50
	v_cmp_eq_u32_e32 vcc, 0, v4
	v_mul_u32_u24_e32 v14, 0x70, v4
	s_mov_b32 s51, s17
	v_rcp_iflag_f32_e32 v5, v2
	v_lshlrev_b32_e32 v2, 4, v13
	v_lshl_add_u64 v[6:7], s[0:1], 0, v[2:3]
	s_sub_i32 s0, 0, s50
	v_mul_f32_e32 v5, 0x4f7ffffe, v5
	v_cvt_u32_f32_e32 v5, v5
	v_lshlrev_b32_e32 v2, 2, v4
	v_cmp_neq_f32_e64 s[2:3], s48, 0
	v_lshlrev_b32_e32 v17, 5, v26
	v_mul_lo_u32 v4, s0, v5
	s_lshl_b64 s[0:1], s[30:31], 2
	v_mul_hi_u32 v4, v5, v4
	s_add_u32 s0, s28, s0
	v_add_u32_e32 v16, v5, v4
	v_lshl_add_u64 v[4:5], v[6:7], 0, v[2:3]
	v_and_b32_e32 v2, 60, v12
	s_addc_u32 s1, s29, s1
	v_lshl_add_u64 v[6:7], s[0:1], 0, v[2:3]
	v_subrev_u32_e32 v2, s33, v13
	v_add_u32_e32 v18, 1, v2
	v_lshlrev_b32_e32 v2, 2, v13
	v_lshl_or_b32 v2, v26, 7, v2
	v_add_u32_e32 v19, 0xf0, v2
	v_mov_b32_e32 v20, 0xff7fffff
	s_mov_b64 s[38:39], 0
	s_movk_i32 s52, 0x80
	s_movk_i32 s53, 0x7f
	s_mov_b32 s54, 0x8000
	s_mov_b32 s55, 0xffffff
	v_mov_b32_e32 v21, 0x2000
	v_mbcnt_hi_u32_b32 v22, -1, v11
	v_mov_b32_e32 v15, 0xff7fffff
	v_mov_b32_e32 v23, v26
	s_branch .LBB256_13
.LBB256_11:                             ;   in Loop: Header=BB256_13 Depth=1
	s_or_b64 exec, exec, s[40:41]
.LBB256_12:                             ;   in Loop: Header=BB256_13 Depth=1
	s_or_b64 exec, exec, s[8:9]
	v_add_u32_e32 v23, 2, v23
	v_cmp_le_i32_e64 s[0:1], s47, v23
	v_lshl_add_u64 v[6:7], v[6:7], 0, 8
	v_add_u32_e32 v17, 64, v17
	s_or_b64 s[38:39], s[0:1], s[38:39]
	v_add_u32_e32 v19, 0x100, v19
	s_andn2_b64 exec, exec, s[38:39]
	s_cbranch_execz .LBB256_356
.LBB256_13:                             ; =>This Inner Loop Header: Depth=1
	v_mul_hi_u32 v2, v17, s46
	s_waitcnt lgkmcnt(0)
	v_mul_lo_u32 v8, v2, s25
	v_sub_u32_e32 v8, v17, v8
	v_add_u32_e32 v9, 1, v2
	v_cmp_le_u32_e64 s[0:1], s25, v8
	s_nop 1
	v_cndmask_b32_e64 v2, v2, v9, s[0:1]
	v_subrev_u32_e32 v9, s25, v8
	v_cndmask_b32_e64 v8, v8, v9, s[0:1]
	v_add_u32_e32 v9, 1, v2
	v_cmp_le_u32_e64 s[0:1], s25, v8
	s_nop 1
	v_cndmask_b32_e64 v2, v2, v9, s[0:1]
	v_xor_b32_e32 v2, s23, v2
	v_subrev_u32_e32 v2, s23, v2
	v_add_u32_e32 v8, s36, v2
	v_sub_u32_e32 v10, 0, v8
	v_ashrrev_i32_e32 v9, 31, v8
	v_max_i32_e32 v8, v8, v10
	v_mul_hi_u32 v10, v8, v16
	v_mul_lo_u32 v10, v10, s50
	v_sub_u32_e32 v8, v8, v10
	v_subrev_u32_e32 v10, s50, v8
	v_cmp_le_u32_e64 s[0:1], s50, v8
	v_cmp_ge_i32_e64 s[8:9], s49, v2
	s_nop 0
	v_cndmask_b32_e64 v8, v8, v10, s[0:1]
	v_subrev_u32_e32 v10, s50, v8
	v_cmp_le_u32_e64 s[0:1], s50, v8
	s_nop 1
	v_cndmask_b32_e64 v8, v8, v10, s[0:1]
	v_xor_b32_e32 v8, v8, v9
	v_sub_u32_e32 v8, v8, v9
	v_cmp_ne_u32_e64 s[0:1], 0, v8
	s_and_b64 s[0:1], s[0:1], s[8:9]
	s_and_saveexec_b64 s[8:9], s[0:1]
	s_xor_b64 s[0:1], exec, s[8:9]
	s_cbranch_execz .LBB256_17
; %bb.14:                               ;   in Loop: Header=BB256_13 Depth=1
	s_and_saveexec_b64 s[8:9], vcc
; %bb.15:                               ;   in Loop: Header=BB256_13 Depth=1
	ds_write_b32 v19, v20
; %bb.16:                               ;   in Loop: Header=BB256_13 Depth=1
	s_or_b64 exec, exec, s[8:9]
.LBB256_17:                             ;   in Loop: Header=BB256_13 Depth=1
	s_andn2_saveexec_b64 s[8:9], s[0:1]
	s_cbranch_execz .LBB256_12
; %bb.18:                               ;   in Loop: Header=BB256_13 Depth=1
	global_load_dword v2, v[6:7], off
	v_mov_b32_e32 v25, 0
	global_load_dword v24, v25, s[12:13]
	v_mov_b32_e32 v28, 0
	s_waitcnt vmcnt(1)
	v_mad_i64_i32 v[8:9], s[0:1], v2, s51, v[4:5]
	global_load_dword v10, v[8:9], off
	s_waitcnt vmcnt(0)
	v_cmp_ne_u16_sdwa s[0:1], v10, v3 src0_sel:BYTE_0 src1_sel:DWORD
	s_and_saveexec_b64 s[40:41], s[0:1]
	s_cbranch_execz .LBB256_24
; %bb.19:                               ;   in Loop: Header=BB256_13 Depth=1
	v_cmp_ne_u16_sdwa s[0:1], v10, s52 src0_sel:BYTE_0 src1_sel:DWORD
	v_mov_b32_e32 v28, 0x8000
	s_and_saveexec_b64 s[42:43], s[0:1]
	s_cbranch_execz .LBB256_23
; %bb.20:                               ;   in Loop: Header=BB256_13 Depth=1
	v_and_b32_e32 v2, 0x7f, v10
	v_cmp_ne_u32_e64 s[0:1], s53, v2
	v_mov_b32_e32 v28, 0x7c01
	s_and_saveexec_b64 s[44:45], s[0:1]
	s_cbranch_execz .LBB256_22
; %bb.21:                               ;   in Loop: Header=BB256_13 Depth=1
	v_and_b32_e32 v30, 7, v10
	v_ffbh_u32_e32 v28, v30
	v_min_u32_e32 v32, 32, v28
	v_subrev_u32_e32 v28, 28, v32
	v_lshlrev_b64 v[28:29], v28, v[10:11]
	v_lshrrev_b32_e32 v31, 3, v2
	v_sub_u32_e32 v29, 29, v32
	v_cmp_gt_u32_e64 s[0:1], 8, v2
	v_and_b32_e32 v28, 7, v28
	s_nop 0
	v_cndmask_b32_e64 v2, v31, v29, s[0:1]
	v_lshl_add_u32 v2, v2, 10, v21
	v_lshlrev_b32_e32 v29, 8, v10
	v_and_b32_e32 v2, 0xfc00, v2
	v_cndmask_b32_e64 v28, v30, v28, s[0:1]
	v_and_or_b32 v2, v29, s54, v2
	v_lshl_or_b32 v28, v28, 7, v2
.LBB256_22:                             ;   in Loop: Header=BB256_13 Depth=1
	s_or_b64 exec, exec, s[44:45]
.LBB256_23:                             ;   in Loop: Header=BB256_13 Depth=1
	s_or_b64 exec, exec, s[42:43]
.LBB256_24:                             ;   in Loop: Header=BB256_13 Depth=1
	s_or_b64 exec, exec, s[40:41]
	v_lshrrev_b16_e32 v2, 8, v10
	v_cmp_ne_u16_e64 s[0:1], 0, v2
	s_and_saveexec_b64 s[40:41], s[0:1]
	s_cbranch_execz .LBB256_30
; %bb.25:                               ;   in Loop: Header=BB256_13 Depth=1
	v_cmp_ne_u16_e64 s[0:1], s52, v2
	v_bfrev_b32_e32 v25, 1
	s_and_saveexec_b64 s[42:43], s[0:1]
	s_cbranch_execz .LBB256_29
; %bb.26:                               ;   in Loop: Header=BB256_13 Depth=1
	v_and_b32_e32 v29, 0x7f, v2
	v_cmp_ne_u32_e64 s[0:1], s53, v29
	v_mov_b32_e32 v25, 0x7c010000
	s_and_saveexec_b64 s[44:45], s[0:1]
	s_cbranch_execz .LBB256_28
; %bb.27:                               ;   in Loop: Header=BB256_13 Depth=1
	v_and_b32_e32 v25, 7, v2
	v_ffbh_u32_e32 v30, v25
	v_min_u32_e32 v33, 32, v30
	v_subrev_u32_e32 v30, 28, v33
	v_lshlrev_b64 v[30:31], v30, v[2:3]
	v_lshrrev_b32_e32 v32, 3, v29
	v_sub_u32_e32 v31, 29, v33
	v_cmp_gt_u32_e64 s[0:1], 8, v29
	v_lshlrev_b32_e32 v2, 8, v2
	v_and_b32_e32 v30, 7, v30
	v_cndmask_b32_e64 v29, v32, v31, s[0:1]
	v_lshl_add_u32 v29, v29, 10, v21
	v_and_or_b32 v2, v2, s54, v29
	v_cndmask_b32_e64 v25, v25, v30, s[0:1]
	v_lshlrev_b32_e32 v2, 16, v2
	v_lshl_or_b32 v25, v25, 23, v2
.LBB256_28:                             ;   in Loop: Header=BB256_13 Depth=1
	s_or_b64 exec, exec, s[44:45]
.LBB256_29:                             ;   in Loop: Header=BB256_13 Depth=1
	s_or_b64 exec, exec, s[42:43]
.LBB256_30:                             ;   in Loop: Header=BB256_13 Depth=1
	s_or_b64 exec, exec, s[40:41]
	v_lshrrev_b32_e32 v2, 16, v10
	v_cmp_ne_u16_sdwa s[0:1], v2, v3 src0_sel:BYTE_0 src1_sel:DWORD
	v_mov_b32_e32 v29, 0
	v_mov_b32_e32 v30, 0
	s_and_saveexec_b64 s[40:41], s[0:1]
	s_cbranch_execz .LBB256_36
; %bb.31:                               ;   in Loop: Header=BB256_13 Depth=1
	v_cmp_ne_u16_sdwa s[0:1], v2, s52 src0_sel:BYTE_0 src1_sel:DWORD
	v_mov_b32_e32 v30, 0x8000
	s_and_saveexec_b64 s[42:43], s[0:1]
	s_cbranch_execz .LBB256_35
; %bb.32:                               ;   in Loop: Header=BB256_13 Depth=1
	v_bfe_u32 v31, v10, 16, 7
	v_cmp_ne_u32_e64 s[0:1], s53, v31
	v_mov_b32_e32 v30, 0x7c01
	s_and_saveexec_b64 s[44:45], s[0:1]
	s_cbranch_execz .LBB256_34
; %bb.33:                               ;   in Loop: Header=BB256_13 Depth=1
	v_and_b32_e32 v30, 7, v2
	v_ffbh_u32_e32 v32, v30
	v_min_u32_e32 v35, 32, v32
	v_subrev_u32_e32 v32, 28, v35
	v_lshlrev_b64 v[32:33], v32, v[2:3]
	v_lshrrev_b32_e32 v34, 3, v31
	v_sub_u32_e32 v33, 29, v35
	v_cmp_gt_u32_e64 s[0:1], 8, v31
	v_lshlrev_b32_e32 v2, 8, v2
	v_and_b32_e32 v32, 7, v32
	v_cndmask_b32_e64 v31, v34, v33, s[0:1]
	v_lshl_add_u32 v31, v31, 10, v21
	v_and_b32_e32 v31, 0xfc00, v31
	v_cndmask_b32_e64 v30, v30, v32, s[0:1]
	v_and_or_b32 v2, v2, s54, v31
	v_lshl_or_b32 v30, v30, 7, v2
.LBB256_34:                             ;   in Loop: Header=BB256_13 Depth=1
	s_or_b64 exec, exec, s[44:45]
.LBB256_35:                             ;   in Loop: Header=BB256_13 Depth=1
	s_or_b64 exec, exec, s[42:43]
.LBB256_36:                             ;   in Loop: Header=BB256_13 Depth=1
	s_or_b64 exec, exec, s[40:41]
	v_cmp_lt_u32_e64 s[0:1], s55, v10
	s_and_saveexec_b64 s[40:41], s[0:1]
	s_cbranch_execz .LBB256_42
; %bb.37:                               ;   in Loop: Header=BB256_13 Depth=1
	v_lshrrev_b32_e32 v2, 24, v10
	v_cmp_ne_u32_e64 s[0:1], s52, v2
	v_bfrev_b32_e32 v29, 1
	s_and_saveexec_b64 s[42:43], s[0:1]
	s_cbranch_execz .LBB256_41
; %bb.38:                               ;   in Loop: Header=BB256_13 Depth=1
	v_and_b32_e32 v10, 0x7f, v2
	v_cmp_ne_u32_e64 s[0:1], s53, v10
	v_mov_b32_e32 v29, 0x7c010000
	s_and_saveexec_b64 s[44:45], s[0:1]
	s_cbranch_execz .LBB256_40
; %bb.39:                               ;   in Loop: Header=BB256_13 Depth=1
	v_and_b32_e32 v29, 7, v2
	v_ffbh_u32_e32 v32, v29
	v_min_u32_e32 v34, 32, v32
	v_subrev_u32_e32 v32, 28, v34
	v_lshlrev_b64 v[32:33], v32, v[2:3]
	v_lshrrev_b32_e32 v31, 3, v10
	v_sub_u32_e32 v33, 29, v34
	v_cmp_gt_u32_e64 s[0:1], 8, v10
	v_lshlrev_b32_e32 v2, 8, v2
	s_nop 0
	v_cndmask_b32_e64 v10, v31, v33, s[0:1]
	v_lshl_add_u32 v10, v10, 10, v21
	v_and_b32_e32 v31, 7, v32
	v_and_or_b32 v2, v2, s54, v10
	v_cndmask_b32_e64 v29, v29, v31, s[0:1]
	v_lshlrev_b32_e32 v2, 16, v2
	v_lshl_or_b32 v29, v29, 23, v2
.LBB256_40:                             ;   in Loop: Header=BB256_13 Depth=1
	s_or_b64 exec, exec, s[44:45]
.LBB256_41:                             ;   in Loop: Header=BB256_13 Depth=1
	s_or_b64 exec, exec, s[42:43]
.LBB256_42:                             ;   in Loop: Header=BB256_13 Depth=1
	s_or_b64 exec, exec, s[40:41]
	global_load_dword v10, v[8:9], off offset:8
	v_mov_b32_e32 v31, 0
	v_mov_b32_e32 v32, 0
	s_waitcnt vmcnt(0)
	v_cmp_ne_u16_sdwa s[0:1], v10, v3 src0_sel:BYTE_0 src1_sel:DWORD
	s_and_saveexec_b64 s[40:41], s[0:1]
	s_cbranch_execz .LBB256_48
; %bb.43:                               ;   in Loop: Header=BB256_13 Depth=1
	v_cmp_ne_u16_sdwa s[0:1], v10, s52 src0_sel:BYTE_0 src1_sel:DWORD
	v_mov_b32_e32 v32, 0x8000
	s_and_saveexec_b64 s[42:43], s[0:1]
	s_cbranch_execz .LBB256_47
; %bb.44:                               ;   in Loop: Header=BB256_13 Depth=1
	v_and_b32_e32 v2, 0x7f, v10
	v_cmp_ne_u32_e64 s[0:1], s53, v2
	v_mov_b32_e32 v32, 0x7c01
	s_and_saveexec_b64 s[44:45], s[0:1]
	s_cbranch_execz .LBB256_46
; %bb.45:                               ;   in Loop: Header=BB256_13 Depth=1
	v_and_b32_e32 v34, 7, v10
	v_ffbh_u32_e32 v32, v34
	v_min_u32_e32 v36, 32, v32
	v_subrev_u32_e32 v32, 28, v36
	v_lshlrev_b64 v[32:33], v32, v[10:11]
	v_lshrrev_b32_e32 v35, 3, v2
	v_sub_u32_e32 v33, 29, v36
	v_cmp_gt_u32_e64 s[0:1], 8, v2
	v_and_b32_e32 v32, 7, v32
	s_nop 0
	v_cndmask_b32_e64 v2, v35, v33, s[0:1]
	v_lshl_add_u32 v2, v2, 10, v21
	v_lshlrev_b32_e32 v33, 8, v10
	v_and_b32_e32 v2, 0xfc00, v2
	v_cndmask_b32_e64 v32, v34, v32, s[0:1]
	v_and_or_b32 v2, v33, s54, v2
	v_lshl_or_b32 v32, v32, 7, v2
.LBB256_46:                             ;   in Loop: Header=BB256_13 Depth=1
	s_or_b64 exec, exec, s[44:45]
.LBB256_47:                             ;   in Loop: Header=BB256_13 Depth=1
	s_or_b64 exec, exec, s[42:43]
.LBB256_48:                             ;   in Loop: Header=BB256_13 Depth=1
	s_or_b64 exec, exec, s[40:41]
	v_lshrrev_b16_e32 v2, 8, v10
	v_cmp_ne_u16_e64 s[0:1], 0, v2
	s_and_saveexec_b64 s[40:41], s[0:1]
	s_cbranch_execz .LBB256_54
; %bb.49:                               ;   in Loop: Header=BB256_13 Depth=1
	v_cmp_ne_u16_e64 s[0:1], s52, v2
	v_bfrev_b32_e32 v31, 1
	s_and_saveexec_b64 s[42:43], s[0:1]
	s_cbranch_execz .LBB256_53
; %bb.50:                               ;   in Loop: Header=BB256_13 Depth=1
	v_and_b32_e32 v33, 0x7f, v2
	v_cmp_ne_u32_e64 s[0:1], s53, v33
	v_mov_b32_e32 v31, 0x7c010000
	s_and_saveexec_b64 s[44:45], s[0:1]
	s_cbranch_execz .LBB256_52
; %bb.51:                               ;   in Loop: Header=BB256_13 Depth=1
	v_and_b32_e32 v31, 7, v2
	v_ffbh_u32_e32 v34, v31
	v_min_u32_e32 v37, 32, v34
	v_subrev_u32_e32 v34, 28, v37
	v_lshlrev_b64 v[34:35], v34, v[2:3]
	v_lshrrev_b32_e32 v36, 3, v33
	v_sub_u32_e32 v35, 29, v37
	v_cmp_gt_u32_e64 s[0:1], 8, v33
	v_lshlrev_b32_e32 v2, 8, v2
	v_and_b32_e32 v34, 7, v34
	v_cndmask_b32_e64 v33, v36, v35, s[0:1]
	v_lshl_add_u32 v33, v33, 10, v21
	v_and_or_b32 v2, v2, s54, v33
	v_cndmask_b32_e64 v31, v31, v34, s[0:1]
	v_lshlrev_b32_e32 v2, 16, v2
	v_lshl_or_b32 v31, v31, 23, v2
.LBB256_52:                             ;   in Loop: Header=BB256_13 Depth=1
	s_or_b64 exec, exec, s[44:45]
.LBB256_53:                             ;   in Loop: Header=BB256_13 Depth=1
	s_or_b64 exec, exec, s[42:43]
.LBB256_54:                             ;   in Loop: Header=BB256_13 Depth=1
	s_or_b64 exec, exec, s[40:41]
	v_lshrrev_b32_e32 v2, 16, v10
	v_cmp_ne_u16_sdwa s[0:1], v2, v3 src0_sel:BYTE_0 src1_sel:DWORD
	v_mov_b32_e32 v33, 0
	v_mov_b32_e32 v34, 0
	s_and_saveexec_b64 s[40:41], s[0:1]
	s_cbranch_execz .LBB256_60
; %bb.55:                               ;   in Loop: Header=BB256_13 Depth=1
	v_cmp_ne_u16_sdwa s[0:1], v2, s52 src0_sel:BYTE_0 src1_sel:DWORD
	v_mov_b32_e32 v34, 0x8000
	s_and_saveexec_b64 s[42:43], s[0:1]
	s_cbranch_execz .LBB256_59
; %bb.56:                               ;   in Loop: Header=BB256_13 Depth=1
	v_bfe_u32 v35, v10, 16, 7
	v_cmp_ne_u32_e64 s[0:1], s53, v35
	v_mov_b32_e32 v34, 0x7c01
	s_and_saveexec_b64 s[44:45], s[0:1]
	s_cbranch_execz .LBB256_58
; %bb.57:                               ;   in Loop: Header=BB256_13 Depth=1
	v_and_b32_e32 v34, 7, v2
	v_ffbh_u32_e32 v36, v34
	v_min_u32_e32 v39, 32, v36
	v_subrev_u32_e32 v36, 28, v39
	v_lshlrev_b64 v[36:37], v36, v[2:3]
	v_lshrrev_b32_e32 v38, 3, v35
	v_sub_u32_e32 v37, 29, v39
	v_cmp_gt_u32_e64 s[0:1], 8, v35
	v_lshlrev_b32_e32 v2, 8, v2
	v_and_b32_e32 v36, 7, v36
	v_cndmask_b32_e64 v35, v38, v37, s[0:1]
	v_lshl_add_u32 v35, v35, 10, v21
	v_and_b32_e32 v35, 0xfc00, v35
	v_cndmask_b32_e64 v34, v34, v36, s[0:1]
	v_and_or_b32 v2, v2, s54, v35
	v_lshl_or_b32 v34, v34, 7, v2
.LBB256_58:                             ;   in Loop: Header=BB256_13 Depth=1
	s_or_b64 exec, exec, s[44:45]
.LBB256_59:                             ;   in Loop: Header=BB256_13 Depth=1
	s_or_b64 exec, exec, s[42:43]
.LBB256_60:                             ;   in Loop: Header=BB256_13 Depth=1
	s_or_b64 exec, exec, s[40:41]
	v_cmp_lt_u32_e64 s[0:1], s55, v10
	s_and_saveexec_b64 s[40:41], s[0:1]
	s_cbranch_execz .LBB256_66
; %bb.61:                               ;   in Loop: Header=BB256_13 Depth=1
	v_lshrrev_b32_e32 v2, 24, v10
	v_cmp_ne_u32_e64 s[0:1], s52, v2
	v_bfrev_b32_e32 v33, 1
	s_and_saveexec_b64 s[42:43], s[0:1]
	s_cbranch_execz .LBB256_65
; %bb.62:                               ;   in Loop: Header=BB256_13 Depth=1
	v_and_b32_e32 v10, 0x7f, v2
	v_cmp_ne_u32_e64 s[0:1], s53, v10
	v_mov_b32_e32 v33, 0x7c010000
	s_and_saveexec_b64 s[44:45], s[0:1]
	s_cbranch_execz .LBB256_64
; %bb.63:                               ;   in Loop: Header=BB256_13 Depth=1
	v_and_b32_e32 v33, 7, v2
	v_ffbh_u32_e32 v36, v33
	v_min_u32_e32 v38, 32, v36
	v_subrev_u32_e32 v36, 28, v38
	v_lshlrev_b64 v[36:37], v36, v[2:3]
	v_lshrrev_b32_e32 v35, 3, v10
	v_sub_u32_e32 v37, 29, v38
	v_cmp_gt_u32_e64 s[0:1], 8, v10
	v_lshlrev_b32_e32 v2, 8, v2
	s_nop 0
	v_cndmask_b32_e64 v10, v35, v37, s[0:1]
	v_lshl_add_u32 v10, v10, 10, v21
	v_and_b32_e32 v35, 7, v36
	v_and_or_b32 v2, v2, s54, v10
	v_cndmask_b32_e64 v33, v33, v35, s[0:1]
	v_lshlrev_b32_e32 v2, 16, v2
	v_lshl_or_b32 v33, v33, 23, v2
.LBB256_64:                             ;   in Loop: Header=BB256_13 Depth=1
	s_or_b64 exec, exec, s[44:45]
.LBB256_65:                             ;   in Loop: Header=BB256_13 Depth=1
	s_or_b64 exec, exec, s[42:43]
.LBB256_66:                             ;   in Loop: Header=BB256_13 Depth=1
	s_or_b64 exec, exec, s[40:41]
	global_load_dword v10, v[8:9], off offset:512
	v_mov_b32_e32 v35, 0
	v_mov_b32_e32 v36, 0
	s_waitcnt vmcnt(0)
	v_cmp_ne_u16_sdwa s[0:1], v10, v3 src0_sel:BYTE_0 src1_sel:DWORD
	s_and_saveexec_b64 s[40:41], s[0:1]
	s_cbranch_execz .LBB256_72
; %bb.67:                               ;   in Loop: Header=BB256_13 Depth=1
	v_cmp_ne_u16_sdwa s[0:1], v10, s52 src0_sel:BYTE_0 src1_sel:DWORD
	v_mov_b32_e32 v36, 0x8000
	s_and_saveexec_b64 s[42:43], s[0:1]
	s_cbranch_execz .LBB256_71
; %bb.68:                               ;   in Loop: Header=BB256_13 Depth=1
	v_and_b32_e32 v2, 0x7f, v10
	v_cmp_ne_u32_e64 s[0:1], s53, v2
	v_mov_b32_e32 v36, 0x7c01
	s_and_saveexec_b64 s[44:45], s[0:1]
	s_cbranch_execz .LBB256_70
; %bb.69:                               ;   in Loop: Header=BB256_13 Depth=1
	v_and_b32_e32 v38, 7, v10
	v_ffbh_u32_e32 v36, v38
	v_min_u32_e32 v40, 32, v36
	v_subrev_u32_e32 v36, 28, v40
	v_lshlrev_b64 v[36:37], v36, v[10:11]
	v_lshrrev_b32_e32 v39, 3, v2
	v_sub_u32_e32 v37, 29, v40
	v_cmp_gt_u32_e64 s[0:1], 8, v2
	v_and_b32_e32 v36, 7, v36
	s_nop 0
	v_cndmask_b32_e64 v2, v39, v37, s[0:1]
	v_lshl_add_u32 v2, v2, 10, v21
	v_lshlrev_b32_e32 v37, 8, v10
	v_and_b32_e32 v2, 0xfc00, v2
	v_cndmask_b32_e64 v36, v38, v36, s[0:1]
	v_and_or_b32 v2, v37, s54, v2
	v_lshl_or_b32 v36, v36, 7, v2
.LBB256_70:                             ;   in Loop: Header=BB256_13 Depth=1
	s_or_b64 exec, exec, s[44:45]
.LBB256_71:                             ;   in Loop: Header=BB256_13 Depth=1
	s_or_b64 exec, exec, s[42:43]
.LBB256_72:                             ;   in Loop: Header=BB256_13 Depth=1
	s_or_b64 exec, exec, s[40:41]
	v_lshrrev_b16_e32 v2, 8, v10
	v_cmp_ne_u16_e64 s[0:1], 0, v2
	s_and_saveexec_b64 s[40:41], s[0:1]
	s_cbranch_execz .LBB256_78
; %bb.73:                               ;   in Loop: Header=BB256_13 Depth=1
	v_cmp_ne_u16_e64 s[0:1], s52, v2
	v_bfrev_b32_e32 v35, 1
	s_and_saveexec_b64 s[42:43], s[0:1]
	s_cbranch_execz .LBB256_77
; %bb.74:                               ;   in Loop: Header=BB256_13 Depth=1
	v_and_b32_e32 v37, 0x7f, v2
	v_cmp_ne_u32_e64 s[0:1], s53, v37
	v_mov_b32_e32 v35, 0x7c010000
	s_and_saveexec_b64 s[44:45], s[0:1]
	s_cbranch_execz .LBB256_76
; %bb.75:                               ;   in Loop: Header=BB256_13 Depth=1
	v_and_b32_e32 v35, 7, v2
	v_ffbh_u32_e32 v38, v35
	v_min_u32_e32 v41, 32, v38
	v_subrev_u32_e32 v38, 28, v41
	v_lshlrev_b64 v[38:39], v38, v[2:3]
	v_lshrrev_b32_e32 v40, 3, v37
	v_sub_u32_e32 v39, 29, v41
	v_cmp_gt_u32_e64 s[0:1], 8, v37
	v_lshlrev_b32_e32 v2, 8, v2
	v_and_b32_e32 v38, 7, v38
	v_cndmask_b32_e64 v37, v40, v39, s[0:1]
	v_lshl_add_u32 v37, v37, 10, v21
	v_and_or_b32 v2, v2, s54, v37
	v_cndmask_b32_e64 v35, v35, v38, s[0:1]
	v_lshlrev_b32_e32 v2, 16, v2
	v_lshl_or_b32 v35, v35, 23, v2
.LBB256_76:                             ;   in Loop: Header=BB256_13 Depth=1
	s_or_b64 exec, exec, s[44:45]
.LBB256_77:                             ;   in Loop: Header=BB256_13 Depth=1
	s_or_b64 exec, exec, s[42:43]
.LBB256_78:                             ;   in Loop: Header=BB256_13 Depth=1
	s_or_b64 exec, exec, s[40:41]
	v_lshrrev_b32_e32 v2, 16, v10
	v_cmp_ne_u16_sdwa s[0:1], v2, v3 src0_sel:BYTE_0 src1_sel:DWORD
	v_mov_b32_e32 v37, 0
	v_mov_b32_e32 v38, 0
	s_and_saveexec_b64 s[40:41], s[0:1]
	s_cbranch_execz .LBB256_84
; %bb.79:                               ;   in Loop: Header=BB256_13 Depth=1
	v_cmp_ne_u16_sdwa s[0:1], v2, s52 src0_sel:BYTE_0 src1_sel:DWORD
	v_mov_b32_e32 v38, 0x8000
	s_and_saveexec_b64 s[42:43], s[0:1]
	s_cbranch_execz .LBB256_83
; %bb.80:                               ;   in Loop: Header=BB256_13 Depth=1
	v_bfe_u32 v39, v10, 16, 7
	v_cmp_ne_u32_e64 s[0:1], s53, v39
	v_mov_b32_e32 v38, 0x7c01
	s_and_saveexec_b64 s[44:45], s[0:1]
	s_cbranch_execz .LBB256_82
; %bb.81:                               ;   in Loop: Header=BB256_13 Depth=1
	v_and_b32_e32 v38, 7, v2
	v_ffbh_u32_e32 v40, v38
	v_min_u32_e32 v43, 32, v40
	v_subrev_u32_e32 v40, 28, v43
	v_lshlrev_b64 v[40:41], v40, v[2:3]
	v_lshrrev_b32_e32 v42, 3, v39
	v_sub_u32_e32 v41, 29, v43
	v_cmp_gt_u32_e64 s[0:1], 8, v39
	v_lshlrev_b32_e32 v2, 8, v2
	v_and_b32_e32 v40, 7, v40
	v_cndmask_b32_e64 v39, v42, v41, s[0:1]
	v_lshl_add_u32 v39, v39, 10, v21
	v_and_b32_e32 v39, 0xfc00, v39
	v_cndmask_b32_e64 v38, v38, v40, s[0:1]
	v_and_or_b32 v2, v2, s54, v39
	v_lshl_or_b32 v38, v38, 7, v2
.LBB256_82:                             ;   in Loop: Header=BB256_13 Depth=1
	s_or_b64 exec, exec, s[44:45]
.LBB256_83:                             ;   in Loop: Header=BB256_13 Depth=1
	s_or_b64 exec, exec, s[42:43]
.LBB256_84:                             ;   in Loop: Header=BB256_13 Depth=1
	s_or_b64 exec, exec, s[40:41]
	v_cmp_lt_u32_e64 s[0:1], s55, v10
	s_and_saveexec_b64 s[40:41], s[0:1]
	s_cbranch_execz .LBB256_90
; %bb.85:                               ;   in Loop: Header=BB256_13 Depth=1
	v_lshrrev_b32_e32 v2, 24, v10
	v_cmp_ne_u32_e64 s[0:1], s52, v2
	v_bfrev_b32_e32 v37, 1
	s_and_saveexec_b64 s[42:43], s[0:1]
	s_cbranch_execz .LBB256_89
; %bb.86:                               ;   in Loop: Header=BB256_13 Depth=1
	v_and_b32_e32 v10, 0x7f, v2
	v_cmp_ne_u32_e64 s[0:1], s53, v10
	v_mov_b32_e32 v37, 0x7c010000
	s_and_saveexec_b64 s[44:45], s[0:1]
	s_cbranch_execz .LBB256_88
; %bb.87:                               ;   in Loop: Header=BB256_13 Depth=1
	v_and_b32_e32 v37, 7, v2
	v_ffbh_u32_e32 v40, v37
	v_min_u32_e32 v42, 32, v40
	v_subrev_u32_e32 v40, 28, v42
	v_lshlrev_b64 v[40:41], v40, v[2:3]
	v_lshrrev_b32_e32 v39, 3, v10
	v_sub_u32_e32 v41, 29, v42
	v_cmp_gt_u32_e64 s[0:1], 8, v10
	v_lshlrev_b32_e32 v2, 8, v2
	s_nop 0
	v_cndmask_b32_e64 v10, v39, v41, s[0:1]
	v_lshl_add_u32 v10, v10, 10, v21
	v_and_b32_e32 v39, 7, v40
	v_and_or_b32 v2, v2, s54, v10
	v_cndmask_b32_e64 v37, v37, v39, s[0:1]
	v_lshlrev_b32_e32 v2, 16, v2
	v_lshl_or_b32 v37, v37, 23, v2
.LBB256_88:                             ;   in Loop: Header=BB256_13 Depth=1
	s_or_b64 exec, exec, s[44:45]
.LBB256_89:                             ;   in Loop: Header=BB256_13 Depth=1
	s_or_b64 exec, exec, s[42:43]
.LBB256_90:                             ;   in Loop: Header=BB256_13 Depth=1
	s_or_b64 exec, exec, s[40:41]
	global_load_dword v10, v[8:9], off offset:520
	v_mov_b32_e32 v39, 0
	v_mov_b32_e32 v40, 0
	s_waitcnt vmcnt(0)
	v_cmp_ne_u16_sdwa s[0:1], v10, v3 src0_sel:BYTE_0 src1_sel:DWORD
	s_and_saveexec_b64 s[40:41], s[0:1]
	s_cbranch_execz .LBB256_96
; %bb.91:                               ;   in Loop: Header=BB256_13 Depth=1
	v_cmp_ne_u16_sdwa s[0:1], v10, s52 src0_sel:BYTE_0 src1_sel:DWORD
	v_mov_b32_e32 v40, 0x8000
	s_and_saveexec_b64 s[42:43], s[0:1]
	s_cbranch_execz .LBB256_95
; %bb.92:                               ;   in Loop: Header=BB256_13 Depth=1
	v_and_b32_e32 v2, 0x7f, v10
	v_cmp_ne_u32_e64 s[0:1], s53, v2
	v_mov_b32_e32 v40, 0x7c01
	s_and_saveexec_b64 s[44:45], s[0:1]
	s_cbranch_execz .LBB256_94
; %bb.93:                               ;   in Loop: Header=BB256_13 Depth=1
	v_and_b32_e32 v42, 7, v10
	v_ffbh_u32_e32 v40, v42
	v_min_u32_e32 v44, 32, v40
	v_subrev_u32_e32 v40, 28, v44
	v_lshlrev_b64 v[40:41], v40, v[10:11]
	v_lshrrev_b32_e32 v43, 3, v2
	v_sub_u32_e32 v41, 29, v44
	v_cmp_gt_u32_e64 s[0:1], 8, v2
	v_and_b32_e32 v40, 7, v40
	s_nop 0
	v_cndmask_b32_e64 v2, v43, v41, s[0:1]
	v_lshl_add_u32 v2, v2, 10, v21
	v_lshlrev_b32_e32 v41, 8, v10
	v_and_b32_e32 v2, 0xfc00, v2
	v_cndmask_b32_e64 v40, v42, v40, s[0:1]
	v_and_or_b32 v2, v41, s54, v2
	v_lshl_or_b32 v40, v40, 7, v2
.LBB256_94:                             ;   in Loop: Header=BB256_13 Depth=1
	s_or_b64 exec, exec, s[44:45]
.LBB256_95:                             ;   in Loop: Header=BB256_13 Depth=1
	s_or_b64 exec, exec, s[42:43]
.LBB256_96:                             ;   in Loop: Header=BB256_13 Depth=1
	s_or_b64 exec, exec, s[40:41]
	v_lshrrev_b16_e32 v2, 8, v10
	v_cmp_ne_u16_e64 s[0:1], 0, v2
	s_and_saveexec_b64 s[40:41], s[0:1]
	s_cbranch_execz .LBB256_102
; %bb.97:                               ;   in Loop: Header=BB256_13 Depth=1
	v_cmp_ne_u16_e64 s[0:1], s52, v2
	v_bfrev_b32_e32 v39, 1
	s_and_saveexec_b64 s[42:43], s[0:1]
	s_cbranch_execz .LBB256_101
; %bb.98:                               ;   in Loop: Header=BB256_13 Depth=1
	v_and_b32_e32 v41, 0x7f, v2
	v_cmp_ne_u32_e64 s[0:1], s53, v41
	v_mov_b32_e32 v39, 0x7c010000
	s_and_saveexec_b64 s[44:45], s[0:1]
	s_cbranch_execz .LBB256_100
; %bb.99:                               ;   in Loop: Header=BB256_13 Depth=1
	v_and_b32_e32 v39, 7, v2
	v_ffbh_u32_e32 v42, v39
	v_min_u32_e32 v45, 32, v42
	v_subrev_u32_e32 v42, 28, v45
	v_lshlrev_b64 v[42:43], v42, v[2:3]
	v_lshrrev_b32_e32 v44, 3, v41
	v_sub_u32_e32 v43, 29, v45
	v_cmp_gt_u32_e64 s[0:1], 8, v41
	v_lshlrev_b32_e32 v2, 8, v2
	v_and_b32_e32 v42, 7, v42
	v_cndmask_b32_e64 v41, v44, v43, s[0:1]
	v_lshl_add_u32 v41, v41, 10, v21
	v_and_or_b32 v2, v2, s54, v41
	v_cndmask_b32_e64 v39, v39, v42, s[0:1]
	v_lshlrev_b32_e32 v2, 16, v2
	v_lshl_or_b32 v39, v39, 23, v2
.LBB256_100:                            ;   in Loop: Header=BB256_13 Depth=1
	s_or_b64 exec, exec, s[44:45]
.LBB256_101:                            ;   in Loop: Header=BB256_13 Depth=1
	s_or_b64 exec, exec, s[42:43]
.LBB256_102:                            ;   in Loop: Header=BB256_13 Depth=1
	s_or_b64 exec, exec, s[40:41]
	v_lshrrev_b32_e32 v2, 16, v10
	v_cmp_ne_u16_sdwa s[0:1], v2, v3 src0_sel:BYTE_0 src1_sel:DWORD
	v_mov_b32_e32 v41, 0
	v_mov_b32_e32 v42, 0
	s_and_saveexec_b64 s[40:41], s[0:1]
	s_cbranch_execz .LBB256_108
; %bb.103:                              ;   in Loop: Header=BB256_13 Depth=1
	v_cmp_ne_u16_sdwa s[0:1], v2, s52 src0_sel:BYTE_0 src1_sel:DWORD
	v_mov_b32_e32 v42, 0x8000
	s_and_saveexec_b64 s[42:43], s[0:1]
	s_cbranch_execz .LBB256_107
; %bb.104:                              ;   in Loop: Header=BB256_13 Depth=1
	v_bfe_u32 v43, v10, 16, 7
	v_cmp_ne_u32_e64 s[0:1], s53, v43
	v_mov_b32_e32 v42, 0x7c01
	s_and_saveexec_b64 s[44:45], s[0:1]
	s_cbranch_execz .LBB256_106
; %bb.105:                              ;   in Loop: Header=BB256_13 Depth=1
	v_and_b32_e32 v42, 7, v2
	v_ffbh_u32_e32 v44, v42
	v_min_u32_e32 v47, 32, v44
	v_subrev_u32_e32 v44, 28, v47
	v_lshlrev_b64 v[44:45], v44, v[2:3]
	v_lshrrev_b32_e32 v46, 3, v43
	v_sub_u32_e32 v45, 29, v47
	v_cmp_gt_u32_e64 s[0:1], 8, v43
	v_lshlrev_b32_e32 v2, 8, v2
	v_and_b32_e32 v44, 7, v44
	v_cndmask_b32_e64 v43, v46, v45, s[0:1]
	v_lshl_add_u32 v43, v43, 10, v21
	v_and_b32_e32 v43, 0xfc00, v43
	v_cndmask_b32_e64 v42, v42, v44, s[0:1]
	v_and_or_b32 v2, v2, s54, v43
	v_lshl_or_b32 v42, v42, 7, v2
.LBB256_106:                            ;   in Loop: Header=BB256_13 Depth=1
	s_or_b64 exec, exec, s[44:45]
.LBB256_107:                            ;   in Loop: Header=BB256_13 Depth=1
	s_or_b64 exec, exec, s[42:43]
.LBB256_108:                            ;   in Loop: Header=BB256_13 Depth=1
	s_or_b64 exec, exec, s[40:41]
	v_cmp_lt_u32_e64 s[0:1], s55, v10
	s_and_saveexec_b64 s[40:41], s[0:1]
	s_cbranch_execz .LBB256_114
; %bb.109:                              ;   in Loop: Header=BB256_13 Depth=1
	v_lshrrev_b32_e32 v2, 24, v10
	v_cmp_ne_u32_e64 s[0:1], s52, v2
	v_bfrev_b32_e32 v41, 1
	s_and_saveexec_b64 s[42:43], s[0:1]
	s_cbranch_execz .LBB256_113
; %bb.110:                              ;   in Loop: Header=BB256_13 Depth=1
	v_and_b32_e32 v10, 0x7f, v2
	v_cmp_ne_u32_e64 s[0:1], s53, v10
	v_mov_b32_e32 v41, 0x7c010000
	s_and_saveexec_b64 s[44:45], s[0:1]
	s_cbranch_execz .LBB256_112
; %bb.111:                              ;   in Loop: Header=BB256_13 Depth=1
	v_and_b32_e32 v41, 7, v2
	v_ffbh_u32_e32 v44, v41
	v_min_u32_e32 v46, 32, v44
	v_subrev_u32_e32 v44, 28, v46
	v_lshlrev_b64 v[44:45], v44, v[2:3]
	v_lshrrev_b32_e32 v43, 3, v10
	v_sub_u32_e32 v45, 29, v46
	v_cmp_gt_u32_e64 s[0:1], 8, v10
	v_lshlrev_b32_e32 v2, 8, v2
	s_nop 0
	v_cndmask_b32_e64 v10, v43, v45, s[0:1]
	v_lshl_add_u32 v10, v10, 10, v21
	v_and_b32_e32 v43, 7, v44
	v_and_or_b32 v2, v2, s54, v10
	v_cndmask_b32_e64 v41, v41, v43, s[0:1]
	v_lshlrev_b32_e32 v2, 16, v2
	v_lshl_or_b32 v41, v41, 23, v2
.LBB256_112:                            ;   in Loop: Header=BB256_13 Depth=1
	s_or_b64 exec, exec, s[44:45]
.LBB256_113:                            ;   in Loop: Header=BB256_13 Depth=1
	s_or_b64 exec, exec, s[42:43]
.LBB256_114:                            ;   in Loop: Header=BB256_13 Depth=1
	s_or_b64 exec, exec, s[40:41]
	global_load_dword v10, v[8:9], off offset:1024
	v_mov_b32_e32 v43, 0
	v_mov_b32_e32 v44, 0
	s_waitcnt vmcnt(0)
	v_cmp_ne_u16_sdwa s[0:1], v10, v3 src0_sel:BYTE_0 src1_sel:DWORD
	s_and_saveexec_b64 s[40:41], s[0:1]
	s_cbranch_execz .LBB256_120
; %bb.115:                              ;   in Loop: Header=BB256_13 Depth=1
	v_cmp_ne_u16_sdwa s[0:1], v10, s52 src0_sel:BYTE_0 src1_sel:DWORD
	v_mov_b32_e32 v44, 0x8000
	s_and_saveexec_b64 s[42:43], s[0:1]
	s_cbranch_execz .LBB256_119
; %bb.116:                              ;   in Loop: Header=BB256_13 Depth=1
	v_and_b32_e32 v2, 0x7f, v10
	v_cmp_ne_u32_e64 s[0:1], s53, v2
	v_mov_b32_e32 v44, 0x7c01
	s_and_saveexec_b64 s[44:45], s[0:1]
	s_cbranch_execz .LBB256_118
; %bb.117:                              ;   in Loop: Header=BB256_13 Depth=1
	v_and_b32_e32 v46, 7, v10
	v_ffbh_u32_e32 v44, v46
	v_min_u32_e32 v48, 32, v44
	v_subrev_u32_e32 v44, 28, v48
	v_lshlrev_b64 v[44:45], v44, v[10:11]
	v_lshrrev_b32_e32 v47, 3, v2
	v_sub_u32_e32 v45, 29, v48
	v_cmp_gt_u32_e64 s[0:1], 8, v2
	v_and_b32_e32 v44, 7, v44
	s_nop 0
	v_cndmask_b32_e64 v2, v47, v45, s[0:1]
	v_lshl_add_u32 v2, v2, 10, v21
	v_lshlrev_b32_e32 v45, 8, v10
	v_and_b32_e32 v2, 0xfc00, v2
	v_cndmask_b32_e64 v44, v46, v44, s[0:1]
	v_and_or_b32 v2, v45, s54, v2
	v_lshl_or_b32 v44, v44, 7, v2
.LBB256_118:                            ;   in Loop: Header=BB256_13 Depth=1
	s_or_b64 exec, exec, s[44:45]
.LBB256_119:                            ;   in Loop: Header=BB256_13 Depth=1
	s_or_b64 exec, exec, s[42:43]
.LBB256_120:                            ;   in Loop: Header=BB256_13 Depth=1
	s_or_b64 exec, exec, s[40:41]
	v_lshrrev_b16_e32 v2, 8, v10
	v_cmp_ne_u16_e64 s[0:1], 0, v2
	s_and_saveexec_b64 s[40:41], s[0:1]
	s_cbranch_execz .LBB256_126
; %bb.121:                              ;   in Loop: Header=BB256_13 Depth=1
	v_cmp_ne_u16_e64 s[0:1], s52, v2
	v_bfrev_b32_e32 v43, 1
	s_and_saveexec_b64 s[42:43], s[0:1]
	s_cbranch_execz .LBB256_125
; %bb.122:                              ;   in Loop: Header=BB256_13 Depth=1
	v_and_b32_e32 v45, 0x7f, v2
	v_cmp_ne_u32_e64 s[0:1], s53, v45
	v_mov_b32_e32 v43, 0x7c010000
	s_and_saveexec_b64 s[44:45], s[0:1]
	s_cbranch_execz .LBB256_124
; %bb.123:                              ;   in Loop: Header=BB256_13 Depth=1
	v_and_b32_e32 v43, 7, v2
	v_ffbh_u32_e32 v46, v43
	v_min_u32_e32 v49, 32, v46
	v_subrev_u32_e32 v46, 28, v49
	v_lshlrev_b64 v[46:47], v46, v[2:3]
	v_lshrrev_b32_e32 v48, 3, v45
	v_sub_u32_e32 v47, 29, v49
	v_cmp_gt_u32_e64 s[0:1], 8, v45
	v_lshlrev_b32_e32 v2, 8, v2
	v_and_b32_e32 v46, 7, v46
	v_cndmask_b32_e64 v45, v48, v47, s[0:1]
	v_lshl_add_u32 v45, v45, 10, v21
	v_and_or_b32 v2, v2, s54, v45
	v_cndmask_b32_e64 v43, v43, v46, s[0:1]
	v_lshlrev_b32_e32 v2, 16, v2
	v_lshl_or_b32 v43, v43, 23, v2
.LBB256_124:                            ;   in Loop: Header=BB256_13 Depth=1
	s_or_b64 exec, exec, s[44:45]
.LBB256_125:                            ;   in Loop: Header=BB256_13 Depth=1
	s_or_b64 exec, exec, s[42:43]
.LBB256_126:                            ;   in Loop: Header=BB256_13 Depth=1
	s_or_b64 exec, exec, s[40:41]
	v_lshrrev_b32_e32 v2, 16, v10
	v_cmp_ne_u16_sdwa s[0:1], v2, v3 src0_sel:BYTE_0 src1_sel:DWORD
	v_mov_b32_e32 v45, 0
	v_mov_b32_e32 v46, 0
	s_and_saveexec_b64 s[40:41], s[0:1]
	s_cbranch_execz .LBB256_132
; %bb.127:                              ;   in Loop: Header=BB256_13 Depth=1
	v_cmp_ne_u16_sdwa s[0:1], v2, s52 src0_sel:BYTE_0 src1_sel:DWORD
	v_mov_b32_e32 v46, 0x8000
	s_and_saveexec_b64 s[42:43], s[0:1]
	s_cbranch_execz .LBB256_131
; %bb.128:                              ;   in Loop: Header=BB256_13 Depth=1
	v_bfe_u32 v47, v10, 16, 7
	v_cmp_ne_u32_e64 s[0:1], s53, v47
	v_mov_b32_e32 v46, 0x7c01
	s_and_saveexec_b64 s[44:45], s[0:1]
	s_cbranch_execz .LBB256_130
; %bb.129:                              ;   in Loop: Header=BB256_13 Depth=1
	v_and_b32_e32 v46, 7, v2
	v_ffbh_u32_e32 v48, v46
	v_min_u32_e32 v51, 32, v48
	v_subrev_u32_e32 v48, 28, v51
	v_lshlrev_b64 v[48:49], v48, v[2:3]
	v_lshrrev_b32_e32 v50, 3, v47
	v_sub_u32_e32 v49, 29, v51
	v_cmp_gt_u32_e64 s[0:1], 8, v47
	v_lshlrev_b32_e32 v2, 8, v2
	v_and_b32_e32 v48, 7, v48
	v_cndmask_b32_e64 v47, v50, v49, s[0:1]
	v_lshl_add_u32 v47, v47, 10, v21
	v_and_b32_e32 v47, 0xfc00, v47
	v_cndmask_b32_e64 v46, v46, v48, s[0:1]
	v_and_or_b32 v2, v2, s54, v47
	v_lshl_or_b32 v46, v46, 7, v2
.LBB256_130:                            ;   in Loop: Header=BB256_13 Depth=1
	s_or_b64 exec, exec, s[44:45]
.LBB256_131:                            ;   in Loop: Header=BB256_13 Depth=1
	s_or_b64 exec, exec, s[42:43]
.LBB256_132:                            ;   in Loop: Header=BB256_13 Depth=1
	s_or_b64 exec, exec, s[40:41]
	v_cmp_lt_u32_e64 s[0:1], s55, v10
	s_and_saveexec_b64 s[40:41], s[0:1]
	s_cbranch_execz .LBB256_138
; %bb.133:                              ;   in Loop: Header=BB256_13 Depth=1
	v_lshrrev_b32_e32 v2, 24, v10
	v_cmp_ne_u32_e64 s[0:1], s52, v2
	v_bfrev_b32_e32 v45, 1
	s_and_saveexec_b64 s[42:43], s[0:1]
	s_cbranch_execz .LBB256_137
; %bb.134:                              ;   in Loop: Header=BB256_13 Depth=1
	v_and_b32_e32 v10, 0x7f, v2
	v_cmp_ne_u32_e64 s[0:1], s53, v10
	v_mov_b32_e32 v45, 0x7c010000
	s_and_saveexec_b64 s[44:45], s[0:1]
	s_cbranch_execz .LBB256_136
; %bb.135:                              ;   in Loop: Header=BB256_13 Depth=1
	v_and_b32_e32 v45, 7, v2
	v_ffbh_u32_e32 v48, v45
	v_min_u32_e32 v50, 32, v48
	v_subrev_u32_e32 v48, 28, v50
	v_lshlrev_b64 v[48:49], v48, v[2:3]
	v_lshrrev_b32_e32 v47, 3, v10
	v_sub_u32_e32 v49, 29, v50
	v_cmp_gt_u32_e64 s[0:1], 8, v10
	v_lshlrev_b32_e32 v2, 8, v2
	s_nop 0
	v_cndmask_b32_e64 v10, v47, v49, s[0:1]
	v_lshl_add_u32 v10, v10, 10, v21
	v_and_b32_e32 v47, 7, v48
	v_and_or_b32 v2, v2, s54, v10
	v_cndmask_b32_e64 v45, v45, v47, s[0:1]
	v_lshlrev_b32_e32 v2, 16, v2
	v_lshl_or_b32 v45, v45, 23, v2
.LBB256_136:                            ;   in Loop: Header=BB256_13 Depth=1
	s_or_b64 exec, exec, s[44:45]
.LBB256_137:                            ;   in Loop: Header=BB256_13 Depth=1
	s_or_b64 exec, exec, s[42:43]
.LBB256_138:                            ;   in Loop: Header=BB256_13 Depth=1
	s_or_b64 exec, exec, s[40:41]
	global_load_dword v10, v[8:9], off offset:1032
	v_mov_b32_e32 v47, 0
	v_mov_b32_e32 v48, 0
	s_waitcnt vmcnt(0)
	v_cmp_ne_u16_sdwa s[0:1], v10, v3 src0_sel:BYTE_0 src1_sel:DWORD
	s_and_saveexec_b64 s[40:41], s[0:1]
	s_cbranch_execz .LBB256_144
; %bb.139:                              ;   in Loop: Header=BB256_13 Depth=1
	v_cmp_ne_u16_sdwa s[0:1], v10, s52 src0_sel:BYTE_0 src1_sel:DWORD
	v_mov_b32_e32 v48, 0x8000
	s_and_saveexec_b64 s[42:43], s[0:1]
	s_cbranch_execz .LBB256_143
; %bb.140:                              ;   in Loop: Header=BB256_13 Depth=1
	v_and_b32_e32 v2, 0x7f, v10
	v_cmp_ne_u32_e64 s[0:1], s53, v2
	v_mov_b32_e32 v48, 0x7c01
	s_and_saveexec_b64 s[44:45], s[0:1]
	s_cbranch_execz .LBB256_142
; %bb.141:                              ;   in Loop: Header=BB256_13 Depth=1
	v_and_b32_e32 v50, 7, v10
	v_ffbh_u32_e32 v48, v50
	v_min_u32_e32 v52, 32, v48
	v_subrev_u32_e32 v48, 28, v52
	v_lshlrev_b64 v[48:49], v48, v[10:11]
	v_lshrrev_b32_e32 v51, 3, v2
	v_sub_u32_e32 v49, 29, v52
	v_cmp_gt_u32_e64 s[0:1], 8, v2
	v_and_b32_e32 v48, 7, v48
	s_nop 0
	v_cndmask_b32_e64 v2, v51, v49, s[0:1]
	v_lshl_add_u32 v2, v2, 10, v21
	v_lshlrev_b32_e32 v49, 8, v10
	v_and_b32_e32 v2, 0xfc00, v2
	v_cndmask_b32_e64 v48, v50, v48, s[0:1]
	v_and_or_b32 v2, v49, s54, v2
	v_lshl_or_b32 v48, v48, 7, v2
.LBB256_142:                            ;   in Loop: Header=BB256_13 Depth=1
	s_or_b64 exec, exec, s[44:45]
.LBB256_143:                            ;   in Loop: Header=BB256_13 Depth=1
	s_or_b64 exec, exec, s[42:43]
.LBB256_144:                            ;   in Loop: Header=BB256_13 Depth=1
	s_or_b64 exec, exec, s[40:41]
	v_lshrrev_b16_e32 v2, 8, v10
	v_cmp_ne_u16_e64 s[0:1], 0, v2
	s_and_saveexec_b64 s[40:41], s[0:1]
	s_cbranch_execz .LBB256_150
; %bb.145:                              ;   in Loop: Header=BB256_13 Depth=1
	v_cmp_ne_u16_e64 s[0:1], s52, v2
	v_bfrev_b32_e32 v47, 1
	s_and_saveexec_b64 s[42:43], s[0:1]
	s_cbranch_execz .LBB256_149
; %bb.146:                              ;   in Loop: Header=BB256_13 Depth=1
	v_and_b32_e32 v49, 0x7f, v2
	v_cmp_ne_u32_e64 s[0:1], s53, v49
	v_mov_b32_e32 v47, 0x7c010000
	s_and_saveexec_b64 s[44:45], s[0:1]
	s_cbranch_execz .LBB256_148
; %bb.147:                              ;   in Loop: Header=BB256_13 Depth=1
	v_and_b32_e32 v47, 7, v2
	v_ffbh_u32_e32 v50, v47
	v_min_u32_e32 v53, 32, v50
	v_subrev_u32_e32 v50, 28, v53
	v_lshlrev_b64 v[50:51], v50, v[2:3]
	v_lshrrev_b32_e32 v52, 3, v49
	v_sub_u32_e32 v51, 29, v53
	v_cmp_gt_u32_e64 s[0:1], 8, v49
	v_lshlrev_b32_e32 v2, 8, v2
	v_and_b32_e32 v50, 7, v50
	v_cndmask_b32_e64 v49, v52, v51, s[0:1]
	v_lshl_add_u32 v49, v49, 10, v21
	v_and_or_b32 v2, v2, s54, v49
	v_cndmask_b32_e64 v47, v47, v50, s[0:1]
	v_lshlrev_b32_e32 v2, 16, v2
	v_lshl_or_b32 v47, v47, 23, v2
.LBB256_148:                            ;   in Loop: Header=BB256_13 Depth=1
	s_or_b64 exec, exec, s[44:45]
.LBB256_149:                            ;   in Loop: Header=BB256_13 Depth=1
	s_or_b64 exec, exec, s[42:43]
.LBB256_150:                            ;   in Loop: Header=BB256_13 Depth=1
	s_or_b64 exec, exec, s[40:41]
	v_lshrrev_b32_e32 v2, 16, v10
	v_cmp_ne_u16_sdwa s[0:1], v2, v3 src0_sel:BYTE_0 src1_sel:DWORD
	v_mov_b32_e32 v49, 0
	v_mov_b32_e32 v50, 0
	s_and_saveexec_b64 s[40:41], s[0:1]
	s_cbranch_execz .LBB256_156
; %bb.151:                              ;   in Loop: Header=BB256_13 Depth=1
	v_cmp_ne_u16_sdwa s[0:1], v2, s52 src0_sel:BYTE_0 src1_sel:DWORD
	v_mov_b32_e32 v50, 0x8000
	s_and_saveexec_b64 s[42:43], s[0:1]
	s_cbranch_execz .LBB256_155
; %bb.152:                              ;   in Loop: Header=BB256_13 Depth=1
	v_bfe_u32 v51, v10, 16, 7
	v_cmp_ne_u32_e64 s[0:1], s53, v51
	v_mov_b32_e32 v50, 0x7c01
	s_and_saveexec_b64 s[44:45], s[0:1]
	s_cbranch_execz .LBB256_154
; %bb.153:                              ;   in Loop: Header=BB256_13 Depth=1
	v_and_b32_e32 v50, 7, v2
	v_ffbh_u32_e32 v52, v50
	v_min_u32_e32 v55, 32, v52
	v_subrev_u32_e32 v52, 28, v55
	v_lshlrev_b64 v[52:53], v52, v[2:3]
	v_lshrrev_b32_e32 v54, 3, v51
	v_sub_u32_e32 v53, 29, v55
	v_cmp_gt_u32_e64 s[0:1], 8, v51
	v_lshlrev_b32_e32 v2, 8, v2
	v_and_b32_e32 v52, 7, v52
	v_cndmask_b32_e64 v51, v54, v53, s[0:1]
	v_lshl_add_u32 v51, v51, 10, v21
	v_and_b32_e32 v51, 0xfc00, v51
	v_cndmask_b32_e64 v50, v50, v52, s[0:1]
	v_and_or_b32 v2, v2, s54, v51
	v_lshl_or_b32 v50, v50, 7, v2
.LBB256_154:                            ;   in Loop: Header=BB256_13 Depth=1
	s_or_b64 exec, exec, s[44:45]
.LBB256_155:                            ;   in Loop: Header=BB256_13 Depth=1
	s_or_b64 exec, exec, s[42:43]
.LBB256_156:                            ;   in Loop: Header=BB256_13 Depth=1
	s_or_b64 exec, exec, s[40:41]
	v_cmp_lt_u32_e64 s[0:1], s55, v10
	s_and_saveexec_b64 s[40:41], s[0:1]
	s_cbranch_execz .LBB256_162
; %bb.157:                              ;   in Loop: Header=BB256_13 Depth=1
	v_lshrrev_b32_e32 v2, 24, v10
	v_cmp_ne_u32_e64 s[0:1], s52, v2
	v_bfrev_b32_e32 v49, 1
	s_and_saveexec_b64 s[42:43], s[0:1]
	s_cbranch_execz .LBB256_161
; %bb.158:                              ;   in Loop: Header=BB256_13 Depth=1
	v_and_b32_e32 v10, 0x7f, v2
	v_cmp_ne_u32_e64 s[0:1], s53, v10
	v_mov_b32_e32 v49, 0x7c010000
	s_and_saveexec_b64 s[44:45], s[0:1]
	s_cbranch_execz .LBB256_160
; %bb.159:                              ;   in Loop: Header=BB256_13 Depth=1
	v_and_b32_e32 v49, 7, v2
	v_ffbh_u32_e32 v52, v49
	v_min_u32_e32 v54, 32, v52
	v_subrev_u32_e32 v52, 28, v54
	v_lshlrev_b64 v[52:53], v52, v[2:3]
	v_lshrrev_b32_e32 v51, 3, v10
	v_sub_u32_e32 v53, 29, v54
	v_cmp_gt_u32_e64 s[0:1], 8, v10
	v_lshlrev_b32_e32 v2, 8, v2
	s_nop 0
	v_cndmask_b32_e64 v10, v51, v53, s[0:1]
	v_lshl_add_u32 v10, v10, 10, v21
	v_and_b32_e32 v51, 7, v52
	v_and_or_b32 v2, v2, s54, v10
	v_cndmask_b32_e64 v49, v49, v51, s[0:1]
	v_lshlrev_b32_e32 v2, 16, v2
	v_lshl_or_b32 v49, v49, 23, v2
.LBB256_160:                            ;   in Loop: Header=BB256_13 Depth=1
	s_or_b64 exec, exec, s[44:45]
.LBB256_161:                            ;   in Loop: Header=BB256_13 Depth=1
	s_or_b64 exec, exec, s[42:43]
.LBB256_162:                            ;   in Loop: Header=BB256_13 Depth=1
	s_or_b64 exec, exec, s[40:41]
	global_load_dword v10, v[8:9], off offset:1536
	v_mov_b32_e32 v51, 0
	v_mov_b32_e32 v52, 0
	s_waitcnt vmcnt(0)
	v_cmp_ne_u16_sdwa s[0:1], v10, v3 src0_sel:BYTE_0 src1_sel:DWORD
	s_and_saveexec_b64 s[40:41], s[0:1]
	s_cbranch_execz .LBB256_168
; %bb.163:                              ;   in Loop: Header=BB256_13 Depth=1
	v_cmp_ne_u16_sdwa s[0:1], v10, s52 src0_sel:BYTE_0 src1_sel:DWORD
	v_mov_b32_e32 v52, 0x8000
	s_and_saveexec_b64 s[42:43], s[0:1]
	s_cbranch_execz .LBB256_167
; %bb.164:                              ;   in Loop: Header=BB256_13 Depth=1
	v_and_b32_e32 v2, 0x7f, v10
	v_cmp_ne_u32_e64 s[0:1], s53, v2
	v_mov_b32_e32 v52, 0x7c01
	s_and_saveexec_b64 s[44:45], s[0:1]
	s_cbranch_execz .LBB256_166
; %bb.165:                              ;   in Loop: Header=BB256_13 Depth=1
	v_and_b32_e32 v54, 7, v10
	v_ffbh_u32_e32 v52, v54
	v_min_u32_e32 v56, 32, v52
	v_subrev_u32_e32 v52, 28, v56
	v_lshlrev_b64 v[52:53], v52, v[10:11]
	v_lshrrev_b32_e32 v55, 3, v2
	v_sub_u32_e32 v53, 29, v56
	v_cmp_gt_u32_e64 s[0:1], 8, v2
	v_and_b32_e32 v52, 7, v52
	s_nop 0
	v_cndmask_b32_e64 v2, v55, v53, s[0:1]
	v_lshl_add_u32 v2, v2, 10, v21
	v_lshlrev_b32_e32 v53, 8, v10
	v_and_b32_e32 v2, 0xfc00, v2
	v_cndmask_b32_e64 v52, v54, v52, s[0:1]
	v_and_or_b32 v2, v53, s54, v2
	v_lshl_or_b32 v52, v52, 7, v2
.LBB256_166:                            ;   in Loop: Header=BB256_13 Depth=1
	s_or_b64 exec, exec, s[44:45]
.LBB256_167:                            ;   in Loop: Header=BB256_13 Depth=1
	s_or_b64 exec, exec, s[42:43]
.LBB256_168:                            ;   in Loop: Header=BB256_13 Depth=1
	s_or_b64 exec, exec, s[40:41]
	v_lshrrev_b16_e32 v2, 8, v10
	v_cmp_ne_u16_e64 s[0:1], 0, v2
	s_and_saveexec_b64 s[40:41], s[0:1]
	s_cbranch_execz .LBB256_174
; %bb.169:                              ;   in Loop: Header=BB256_13 Depth=1
	v_cmp_ne_u16_e64 s[0:1], s52, v2
	v_bfrev_b32_e32 v51, 1
	s_and_saveexec_b64 s[42:43], s[0:1]
	s_cbranch_execz .LBB256_173
; %bb.170:                              ;   in Loop: Header=BB256_13 Depth=1
	v_and_b32_e32 v53, 0x7f, v2
	v_cmp_ne_u32_e64 s[0:1], s53, v53
	v_mov_b32_e32 v51, 0x7c010000
	s_and_saveexec_b64 s[44:45], s[0:1]
	s_cbranch_execz .LBB256_172
; %bb.171:                              ;   in Loop: Header=BB256_13 Depth=1
	v_and_b32_e32 v51, 7, v2
	v_ffbh_u32_e32 v54, v51
	v_min_u32_e32 v57, 32, v54
	v_subrev_u32_e32 v54, 28, v57
	v_lshlrev_b64 v[54:55], v54, v[2:3]
	v_lshrrev_b32_e32 v56, 3, v53
	v_sub_u32_e32 v55, 29, v57
	v_cmp_gt_u32_e64 s[0:1], 8, v53
	v_lshlrev_b32_e32 v2, 8, v2
	v_and_b32_e32 v54, 7, v54
	v_cndmask_b32_e64 v53, v56, v55, s[0:1]
	v_lshl_add_u32 v53, v53, 10, v21
	v_and_or_b32 v2, v2, s54, v53
	v_cndmask_b32_e64 v51, v51, v54, s[0:1]
	v_lshlrev_b32_e32 v2, 16, v2
	v_lshl_or_b32 v51, v51, 23, v2
.LBB256_172:                            ;   in Loop: Header=BB256_13 Depth=1
	s_or_b64 exec, exec, s[44:45]
.LBB256_173:                            ;   in Loop: Header=BB256_13 Depth=1
	s_or_b64 exec, exec, s[42:43]
.LBB256_174:                            ;   in Loop: Header=BB256_13 Depth=1
	s_or_b64 exec, exec, s[40:41]
	v_lshrrev_b32_e32 v2, 16, v10
	v_cmp_ne_u16_sdwa s[0:1], v2, v3 src0_sel:BYTE_0 src1_sel:DWORD
	v_mov_b32_e32 v53, 0
	v_mov_b32_e32 v54, 0
	s_and_saveexec_b64 s[40:41], s[0:1]
	s_cbranch_execz .LBB256_180
; %bb.175:                              ;   in Loop: Header=BB256_13 Depth=1
	v_cmp_ne_u16_sdwa s[0:1], v2, s52 src0_sel:BYTE_0 src1_sel:DWORD
	v_mov_b32_e32 v54, 0x8000
	s_and_saveexec_b64 s[42:43], s[0:1]
	s_cbranch_execz .LBB256_179
; %bb.176:                              ;   in Loop: Header=BB256_13 Depth=1
	v_bfe_u32 v55, v10, 16, 7
	v_cmp_ne_u32_e64 s[0:1], s53, v55
	v_mov_b32_e32 v54, 0x7c01
	s_and_saveexec_b64 s[44:45], s[0:1]
	s_cbranch_execz .LBB256_178
; %bb.177:                              ;   in Loop: Header=BB256_13 Depth=1
	v_and_b32_e32 v54, 7, v2
	v_ffbh_u32_e32 v56, v54
	v_min_u32_e32 v59, 32, v56
	v_subrev_u32_e32 v56, 28, v59
	v_lshlrev_b64 v[56:57], v56, v[2:3]
	v_lshrrev_b32_e32 v58, 3, v55
	v_sub_u32_e32 v57, 29, v59
	v_cmp_gt_u32_e64 s[0:1], 8, v55
	v_lshlrev_b32_e32 v2, 8, v2
	v_and_b32_e32 v56, 7, v56
	v_cndmask_b32_e64 v55, v58, v57, s[0:1]
	v_lshl_add_u32 v55, v55, 10, v21
	v_and_b32_e32 v55, 0xfc00, v55
	v_cndmask_b32_e64 v54, v54, v56, s[0:1]
	v_and_or_b32 v2, v2, s54, v55
	v_lshl_or_b32 v54, v54, 7, v2
.LBB256_178:                            ;   in Loop: Header=BB256_13 Depth=1
	s_or_b64 exec, exec, s[44:45]
.LBB256_179:                            ;   in Loop: Header=BB256_13 Depth=1
	s_or_b64 exec, exec, s[42:43]
.LBB256_180:                            ;   in Loop: Header=BB256_13 Depth=1
	s_or_b64 exec, exec, s[40:41]
	v_cmp_lt_u32_e64 s[0:1], s55, v10
	s_and_saveexec_b64 s[40:41], s[0:1]
	s_cbranch_execz .LBB256_186
; %bb.181:                              ;   in Loop: Header=BB256_13 Depth=1
	v_lshrrev_b32_e32 v2, 24, v10
	v_cmp_ne_u32_e64 s[0:1], s52, v2
	v_bfrev_b32_e32 v53, 1
	s_and_saveexec_b64 s[42:43], s[0:1]
	s_cbranch_execz .LBB256_185
; %bb.182:                              ;   in Loop: Header=BB256_13 Depth=1
	v_and_b32_e32 v10, 0x7f, v2
	v_cmp_ne_u32_e64 s[0:1], s53, v10
	v_mov_b32_e32 v53, 0x7c010000
	s_and_saveexec_b64 s[44:45], s[0:1]
	s_cbranch_execz .LBB256_184
; %bb.183:                              ;   in Loop: Header=BB256_13 Depth=1
	v_and_b32_e32 v53, 7, v2
	v_ffbh_u32_e32 v56, v53
	v_min_u32_e32 v58, 32, v56
	v_subrev_u32_e32 v56, 28, v58
	v_lshlrev_b64 v[56:57], v56, v[2:3]
	v_lshrrev_b32_e32 v55, 3, v10
	v_sub_u32_e32 v57, 29, v58
	v_cmp_gt_u32_e64 s[0:1], 8, v10
	v_lshlrev_b32_e32 v2, 8, v2
	s_nop 0
	v_cndmask_b32_e64 v10, v55, v57, s[0:1]
	v_lshl_add_u32 v10, v10, 10, v21
	v_and_b32_e32 v55, 7, v56
	v_and_or_b32 v2, v2, s54, v10
	v_cndmask_b32_e64 v53, v53, v55, s[0:1]
	v_lshlrev_b32_e32 v2, 16, v2
	v_lshl_or_b32 v53, v53, 23, v2
.LBB256_184:                            ;   in Loop: Header=BB256_13 Depth=1
	s_or_b64 exec, exec, s[44:45]
.LBB256_185:                            ;   in Loop: Header=BB256_13 Depth=1
	s_or_b64 exec, exec, s[42:43]
.LBB256_186:                            ;   in Loop: Header=BB256_13 Depth=1
	s_or_b64 exec, exec, s[40:41]
	global_load_dword v10, v[8:9], off offset:1544
	v_mov_b32_e32 v55, 0
	v_mov_b32_e32 v56, 0
	s_waitcnt vmcnt(0)
	v_cmp_ne_u16_sdwa s[0:1], v10, v3 src0_sel:BYTE_0 src1_sel:DWORD
	s_and_saveexec_b64 s[40:41], s[0:1]
	s_cbranch_execz .LBB256_192
; %bb.187:                              ;   in Loop: Header=BB256_13 Depth=1
	v_cmp_ne_u16_sdwa s[0:1], v10, s52 src0_sel:BYTE_0 src1_sel:DWORD
	v_mov_b32_e32 v56, 0x8000
	s_and_saveexec_b64 s[42:43], s[0:1]
	s_cbranch_execz .LBB256_191
; %bb.188:                              ;   in Loop: Header=BB256_13 Depth=1
	v_and_b32_e32 v2, 0x7f, v10
	v_cmp_ne_u32_e64 s[0:1], s53, v2
	v_mov_b32_e32 v56, 0x7c01
	s_and_saveexec_b64 s[44:45], s[0:1]
	s_cbranch_execz .LBB256_190
; %bb.189:                              ;   in Loop: Header=BB256_13 Depth=1
	v_and_b32_e32 v58, 7, v10
	v_ffbh_u32_e32 v56, v58
	v_min_u32_e32 v60, 32, v56
	v_subrev_u32_e32 v56, 28, v60
	v_lshlrev_b64 v[56:57], v56, v[10:11]
	v_lshrrev_b32_e32 v59, 3, v2
	v_sub_u32_e32 v57, 29, v60
	v_cmp_gt_u32_e64 s[0:1], 8, v2
	v_and_b32_e32 v56, 7, v56
	s_nop 0
	v_cndmask_b32_e64 v2, v59, v57, s[0:1]
	v_lshl_add_u32 v2, v2, 10, v21
	v_lshlrev_b32_e32 v57, 8, v10
	v_and_b32_e32 v2, 0xfc00, v2
	v_cndmask_b32_e64 v56, v58, v56, s[0:1]
	v_and_or_b32 v2, v57, s54, v2
	v_lshl_or_b32 v56, v56, 7, v2
.LBB256_190:                            ;   in Loop: Header=BB256_13 Depth=1
	s_or_b64 exec, exec, s[44:45]
.LBB256_191:                            ;   in Loop: Header=BB256_13 Depth=1
	s_or_b64 exec, exec, s[42:43]
.LBB256_192:                            ;   in Loop: Header=BB256_13 Depth=1
	s_or_b64 exec, exec, s[40:41]
	v_lshrrev_b16_e32 v2, 8, v10
	v_cmp_ne_u16_e64 s[0:1], 0, v2
	s_and_saveexec_b64 s[40:41], s[0:1]
	s_cbranch_execz .LBB256_198
; %bb.193:                              ;   in Loop: Header=BB256_13 Depth=1
	v_cmp_ne_u16_e64 s[0:1], s52, v2
	v_bfrev_b32_e32 v55, 1
	s_and_saveexec_b64 s[42:43], s[0:1]
	s_cbranch_execz .LBB256_197
; %bb.194:                              ;   in Loop: Header=BB256_13 Depth=1
	v_and_b32_e32 v57, 0x7f, v2
	v_cmp_ne_u32_e64 s[0:1], s53, v57
	v_mov_b32_e32 v55, 0x7c010000
	s_and_saveexec_b64 s[44:45], s[0:1]
	s_cbranch_execz .LBB256_196
; %bb.195:                              ;   in Loop: Header=BB256_13 Depth=1
	v_and_b32_e32 v55, 7, v2
	v_ffbh_u32_e32 v58, v55
	v_min_u32_e32 v61, 32, v58
	v_subrev_u32_e32 v58, 28, v61
	v_lshlrev_b64 v[58:59], v58, v[2:3]
	v_lshrrev_b32_e32 v60, 3, v57
	v_sub_u32_e32 v59, 29, v61
	v_cmp_gt_u32_e64 s[0:1], 8, v57
	v_lshlrev_b32_e32 v2, 8, v2
	v_and_b32_e32 v58, 7, v58
	v_cndmask_b32_e64 v57, v60, v59, s[0:1]
	v_lshl_add_u32 v57, v57, 10, v21
	v_and_or_b32 v2, v2, s54, v57
	v_cndmask_b32_e64 v55, v55, v58, s[0:1]
	v_lshlrev_b32_e32 v2, 16, v2
	v_lshl_or_b32 v55, v55, 23, v2
.LBB256_196:                            ;   in Loop: Header=BB256_13 Depth=1
	s_or_b64 exec, exec, s[44:45]
.LBB256_197:                            ;   in Loop: Header=BB256_13 Depth=1
	s_or_b64 exec, exec, s[42:43]
.LBB256_198:                            ;   in Loop: Header=BB256_13 Depth=1
	s_or_b64 exec, exec, s[40:41]
	v_lshrrev_b32_e32 v2, 16, v10
	v_cmp_ne_u16_sdwa s[0:1], v2, v3 src0_sel:BYTE_0 src1_sel:DWORD
	v_mov_b32_e32 v57, 0
	v_mov_b32_e32 v58, 0
	s_and_saveexec_b64 s[40:41], s[0:1]
	s_cbranch_execz .LBB256_204
; %bb.199:                              ;   in Loop: Header=BB256_13 Depth=1
	v_cmp_ne_u16_sdwa s[0:1], v2, s52 src0_sel:BYTE_0 src1_sel:DWORD
	v_mov_b32_e32 v58, 0x8000
	s_and_saveexec_b64 s[42:43], s[0:1]
	s_cbranch_execz .LBB256_203
; %bb.200:                              ;   in Loop: Header=BB256_13 Depth=1
	v_bfe_u32 v59, v10, 16, 7
	v_cmp_ne_u32_e64 s[0:1], s53, v59
	v_mov_b32_e32 v58, 0x7c01
	s_and_saveexec_b64 s[44:45], s[0:1]
	s_cbranch_execz .LBB256_202
; %bb.201:                              ;   in Loop: Header=BB256_13 Depth=1
	v_and_b32_e32 v58, 7, v2
	v_ffbh_u32_e32 v60, v58
	v_min_u32_e32 v63, 32, v60
	v_subrev_u32_e32 v60, 28, v63
	v_lshlrev_b64 v[60:61], v60, v[2:3]
	v_lshrrev_b32_e32 v62, 3, v59
	v_sub_u32_e32 v61, 29, v63
	v_cmp_gt_u32_e64 s[0:1], 8, v59
	v_lshlrev_b32_e32 v2, 8, v2
	v_and_b32_e32 v60, 7, v60
	v_cndmask_b32_e64 v59, v62, v61, s[0:1]
	v_lshl_add_u32 v59, v59, 10, v21
	v_and_b32_e32 v59, 0xfc00, v59
	v_cndmask_b32_e64 v58, v58, v60, s[0:1]
	v_and_or_b32 v2, v2, s54, v59
	v_lshl_or_b32 v58, v58, 7, v2
.LBB256_202:                            ;   in Loop: Header=BB256_13 Depth=1
	s_or_b64 exec, exec, s[44:45]
.LBB256_203:                            ;   in Loop: Header=BB256_13 Depth=1
	s_or_b64 exec, exec, s[42:43]
.LBB256_204:                            ;   in Loop: Header=BB256_13 Depth=1
	s_or_b64 exec, exec, s[40:41]
	v_cmp_lt_u32_e64 s[0:1], s55, v10
	s_and_saveexec_b64 s[40:41], s[0:1]
	s_cbranch_execz .LBB256_210
; %bb.205:                              ;   in Loop: Header=BB256_13 Depth=1
	v_lshrrev_b32_e32 v2, 24, v10
	v_cmp_ne_u32_e64 s[0:1], s52, v2
	v_bfrev_b32_e32 v57, 1
	s_and_saveexec_b64 s[42:43], s[0:1]
	s_cbranch_execz .LBB256_209
; %bb.206:                              ;   in Loop: Header=BB256_13 Depth=1
	v_and_b32_e32 v10, 0x7f, v2
	v_cmp_ne_u32_e64 s[0:1], s53, v10
	v_mov_b32_e32 v57, 0x7c010000
	s_and_saveexec_b64 s[44:45], s[0:1]
	s_cbranch_execz .LBB256_208
; %bb.207:                              ;   in Loop: Header=BB256_13 Depth=1
	v_and_b32_e32 v57, 7, v2
	v_ffbh_u32_e32 v60, v57
	v_min_u32_e32 v62, 32, v60
	v_subrev_u32_e32 v60, 28, v62
	v_lshlrev_b64 v[60:61], v60, v[2:3]
	v_lshrrev_b32_e32 v59, 3, v10
	v_sub_u32_e32 v61, 29, v62
	v_cmp_gt_u32_e64 s[0:1], 8, v10
	v_lshlrev_b32_e32 v2, 8, v2
	s_nop 0
	v_cndmask_b32_e64 v10, v59, v61, s[0:1]
	v_lshl_add_u32 v10, v10, 10, v21
	v_and_b32_e32 v59, 7, v60
	v_and_or_b32 v2, v2, s54, v10
	v_cndmask_b32_e64 v57, v57, v59, s[0:1]
	v_lshlrev_b32_e32 v2, 16, v2
	v_lshl_or_b32 v57, v57, 23, v2
.LBB256_208:                            ;   in Loop: Header=BB256_13 Depth=1
	s_or_b64 exec, exec, s[44:45]
.LBB256_209:                            ;   in Loop: Header=BB256_13 Depth=1
	s_or_b64 exec, exec, s[42:43]
.LBB256_210:                            ;   in Loop: Header=BB256_13 Depth=1
	s_or_b64 exec, exec, s[40:41]
	global_load_dword v10, v[8:9], off offset:2048
	v_mov_b32_e32 v59, 0
	v_mov_b32_e32 v60, 0
	s_waitcnt vmcnt(0)
	v_cmp_ne_u16_sdwa s[0:1], v10, v3 src0_sel:BYTE_0 src1_sel:DWORD
	s_and_saveexec_b64 s[40:41], s[0:1]
	s_cbranch_execz .LBB256_216
; %bb.211:                              ;   in Loop: Header=BB256_13 Depth=1
	v_cmp_ne_u16_sdwa s[0:1], v10, s52 src0_sel:BYTE_0 src1_sel:DWORD
	v_mov_b32_e32 v60, 0x8000
	s_and_saveexec_b64 s[42:43], s[0:1]
	s_cbranch_execz .LBB256_215
; %bb.212:                              ;   in Loop: Header=BB256_13 Depth=1
	v_and_b32_e32 v2, 0x7f, v10
	v_cmp_ne_u32_e64 s[0:1], s53, v2
	v_mov_b32_e32 v60, 0x7c01
	s_and_saveexec_b64 s[44:45], s[0:1]
	s_cbranch_execz .LBB256_214
; %bb.213:                              ;   in Loop: Header=BB256_13 Depth=1
	v_and_b32_e32 v62, 7, v10
	v_ffbh_u32_e32 v60, v62
	v_min_u32_e32 v64, 32, v60
	v_subrev_u32_e32 v60, 28, v64
	v_lshlrev_b64 v[60:61], v60, v[10:11]
	v_lshrrev_b32_e32 v63, 3, v2
	v_sub_u32_e32 v61, 29, v64
	v_cmp_gt_u32_e64 s[0:1], 8, v2
	v_and_b32_e32 v60, 7, v60
	s_nop 0
	v_cndmask_b32_e64 v2, v63, v61, s[0:1]
	v_lshl_add_u32 v2, v2, 10, v21
	v_lshlrev_b32_e32 v61, 8, v10
	v_and_b32_e32 v2, 0xfc00, v2
	v_cndmask_b32_e64 v60, v62, v60, s[0:1]
	v_and_or_b32 v2, v61, s54, v2
	v_lshl_or_b32 v60, v60, 7, v2
.LBB256_214:                            ;   in Loop: Header=BB256_13 Depth=1
	s_or_b64 exec, exec, s[44:45]
.LBB256_215:                            ;   in Loop: Header=BB256_13 Depth=1
	s_or_b64 exec, exec, s[42:43]
.LBB256_216:                            ;   in Loop: Header=BB256_13 Depth=1
	s_or_b64 exec, exec, s[40:41]
	v_lshrrev_b16_e32 v2, 8, v10
	v_cmp_ne_u16_e64 s[0:1], 0, v2
	s_and_saveexec_b64 s[40:41], s[0:1]
	s_cbranch_execz .LBB256_222
; %bb.217:                              ;   in Loop: Header=BB256_13 Depth=1
	v_cmp_ne_u16_e64 s[0:1], s52, v2
	v_bfrev_b32_e32 v59, 1
	s_and_saveexec_b64 s[42:43], s[0:1]
	s_cbranch_execz .LBB256_221
; %bb.218:                              ;   in Loop: Header=BB256_13 Depth=1
	v_and_b32_e32 v61, 0x7f, v2
	v_cmp_ne_u32_e64 s[0:1], s53, v61
	v_mov_b32_e32 v59, 0x7c010000
	s_and_saveexec_b64 s[44:45], s[0:1]
	s_cbranch_execz .LBB256_220
; %bb.219:                              ;   in Loop: Header=BB256_13 Depth=1
	v_and_b32_e32 v59, 7, v2
	v_ffbh_u32_e32 v62, v59
	v_min_u32_e32 v65, 32, v62
	v_subrev_u32_e32 v62, 28, v65
	v_lshlrev_b64 v[62:63], v62, v[2:3]
	v_lshrrev_b32_e32 v64, 3, v61
	v_sub_u32_e32 v63, 29, v65
	v_cmp_gt_u32_e64 s[0:1], 8, v61
	v_lshlrev_b32_e32 v2, 8, v2
	v_and_b32_e32 v62, 7, v62
	v_cndmask_b32_e64 v61, v64, v63, s[0:1]
	v_lshl_add_u32 v61, v61, 10, v21
	v_and_or_b32 v2, v2, s54, v61
	v_cndmask_b32_e64 v59, v59, v62, s[0:1]
	v_lshlrev_b32_e32 v2, 16, v2
	v_lshl_or_b32 v59, v59, 23, v2
.LBB256_220:                            ;   in Loop: Header=BB256_13 Depth=1
	s_or_b64 exec, exec, s[44:45]
.LBB256_221:                            ;   in Loop: Header=BB256_13 Depth=1
	s_or_b64 exec, exec, s[42:43]
.LBB256_222:                            ;   in Loop: Header=BB256_13 Depth=1
	s_or_b64 exec, exec, s[40:41]
	v_lshrrev_b32_e32 v2, 16, v10
	v_cmp_ne_u16_sdwa s[0:1], v2, v3 src0_sel:BYTE_0 src1_sel:DWORD
	v_mov_b32_e32 v61, 0
	v_mov_b32_e32 v62, 0
	s_and_saveexec_b64 s[40:41], s[0:1]
	s_cbranch_execz .LBB256_228
; %bb.223:                              ;   in Loop: Header=BB256_13 Depth=1
	v_cmp_ne_u16_sdwa s[0:1], v2, s52 src0_sel:BYTE_0 src1_sel:DWORD
	v_mov_b32_e32 v62, 0x8000
	s_and_saveexec_b64 s[42:43], s[0:1]
	s_cbranch_execz .LBB256_227
; %bb.224:                              ;   in Loop: Header=BB256_13 Depth=1
	v_bfe_u32 v63, v10, 16, 7
	v_cmp_ne_u32_e64 s[0:1], s53, v63
	v_mov_b32_e32 v62, 0x7c01
	s_and_saveexec_b64 s[44:45], s[0:1]
	s_cbranch_execz .LBB256_226
; %bb.225:                              ;   in Loop: Header=BB256_13 Depth=1
	v_and_b32_e32 v62, 7, v2
	v_ffbh_u32_e32 v64, v62
	v_min_u32_e32 v67, 32, v64
	v_subrev_u32_e32 v64, 28, v67
	v_lshlrev_b64 v[64:65], v64, v[2:3]
	v_lshrrev_b32_e32 v66, 3, v63
	v_sub_u32_e32 v65, 29, v67
	v_cmp_gt_u32_e64 s[0:1], 8, v63
	v_lshlrev_b32_e32 v2, 8, v2
	v_and_b32_e32 v64, 7, v64
	v_cndmask_b32_e64 v63, v66, v65, s[0:1]
	v_lshl_add_u32 v63, v63, 10, v21
	v_and_b32_e32 v63, 0xfc00, v63
	v_cndmask_b32_e64 v62, v62, v64, s[0:1]
	v_and_or_b32 v2, v2, s54, v63
	v_lshl_or_b32 v62, v62, 7, v2
.LBB256_226:                            ;   in Loop: Header=BB256_13 Depth=1
	s_or_b64 exec, exec, s[44:45]
.LBB256_227:                            ;   in Loop: Header=BB256_13 Depth=1
	s_or_b64 exec, exec, s[42:43]
.LBB256_228:                            ;   in Loop: Header=BB256_13 Depth=1
	s_or_b64 exec, exec, s[40:41]
	v_cmp_lt_u32_e64 s[0:1], s55, v10
	s_and_saveexec_b64 s[40:41], s[0:1]
	s_cbranch_execz .LBB256_234
; %bb.229:                              ;   in Loop: Header=BB256_13 Depth=1
	v_lshrrev_b32_e32 v2, 24, v10
	v_cmp_ne_u32_e64 s[0:1], s52, v2
	v_bfrev_b32_e32 v61, 1
	s_and_saveexec_b64 s[42:43], s[0:1]
	s_cbranch_execz .LBB256_233
; %bb.230:                              ;   in Loop: Header=BB256_13 Depth=1
	v_and_b32_e32 v10, 0x7f, v2
	v_cmp_ne_u32_e64 s[0:1], s53, v10
	v_mov_b32_e32 v61, 0x7c010000
	s_and_saveexec_b64 s[44:45], s[0:1]
	s_cbranch_execz .LBB256_232
; %bb.231:                              ;   in Loop: Header=BB256_13 Depth=1
	v_and_b32_e32 v61, 7, v2
	v_ffbh_u32_e32 v64, v61
	v_min_u32_e32 v66, 32, v64
	v_subrev_u32_e32 v64, 28, v66
	v_lshlrev_b64 v[64:65], v64, v[2:3]
	v_lshrrev_b32_e32 v63, 3, v10
	v_sub_u32_e32 v65, 29, v66
	v_cmp_gt_u32_e64 s[0:1], 8, v10
	v_lshlrev_b32_e32 v2, 8, v2
	s_nop 0
	v_cndmask_b32_e64 v10, v63, v65, s[0:1]
	v_lshl_add_u32 v10, v10, 10, v21
	v_and_b32_e32 v63, 7, v64
	v_and_or_b32 v2, v2, s54, v10
	v_cndmask_b32_e64 v61, v61, v63, s[0:1]
	v_lshlrev_b32_e32 v2, 16, v2
	v_lshl_or_b32 v61, v61, 23, v2
.LBB256_232:                            ;   in Loop: Header=BB256_13 Depth=1
	s_or_b64 exec, exec, s[44:45]
.LBB256_233:                            ;   in Loop: Header=BB256_13 Depth=1
	s_or_b64 exec, exec, s[42:43]
.LBB256_234:                            ;   in Loop: Header=BB256_13 Depth=1
	s_or_b64 exec, exec, s[40:41]
	global_load_dword v10, v[8:9], off offset:2056
	v_mov_b32_e32 v63, 0
	v_mov_b32_e32 v64, 0
	s_waitcnt vmcnt(0)
	v_cmp_ne_u16_sdwa s[0:1], v10, v3 src0_sel:BYTE_0 src1_sel:DWORD
	s_and_saveexec_b64 s[40:41], s[0:1]
	s_cbranch_execz .LBB256_240
; %bb.235:                              ;   in Loop: Header=BB256_13 Depth=1
	v_cmp_ne_u16_sdwa s[0:1], v10, s52 src0_sel:BYTE_0 src1_sel:DWORD
	v_mov_b32_e32 v64, 0x8000
	s_and_saveexec_b64 s[42:43], s[0:1]
	s_cbranch_execz .LBB256_239
; %bb.236:                              ;   in Loop: Header=BB256_13 Depth=1
	v_and_b32_e32 v2, 0x7f, v10
	v_cmp_ne_u32_e64 s[0:1], s53, v2
	v_mov_b32_e32 v64, 0x7c01
	s_and_saveexec_b64 s[44:45], s[0:1]
	s_cbranch_execz .LBB256_238
; %bb.237:                              ;   in Loop: Header=BB256_13 Depth=1
	v_and_b32_e32 v66, 7, v10
	v_ffbh_u32_e32 v64, v66
	v_min_u32_e32 v68, 32, v64
	v_subrev_u32_e32 v64, 28, v68
	v_lshlrev_b64 v[64:65], v64, v[10:11]
	v_lshrrev_b32_e32 v67, 3, v2
	v_sub_u32_e32 v65, 29, v68
	v_cmp_gt_u32_e64 s[0:1], 8, v2
	v_and_b32_e32 v64, 7, v64
	s_nop 0
	v_cndmask_b32_e64 v2, v67, v65, s[0:1]
	v_lshl_add_u32 v2, v2, 10, v21
	v_lshlrev_b32_e32 v65, 8, v10
	v_and_b32_e32 v2, 0xfc00, v2
	v_cndmask_b32_e64 v64, v66, v64, s[0:1]
	v_and_or_b32 v2, v65, s54, v2
	v_lshl_or_b32 v64, v64, 7, v2
.LBB256_238:                            ;   in Loop: Header=BB256_13 Depth=1
	s_or_b64 exec, exec, s[44:45]
.LBB256_239:                            ;   in Loop: Header=BB256_13 Depth=1
	s_or_b64 exec, exec, s[42:43]
.LBB256_240:                            ;   in Loop: Header=BB256_13 Depth=1
	s_or_b64 exec, exec, s[40:41]
	v_lshrrev_b16_e32 v2, 8, v10
	v_cmp_ne_u16_e64 s[0:1], 0, v2
	s_and_saveexec_b64 s[40:41], s[0:1]
	s_cbranch_execz .LBB256_246
; %bb.241:                              ;   in Loop: Header=BB256_13 Depth=1
	v_cmp_ne_u16_e64 s[0:1], s52, v2
	v_bfrev_b32_e32 v63, 1
	s_and_saveexec_b64 s[42:43], s[0:1]
	s_cbranch_execz .LBB256_245
; %bb.242:                              ;   in Loop: Header=BB256_13 Depth=1
	v_and_b32_e32 v65, 0x7f, v2
	v_cmp_ne_u32_e64 s[0:1], s53, v65
	v_mov_b32_e32 v63, 0x7c010000
	s_and_saveexec_b64 s[44:45], s[0:1]
	s_cbranch_execz .LBB256_244
; %bb.243:                              ;   in Loop: Header=BB256_13 Depth=1
	v_and_b32_e32 v63, 7, v2
	v_ffbh_u32_e32 v66, v63
	v_min_u32_e32 v69, 32, v66
	v_subrev_u32_e32 v66, 28, v69
	v_lshlrev_b64 v[66:67], v66, v[2:3]
	v_lshrrev_b32_e32 v68, 3, v65
	v_sub_u32_e32 v67, 29, v69
	v_cmp_gt_u32_e64 s[0:1], 8, v65
	v_lshlrev_b32_e32 v2, 8, v2
	v_and_b32_e32 v66, 7, v66
	v_cndmask_b32_e64 v65, v68, v67, s[0:1]
	v_lshl_add_u32 v65, v65, 10, v21
	v_and_or_b32 v2, v2, s54, v65
	v_cndmask_b32_e64 v63, v63, v66, s[0:1]
	v_lshlrev_b32_e32 v2, 16, v2
	v_lshl_or_b32 v63, v63, 23, v2
.LBB256_244:                            ;   in Loop: Header=BB256_13 Depth=1
	s_or_b64 exec, exec, s[44:45]
.LBB256_245:                            ;   in Loop: Header=BB256_13 Depth=1
	s_or_b64 exec, exec, s[42:43]
.LBB256_246:                            ;   in Loop: Header=BB256_13 Depth=1
	s_or_b64 exec, exec, s[40:41]
	v_lshrrev_b32_e32 v2, 16, v10
	v_cmp_ne_u16_sdwa s[0:1], v2, v3 src0_sel:BYTE_0 src1_sel:DWORD
	v_mov_b32_e32 v65, 0
	v_mov_b32_e32 v66, 0
	s_and_saveexec_b64 s[40:41], s[0:1]
	s_cbranch_execz .LBB256_252
; %bb.247:                              ;   in Loop: Header=BB256_13 Depth=1
	v_cmp_ne_u16_sdwa s[0:1], v2, s52 src0_sel:BYTE_0 src1_sel:DWORD
	v_mov_b32_e32 v66, 0x8000
	s_and_saveexec_b64 s[42:43], s[0:1]
	s_cbranch_execz .LBB256_251
; %bb.248:                              ;   in Loop: Header=BB256_13 Depth=1
	v_bfe_u32 v67, v10, 16, 7
	v_cmp_ne_u32_e64 s[0:1], s53, v67
	v_mov_b32_e32 v66, 0x7c01
	s_and_saveexec_b64 s[44:45], s[0:1]
	s_cbranch_execz .LBB256_250
; %bb.249:                              ;   in Loop: Header=BB256_13 Depth=1
	v_and_b32_e32 v66, 7, v2
	v_ffbh_u32_e32 v68, v66
	v_min_u32_e32 v71, 32, v68
	v_subrev_u32_e32 v68, 28, v71
	v_lshlrev_b64 v[68:69], v68, v[2:3]
	v_lshrrev_b32_e32 v70, 3, v67
	v_sub_u32_e32 v69, 29, v71
	v_cmp_gt_u32_e64 s[0:1], 8, v67
	v_lshlrev_b32_e32 v2, 8, v2
	v_and_b32_e32 v68, 7, v68
	v_cndmask_b32_e64 v67, v70, v69, s[0:1]
	v_lshl_add_u32 v67, v67, 10, v21
	v_and_b32_e32 v67, 0xfc00, v67
	v_cndmask_b32_e64 v66, v66, v68, s[0:1]
	v_and_or_b32 v2, v2, s54, v67
	v_lshl_or_b32 v66, v66, 7, v2
.LBB256_250:                            ;   in Loop: Header=BB256_13 Depth=1
	s_or_b64 exec, exec, s[44:45]
.LBB256_251:                            ;   in Loop: Header=BB256_13 Depth=1
	s_or_b64 exec, exec, s[42:43]
.LBB256_252:                            ;   in Loop: Header=BB256_13 Depth=1
	s_or_b64 exec, exec, s[40:41]
	v_cmp_lt_u32_e64 s[0:1], s55, v10
	s_and_saveexec_b64 s[40:41], s[0:1]
	s_cbranch_execz .LBB256_258
; %bb.253:                              ;   in Loop: Header=BB256_13 Depth=1
	v_lshrrev_b32_e32 v2, 24, v10
	v_cmp_ne_u32_e64 s[0:1], s52, v2
	v_bfrev_b32_e32 v65, 1
	s_and_saveexec_b64 s[42:43], s[0:1]
	s_cbranch_execz .LBB256_257
; %bb.254:                              ;   in Loop: Header=BB256_13 Depth=1
	v_and_b32_e32 v10, 0x7f, v2
	v_cmp_ne_u32_e64 s[0:1], s53, v10
	v_mov_b32_e32 v65, 0x7c010000
	s_and_saveexec_b64 s[44:45], s[0:1]
	s_cbranch_execz .LBB256_256
; %bb.255:                              ;   in Loop: Header=BB256_13 Depth=1
	v_and_b32_e32 v65, 7, v2
	v_ffbh_u32_e32 v68, v65
	v_min_u32_e32 v70, 32, v68
	v_subrev_u32_e32 v68, 28, v70
	v_lshlrev_b64 v[68:69], v68, v[2:3]
	v_lshrrev_b32_e32 v67, 3, v10
	v_sub_u32_e32 v69, 29, v70
	v_cmp_gt_u32_e64 s[0:1], 8, v10
	v_lshlrev_b32_e32 v2, 8, v2
	s_nop 0
	v_cndmask_b32_e64 v10, v67, v69, s[0:1]
	v_lshl_add_u32 v10, v10, 10, v21
	v_and_b32_e32 v67, 7, v68
	v_and_or_b32 v2, v2, s54, v10
	v_cndmask_b32_e64 v65, v65, v67, s[0:1]
	v_lshlrev_b32_e32 v2, 16, v2
	v_lshl_or_b32 v65, v65, 23, v2
.LBB256_256:                            ;   in Loop: Header=BB256_13 Depth=1
	s_or_b64 exec, exec, s[44:45]
.LBB256_257:                            ;   in Loop: Header=BB256_13 Depth=1
	s_or_b64 exec, exec, s[42:43]
.LBB256_258:                            ;   in Loop: Header=BB256_13 Depth=1
	s_or_b64 exec, exec, s[40:41]
	global_load_dword v10, v[8:9], off offset:2560
	v_mov_b32_e32 v67, 0
	v_mov_b32_e32 v68, 0
	s_waitcnt vmcnt(0)
	v_cmp_ne_u16_sdwa s[0:1], v10, v3 src0_sel:BYTE_0 src1_sel:DWORD
	s_and_saveexec_b64 s[40:41], s[0:1]
	s_cbranch_execz .LBB256_264
; %bb.259:                              ;   in Loop: Header=BB256_13 Depth=1
	v_cmp_ne_u16_sdwa s[0:1], v10, s52 src0_sel:BYTE_0 src1_sel:DWORD
	v_mov_b32_e32 v68, 0x8000
	s_and_saveexec_b64 s[42:43], s[0:1]
	s_cbranch_execz .LBB256_263
; %bb.260:                              ;   in Loop: Header=BB256_13 Depth=1
	v_and_b32_e32 v2, 0x7f, v10
	v_cmp_ne_u32_e64 s[0:1], s53, v2
	v_mov_b32_e32 v68, 0x7c01
	s_and_saveexec_b64 s[44:45], s[0:1]
	s_cbranch_execz .LBB256_262
; %bb.261:                              ;   in Loop: Header=BB256_13 Depth=1
	v_and_b32_e32 v70, 7, v10
	v_ffbh_u32_e32 v68, v70
	v_min_u32_e32 v72, 32, v68
	v_subrev_u32_e32 v68, 28, v72
	v_lshlrev_b64 v[68:69], v68, v[10:11]
	v_lshrrev_b32_e32 v71, 3, v2
	v_sub_u32_e32 v69, 29, v72
	v_cmp_gt_u32_e64 s[0:1], 8, v2
	v_and_b32_e32 v68, 7, v68
	s_nop 0
	v_cndmask_b32_e64 v2, v71, v69, s[0:1]
	v_lshl_add_u32 v2, v2, 10, v21
	v_lshlrev_b32_e32 v69, 8, v10
	v_and_b32_e32 v2, 0xfc00, v2
	v_cndmask_b32_e64 v68, v70, v68, s[0:1]
	v_and_or_b32 v2, v69, s54, v2
	v_lshl_or_b32 v68, v68, 7, v2
.LBB256_262:                            ;   in Loop: Header=BB256_13 Depth=1
	s_or_b64 exec, exec, s[44:45]
.LBB256_263:                            ;   in Loop: Header=BB256_13 Depth=1
	s_or_b64 exec, exec, s[42:43]
.LBB256_264:                            ;   in Loop: Header=BB256_13 Depth=1
	s_or_b64 exec, exec, s[40:41]
	v_lshrrev_b16_e32 v2, 8, v10
	v_cmp_ne_u16_e64 s[0:1], 0, v2
	s_and_saveexec_b64 s[40:41], s[0:1]
	s_cbranch_execz .LBB256_270
; %bb.265:                              ;   in Loop: Header=BB256_13 Depth=1
	v_cmp_ne_u16_e64 s[0:1], s52, v2
	v_bfrev_b32_e32 v67, 1
	s_and_saveexec_b64 s[42:43], s[0:1]
	s_cbranch_execz .LBB256_269
; %bb.266:                              ;   in Loop: Header=BB256_13 Depth=1
	v_and_b32_e32 v69, 0x7f, v2
	v_cmp_ne_u32_e64 s[0:1], s53, v69
	v_mov_b32_e32 v67, 0x7c010000
	s_and_saveexec_b64 s[44:45], s[0:1]
	s_cbranch_execz .LBB256_268
; %bb.267:                              ;   in Loop: Header=BB256_13 Depth=1
	v_and_b32_e32 v67, 7, v2
	v_ffbh_u32_e32 v70, v67
	v_min_u32_e32 v73, 32, v70
	v_subrev_u32_e32 v70, 28, v73
	v_lshlrev_b64 v[70:71], v70, v[2:3]
	v_lshrrev_b32_e32 v72, 3, v69
	v_sub_u32_e32 v71, 29, v73
	v_cmp_gt_u32_e64 s[0:1], 8, v69
	v_lshlrev_b32_e32 v2, 8, v2
	v_and_b32_e32 v70, 7, v70
	v_cndmask_b32_e64 v69, v72, v71, s[0:1]
	v_lshl_add_u32 v69, v69, 10, v21
	v_and_or_b32 v2, v2, s54, v69
	v_cndmask_b32_e64 v67, v67, v70, s[0:1]
	v_lshlrev_b32_e32 v2, 16, v2
	v_lshl_or_b32 v67, v67, 23, v2
.LBB256_268:                            ;   in Loop: Header=BB256_13 Depth=1
	s_or_b64 exec, exec, s[44:45]
.LBB256_269:                            ;   in Loop: Header=BB256_13 Depth=1
	s_or_b64 exec, exec, s[42:43]
.LBB256_270:                            ;   in Loop: Header=BB256_13 Depth=1
	s_or_b64 exec, exec, s[40:41]
	v_lshrrev_b32_e32 v2, 16, v10
	v_cmp_ne_u16_sdwa s[0:1], v2, v3 src0_sel:BYTE_0 src1_sel:DWORD
	v_mov_b32_e32 v69, 0
	v_mov_b32_e32 v70, 0
	s_and_saveexec_b64 s[40:41], s[0:1]
	s_cbranch_execz .LBB256_276
; %bb.271:                              ;   in Loop: Header=BB256_13 Depth=1
	v_cmp_ne_u16_sdwa s[0:1], v2, s52 src0_sel:BYTE_0 src1_sel:DWORD
	v_mov_b32_e32 v70, 0x8000
	s_and_saveexec_b64 s[42:43], s[0:1]
	s_cbranch_execz .LBB256_275
; %bb.272:                              ;   in Loop: Header=BB256_13 Depth=1
	v_bfe_u32 v71, v10, 16, 7
	v_cmp_ne_u32_e64 s[0:1], s53, v71
	v_mov_b32_e32 v70, 0x7c01
	s_and_saveexec_b64 s[44:45], s[0:1]
	s_cbranch_execz .LBB256_274
; %bb.273:                              ;   in Loop: Header=BB256_13 Depth=1
	v_and_b32_e32 v70, 7, v2
	v_ffbh_u32_e32 v72, v70
	v_min_u32_e32 v75, 32, v72
	v_subrev_u32_e32 v72, 28, v75
	v_lshlrev_b64 v[72:73], v72, v[2:3]
	v_lshrrev_b32_e32 v74, 3, v71
	v_sub_u32_e32 v73, 29, v75
	v_cmp_gt_u32_e64 s[0:1], 8, v71
	v_lshlrev_b32_e32 v2, 8, v2
	v_and_b32_e32 v72, 7, v72
	v_cndmask_b32_e64 v71, v74, v73, s[0:1]
	v_lshl_add_u32 v71, v71, 10, v21
	v_and_b32_e32 v71, 0xfc00, v71
	v_cndmask_b32_e64 v70, v70, v72, s[0:1]
	v_and_or_b32 v2, v2, s54, v71
	v_lshl_or_b32 v70, v70, 7, v2
.LBB256_274:                            ;   in Loop: Header=BB256_13 Depth=1
	s_or_b64 exec, exec, s[44:45]
.LBB256_275:                            ;   in Loop: Header=BB256_13 Depth=1
	s_or_b64 exec, exec, s[42:43]
.LBB256_276:                            ;   in Loop: Header=BB256_13 Depth=1
	s_or_b64 exec, exec, s[40:41]
	v_cmp_lt_u32_e64 s[0:1], s55, v10
	s_and_saveexec_b64 s[40:41], s[0:1]
	s_cbranch_execz .LBB256_282
; %bb.277:                              ;   in Loop: Header=BB256_13 Depth=1
	v_lshrrev_b32_e32 v2, 24, v10
	v_cmp_ne_u32_e64 s[0:1], s52, v2
	v_bfrev_b32_e32 v69, 1
	s_and_saveexec_b64 s[42:43], s[0:1]
	s_cbranch_execz .LBB256_281
; %bb.278:                              ;   in Loop: Header=BB256_13 Depth=1
	v_and_b32_e32 v10, 0x7f, v2
	v_cmp_ne_u32_e64 s[0:1], s53, v10
	v_mov_b32_e32 v69, 0x7c010000
	s_and_saveexec_b64 s[44:45], s[0:1]
	s_cbranch_execz .LBB256_280
; %bb.279:                              ;   in Loop: Header=BB256_13 Depth=1
	v_and_b32_e32 v69, 7, v2
	v_ffbh_u32_e32 v72, v69
	v_min_u32_e32 v74, 32, v72
	v_subrev_u32_e32 v72, 28, v74
	v_lshlrev_b64 v[72:73], v72, v[2:3]
	v_lshrrev_b32_e32 v71, 3, v10
	v_sub_u32_e32 v73, 29, v74
	v_cmp_gt_u32_e64 s[0:1], 8, v10
	v_lshlrev_b32_e32 v2, 8, v2
	s_nop 0
	v_cndmask_b32_e64 v10, v71, v73, s[0:1]
	v_lshl_add_u32 v10, v10, 10, v21
	v_and_b32_e32 v71, 7, v72
	v_and_or_b32 v2, v2, s54, v10
	v_cndmask_b32_e64 v69, v69, v71, s[0:1]
	v_lshlrev_b32_e32 v2, 16, v2
	v_lshl_or_b32 v69, v69, 23, v2
.LBB256_280:                            ;   in Loop: Header=BB256_13 Depth=1
	s_or_b64 exec, exec, s[44:45]
.LBB256_281:                            ;   in Loop: Header=BB256_13 Depth=1
	s_or_b64 exec, exec, s[42:43]
.LBB256_282:                            ;   in Loop: Header=BB256_13 Depth=1
	s_or_b64 exec, exec, s[40:41]
	global_load_dword v10, v[8:9], off offset:2568
	v_mov_b32_e32 v71, 0
	v_mov_b32_e32 v72, 0
	s_waitcnt vmcnt(0)
	v_cmp_ne_u16_sdwa s[0:1], v10, v3 src0_sel:BYTE_0 src1_sel:DWORD
	s_and_saveexec_b64 s[40:41], s[0:1]
	s_cbranch_execz .LBB256_288
; %bb.283:                              ;   in Loop: Header=BB256_13 Depth=1
	v_cmp_ne_u16_sdwa s[0:1], v10, s52 src0_sel:BYTE_0 src1_sel:DWORD
	v_mov_b32_e32 v72, 0x8000
	s_and_saveexec_b64 s[42:43], s[0:1]
	s_cbranch_execz .LBB256_287
; %bb.284:                              ;   in Loop: Header=BB256_13 Depth=1
	v_and_b32_e32 v2, 0x7f, v10
	v_cmp_ne_u32_e64 s[0:1], s53, v2
	v_mov_b32_e32 v72, 0x7c01
	s_and_saveexec_b64 s[44:45], s[0:1]
	s_cbranch_execz .LBB256_286
; %bb.285:                              ;   in Loop: Header=BB256_13 Depth=1
	v_and_b32_e32 v74, 7, v10
	v_ffbh_u32_e32 v72, v74
	v_min_u32_e32 v76, 32, v72
	v_subrev_u32_e32 v72, 28, v76
	v_lshlrev_b64 v[72:73], v72, v[10:11]
	v_lshrrev_b32_e32 v75, 3, v2
	v_sub_u32_e32 v73, 29, v76
	v_cmp_gt_u32_e64 s[0:1], 8, v2
	v_and_b32_e32 v72, 7, v72
	s_nop 0
	v_cndmask_b32_e64 v2, v75, v73, s[0:1]
	v_lshl_add_u32 v2, v2, 10, v21
	v_lshlrev_b32_e32 v73, 8, v10
	v_and_b32_e32 v2, 0xfc00, v2
	v_cndmask_b32_e64 v72, v74, v72, s[0:1]
	v_and_or_b32 v2, v73, s54, v2
	v_lshl_or_b32 v72, v72, 7, v2
.LBB256_286:                            ;   in Loop: Header=BB256_13 Depth=1
	s_or_b64 exec, exec, s[44:45]
.LBB256_287:                            ;   in Loop: Header=BB256_13 Depth=1
	s_or_b64 exec, exec, s[42:43]
.LBB256_288:                            ;   in Loop: Header=BB256_13 Depth=1
	s_or_b64 exec, exec, s[40:41]
	v_lshrrev_b16_e32 v2, 8, v10
	v_cmp_ne_u16_e64 s[0:1], 0, v2
	s_and_saveexec_b64 s[40:41], s[0:1]
	s_cbranch_execz .LBB256_294
; %bb.289:                              ;   in Loop: Header=BB256_13 Depth=1
	v_cmp_ne_u16_e64 s[0:1], s52, v2
	v_bfrev_b32_e32 v71, 1
	s_and_saveexec_b64 s[42:43], s[0:1]
	s_cbranch_execz .LBB256_293
; %bb.290:                              ;   in Loop: Header=BB256_13 Depth=1
	v_and_b32_e32 v73, 0x7f, v2
	v_cmp_ne_u32_e64 s[0:1], s53, v73
	v_mov_b32_e32 v71, 0x7c010000
	s_and_saveexec_b64 s[44:45], s[0:1]
	s_cbranch_execz .LBB256_292
; %bb.291:                              ;   in Loop: Header=BB256_13 Depth=1
	v_and_b32_e32 v71, 7, v2
	v_ffbh_u32_e32 v74, v71
	v_min_u32_e32 v77, 32, v74
	v_subrev_u32_e32 v74, 28, v77
	v_lshlrev_b64 v[74:75], v74, v[2:3]
	v_lshrrev_b32_e32 v76, 3, v73
	v_sub_u32_e32 v75, 29, v77
	v_cmp_gt_u32_e64 s[0:1], 8, v73
	v_lshlrev_b32_e32 v2, 8, v2
	v_and_b32_e32 v74, 7, v74
	v_cndmask_b32_e64 v73, v76, v75, s[0:1]
	v_lshl_add_u32 v73, v73, 10, v21
	v_and_or_b32 v2, v2, s54, v73
	v_cndmask_b32_e64 v71, v71, v74, s[0:1]
	v_lshlrev_b32_e32 v2, 16, v2
	v_lshl_or_b32 v71, v71, 23, v2
.LBB256_292:                            ;   in Loop: Header=BB256_13 Depth=1
	s_or_b64 exec, exec, s[44:45]
.LBB256_293:                            ;   in Loop: Header=BB256_13 Depth=1
	s_or_b64 exec, exec, s[42:43]
.LBB256_294:                            ;   in Loop: Header=BB256_13 Depth=1
	s_or_b64 exec, exec, s[40:41]
	v_lshrrev_b32_e32 v2, 16, v10
	v_cmp_ne_u16_sdwa s[0:1], v2, v3 src0_sel:BYTE_0 src1_sel:DWORD
	v_mov_b32_e32 v73, 0
	v_mov_b32_e32 v74, 0
	s_and_saveexec_b64 s[40:41], s[0:1]
	s_cbranch_execz .LBB256_300
; %bb.295:                              ;   in Loop: Header=BB256_13 Depth=1
	v_cmp_ne_u16_sdwa s[0:1], v2, s52 src0_sel:BYTE_0 src1_sel:DWORD
	v_mov_b32_e32 v74, 0x8000
	s_and_saveexec_b64 s[42:43], s[0:1]
	s_cbranch_execz .LBB256_299
; %bb.296:                              ;   in Loop: Header=BB256_13 Depth=1
	v_bfe_u32 v75, v10, 16, 7
	v_cmp_ne_u32_e64 s[0:1], s53, v75
	v_mov_b32_e32 v74, 0x7c01
	s_and_saveexec_b64 s[44:45], s[0:1]
	s_cbranch_execz .LBB256_298
; %bb.297:                              ;   in Loop: Header=BB256_13 Depth=1
	v_and_b32_e32 v74, 7, v2
	v_ffbh_u32_e32 v76, v74
	v_min_u32_e32 v79, 32, v76
	v_subrev_u32_e32 v76, 28, v79
	v_lshlrev_b64 v[76:77], v76, v[2:3]
	v_lshrrev_b32_e32 v78, 3, v75
	v_sub_u32_e32 v77, 29, v79
	v_cmp_gt_u32_e64 s[0:1], 8, v75
	v_lshlrev_b32_e32 v2, 8, v2
	v_and_b32_e32 v76, 7, v76
	v_cndmask_b32_e64 v75, v78, v77, s[0:1]
	v_lshl_add_u32 v75, v75, 10, v21
	v_and_b32_e32 v75, 0xfc00, v75
	v_cndmask_b32_e64 v74, v74, v76, s[0:1]
	v_and_or_b32 v2, v2, s54, v75
	v_lshl_or_b32 v74, v74, 7, v2
.LBB256_298:                            ;   in Loop: Header=BB256_13 Depth=1
	s_or_b64 exec, exec, s[44:45]
.LBB256_299:                            ;   in Loop: Header=BB256_13 Depth=1
	s_or_b64 exec, exec, s[42:43]
.LBB256_300:                            ;   in Loop: Header=BB256_13 Depth=1
	s_or_b64 exec, exec, s[40:41]
	v_cmp_lt_u32_e64 s[0:1], s55, v10
	s_and_saveexec_b64 s[40:41], s[0:1]
	s_cbranch_execz .LBB256_306
; %bb.301:                              ;   in Loop: Header=BB256_13 Depth=1
	v_lshrrev_b32_e32 v2, 24, v10
	v_cmp_ne_u32_e64 s[0:1], s52, v2
	v_bfrev_b32_e32 v73, 1
	s_and_saveexec_b64 s[42:43], s[0:1]
	s_cbranch_execz .LBB256_305
; %bb.302:                              ;   in Loop: Header=BB256_13 Depth=1
	v_and_b32_e32 v10, 0x7f, v2
	v_cmp_ne_u32_e64 s[0:1], s53, v10
	v_mov_b32_e32 v73, 0x7c010000
	s_and_saveexec_b64 s[44:45], s[0:1]
	s_cbranch_execz .LBB256_304
; %bb.303:                              ;   in Loop: Header=BB256_13 Depth=1
	v_and_b32_e32 v73, 7, v2
	v_ffbh_u32_e32 v76, v73
	v_min_u32_e32 v78, 32, v76
	v_subrev_u32_e32 v76, 28, v78
	v_lshlrev_b64 v[76:77], v76, v[2:3]
	v_lshrrev_b32_e32 v75, 3, v10
	v_sub_u32_e32 v77, 29, v78
	v_cmp_gt_u32_e64 s[0:1], 8, v10
	v_lshlrev_b32_e32 v2, 8, v2
	s_nop 0
	v_cndmask_b32_e64 v10, v75, v77, s[0:1]
	v_lshl_add_u32 v10, v10, 10, v21
	v_and_b32_e32 v75, 7, v76
	v_and_or_b32 v2, v2, s54, v10
	v_cndmask_b32_e64 v73, v73, v75, s[0:1]
	v_lshlrev_b32_e32 v2, 16, v2
	v_lshl_or_b32 v73, v73, 23, v2
.LBB256_304:                            ;   in Loop: Header=BB256_13 Depth=1
	s_or_b64 exec, exec, s[44:45]
.LBB256_305:                            ;   in Loop: Header=BB256_13 Depth=1
	s_or_b64 exec, exec, s[42:43]
.LBB256_306:                            ;   in Loop: Header=BB256_13 Depth=1
	s_or_b64 exec, exec, s[40:41]
	global_load_dword v10, v[8:9], off offset:3072
	v_mov_b32_e32 v75, 0
	v_mov_b32_e32 v76, 0
	s_waitcnt vmcnt(0)
	v_cmp_ne_u16_sdwa s[0:1], v10, v3 src0_sel:BYTE_0 src1_sel:DWORD
	s_and_saveexec_b64 s[40:41], s[0:1]
	s_cbranch_execz .LBB256_312
; %bb.307:                              ;   in Loop: Header=BB256_13 Depth=1
	v_cmp_ne_u16_sdwa s[0:1], v10, s52 src0_sel:BYTE_0 src1_sel:DWORD
	v_mov_b32_e32 v76, 0x8000
	s_and_saveexec_b64 s[42:43], s[0:1]
	s_cbranch_execz .LBB256_311
; %bb.308:                              ;   in Loop: Header=BB256_13 Depth=1
	v_and_b32_e32 v2, 0x7f, v10
	v_cmp_ne_u32_e64 s[0:1], s53, v2
	v_mov_b32_e32 v76, 0x7c01
	s_and_saveexec_b64 s[44:45], s[0:1]
	s_cbranch_execz .LBB256_310
; %bb.309:                              ;   in Loop: Header=BB256_13 Depth=1
	v_and_b32_e32 v78, 7, v10
	v_ffbh_u32_e32 v76, v78
	v_min_u32_e32 v80, 32, v76
	v_subrev_u32_e32 v76, 28, v80
	v_lshlrev_b64 v[76:77], v76, v[10:11]
	v_lshrrev_b32_e32 v79, 3, v2
	v_sub_u32_e32 v77, 29, v80
	v_cmp_gt_u32_e64 s[0:1], 8, v2
	v_and_b32_e32 v76, 7, v76
	s_nop 0
	v_cndmask_b32_e64 v2, v79, v77, s[0:1]
	v_lshl_add_u32 v2, v2, 10, v21
	v_lshlrev_b32_e32 v77, 8, v10
	v_and_b32_e32 v2, 0xfc00, v2
	v_cndmask_b32_e64 v76, v78, v76, s[0:1]
	v_and_or_b32 v2, v77, s54, v2
	v_lshl_or_b32 v76, v76, 7, v2
.LBB256_310:                            ;   in Loop: Header=BB256_13 Depth=1
	s_or_b64 exec, exec, s[44:45]
.LBB256_311:                            ;   in Loop: Header=BB256_13 Depth=1
	s_or_b64 exec, exec, s[42:43]
.LBB256_312:                            ;   in Loop: Header=BB256_13 Depth=1
	s_or_b64 exec, exec, s[40:41]
	v_lshrrev_b16_e32 v2, 8, v10
	v_cmp_ne_u16_e64 s[0:1], 0, v2
	s_and_saveexec_b64 s[40:41], s[0:1]
	s_cbranch_execz .LBB256_318
; %bb.313:                              ;   in Loop: Header=BB256_13 Depth=1
	v_cmp_ne_u16_e64 s[0:1], s52, v2
	v_bfrev_b32_e32 v75, 1
	s_and_saveexec_b64 s[42:43], s[0:1]
	s_cbranch_execz .LBB256_317
; %bb.314:                              ;   in Loop: Header=BB256_13 Depth=1
	v_and_b32_e32 v77, 0x7f, v2
	v_cmp_ne_u32_e64 s[0:1], s53, v77
	v_mov_b32_e32 v75, 0x7c010000
	s_and_saveexec_b64 s[44:45], s[0:1]
	s_cbranch_execz .LBB256_316
; %bb.315:                              ;   in Loop: Header=BB256_13 Depth=1
	v_and_b32_e32 v75, 7, v2
	v_ffbh_u32_e32 v78, v75
	v_min_u32_e32 v81, 32, v78
	v_subrev_u32_e32 v78, 28, v81
	v_lshlrev_b64 v[78:79], v78, v[2:3]
	v_lshrrev_b32_e32 v80, 3, v77
	v_sub_u32_e32 v79, 29, v81
	v_cmp_gt_u32_e64 s[0:1], 8, v77
	v_lshlrev_b32_e32 v2, 8, v2
	v_and_b32_e32 v78, 7, v78
	v_cndmask_b32_e64 v77, v80, v79, s[0:1]
	v_lshl_add_u32 v77, v77, 10, v21
	v_and_or_b32 v2, v2, s54, v77
	v_cndmask_b32_e64 v75, v75, v78, s[0:1]
	v_lshlrev_b32_e32 v2, 16, v2
	v_lshl_or_b32 v75, v75, 23, v2
.LBB256_316:                            ;   in Loop: Header=BB256_13 Depth=1
	s_or_b64 exec, exec, s[44:45]
.LBB256_317:                            ;   in Loop: Header=BB256_13 Depth=1
	s_or_b64 exec, exec, s[42:43]
.LBB256_318:                            ;   in Loop: Header=BB256_13 Depth=1
	s_or_b64 exec, exec, s[40:41]
	v_lshrrev_b32_e32 v2, 16, v10
	v_cmp_ne_u16_sdwa s[0:1], v2, v3 src0_sel:BYTE_0 src1_sel:DWORD
	v_mov_b32_e32 v77, 0
	v_mov_b32_e32 v78, 0
	s_and_saveexec_b64 s[40:41], s[0:1]
	s_cbranch_execz .LBB256_324
; %bb.319:                              ;   in Loop: Header=BB256_13 Depth=1
	v_cmp_ne_u16_sdwa s[0:1], v2, s52 src0_sel:BYTE_0 src1_sel:DWORD
	v_mov_b32_e32 v78, 0x8000
	s_and_saveexec_b64 s[42:43], s[0:1]
	s_cbranch_execz .LBB256_323
; %bb.320:                              ;   in Loop: Header=BB256_13 Depth=1
	v_bfe_u32 v79, v10, 16, 7
	v_cmp_ne_u32_e64 s[0:1], s53, v79
	v_mov_b32_e32 v78, 0x7c01
	s_and_saveexec_b64 s[44:45], s[0:1]
	s_cbranch_execz .LBB256_322
; %bb.321:                              ;   in Loop: Header=BB256_13 Depth=1
	v_and_b32_e32 v78, 7, v2
	v_ffbh_u32_e32 v80, v78
	v_min_u32_e32 v83, 32, v80
	v_subrev_u32_e32 v80, 28, v83
	v_lshlrev_b64 v[80:81], v80, v[2:3]
	v_lshrrev_b32_e32 v82, 3, v79
	v_sub_u32_e32 v81, 29, v83
	v_cmp_gt_u32_e64 s[0:1], 8, v79
	v_lshlrev_b32_e32 v2, 8, v2
	v_and_b32_e32 v80, 7, v80
	v_cndmask_b32_e64 v79, v82, v81, s[0:1]
	v_lshl_add_u32 v79, v79, 10, v21
	v_and_b32_e32 v79, 0xfc00, v79
	v_cndmask_b32_e64 v78, v78, v80, s[0:1]
	v_and_or_b32 v2, v2, s54, v79
	v_lshl_or_b32 v78, v78, 7, v2
.LBB256_322:                            ;   in Loop: Header=BB256_13 Depth=1
	s_or_b64 exec, exec, s[44:45]
.LBB256_323:                            ;   in Loop: Header=BB256_13 Depth=1
	s_or_b64 exec, exec, s[42:43]
.LBB256_324:                            ;   in Loop: Header=BB256_13 Depth=1
	s_or_b64 exec, exec, s[40:41]
	v_cmp_lt_u32_e64 s[0:1], s55, v10
	s_and_saveexec_b64 s[40:41], s[0:1]
	s_cbranch_execz .LBB256_330
; %bb.325:                              ;   in Loop: Header=BB256_13 Depth=1
	v_lshrrev_b32_e32 v2, 24, v10
	v_cmp_ne_u32_e64 s[0:1], s52, v2
	v_bfrev_b32_e32 v77, 1
	s_and_saveexec_b64 s[42:43], s[0:1]
	s_cbranch_execz .LBB256_329
; %bb.326:                              ;   in Loop: Header=BB256_13 Depth=1
	v_and_b32_e32 v10, 0x7f, v2
	v_cmp_ne_u32_e64 s[0:1], s53, v10
	v_mov_b32_e32 v77, 0x7c010000
	s_and_saveexec_b64 s[44:45], s[0:1]
	s_cbranch_execz .LBB256_328
; %bb.327:                              ;   in Loop: Header=BB256_13 Depth=1
	v_and_b32_e32 v77, 7, v2
	v_ffbh_u32_e32 v80, v77
	v_min_u32_e32 v82, 32, v80
	v_subrev_u32_e32 v80, 28, v82
	v_lshlrev_b64 v[80:81], v80, v[2:3]
	v_lshrrev_b32_e32 v79, 3, v10
	v_sub_u32_e32 v81, 29, v82
	v_cmp_gt_u32_e64 s[0:1], 8, v10
	v_lshlrev_b32_e32 v2, 8, v2
	s_nop 0
	v_cndmask_b32_e64 v10, v79, v81, s[0:1]
	v_lshl_add_u32 v10, v10, 10, v21
	v_and_b32_e32 v79, 7, v80
	v_and_or_b32 v2, v2, s54, v10
	v_cndmask_b32_e64 v77, v77, v79, s[0:1]
	v_lshlrev_b32_e32 v2, 16, v2
	v_lshl_or_b32 v77, v77, 23, v2
.LBB256_328:                            ;   in Loop: Header=BB256_13 Depth=1
	s_or_b64 exec, exec, s[44:45]
.LBB256_329:                            ;   in Loop: Header=BB256_13 Depth=1
	s_or_b64 exec, exec, s[42:43]
.LBB256_330:                            ;   in Loop: Header=BB256_13 Depth=1
	s_or_b64 exec, exec, s[40:41]
	global_load_dword v8, v[8:9], off offset:3080
	v_mov_b32_e32 v79, 0
	v_mov_b32_e32 v80, 0
	s_waitcnt vmcnt(0)
	v_cmp_ne_u16_sdwa s[0:1], v8, v3 src0_sel:BYTE_0 src1_sel:DWORD
	s_and_saveexec_b64 s[40:41], s[0:1]
	s_cbranch_execz .LBB256_336
; %bb.331:                              ;   in Loop: Header=BB256_13 Depth=1
	v_cmp_ne_u16_sdwa s[0:1], v8, s52 src0_sel:BYTE_0 src1_sel:DWORD
	v_mov_b32_e32 v80, 0x8000
	s_and_saveexec_b64 s[42:43], s[0:1]
	s_cbranch_execz .LBB256_335
; %bb.332:                              ;   in Loop: Header=BB256_13 Depth=1
	v_and_b32_e32 v2, 0x7f, v8
	v_cmp_ne_u32_e64 s[0:1], s53, v2
	v_mov_b32_e32 v80, 0x7c01
	s_and_saveexec_b64 s[44:45], s[0:1]
	s_cbranch_execz .LBB256_334
; %bb.333:                              ;   in Loop: Header=BB256_13 Depth=1
	v_and_b32_e32 v9, 7, v8
	v_ffbh_u32_e32 v80, v9
	v_min_u32_e32 v82, 32, v80
	v_subrev_u32_e32 v80, 28, v82
	v_lshlrev_b64 v[80:81], v80, v[8:9]
	v_lshrrev_b32_e32 v10, 3, v2
	v_sub_u32_e32 v81, 29, v82
	v_cmp_gt_u32_e64 s[0:1], 8, v2
	v_and_b32_e32 v80, 7, v80
	s_nop 0
	v_cndmask_b32_e64 v2, v10, v81, s[0:1]
	v_lshl_add_u32 v2, v2, 10, v21
	v_lshlrev_b32_e32 v10, 8, v8
	v_and_b32_e32 v2, 0xfc00, v2
	v_cndmask_b32_e64 v9, v9, v80, s[0:1]
	v_and_or_b32 v2, v10, s54, v2
	v_lshl_or_b32 v80, v9, 7, v2
.LBB256_334:                            ;   in Loop: Header=BB256_13 Depth=1
	s_or_b64 exec, exec, s[44:45]
.LBB256_335:                            ;   in Loop: Header=BB256_13 Depth=1
	s_or_b64 exec, exec, s[42:43]
.LBB256_336:                            ;   in Loop: Header=BB256_13 Depth=1
	s_or_b64 exec, exec, s[40:41]
	v_lshrrev_b16_e32 v2, 8, v8
	v_cmp_ne_u16_e64 s[0:1], 0, v2
	s_and_saveexec_b64 s[40:41], s[0:1]
	s_cbranch_execz .LBB256_342
; %bb.337:                              ;   in Loop: Header=BB256_13 Depth=1
	v_cmp_ne_u16_e64 s[0:1], s52, v2
	v_bfrev_b32_e32 v79, 1
	s_and_saveexec_b64 s[42:43], s[0:1]
	s_cbranch_execz .LBB256_341
; %bb.338:                              ;   in Loop: Header=BB256_13 Depth=1
	v_and_b32_e32 v9, 0x7f, v2
	v_cmp_ne_u32_e64 s[0:1], s53, v9
	v_mov_b32_e32 v79, 0x7c010000
	s_and_saveexec_b64 s[44:45], s[0:1]
	s_cbranch_execz .LBB256_340
; %bb.339:                              ;   in Loop: Header=BB256_13 Depth=1
	v_and_b32_e32 v10, 7, v2
	v_ffbh_u32_e32 v81, v10
	v_min_u32_e32 v81, 32, v81
	v_lshrrev_b32_e32 v79, 3, v9
	v_subrev_u32_e32 v82, 28, v81
	v_sub_u32_e32 v81, 29, v81
	v_cmp_gt_u32_e64 s[0:1], 8, v9
	v_lshlrev_b64 v[82:83], v82, v[2:3]
	v_lshlrev_b32_e32 v2, 8, v2
	v_cndmask_b32_e64 v9, v79, v81, s[0:1]
	v_lshl_add_u32 v9, v9, 10, v21
	v_and_b32_e32 v79, 7, v82
	v_and_or_b32 v2, v2, s54, v9
	v_cndmask_b32_e64 v10, v10, v79, s[0:1]
	v_lshlrev_b32_e32 v2, 16, v2
	v_lshl_or_b32 v79, v10, 23, v2
.LBB256_340:                            ;   in Loop: Header=BB256_13 Depth=1
	s_or_b64 exec, exec, s[44:45]
.LBB256_341:                            ;   in Loop: Header=BB256_13 Depth=1
	s_or_b64 exec, exec, s[42:43]
.LBB256_342:                            ;   in Loop: Header=BB256_13 Depth=1
	s_or_b64 exec, exec, s[40:41]
	v_lshrrev_b32_e32 v2, 16, v8
	v_cmp_ne_u16_sdwa s[0:1], v2, v3 src0_sel:BYTE_0 src1_sel:DWORD
	v_mov_b32_e32 v81, 0
	v_mov_b32_e32 v82, 0
	s_and_saveexec_b64 s[40:41], s[0:1]
	s_cbranch_execz .LBB256_348
; %bb.343:                              ;   in Loop: Header=BB256_13 Depth=1
	v_cmp_ne_u16_sdwa s[0:1], v2, s52 src0_sel:BYTE_0 src1_sel:DWORD
	v_mov_b32_e32 v82, 0x8000
	s_and_saveexec_b64 s[42:43], s[0:1]
	s_cbranch_execz .LBB256_347
; %bb.344:                              ;   in Loop: Header=BB256_13 Depth=1
	v_bfe_u32 v9, v8, 16, 7
	v_cmp_ne_u32_e64 s[0:1], s53, v9
	v_mov_b32_e32 v82, 0x7c01
	s_and_saveexec_b64 s[44:45], s[0:1]
	s_cbranch_execz .LBB256_346
; %bb.345:                              ;   in Loop: Header=BB256_13 Depth=1
	v_and_b32_e32 v10, 7, v2
	v_ffbh_u32_e32 v82, v10
	v_min_u32_e32 v85, 32, v82
	v_subrev_u32_e32 v82, 28, v85
	v_lshlrev_b64 v[82:83], v82, v[2:3]
	v_lshrrev_b32_e32 v84, 3, v9
	v_sub_u32_e32 v83, 29, v85
	v_cmp_gt_u32_e64 s[0:1], 8, v9
	v_lshlrev_b32_e32 v2, 8, v2
	v_and_b32_e32 v82, 7, v82
	v_cndmask_b32_e64 v9, v84, v83, s[0:1]
	v_lshl_add_u32 v9, v9, 10, v21
	v_and_b32_e32 v9, 0xfc00, v9
	v_cndmask_b32_e64 v10, v10, v82, s[0:1]
	v_and_or_b32 v2, v2, s54, v9
	v_lshl_or_b32 v82, v10, 7, v2
.LBB256_346:                            ;   in Loop: Header=BB256_13 Depth=1
	s_or_b64 exec, exec, s[44:45]
.LBB256_347:                            ;   in Loop: Header=BB256_13 Depth=1
	s_or_b64 exec, exec, s[42:43]
.LBB256_348:                            ;   in Loop: Header=BB256_13 Depth=1
	s_or_b64 exec, exec, s[40:41]
	v_cmp_lt_u32_e64 s[0:1], s55, v8
	s_and_saveexec_b64 s[40:41], s[0:1]
	s_cbranch_execz .LBB256_354
; %bb.349:                              ;   in Loop: Header=BB256_13 Depth=1
	v_lshrrev_b32_e32 v2, 24, v8
	v_cmp_ne_u32_e64 s[0:1], s52, v2
	v_bfrev_b32_e32 v81, 1
	s_and_saveexec_b64 s[42:43], s[0:1]
	s_cbranch_execz .LBB256_353
; %bb.350:                              ;   in Loop: Header=BB256_13 Depth=1
	v_and_b32_e32 v8, 0x7f, v2
	v_cmp_ne_u32_e64 s[0:1], s53, v8
	v_mov_b32_e32 v81, 0x7c010000
	s_and_saveexec_b64 s[44:45], s[0:1]
	s_cbranch_execz .LBB256_352
; %bb.351:                              ;   in Loop: Header=BB256_13 Depth=1
	v_and_b32_e32 v9, 7, v2
	v_ffbh_u32_e32 v81, v9
	v_min_u32_e32 v81, 32, v81
	v_lshrrev_b32_e32 v10, 3, v8
	v_subrev_u32_e32 v83, 28, v81
	v_sub_u32_e32 v81, 29, v81
	v_cmp_gt_u32_e64 s[0:1], 8, v8
	v_lshlrev_b64 v[84:85], v83, v[2:3]
	v_lshlrev_b32_e32 v2, 8, v2
	v_cndmask_b32_e64 v8, v10, v81, s[0:1]
	v_lshl_add_u32 v8, v8, 10, v21
	v_and_b32_e32 v10, 7, v84
	v_and_or_b32 v2, v2, s54, v8
	v_cndmask_b32_e64 v9, v9, v10, s[0:1]
	v_lshlrev_b32_e32 v2, 16, v2
	v_lshl_or_b32 v81, v9, 23, v2
.LBB256_352:                            ;   in Loop: Header=BB256_13 Depth=1
	s_or_b64 exec, exec, s[44:45]
.LBB256_353:                            ;   in Loop: Header=BB256_13 Depth=1
	s_or_b64 exec, exec, s[42:43]
.LBB256_354:                            ;   in Loop: Header=BB256_13 Depth=1
	s_or_b64 exec, exec, s[40:41]
	v_or_b32_e32 v2, v75, v76
	v_fma_mixlo_f16 v9, v24, v75, 0 op_sel:[0,1,0] op_sel_hi:[0,1,0]
	v_or_b32_e32 v72, v71, v72
	v_fma_mixlo_f16 v75, v24, v71, 0 op_sel:[0,1,0] op_sel_hi:[0,1,0]
	v_or_b32_e32 v71, v73, v74
	v_fma_mixlo_f16 v76, v24, v72, 0 op_sel_hi:[0,1,0]
	v_fma_mixlo_f16 v72, v24, v71, 0 op_sel_hi:[0,1,0]
	v_fma_mixlo_f16 v71, v24, v73, 0 op_sel:[0,1,0] op_sel_hi:[0,1,0]
	v_or_b32_e32 v68, v67, v68
	v_fma_mixlo_f16 v73, v24, v67, 0 op_sel:[0,1,0] op_sel_hi:[0,1,0]
	v_or_b32_e32 v67, v69, v70
	v_fma_mixlo_f16 v74, v24, v68, 0 op_sel_hi:[0,1,0]
	v_fma_mixlo_f16 v68, v24, v67, 0 op_sel_hi:[0,1,0]
	;; [unrolled: 6-line block ×6, first 2 shown]
	v_fma_mixlo_f16 v51, v24, v53, 0 op_sel:[0,1,0] op_sel_hi:[0,1,0]
	v_or_b32_e32 v36, v35, v36
	v_fma_mixlo_f16 v53, v24, v35, 0 op_sel:[0,1,0] op_sel_hi:[0,1,0]
	v_or_b32_e32 v35, v37, v38
	v_fma_mixlo_f16 v38, v24, v35, 0 op_sel_hi:[0,1,0]
	v_or_b32_e32 v32, v31, v32
	v_fma_mixlo_f16 v35, v24, v31, 0 op_sel:[0,1,0] op_sel_hi:[0,1,0]
	v_or_b32_e32 v31, v33, v34
	v_fma_mixlo_f16 v54, v24, v32, 0 op_sel_hi:[0,1,0]
	v_fma_mixlo_f16 v34, v24, v31, 0 op_sel_hi:[0,1,0]
	v_or_b32_e32 v28, v25, v28
	v_fma_mixlo_f16 v32, v24, v25, 0 op_sel:[0,1,0] op_sel_hi:[0,1,0]
	v_or_b32_e32 v25, v29, v30
	ds_read_b64 v[30:31], v14
	v_fma_mixlo_f16 v10, v24, v2, 0 op_sel_hi:[0,1,0]
	v_or_b32_e32 v2, v77, v78
	v_fma_mixlo_f16 v28, v24, v28, 0 op_sel_hi:[0,1,0]
	v_fma_mixlo_f16 v8, v24, v2, 0 op_sel_hi:[0,1,0]
	v_fma_mixlo_f16 v2, v24, v77, 0 op_sel:[0,1,0] op_sel_hi:[0,1,0]
	v_fma_mixlo_f16 v77, v24, v33, 0 op_sel:[0,1,0] op_sel_hi:[0,1,0]
	v_fma_mixlo_f16 v33, v24, v25, 0 op_sel_hi:[0,1,0]
	v_or_b32_e32 v78, v79, v80
	v_fma_mixlo_f16 v25, v24, v79, 0 op_sel:[0,1,0] op_sel_hi:[0,1,0]
	s_waitcnt lgkmcnt(0)
	v_lshrrev_b32_e32 v79, 16, v30
	v_and_b32_e32 v30, 0xffff, v30
	v_and_b32_e32 v28, 0xffff, v28
	;;#ASMSTART
	v_cvt_f32_f16 v30, v30;
	;;#ASMEND
	;;#ASMSTART
	v_cvt_f32_f16 v79, v79;
	;;#ASMEND
	;; [unrolled: 3-line block ×3, first 2 shown]
	v_and_b32_e32 v28, 0xffff, v32
	;;#ASMSTART
	v_cvt_f32_f16 v83, v28;
	;;#ASMEND
	v_lshrrev_b32_e32 v28, 16, v31
	v_fma_mixlo_f16 v29, v24, v29, 0 op_sel:[0,1,0] op_sel_hi:[0,1,0]
	v_and_b32_e32 v31, 0xffff, v31
	;;#ASMSTART
	v_cvt_f32_f16 v84, v31;
	;;#ASMEND
	;;#ASMSTART
	v_cvt_f32_f16 v85, v28;
	;;#ASMEND
	v_and_b32_e32 v28, 0xffff, v33
	;;#ASMSTART
	v_cvt_f32_f16 v86, v28;
	;;#ASMEND
	v_and_b32_e32 v28, 0xffff, v29
	;;#ASMSTART
	v_cvt_f32_f16 v87, v28;
	;;#ASMEND
	ds_read_b64 v[32:33], v14 offset:8
	v_and_b32_e32 v54, 0xffff, v54
	v_fma_mixlo_f16 v31, v24, v78, 0 op_sel_hi:[0,1,0]
	v_and_b32_e32 v35, 0xffff, v35
	v_and_b32_e32 v34, 0xffff, v34
	s_waitcnt lgkmcnt(0)
	v_and_b32_e32 v29, 0xffff, v32
	;;#ASMSTART
	v_cvt_f32_f16 v29, v29;
	;;#ASMEND
	v_lshrrev_b32_e32 v78, 16, v32
	;;#ASMSTART
	v_cvt_f32_f16 v32, v78;
	;;#ASMEND
	;;#ASMSTART
	v_cvt_f32_f16 v54, v54;
	;;#ASMEND
	;; [unrolled: 3-line block ×3, first 2 shown]
	v_fma_mixlo_f16 v36, v24, v36, 0 op_sel_hi:[0,1,0]
	v_mul_f32_e32 v29, v29, v54
	v_fmac_f32_e32 v29, v30, v80
	v_mul_f32_e32 v30, v32, v35
	v_and_b32_e32 v32, 0xffff, v33
	v_lshrrev_b32_e32 v35, 16, v33
	;;#ASMSTART
	v_cvt_f32_f16 v32, v32;
	;;#ASMEND
	;;#ASMSTART
	v_cvt_f32_f16 v33, v35;
	;;#ASMEND
	;; [unrolled: 3-line block ×3, first 2 shown]
	v_and_b32_e32 v34, 0xffff, v77
	;;#ASMSTART
	v_cvt_f32_f16 v77, v34;
	;;#ASMEND
	ds_read_b64 v[34:35], v14 offset:16
	v_mul_f32_e32 v33, v33, v77
	v_mul_f32_e32 v32, v32, v54
	v_fma_mixlo_f16 v37, v24, v37, 0 op_sel:[0,1,0] op_sel_hi:[0,1,0]
	v_fmac_f32_e32 v30, v79, v83
	s_waitcnt lgkmcnt(0)
	v_lshrrev_b32_e32 v77, 16, v34
	v_and_b32_e32 v34, 0xffff, v34
	;;#ASMSTART
	v_cvt_f32_f16 v54, v34;
	;;#ASMEND
	v_and_b32_e32 v34, 0xffff, v36
	;;#ASMSTART
	v_cvt_f32_f16 v77, v77;
	;;#ASMEND
	;;#ASMSTART
	v_cvt_f32_f16 v36, v34;
	;;#ASMEND
	v_and_b32_e32 v34, 0xffff, v53
	;;#ASMSTART
	v_cvt_f32_f16 v53, v34;
	;;#ASMEND
	v_lshrrev_b32_e32 v34, 16, v35
	v_and_b32_e32 v35, 0xffff, v35
	;;#ASMSTART
	v_cvt_f32_f16 v78, v35;
	;;#ASMEND
	;;#ASMSTART
	v_cvt_f32_f16 v79, v34;
	;;#ASMEND
	v_and_b32_e32 v34, 0xffff, v38
	;;#ASMSTART
	v_cvt_f32_f16 v38, v34;
	;;#ASMEND
	v_and_b32_e32 v34, 0xffff, v37
	;;#ASMSTART
	v_cvt_f32_f16 v37, v34;
	;;#ASMEND
	ds_read_b64 v[34:35], v14 offset:24
	v_or_b32_e32 v40, v39, v40
	v_fmac_f32_e32 v33, v85, v87
	v_fma_mixlo_f16 v40, v24, v40, 0 op_sel_hi:[0,1,0]
	v_fmac_f32_e32 v33, v79, v37
	s_waitcnt lgkmcnt(0)
	v_lshrrev_b32_e32 v37, 16, v34
	v_and_b32_e32 v34, 0xffff, v34
	v_fma_mixlo_f16 v39, v24, v39, 0 op_sel:[0,1,0] op_sel_hi:[0,1,0]
	v_fmac_f32_e32 v32, v84, v86
	v_fmac_f32_e32 v29, v54, v36
	;;#ASMSTART
	v_cvt_f32_f16 v36, v34;
	;;#ASMEND
	v_and_b32_e32 v34, 0xffff, v40
	v_or_b32_e32 v42, v41, v42
	v_fmac_f32_e32 v32, v78, v38
	;;#ASMSTART
	v_cvt_f32_f16 v37, v37;
	;;#ASMEND
	;;#ASMSTART
	v_cvt_f32_f16 v38, v34;
	;;#ASMEND
	v_and_b32_e32 v34, 0xffff, v39
	v_fma_mixlo_f16 v42, v24, v42, 0 op_sel_hi:[0,1,0]
	;;#ASMSTART
	v_cvt_f32_f16 v39, v34;
	;;#ASMEND
	v_lshrrev_b32_e32 v34, 16, v35
	v_fma_mixlo_f16 v41, v24, v41, 0 op_sel:[0,1,0] op_sel_hi:[0,1,0]
	v_fmac_f32_e32 v30, v77, v53
	v_and_b32_e32 v35, 0xffff, v35
	;;#ASMSTART
	v_cvt_f32_f16 v40, v35;
	;;#ASMEND
	;;#ASMSTART
	v_cvt_f32_f16 v53, v34;
	;;#ASMEND
	v_and_b32_e32 v34, 0xffff, v42
	;;#ASMSTART
	v_cvt_f32_f16 v42, v34;
	;;#ASMEND
	v_and_b32_e32 v34, 0xffff, v41
	;;#ASMSTART
	v_cvt_f32_f16 v41, v34;
	;;#ASMEND
	ds_read_b64 v[34:35], v14 offset:32
	v_or_b32_e32 v44, v43, v44
	v_fma_mixlo_f16 v44, v24, v44, 0 op_sel_hi:[0,1,0]
	v_fmac_f32_e32 v30, v37, v39
	v_fma_mixlo_f16 v43, v24, v43, 0 op_sel:[0,1,0] op_sel_hi:[0,1,0]
	s_waitcnt lgkmcnt(0)
	v_lshrrev_b32_e32 v37, 16, v34
	v_and_b32_e32 v34, 0xffff, v34
	v_fmac_f32_e32 v29, v36, v38
	;;#ASMSTART
	v_cvt_f32_f16 v36, v34;
	;;#ASMEND
	v_and_b32_e32 v34, 0xffff, v44
	v_or_b32_e32 v46, v45, v46
	;;#ASMSTART
	v_cvt_f32_f16 v37, v37;
	;;#ASMEND
	;;#ASMSTART
	v_cvt_f32_f16 v38, v34;
	;;#ASMEND
	v_and_b32_e32 v34, 0xffff, v43
	v_fma_mixlo_f16 v46, v24, v46, 0 op_sel_hi:[0,1,0]
	;;#ASMSTART
	v_cvt_f32_f16 v39, v34;
	;;#ASMEND
	v_lshrrev_b32_e32 v34, 16, v35
	v_fma_mixlo_f16 v45, v24, v45, 0 op_sel:[0,1,0] op_sel_hi:[0,1,0]
	v_fmac_f32_e32 v32, v40, v42
	v_fmac_f32_e32 v33, v53, v41
	v_and_b32_e32 v35, 0xffff, v35
	;;#ASMSTART
	v_cvt_f32_f16 v40, v35;
	;;#ASMEND
	;;#ASMSTART
	v_cvt_f32_f16 v41, v34;
	;;#ASMEND
	v_and_b32_e32 v34, 0xffff, v46
	;;#ASMSTART
	v_cvt_f32_f16 v42, v34;
	;;#ASMEND
	v_and_b32_e32 v34, 0xffff, v45
	;;#ASMSTART
	v_cvt_f32_f16 v43, v34;
	;;#ASMEND
	ds_read_b64 v[34:35], v14 offset:40
	v_or_b32_e32 v48, v47, v48
	v_fma_mixlo_f16 v48, v24, v48, 0 op_sel_hi:[0,1,0]
	v_fmac_f32_e32 v30, v37, v39
	v_fma_mixlo_f16 v47, v24, v47, 0 op_sel:[0,1,0] op_sel_hi:[0,1,0]
	s_waitcnt lgkmcnt(0)
	v_lshrrev_b32_e32 v37, 16, v34
	v_and_b32_e32 v34, 0xffff, v34
	v_fmac_f32_e32 v29, v36, v38
	;;#ASMSTART
	v_cvt_f32_f16 v36, v34;
	;;#ASMEND
	v_and_b32_e32 v34, 0xffff, v48
	v_or_b32_e32 v50, v49, v50
	;;#ASMSTART
	v_cvt_f32_f16 v37, v37;
	;;#ASMEND
	;;#ASMSTART
	v_cvt_f32_f16 v38, v34;
	;;#ASMEND
	v_and_b32_e32 v34, 0xffff, v47
	v_fma_mixlo_f16 v50, v24, v50, 0 op_sel_hi:[0,1,0]
	;;#ASMSTART
	v_cvt_f32_f16 v39, v34;
	;;#ASMEND
	v_lshrrev_b32_e32 v34, 16, v35
	v_fma_mixlo_f16 v49, v24, v49, 0 op_sel:[0,1,0] op_sel_hi:[0,1,0]
	v_fmac_f32_e32 v32, v40, v42
	v_fmac_f32_e32 v33, v41, v43
	v_and_b32_e32 v35, 0xffff, v35
	;;#ASMSTART
	v_cvt_f32_f16 v40, v35;
	;;#ASMEND
	;;#ASMSTART
	v_cvt_f32_f16 v41, v34;
	;;#ASMEND
	v_and_b32_e32 v34, 0xffff, v50
	;;#ASMSTART
	v_cvt_f32_f16 v42, v34;
	;;#ASMEND
	v_and_b32_e32 v34, 0xffff, v49
	;;#ASMSTART
	v_cvt_f32_f16 v43, v34;
	;;#ASMEND
	ds_read_b64 v[34:35], v14 offset:48
	v_fmac_f32_e32 v30, v37, v39
	v_fmac_f32_e32 v29, v36, v38
	v_fmac_f32_e32 v32, v40, v42
	v_fmac_f32_e32 v33, v41, v43
	s_waitcnt lgkmcnt(0)
	v_lshrrev_b32_e32 v37, 16, v34
	v_and_b32_e32 v34, 0xffff, v34
	;;#ASMSTART
	v_cvt_f32_f16 v36, v34;
	;;#ASMEND
	v_and_b32_e32 v34, 0xffff, v58
	;;#ASMSTART
	v_cvt_f32_f16 v37, v37;
	;;#ASMEND
	;;#ASMSTART
	v_cvt_f32_f16 v38, v34;
	;;#ASMEND
	v_and_b32_e32 v34, 0xffff, v57
	;;#ASMSTART
	v_cvt_f32_f16 v39, v34;
	;;#ASMEND
	v_lshrrev_b32_e32 v34, 16, v35
	v_and_b32_e32 v35, 0xffff, v35
	;;#ASMSTART
	v_cvt_f32_f16 v40, v35;
	;;#ASMEND
	;;#ASMSTART
	v_cvt_f32_f16 v41, v34;
	;;#ASMEND
	v_and_b32_e32 v34, 0xffff, v52
	;;#ASMSTART
	v_cvt_f32_f16 v42, v34;
	;;#ASMEND
	v_and_b32_e32 v34, 0xffff, v51
	;;#ASMSTART
	v_cvt_f32_f16 v43, v34;
	;;#ASMEND
	ds_read_b64 v[34:35], v14 offset:56
	v_fmac_f32_e32 v30, v37, v39
	v_fmac_f32_e32 v29, v36, v38
	v_fmac_f32_e32 v32, v40, v42
	v_fmac_f32_e32 v33, v41, v43
	s_waitcnt lgkmcnt(0)
	v_lshrrev_b32_e32 v37, 16, v34
	v_and_b32_e32 v34, 0xffff, v34
	;;#ASMSTART
	v_cvt_f32_f16 v36, v34;
	;;#ASMEND
	v_and_b32_e32 v34, 0xffff, v62
	;;#ASMSTART
	v_cvt_f32_f16 v37, v37;
	;;#ASMEND
	;;#ASMSTART
	v_cvt_f32_f16 v38, v34;
	;;#ASMEND
	v_and_b32_e32 v34, 0xffff, v61
	;;#ASMSTART
	v_cvt_f32_f16 v39, v34;
	;;#ASMEND
	v_lshrrev_b32_e32 v34, 16, v35
	;; [unrolled: 38-line block ×6, first 2 shown]
	v_and_b32_e32 v35, 0xffff, v35
	;;#ASMSTART
	v_cvt_f32_f16 v40, v35;
	;;#ASMEND
	;;#ASMSTART
	v_cvt_f32_f16 v41, v34;
	;;#ASMEND
	v_and_b32_e32 v34, 0xffff, v72
	;;#ASMSTART
	v_cvt_f32_f16 v42, v34;
	;;#ASMEND
	v_and_b32_e32 v34, 0xffff, v71
	;;#ASMSTART
	v_cvt_f32_f16 v43, v34;
	;;#ASMEND
	ds_read_b64 v[34:35], v14 offset:96
	v_fmac_f32_e32 v29, v36, v38
	v_and_b32_e32 v10, 0xffff, v10
	v_and_b32_e32 v9, 0xffff, v9
	v_fmac_f32_e32 v30, v37, v39
	s_waitcnt lgkmcnt(0)
	v_lshrrev_b32_e32 v36, 16, v34
	v_and_b32_e32 v34, 0xffff, v34
	;;#ASMSTART
	v_cvt_f32_f16 v34, v34;
	;;#ASMEND
	;;#ASMSTART
	v_cvt_f32_f16 v36, v36;
	;;#ASMEND
	;; [unrolled: 3-line block ×4, first 2 shown]
	v_lshrrev_b32_e32 v9, 16, v35
	v_and_b32_e32 v35, 0xffff, v35
	v_and_b32_e32 v8, 0xffff, v8
	;; [unrolled: 1-line block ×3, first 2 shown]
	;;#ASMSTART
	v_cvt_f32_f16 v35, v35;
	;;#ASMEND
	;;#ASMSTART
	v_cvt_f32_f16 v38, v9;
	;;#ASMEND
	;;#ASMSTART
	v_cvt_f32_f16 v39, v8;
	;;#ASMEND
	;;#ASMSTART
	v_cvt_f32_f16 v2, v2;
	;;#ASMEND
	ds_read_b64 v[8:9], v14 offset:104
	v_fmac_f32_e32 v33, v41, v43
	v_or_b32_e32 v28, v81, v82
	v_fmac_f32_e32 v29, v34, v10
	v_fmac_f32_e32 v33, v38, v2
	s_waitcnt lgkmcnt(0)
	v_lshrrev_b32_e32 v10, 16, v8
	v_and_b32_e32 v2, 0xffff, v8
	v_fma_mixlo_f16 v28, v24, v28, 0 op_sel_hi:[0,1,0]
	v_fmac_f32_e32 v30, v36, v37
	;;#ASMSTART
	v_cvt_f32_f16 v2, v2;
	;;#ASMEND
	;;#ASMSTART
	v_cvt_f32_f16 v8, v10;
	;;#ASMEND
	v_and_b32_e32 v10, 0xffff, v31
	v_and_b32_e32 v25, 0xffff, v25
	v_fmac_f32_e32 v32, v40, v42
	;;#ASMSTART
	v_cvt_f32_f16 v10, v10;
	;;#ASMEND
	;;#ASMSTART
	v_cvt_f32_f16 v25, v25;
	;;#ASMEND
	v_fma_mixlo_f16 v24, v24, v81, 0 op_sel:[0,1,0] op_sel_hi:[0,1,0]
	v_fmac_f32_e32 v29, v2, v10
	v_fmac_f32_e32 v30, v8, v25
	v_lshrrev_b32_e32 v8, 16, v9
	v_and_b32_e32 v2, 0xffff, v9
	v_and_b32_e32 v9, 0xffff, v28
	v_fmac_f32_e32 v32, v35, v39
	;;#ASMSTART
	v_cvt_f32_f16 v2, v2;
	;;#ASMEND
	;;#ASMSTART
	v_cvt_f32_f16 v8, v8;
	;;#ASMEND
	;; [unrolled: 3-line block ×3, first 2 shown]
	v_and_b32_e32 v10, 0xffff, v24
	v_fmac_f32_e32 v32, v2, v9
	v_and_b32_e32 v9, 64, v22
	;;#ASMSTART
	v_cvt_f32_f16 v10, v10;
	;;#ASMEND
	v_add_u32_e32 v9, 64, v9
	v_fmac_f32_e32 v33, v8, v10
	v_xor_b32_e32 v8, 1, v22
	v_add_f32_e32 v2, v29, v30
	v_cmp_lt_i32_e64 s[0:1], v8, v9
	v_add_f32_e32 v2, v2, v32
	v_add_f32_e32 v2, v33, v2
	v_cndmask_b32_e64 v8, v22, v8, s[0:1]
	v_lshlrev_b32_e32 v8, 2, v8
	ds_bpermute_b32 v8, v8, v2
	s_and_saveexec_b64 s[40:41], vcc
	s_cbranch_execz .LBB256_11
; %bb.355:                              ;   in Loop: Header=BB256_13 Depth=1
	v_add_u32_e32 v9, v18, v17
	v_cvt_f32_i32_e32 v9, v9
	s_waitcnt lgkmcnt(0)
	v_add_f32_e32 v2, v2, v8
	v_add_u32_e32 v10, v13, v17
	v_cmp_gt_i32_e64 s[0:1], s33, v10
	v_mul_f32_e32 v8, s48, v9
	v_cndmask_b32_e64 v8, 0, v8, s[2:3]
	v_fmac_f32_e32 v8, s37, v2
	v_cndmask_b32_e64 v2, 0, v8, s[0:1]
	ds_write_b32 v19, v2
	v_max_f32_e32 v2, v15, v15
	v_max_f32_e32 v2, v2, v8
	v_cndmask_b32_e64 v15, v15, v2, s[0:1]
	s_branch .LBB256_11
.LBB256_356:
	s_or_b64 exec, exec, s[38:39]
.LBB256_357:
	s_or_b64 exec, exec, s[18:19]
	v_mbcnt_hi_u32_b32 v2, -1, v11
	v_and_b32_e32 v9, 64, v2
	v_add_u32_e32 v10, 64, v9
	v_xor_b32_e32 v3, 32, v2
	v_cmp_lt_i32_e32 vcc, v3, v10
	v_xor_b32_e32 v6, 16, v2
	v_max_f32_e32 v5, v15, v15
	v_cndmask_b32_e32 v3, v2, v3, vcc
	v_lshlrev_b32_e32 v3, 2, v3
	ds_bpermute_b32 v4, v3, v15
	v_cmp_lt_i32_e32 vcc, v6, v10
	v_xor_b32_e32 v7, 8, v2
	s_waitcnt lgkmcnt(1)
	v_xor_b32_e32 v8, 4, v2
	v_xor_b32_e32 v11, 2, v2
	s_waitcnt lgkmcnt(0)
	v_max_f32_e32 v4, v4, v4
	v_max_f32_e32 v5, v5, v4
	v_cndmask_b32_e32 v4, v2, v6, vcc
	v_lshlrev_b32_e32 v4, 2, v4
	ds_bpermute_b32 v6, v4, v5
	v_cmp_lt_i32_e32 vcc, v7, v10
	v_and_b32_e32 v28, 63, v0
	s_waitcnt lgkmcnt(0)
	v_max_f32_e32 v6, v6, v6
	v_max_f32_e32 v6, v5, v6
	v_cndmask_b32_e32 v5, v2, v7, vcc
	v_lshlrev_b32_e32 v5, 2, v5
	ds_bpermute_b32 v7, v5, v6
	v_cmp_lt_i32_e32 vcc, v8, v10
	s_waitcnt lgkmcnt(0)
	v_max_f32_e32 v7, v7, v7
	v_max_f32_e32 v7, v6, v7
	v_cndmask_b32_e32 v6, v2, v8, vcc
	v_lshlrev_b32_e32 v6, 2, v6
	ds_bpermute_b32 v8, v6, v7
	v_cmp_lt_i32_e32 vcc, v11, v10
	s_waitcnt lgkmcnt(0)
	v_max_f32_e32 v8, v8, v8
	v_max_f32_e32 v8, v7, v8
	v_cndmask_b32_e32 v7, v2, v11, vcc
	v_lshlrev_b32_e32 v29, 2, v7
	ds_bpermute_b32 v11, v29, v8
	v_cmp_eq_u32_e32 vcc, 0, v28
	v_lshlrev_b32_e32 v7, 2, v26
	s_and_saveexec_b64 s[0:1], vcc
	s_cbranch_execz .LBB256_359
; %bb.358:
	s_waitcnt lgkmcnt(0)
	v_max_f32_e32 v11, v11, v11
	v_max_f32_e32 v8, v8, v8
	;; [unrolled: 1-line block ×3, first 2 shown]
	ds_write_b32 v7, v8 offset:224
.LBB256_359:
	s_or_b64 exec, exec, s[0:1]
	v_cmp_gt_u32_e64 s[0:1], 2, v28
	s_waitcnt lgkmcnt(0)
	v_mov_b32_e32 v11, 0xff7fffff
	v_lshlrev_b32_e32 v8, 2, v28
	s_barrier
	s_and_saveexec_b64 s[2:3], s[0:1]
; %bb.360:
	ds_read_b32 v11, v8 offset:224
; %bb.361:
	s_or_b64 exec, exec, s[2:3]
	v_xor_b32_e32 v13, 1, v2
	v_cmp_lt_i32_e64 s[2:3], v13, v10
	v_lshlrev_b32_e32 v9, 2, v9
	s_nop 0
	v_cndmask_b32_e64 v10, v2, v13, s[2:3]
	v_lshlrev_b32_e32 v30, 2, v10
	s_waitcnt lgkmcnt(0)
	ds_bpermute_b32 v10, v30, v11
	v_max_f32_e32 v11, v11, v11
	s_lshl_b32 s2, s47, 5
	s_min_i32 s37, s2, s33
	v_cmp_gt_i32_e64 s[2:3], s37, v0
	s_waitcnt lgkmcnt(0)
	v_max_f32_e32 v10, v10, v10
	v_max_f32_e32 v10, v11, v10
	ds_bpermute_b32 v10, v9, v10
	v_mov_b32_e32 v9, 0
	s_and_saveexec_b64 s[12:13], s[2:3]
	s_cbranch_execz .LBB256_365
; %bb.362:
	v_mov_b32_e32 v9, 0xf0
	v_lshl_add_u32 v11, v0, 2, v9
	v_mov_b32_e32 v9, 0
	s_mov_b64 s[18:19], 0
	v_mov_b32_e32 v13, v0
.LBB256_363:                            ; =>This Inner Loop Header: Depth=1
	ds_read_b32 v14, v11
	v_add_u32_e32 v13, 0x80, v13
	v_cmp_le_i32_e64 s[8:9], s37, v13
	s_or_b64 s[18:19], s[8:9], s[18:19]
	s_waitcnt lgkmcnt(0)
	v_sub_f32_e32 v14, v14, v10
	v_mul_f32_e32 v14, 0x3fb8aa3b, v14
	v_exp_f32_e32 v14, v14
	ds_write_b32 v11, v14
	v_add_f32_e32 v9, v9, v14
	v_add_u32_e32 v11, 0x200, v11
	s_andn2_b64 exec, exec, s[18:19]
	s_cbranch_execnz .LBB256_363
; %bb.364:
	s_or_b64 exec, exec, s[18:19]
.LBB256_365:
	s_or_b64 exec, exec, s[12:13]
	ds_bpermute_b32 v3, v3, v9
	s_waitcnt lgkmcnt(0)
	v_add_f32_e32 v3, v9, v3
	ds_bpermute_b32 v4, v4, v3
	s_waitcnt lgkmcnt(0)
	v_add_f32_e32 v3, v3, v4
	;; [unrolled: 3-line block ×6, first 2 shown]
	s_and_saveexec_b64 s[8:9], vcc
; %bb.366:
	ds_write_b32 v7, v3 offset:232
; %bb.367:
	s_or_b64 exec, exec, s[8:9]
	s_waitcnt lgkmcnt(0)
	s_barrier
	s_and_saveexec_b64 s[8:9], s[0:1]
; %bb.368:
	ds_read_b32 v3, v8 offset:232
; %bb.369:
	s_or_b64 exec, exec, s[8:9]
	s_waitcnt lgkmcnt(0)
	ds_bpermute_b32 v4, v30, v3
	v_lshlrev_b32_e32 v2, 2, v2
	v_and_b32_e32 v2, 0x100, v2
	s_waitcnt lgkmcnt(0)
	v_add_f32_e32 v3, v3, v4
	ds_bpermute_b32 v2, v2, v3
	s_and_saveexec_b64 s[0:1], s[2:3]
	s_cbranch_execz .LBB256_382
; %bb.370:
	s_waitcnt lgkmcnt(0)
	v_add_f32_e32 v2, 0x358637bd, v2
	v_div_scale_f32 v3, s[2:3], v2, v2, 1.0
	v_rcp_f32_e32 v4, v3
	v_div_scale_f32 v5, vcc, 1.0, v2, 1.0
	s_movk_i32 s2, 0x7f
	v_fma_f32 v6, -v3, v4, 1.0
	v_fmac_f32_e32 v4, v6, v4
	v_mul_f32_e32 v6, v5, v4
	v_fma_f32 v7, -v3, v6, v5
	v_fmac_f32_e32 v6, v7, v4
	v_fma_f32 v3, -v3, v6, v5
	v_div_fmas_f32 v3, v3, v4, v6
	v_xad_u32 v4, v0, -1, s37
	v_div_fixup_f32 v2, v3, v2, 1.0
	v_cmp_lt_u32_e32 vcc, s2, v4
	s_mov_b64 s[8:9], -1
	v_mov_b32_e32 v3, v0
	s_and_saveexec_b64 s[2:3], vcc
	s_cbranch_execz .LBB256_379
; %bb.371:
	v_lshrrev_b32_e32 v4, 7, v4
	v_add_u32_e32 v6, -1, v4
	v_lshrrev_b32_e32 v5, 1, v6
	v_mov_b32_e32 v3, v2
	v_add_u32_e32 v5, 1, v5
	v_cmp_lt_u32_e32 vcc, 13, v6
	v_mov_b32_e32 v8, 0
	s_and_saveexec_b64 s[8:9], vcc
	s_cbranch_execz .LBB256_375
; %bb.372:
	v_mov_b32_e32 v7, 0xf0
	v_and_b32_e32 v6, -8, v5
	v_lshl_add_u32 v7, v0, 2, v7
	s_mov_b32 s18, 0
	s_mov_b64 s[12:13], 0
.LBB256_373:                            ; =>This Inner Loop Header: Depth=1
	ds_read2st64_b32 v[8:9], v7 offset1:2
	ds_read2st64_b32 v[10:11], v7 offset0:4 offset1:6
	ds_read2st64_b32 v[14:15], v7 offset0:8 offset1:10
	;; [unrolled: 1-line block ×3, first 2 shown]
	v_add_u32_e32 v6, -8, v6
	s_waitcnt lgkmcnt(3)
	v_pk_mul_f32 v[8:9], v[2:3], v[8:9]
	s_waitcnt lgkmcnt(2)
	v_pk_mul_f32 v[10:11], v[2:3], v[10:11]
	ds_write2st64_b32 v7, v8, v9 offset1:2
	ds_write2st64_b32 v7, v10, v11 offset0:4 offset1:6
	ds_read2st64_b32 v[10:11], v7 offset0:16 offset1:18
	s_waitcnt lgkmcnt(4)
	v_pk_mul_f32 v[8:9], v[2:3], v[14:15]
	ds_write2st64_b32 v7, v8, v9 offset0:8 offset1:10
	s_waitcnt lgkmcnt(4)
	v_pk_mul_f32 v[8:9], v[2:3], v[16:17]
	ds_write2st64_b32 v7, v8, v9 offset0:12 offset1:14
	ds_read2st64_b32 v[8:9], v7 offset0:20 offset1:22
	s_waitcnt lgkmcnt(3)
	v_pk_mul_f32 v[10:11], v[2:3], v[10:11]
	ds_read2st64_b32 v[14:15], v7 offset0:24 offset1:26
	ds_write2st64_b32 v7, v10, v11 offset0:16 offset1:18
	ds_read2st64_b32 v[10:11], v7 offset0:28 offset1:30
	s_waitcnt lgkmcnt(3)
	v_pk_mul_f32 v[8:9], v[2:3], v[8:9]
	ds_write2st64_b32 v7, v8, v9 offset0:20 offset1:22
	s_waitcnt lgkmcnt(3)
	v_pk_mul_f32 v[8:9], v[2:3], v[14:15]
	ds_write2st64_b32 v7, v8, v9 offset0:24 offset1:26
	s_waitcnt lgkmcnt(2)
	v_pk_mul_f32 v[8:9], v[2:3], v[10:11]
	s_add_i32 s18, s18, 16
	v_cmp_eq_u32_e32 vcc, 0, v6
	ds_write2st64_b32 v7, v8, v9 offset0:28 offset1:30
	v_add_u32_e32 v7, 0x2000, v7
	s_or_b64 s[12:13], vcc, s[12:13]
	v_mov_b32_e32 v8, s18
	s_andn2_b64 exec, exec, s[12:13]
	s_cbranch_execnz .LBB256_373
; %bb.374:
	s_or_b64 exec, exec, s[12:13]
.LBB256_375:
	s_or_b64 exec, exec, s[8:9]
	v_and_b32_e32 v5, 7, v5
	v_cmp_ne_u32_e32 vcc, 0, v5
	s_and_saveexec_b64 s[8:9], vcc
	s_cbranch_execz .LBB256_378
; %bb.376:
	v_lshlrev_b32_e32 v6, 9, v8
	v_lshlrev_b32_e32 v7, 2, v0
	s_movk_i32 s12, 0xf0
	v_add3_u32 v6, v6, v7, s12
	s_mov_b64 s[12:13], 0
.LBB256_377:                            ; =>This Inner Loop Header: Depth=1
	ds_read2st64_b32 v[8:9], v6 offset1:2
	v_add_u32_e32 v5, -1, v5
	v_cmp_eq_u32_e32 vcc, 0, v5
	s_or_b64 s[12:13], vcc, s[12:13]
	s_waitcnt lgkmcnt(0)
	v_pk_mul_f32 v[8:9], v[2:3], v[8:9]
	ds_write2st64_b32 v6, v8, v9 offset1:2
	v_add_u32_e32 v6, 0x400, v6
	s_andn2_b64 exec, exec, s[12:13]
	s_cbranch_execnz .LBB256_377
.LBB256_378:
	s_or_b64 exec, exec, s[8:9]
	v_add_u32_e32 v4, 1, v4
	v_and_b32_e32 v5, 0x3fffffe, v4
	v_cmp_ne_u32_e32 vcc, v4, v5
	v_lshl_add_u32 v3, v5, 7, v0
	s_orn2_b64 s[8:9], vcc, exec
.LBB256_379:
	s_or_b64 exec, exec, s[2:3]
	s_and_b64 exec, exec, s[8:9]
	s_cbranch_execz .LBB256_382
; %bb.380:
	v_mov_b32_e32 v4, 0xf0
	v_lshl_add_u32 v4, v3, 2, v4
	s_mov_b64 s[2:3], 0
.LBB256_381:                            ; =>This Inner Loop Header: Depth=1
	ds_read_b32 v5, v4
	v_add_u32_e32 v3, 0x80, v3
	v_cmp_le_i32_e32 vcc, s37, v3
	s_or_b64 s[2:3], vcc, s[2:3]
	s_waitcnt lgkmcnt(0)
	v_mul_f32_e32 v5, v2, v5
	ds_write_b32 v4, v5
	v_add_u32_e32 v4, 0x200, v4
	s_andn2_b64 exec, exec, s[2:3]
	s_cbranch_execnz .LBB256_381
.LBB256_382:
	s_or_b64 exec, exec, s[0:1]
	v_mov_b32_e32 v3, 0
	v_and_b32_e32 v31, 3, v0
	s_waitcnt lgkmcnt(0)
	v_mov_b32_e32 v2, 0
	v_mov_b32_e32 v5, 0
	v_mov_b32_e32 v4, 0
	v_mov_b32_e32 v7, 0
	v_mov_b32_e32 v6, 0
	v_mov_b32_e32 v32, 0
	s_barrier
	s_and_saveexec_b64 s[2:3], s[6:7]
	s_cbranch_execz .LBB256_738
; %bb.383:
	s_sub_i32 s37, s16, s21
	s_ashr_i32 s1, s20, 31
	s_add_u32 s0, s34, s20
	s_addc_u32 s1, s35, s1
	s_abs_i32 s22, s22
	v_cvt_f32_u32_e32 v2, s22
	v_and_b32_e32 v33, 24, v1
	v_and_b32_e32 v8, 0x1f8, v1
	v_mov_b32_e32 v9, 0
	v_rcp_iflag_f32_e32 v1, v2
	v_lshl_add_u64 v[10:11], s[0:1], 0, v[8:9]
	s_sub_i32 s0, 0, s22
	s_add_i32 s35, s47, -1
	v_mul_f32_e32 v1, 0x4f7ffffe, v1
	v_cvt_u32_f32_e32 v1, v1
	s_mov_b32 s6, -1
	v_and_b32_e32 v8, 60, v12
	s_mov_b32 s34, s17
	v_mul_lo_u32 v2, s0, v1
	v_mul_hi_u32 v2, v1, v2
	s_lshl_b64 s[0:1], s[30:31], 2
	v_add_u32_e32 v34, v1, v2
	s_add_u32 s0, s28, s0
	v_lshlrev_b32_e32 v1, 5, v31
	s_addc_u32 s1, s29, s1
	v_lshl_or_b32 v1, v26, 7, v1
	s_mov_b32 s7, 0xffffff
	s_mov_b32 s38, s33
	v_lshl_add_u64 v[12:13], s[0:1], 0, v[8:9]
	v_add_u32_e32 v35, 0xf0, v1
	s_mov_b64 s[8:9], 0
	s_movk_i32 s28, 0x80
	s_movk_i32 s29, 0x7f
	s_mov_b32 s30, 0x8000
	v_mov_b32_e32 v36, 0x2000
	v_mov_b32_e32 v32, 0
	;; [unrolled: 1-line block ×8, first 2 shown]
	s_branch .LBB256_386
.LBB256_384:                            ;   in Loop: Header=BB256_386 Depth=1
	s_or_b64 exec, exec, s[0:1]
	v_add_f32_e32 v14, v24, v25
	v_add_f32_e32 v3, v3, v14
	;; [unrolled: 1-line block ×11, first 2 shown]
	;;#ASMSTART
	v_pk_mul_f16 v1, v48, v1;

	;;#ASMEND
	v_add_f32_e32 v6, v6, v14
	;;#ASMSTART
	v_pk_mul_f16 v8, v47, v8;

	;;#ASMEND
	;;#ASMSTART
	v_pk_mul_f16 v14, v46, v21;

	;;#ASMEND
	;; [unrolled: 4-line block ×3, first 2 shown]
	s_nop 0
	;;#ASMSTART
	v_pk_add_f16 v1, v1, v8;

	;;#ASMEND
	s_nop 0
	;;#ASMSTART
	v_pk_add_f16 v1, v1, v14;

	;;#ASMEND
	;; [unrolled: 5-line block ×3, first 2 shown]
	s_nop 0
	v_lshrrev_b32_e32 v8, 16, v1
	v_and_b32_e32 v1, 0xffff, v1
	;;#ASMSTART
	v_cvt_f32_f16 v1, v1;
	;;#ASMEND
	;;#ASMSTART
	v_cvt_f32_f16 v8, v8;
	;;#ASMEND
	s_nop 0
	v_add_f32_e32 v1, v1, v8
	v_add_f32_e32 v32, v32, v1
.LBB256_385:                            ;   in Loop: Header=BB256_386 Depth=1
	s_or_b64 exec, exec, s[12:13]
	v_add_u32_e32 v26, 2, v26
	v_cmp_le_i32_e32 vcc, s47, v26
	v_lshl_add_u64 v[12:13], v[12:13], 0, 8
	v_add_u32_e32 v27, 64, v27
	s_or_b64 s[8:9], vcc, s[8:9]
	v_add_u32_e32 v35, 0x100, v35
	s_andn2_b64 exec, exec, s[8:9]
	s_cbranch_execz .LBB256_737
.LBB256_386:                            ; =>This Inner Loop Header: Depth=1
	v_mul_hi_u32 v1, v27, s46
	v_mul_lo_u32 v8, v1, s25
	v_sub_u32_e32 v8, v27, v8
	v_add_u32_e32 v14, 1, v1
	v_cmp_le_u32_e32 vcc, s25, v8
	s_nop 1
	v_cndmask_b32_e32 v1, v1, v14, vcc
	v_subrev_u32_e32 v14, s25, v8
	v_cndmask_b32_e32 v8, v8, v14, vcc
	v_add_u32_e32 v14, 1, v1
	v_cmp_le_u32_e32 vcc, s25, v8
	s_nop 1
	v_cndmask_b32_e32 v1, v1, v14, vcc
	v_xor_b32_e32 v1, s23, v1
	v_subrev_u32_e32 v1, s23, v1
	v_add_u32_e32 v8, s36, v1
	v_sub_u32_e32 v15, 0, v8
	v_ashrrev_i32_e32 v14, 31, v8
	v_max_i32_e32 v8, v8, v15
	v_mul_hi_u32 v15, v8, v34
	v_mul_lo_u32 v15, v15, s22
	v_sub_u32_e32 v8, v8, v15
	v_subrev_u32_e32 v15, s22, v8
	v_cmp_le_u32_e32 vcc, s22, v8
	v_cmp_lt_i32_e64 s[0:1], s37, v1
	s_nop 0
	v_cndmask_b32_e32 v8, v8, v15, vcc
	v_subrev_u32_e32 v15, s22, v8
	v_cmp_le_u32_e32 vcc, s22, v8
	s_nop 1
	v_cndmask_b32_e32 v8, v8, v15, vcc
	v_xor_b32_e32 v8, v8, v14
	v_sub_u32_e32 v8, v8, v14
	v_cmp_eq_u32_e32 vcc, 0, v8
	s_or_b64 s[0:1], vcc, s[0:1]
	s_and_saveexec_b64 s[12:13], s[0:1]
	s_cbranch_execz .LBB256_385
; %bb.387:                              ;   in Loop: Header=BB256_386 Depth=1
	global_load_dword v1, v[12:13], off
	ds_read2_b64 v[14:17], v35 offset1:1
	ds_read2_b64 v[18:21], v35 offset0:2 offset1:3
	s_waitcnt lgkmcnt(1)
	;;#ASMSTART
	v_cvt_f16_f32 v45, v14;

	;;#ASMEND
	;;#ASMSTART
	v_cvt_f16_f32 v46, v15;

	;;#ASMEND
	;; [unrolled: 4-line block ×4, first 2 shown]
	s_waitcnt lgkmcnt(0)
	;;#ASMSTART
	v_cvt_f16_f32 v50, v18;

	;;#ASMEND
	;;#ASMSTART
	v_cvt_f16_f32 v51, v19;

	;;#ASMEND
	;; [unrolled: 4-line block ×4, first 2 shown]
	v_mov_b32_e32 v17, 0
	s_waitcnt vmcnt(0)
	v_mad_i64_i32 v[14:15], s[0:1], v1, s34, v[10:11]
	global_load_dwordx2 v[18:19], v[14:15], off
	v_mov_b32_e32 v1, 0
	global_load_dword v16, v1, s[14:15]
	s_waitcnt vmcnt(1)
	v_cmp_ne_u16_sdwa s[16:17], v18, v9 src0_sel:BYTE_0 src1_sel:DWORD
	s_and_saveexec_b64 s[0:1], s[16:17]
	s_cbranch_execz .LBB256_393
; %bb.388:                              ;   in Loop: Header=BB256_386 Depth=1
	v_cmp_ne_u16_sdwa s[18:19], v18, s28 src0_sel:BYTE_0 src1_sel:DWORD
	v_mov_b32_e32 v17, 0x8000
	s_and_saveexec_b64 s[16:17], s[18:19]
	s_cbranch_execz .LBB256_392
; %bb.389:                              ;   in Loop: Header=BB256_386 Depth=1
	v_and_b32_e32 v8, 0x7f, v18
	v_cmp_ne_u32_e32 vcc, s29, v8
	v_mov_b32_e32 v17, 0x7c01
	s_and_saveexec_b64 s[18:19], vcc
	s_cbranch_execz .LBB256_391
; %bb.390:                              ;   in Loop: Header=BB256_386 Depth=1
	v_and_b32_e32 v17, 7, v18
	v_ffbh_u32_e32 v20, v17
	v_min_u32_e32 v23, 32, v20
	v_subrev_u32_e32 v20, 28, v23
	v_lshlrev_b64 v[20:21], v20, v[18:19]
	v_lshrrev_b32_e32 v22, 3, v8
	v_sub_u32_e32 v21, 29, v23
	v_cmp_gt_u32_e32 vcc, 8, v8
	v_and_b32_e32 v20, 7, v20
	s_nop 0
	v_cndmask_b32_e32 v8, v22, v21, vcc
	v_lshl_add_u32 v8, v8, 10, v36
	v_lshlrev_b32_e32 v21, 8, v18
	v_and_b32_e32 v8, 0xfc00, v8
	v_cndmask_b32_e32 v17, v17, v20, vcc
	v_and_or_b32 v8, v21, s30, v8
	v_lshl_or_b32 v17, v17, 7, v8
.LBB256_391:                            ;   in Loop: Header=BB256_386 Depth=1
	s_or_b64 exec, exec, s[18:19]
.LBB256_392:                            ;   in Loop: Header=BB256_386 Depth=1
	s_or_b64 exec, exec, s[16:17]
.LBB256_393:                            ;   in Loop: Header=BB256_386 Depth=1
	s_or_b64 exec, exec, s[0:1]
	v_lshrrev_b16_e32 v8, 8, v18
	v_cmp_ne_u16_e32 vcc, 0, v8
	s_and_saveexec_b64 s[0:1], vcc
	s_cbranch_execz .LBB256_399
; %bb.394:                              ;   in Loop: Header=BB256_386 Depth=1
	v_cmp_ne_u16_e32 vcc, s28, v8
	v_bfrev_b32_e32 v1, 1
	s_and_saveexec_b64 s[16:17], vcc
	s_cbranch_execz .LBB256_398
; %bb.395:                              ;   in Loop: Header=BB256_386 Depth=1
	v_and_b32_e32 v20, 0x7f, v8
	v_cmp_ne_u32_e32 vcc, s29, v20
	v_mov_b32_e32 v1, 0x7c010000
	s_and_saveexec_b64 s[18:19], vcc
	s_cbranch_execz .LBB256_397
; %bb.396:                              ;   in Loop: Header=BB256_386 Depth=1
	v_and_b32_e32 v1, 7, v8
	v_ffbh_u32_e32 v22, v1
	v_min_u32_e32 v24, 32, v22
	v_subrev_u32_e32 v22, 28, v24
	v_lshlrev_b64 v[22:23], v22, v[8:9]
	v_lshrrev_b32_e32 v21, 3, v20
	v_sub_u32_e32 v23, 29, v24
	v_cmp_gt_u32_e32 vcc, 8, v20
	v_lshlrev_b32_e32 v8, 8, v8
	s_nop 0
	v_cndmask_b32_e32 v20, v21, v23, vcc
	v_lshl_add_u32 v20, v20, 10, v36
	v_and_b32_e32 v21, 7, v22
	v_and_or_b32 v8, v8, s30, v20
	v_cndmask_b32_e32 v1, v1, v21, vcc
	v_lshlrev_b32_e32 v8, 16, v8
	v_lshl_or_b32 v1, v1, 23, v8
.LBB256_397:                            ;   in Loop: Header=BB256_386 Depth=1
	s_or_b64 exec, exec, s[18:19]
.LBB256_398:                            ;   in Loop: Header=BB256_386 Depth=1
	s_or_b64 exec, exec, s[16:17]
.LBB256_399:                            ;   in Loop: Header=BB256_386 Depth=1
	s_or_b64 exec, exec, s[0:1]
	v_lshrrev_b32_e32 v8, 16, v18
	v_cmp_ne_u16_sdwa s[16:17], v8, v9 src0_sel:BYTE_0 src1_sel:DWORD
	v_mov_b32_e32 v21, 0
	v_mov_b32_e32 v20, 0
	s_and_saveexec_b64 s[0:1], s[16:17]
	s_cbranch_execz .LBB256_405
; %bb.400:                              ;   in Loop: Header=BB256_386 Depth=1
	v_cmp_ne_u16_sdwa s[18:19], v8, s28 src0_sel:BYTE_0 src1_sel:DWORD
	v_mov_b32_e32 v20, 0x8000
	s_and_saveexec_b64 s[16:17], s[18:19]
	s_cbranch_execz .LBB256_404
; %bb.401:                              ;   in Loop: Header=BB256_386 Depth=1
	v_bfe_u32 v22, v18, 16, 7
	v_cmp_ne_u32_e32 vcc, s29, v22
	v_mov_b32_e32 v20, 0x7c01
	s_and_saveexec_b64 s[18:19], vcc
	s_cbranch_execz .LBB256_403
; %bb.402:                              ;   in Loop: Header=BB256_386 Depth=1
	v_and_b32_e32 v20, 7, v8
	v_ffbh_u32_e32 v24, v20
	v_min_u32_e32 v37, 32, v24
	v_subrev_u32_e32 v24, 28, v37
	v_lshlrev_b64 v[24:25], v24, v[8:9]
	v_lshrrev_b32_e32 v23, 3, v22
	v_sub_u32_e32 v25, 29, v37
	v_cmp_gt_u32_e32 vcc, 8, v22
	v_lshlrev_b32_e32 v8, 8, v8
	s_nop 0
	v_cndmask_b32_e32 v22, v23, v25, vcc
	v_lshl_add_u32 v22, v22, 10, v36
	v_and_b32_e32 v23, 7, v24
	v_and_b32_e32 v22, 0xfc00, v22
	v_cndmask_b32_e32 v20, v20, v23, vcc
	v_and_or_b32 v8, v8, s30, v22
	v_lshl_or_b32 v20, v20, 7, v8
.LBB256_403:                            ;   in Loop: Header=BB256_386 Depth=1
	s_or_b64 exec, exec, s[18:19]
.LBB256_404:                            ;   in Loop: Header=BB256_386 Depth=1
	s_or_b64 exec, exec, s[16:17]
.LBB256_405:                            ;   in Loop: Header=BB256_386 Depth=1
	s_or_b64 exec, exec, s[0:1]
	v_cmp_lt_u32_e32 vcc, s7, v18
	s_and_saveexec_b64 s[0:1], vcc
	s_cbranch_execz .LBB256_411
; %bb.406:                              ;   in Loop: Header=BB256_386 Depth=1
	v_lshrrev_b32_e32 v8, 24, v18
	v_cmp_ne_u32_e32 vcc, s28, v8
	v_bfrev_b32_e32 v21, 1
	s_and_saveexec_b64 s[16:17], vcc
	s_cbranch_execz .LBB256_410
; %bb.407:                              ;   in Loop: Header=BB256_386 Depth=1
	v_and_b32_e32 v22, 0x7f, v8
	v_cmp_ne_u32_e32 vcc, s29, v22
	v_mov_b32_e32 v21, 0x7c010000
	s_and_saveexec_b64 s[18:19], vcc
	s_cbranch_execz .LBB256_409
; %bb.408:                              ;   in Loop: Header=BB256_386 Depth=1
	v_and_b32_e32 v21, 7, v8
	v_ffbh_u32_e32 v24, v21
	v_min_u32_e32 v37, 32, v24
	v_subrev_u32_e32 v24, 28, v37
	v_lshlrev_b64 v[24:25], v24, v[8:9]
	v_lshrrev_b32_e32 v23, 3, v22
	v_sub_u32_e32 v25, 29, v37
	v_cmp_gt_u32_e32 vcc, 8, v22
	v_lshlrev_b32_e32 v8, 8, v8
	s_nop 0
	v_cndmask_b32_e32 v22, v23, v25, vcc
	v_lshl_add_u32 v22, v22, 10, v36
	v_and_b32_e32 v23, 7, v24
	v_and_or_b32 v8, v8, s30, v22
	v_cndmask_b32_e32 v21, v21, v23, vcc
	v_lshlrev_b32_e32 v8, 16, v8
	v_lshl_or_b32 v21, v21, 23, v8
.LBB256_409:                            ;   in Loop: Header=BB256_386 Depth=1
	s_or_b64 exec, exec, s[18:19]
.LBB256_410:                            ;   in Loop: Header=BB256_386 Depth=1
	s_or_b64 exec, exec, s[16:17]
.LBB256_411:                            ;   in Loop: Header=BB256_386 Depth=1
	s_or_b64 exec, exec, s[0:1]
	v_mov_b32_e32 v8, v19
	v_cmp_ne_u16_sdwa s[16:17], v19, v9 src0_sel:BYTE_0 src1_sel:DWORD
	v_mov_b32_e32 v22, 0
	v_mov_b32_e32 v23, 0
	s_and_saveexec_b64 s[0:1], s[16:17]
	s_cbranch_execz .LBB256_417
; %bb.412:                              ;   in Loop: Header=BB256_386 Depth=1
	v_cmp_ne_u16_sdwa s[18:19], v19, s28 src0_sel:BYTE_0 src1_sel:DWORD
	v_mov_b32_e32 v23, 0x8000
	s_and_saveexec_b64 s[16:17], s[18:19]
	s_cbranch_execz .LBB256_416
; %bb.413:                              ;   in Loop: Header=BB256_386 Depth=1
	v_and_b32_e32 v24, 0x7f, v19
	v_cmp_ne_u32_e32 vcc, s29, v24
	v_mov_b32_e32 v23, 0x7c01
	s_and_saveexec_b64 s[18:19], vcc
	s_cbranch_execz .LBB256_415
; %bb.414:                              ;   in Loop: Header=BB256_386 Depth=1
	v_and_b32_e32 v23, 7, v19
	v_ffbh_u32_e32 v37, v23
	v_min_u32_e32 v37, 32, v37
	v_lshrrev_b32_e32 v25, 3, v24
	v_subrev_u32_e32 v38, 28, v37
	v_sub_u32_e32 v37, 29, v37
	v_cmp_gt_u32_e32 vcc, 8, v24
	v_lshlrev_b64 v[38:39], v38, v[8:9]
	s_nop 0
	v_cndmask_b32_e32 v24, v25, v37, vcc
	v_lshl_add_u32 v24, v24, 10, v36
	v_lshlrev_b32_e32 v25, 8, v19
	v_and_b32_e32 v37, 7, v38
	v_and_b32_e32 v24, 0xfc00, v24
	v_cndmask_b32_e32 v23, v23, v37, vcc
	v_and_or_b32 v24, v25, s30, v24
	v_lshl_or_b32 v23, v23, 7, v24
.LBB256_415:                            ;   in Loop: Header=BB256_386 Depth=1
	s_or_b64 exec, exec, s[18:19]
.LBB256_416:                            ;   in Loop: Header=BB256_386 Depth=1
	s_or_b64 exec, exec, s[16:17]
.LBB256_417:                            ;   in Loop: Header=BB256_386 Depth=1
	s_or_b64 exec, exec, s[0:1]
	v_lshrrev_b16_e32 v8, 8, v8
	v_cmp_ne_u16_e32 vcc, 0, v8
	v_mov_b32_e32 v24, 0
	s_and_saveexec_b64 s[0:1], vcc
	s_cbranch_execz .LBB256_423
; %bb.418:                              ;   in Loop: Header=BB256_386 Depth=1
	v_cmp_ne_u16_e32 vcc, s28, v8
	v_bfrev_b32_e32 v24, 1
	s_and_saveexec_b64 s[16:17], vcc
	s_cbranch_execz .LBB256_422
; %bb.419:                              ;   in Loop: Header=BB256_386 Depth=1
	v_and_b32_e32 v25, 0x7f, v8
	v_cmp_ne_u32_e32 vcc, s29, v25
	v_mov_b32_e32 v24, 0x7c010000
	s_and_saveexec_b64 s[18:19], vcc
	s_cbranch_execz .LBB256_421
; %bb.420:                              ;   in Loop: Header=BB256_386 Depth=1
	v_and_b32_e32 v24, 7, v8
	v_ffbh_u32_e32 v38, v24
	v_min_u32_e32 v40, 32, v38
	v_subrev_u32_e32 v38, 28, v40
	v_lshlrev_b64 v[38:39], v38, v[8:9]
	v_lshrrev_b32_e32 v37, 3, v25
	v_sub_u32_e32 v39, 29, v40
	v_cmp_gt_u32_e32 vcc, 8, v25
	v_lshlrev_b32_e32 v8, 8, v8
	s_nop 0
	v_cndmask_b32_e32 v25, v37, v39, vcc
	v_lshl_add_u32 v25, v25, 10, v36
	v_and_b32_e32 v37, 7, v38
	v_and_or_b32 v8, v8, s30, v25
	v_cndmask_b32_e32 v24, v24, v37, vcc
	v_lshlrev_b32_e32 v8, 16, v8
	v_lshl_or_b32 v24, v24, 23, v8
.LBB256_421:                            ;   in Loop: Header=BB256_386 Depth=1
	s_or_b64 exec, exec, s[18:19]
.LBB256_422:                            ;   in Loop: Header=BB256_386 Depth=1
	s_or_b64 exec, exec, s[16:17]
.LBB256_423:                            ;   in Loop: Header=BB256_386 Depth=1
	s_or_b64 exec, exec, s[0:1]
	v_lshrrev_b32_e32 v8, 16, v19
	v_cmp_ne_u16_sdwa s[16:17], v8, v9 src0_sel:BYTE_0 src1_sel:DWORD
	s_and_saveexec_b64 s[0:1], s[16:17]
	s_cbranch_execz .LBB256_429
; %bb.424:                              ;   in Loop: Header=BB256_386 Depth=1
	v_cmp_ne_u16_sdwa s[18:19], v8, s28 src0_sel:BYTE_0 src1_sel:DWORD
	v_mov_b32_e32 v22, 0x8000
	s_and_saveexec_b64 s[16:17], s[18:19]
	s_cbranch_execz .LBB256_428
; %bb.425:                              ;   in Loop: Header=BB256_386 Depth=1
	v_bfe_u32 v25, v19, 16, 7
	v_cmp_ne_u32_e32 vcc, s29, v25
	v_mov_b32_e32 v22, 0x7c01
	s_and_saveexec_b64 s[18:19], vcc
	s_cbranch_execz .LBB256_427
; %bb.426:                              ;   in Loop: Header=BB256_386 Depth=1
	v_and_b32_e32 v22, 7, v8
	v_ffbh_u32_e32 v38, v22
	v_min_u32_e32 v40, 32, v38
	v_subrev_u32_e32 v38, 28, v40
	v_lshlrev_b64 v[38:39], v38, v[8:9]
	v_lshrrev_b32_e32 v37, 3, v25
	v_sub_u32_e32 v39, 29, v40
	v_cmp_gt_u32_e32 vcc, 8, v25
	v_lshlrev_b32_e32 v8, 8, v8
	s_nop 0
	v_cndmask_b32_e32 v25, v37, v39, vcc
	v_lshl_add_u32 v25, v25, 10, v36
	v_and_b32_e32 v37, 7, v38
	v_and_b32_e32 v25, 0xfc00, v25
	v_cndmask_b32_e32 v22, v22, v37, vcc
	v_and_or_b32 v8, v8, s30, v25
	v_lshl_or_b32 v22, v22, 7, v8
.LBB256_427:                            ;   in Loop: Header=BB256_386 Depth=1
	s_or_b64 exec, exec, s[18:19]
.LBB256_428:                            ;   in Loop: Header=BB256_386 Depth=1
	s_or_b64 exec, exec, s[16:17]
.LBB256_429:                            ;   in Loop: Header=BB256_386 Depth=1
	s_or_b64 exec, exec, s[0:1]
	v_cmp_lt_u64_e32 vcc, s[6:7], v[18:19]
	v_mov_b32_e32 v25, 0
	s_and_saveexec_b64 s[0:1], vcc
	s_cbranch_execz .LBB256_435
; %bb.430:                              ;   in Loop: Header=BB256_386 Depth=1
	v_lshrrev_b32_e32 v8, 24, v19
	v_cmp_ne_u32_e32 vcc, s28, v8
	v_bfrev_b32_e32 v25, 1
	s_and_saveexec_b64 s[16:17], vcc
	s_cbranch_execz .LBB256_434
; %bb.431:                              ;   in Loop: Header=BB256_386 Depth=1
	v_and_b32_e32 v18, 0x7f, v8
	v_cmp_ne_u32_e32 vcc, s29, v18
	v_mov_b32_e32 v25, 0x7c010000
	s_and_saveexec_b64 s[18:19], vcc
	s_cbranch_execz .LBB256_433
; %bb.432:                              ;   in Loop: Header=BB256_386 Depth=1
	v_and_b32_e32 v19, 7, v8
	v_ffbh_u32_e32 v37, v19
	v_min_u32_e32 v37, 32, v37
	v_lshrrev_b32_e32 v25, 3, v18
	v_subrev_u32_e32 v38, 28, v37
	v_sub_u32_e32 v37, 29, v37
	v_cmp_gt_u32_e32 vcc, 8, v18
	v_lshlrev_b64 v[38:39], v38, v[8:9]
	v_lshlrev_b32_e32 v8, 8, v8
	v_cndmask_b32_e32 v18, v25, v37, vcc
	v_lshl_add_u32 v18, v18, 10, v36
	v_and_b32_e32 v25, 7, v38
	v_and_or_b32 v8, v8, s30, v18
	v_cndmask_b32_e32 v19, v19, v25, vcc
	v_lshlrev_b32_e32 v8, 16, v8
	v_lshl_or_b32 v25, v19, 23, v8
.LBB256_433:                            ;   in Loop: Header=BB256_386 Depth=1
	s_or_b64 exec, exec, s[18:19]
.LBB256_434:                            ;   in Loop: Header=BB256_386 Depth=1
	s_or_b64 exec, exec, s[16:17]
.LBB256_435:                            ;   in Loop: Header=BB256_386 Depth=1
	s_or_b64 exec, exec, s[0:1]
	v_cvt_f32_f16_sdwa v19, v1 dst_sel:DWORD dst_unused:UNUSED_PAD src0_sel:WORD_1
	v_cvt_f32_f16_sdwa v18, v21 dst_sel:DWORD dst_unused:UNUSED_PAD src0_sel:WORD_1
	v_or_b32_e32 v1, v1, v17
	v_or_b32_e32 v8, v21, v20
	v_cvt_f32_f16_e32 v20, v8
	v_cvt_f32_f16_e32 v21, v1
	s_waitcnt vmcnt(0)
	v_pk_mul_f32 v[18:19], v[16:17], v[18:19] op_sel_hi:[0,1]
	v_cvt_pk_f16_f32 v1, v18, v19
	v_and_b32_e32 v17, 0xffff0000, v1
	v_pk_mul_f32 v[20:21], v[16:17], v[20:21] op_sel_hi:[0,1]
	v_lshlrev_b32_e32 v18, 16, v1
	v_cvt_pk_f16_f32 v1, v20, v21
	v_or_b32_e32 v8, v24, v23
	v_or_b32_e32 v21, v25, v22
	v_cvt_f32_f16_e32 v22, v21
	v_cvt_f32_f16_e32 v23, v8
	v_cvt_f32_f16_sdwa v39, v24 dst_sel:DWORD dst_unused:UNUSED_PAD src0_sel:WORD_1
	v_cvt_f32_f16_sdwa v38, v25 dst_sel:DWORD dst_unused:UNUSED_PAD src0_sel:WORD_1
	v_add_u32_e32 v37, v33, v27
	v_pk_mul_f32 v[22:23], v[16:17], v[22:23] op_sel_hi:[0,1]
	v_cvt_pk_f16_f32 v24, v22, v23
	v_pk_mul_f32 v[22:23], v[16:17], v[38:39] op_sel_hi:[0,1]
	v_cvt_pk_f16_f32 v16, v22, v23
	v_lshrrev_b32_e32 v19, 16, v1
	v_and_b32_e32 v20, 0xffff, v1
	v_and_b32_e32 v21, 0xffff0000, v16
	v_lshlrev_b32_e32 v16, 16, v16
	v_lshrrev_b32_e32 v25, 16, v24
	v_and_b32_e32 v24, 0xffff, v24
	v_cmp_eq_u32_e32 vcc, s35, v26
	v_or_b32_e32 v1, v17, v19
	v_or_b32_e32 v8, v18, v20
	;; [unrolled: 1-line block ×4, first 2 shown]
	v_add_u32_e32 v44, 2, v37
	v_or_b32_e32 v43, 1, v37
	v_or_b32_e32 v42, 3, v37
	;; [unrolled: 1-line block ×6, first 2 shown]
	s_and_saveexec_b64 s[16:17], vcc
	s_cbranch_execz .LBB256_437
; %bb.436:                              ;   in Loop: Header=BB256_386 Depth=1
	v_cmp_gt_i32_e64 s[0:1], s38, v37
	s_nop 1
	v_cndmask_b32_e64 v1, 0, v19, s[0:1]
	v_cmp_gt_i32_e64 s[0:1], s33, v44
	s_nop 1
	v_cndmask_b32_e64 v8, 0, v20, s[0:1]
	;; [unrolled: 3-line block ×3, first 2 shown]
	v_cmp_gt_i32_e64 s[0:1], s33, v42
	v_or_b32_e32 v1, v17, v1
	s_nop 0
	v_cndmask_b32_e64 v18, 0, v18, s[0:1]
	v_cmp_gt_i32_e64 s[0:1], s38, v41
	v_or_b32_e32 v8, v18, v8
	s_nop 0
	v_cndmask_b32_e64 v17, 0, v25, s[0:1]
	v_cmp_gt_i32_e64 s[0:1], s33, v40
	s_nop 1
	v_cndmask_b32_e64 v18, 0, v24, s[0:1]
	v_cmp_gt_i32_e64 s[0:1], s38, v39
	s_nop 1
	v_cndmask_b32_e64 v19, 0, v21, s[0:1]
	v_cmp_gt_i32_e64 s[0:1], s33, v38
	v_or_b32_e32 v23, v19, v17
	s_nop 0
	v_cndmask_b32_e64 v16, 0, v16, s[0:1]
	v_or_b32_e32 v22, v16, v18
.LBB256_437:                            ;   in Loop: Header=BB256_386 Depth=1
	s_or_b64 exec, exec, s[16:17]
	v_and_b32_e32 v16, 0xffff, v45
	v_lshl_or_b32 v48, v46, 16, v16
	v_and_b32_e32 v16, 0xffff, v47
	v_lshl_or_b32 v47, v49, 16, v16
	;; [unrolled: 2-line block ×3, first 2 shown]
	v_and_b32_e32 v16, 0xffff, v52
	;;#ASMSTART
	v_pk_mul_f16 v1, v48, v1;

	;;#ASMEND
	v_lshl_or_b32 v45, v53, 16, v16
	;;#ASMSTART
	v_pk_mul_f16 v8, v47, v8;

	;;#ASMEND
	;;#ASMSTART
	v_pk_mul_f16 v16, v46, v23;

	;;#ASMEND
	;; [unrolled: 4-line block ×3, first 2 shown]
	s_nop 0
	;;#ASMSTART
	v_pk_add_f16 v1, v1, v8;

	;;#ASMEND
	s_nop 0
	;;#ASMSTART
	v_pk_add_f16 v1, v1, v16;

	;;#ASMEND
	;; [unrolled: 5-line block ×3, first 2 shown]
	v_mov_b32_e32 v17, 0
	v_lshrrev_b32_e32 v8, 16, v1
	v_and_b32_e32 v1, 0xffff, v1
	;;#ASMSTART
	v_cvt_f32_f16 v49, v1;
	;;#ASMEND
	;;#ASMSTART
	v_cvt_f32_f16 v50, v8;
	;;#ASMEND
	global_load_dwordx2 v[18:19], v[14:15], off offset:512
	v_mov_b32_e32 v1, 0
	global_load_dword v16, v1, s[14:15]
	s_waitcnt vmcnt(1)
	v_cmp_ne_u16_sdwa s[0:1], v18, v9 src0_sel:BYTE_0 src1_sel:DWORD
	s_and_saveexec_b64 s[16:17], s[0:1]
	s_cbranch_execz .LBB256_443
; %bb.438:                              ;   in Loop: Header=BB256_386 Depth=1
	v_cmp_ne_u16_sdwa s[0:1], v18, s28 src0_sel:BYTE_0 src1_sel:DWORD
	v_mov_b32_e32 v17, 0x8000
	s_and_saveexec_b64 s[18:19], s[0:1]
	s_cbranch_execz .LBB256_442
; %bb.439:                              ;   in Loop: Header=BB256_386 Depth=1
	v_and_b32_e32 v8, 0x7f, v18
	v_cmp_ne_u32_e64 s[0:1], s29, v8
	v_mov_b32_e32 v17, 0x7c01
	s_and_saveexec_b64 s[20:21], s[0:1]
	s_cbranch_execz .LBB256_441
; %bb.440:                              ;   in Loop: Header=BB256_386 Depth=1
	v_and_b32_e32 v17, 7, v18
	v_ffbh_u32_e32 v20, v17
	v_min_u32_e32 v23, 32, v20
	v_subrev_u32_e32 v20, 28, v23
	v_lshlrev_b64 v[20:21], v20, v[18:19]
	v_lshrrev_b32_e32 v22, 3, v8
	v_sub_u32_e32 v21, 29, v23
	v_cmp_gt_u32_e64 s[0:1], 8, v8
	v_and_b32_e32 v20, 7, v20
	s_nop 0
	v_cndmask_b32_e64 v8, v22, v21, s[0:1]
	v_lshl_add_u32 v8, v8, 10, v36
	v_lshlrev_b32_e32 v21, 8, v18
	v_and_b32_e32 v8, 0xfc00, v8
	v_cndmask_b32_e64 v17, v17, v20, s[0:1]
	v_and_or_b32 v8, v21, s30, v8
	v_lshl_or_b32 v17, v17, 7, v8
.LBB256_441:                            ;   in Loop: Header=BB256_386 Depth=1
	s_or_b64 exec, exec, s[20:21]
.LBB256_442:                            ;   in Loop: Header=BB256_386 Depth=1
	s_or_b64 exec, exec, s[18:19]
.LBB256_443:                            ;   in Loop: Header=BB256_386 Depth=1
	s_or_b64 exec, exec, s[16:17]
	v_lshrrev_b16_e32 v8, 8, v18
	v_cmp_ne_u16_e64 s[0:1], 0, v8
	s_and_saveexec_b64 s[16:17], s[0:1]
	s_cbranch_execz .LBB256_449
; %bb.444:                              ;   in Loop: Header=BB256_386 Depth=1
	v_cmp_ne_u16_e64 s[0:1], s28, v8
	v_bfrev_b32_e32 v1, 1
	s_and_saveexec_b64 s[18:19], s[0:1]
	s_cbranch_execz .LBB256_448
; %bb.445:                              ;   in Loop: Header=BB256_386 Depth=1
	v_and_b32_e32 v20, 0x7f, v8
	v_cmp_ne_u32_e64 s[0:1], s29, v20
	v_mov_b32_e32 v1, 0x7c010000
	s_and_saveexec_b64 s[20:21], s[0:1]
	s_cbranch_execz .LBB256_447
; %bb.446:                              ;   in Loop: Header=BB256_386 Depth=1
	v_and_b32_e32 v1, 7, v8
	v_ffbh_u32_e32 v22, v1
	v_min_u32_e32 v24, 32, v22
	v_subrev_u32_e32 v22, 28, v24
	v_lshlrev_b64 v[22:23], v22, v[8:9]
	v_lshrrev_b32_e32 v21, 3, v20
	v_sub_u32_e32 v23, 29, v24
	v_cmp_gt_u32_e64 s[0:1], 8, v20
	v_lshlrev_b32_e32 v8, 8, v8
	s_nop 0
	v_cndmask_b32_e64 v20, v21, v23, s[0:1]
	v_lshl_add_u32 v20, v20, 10, v36
	v_and_b32_e32 v21, 7, v22
	v_and_or_b32 v8, v8, s30, v20
	v_cndmask_b32_e64 v1, v1, v21, s[0:1]
	v_lshlrev_b32_e32 v8, 16, v8
	v_lshl_or_b32 v1, v1, 23, v8
.LBB256_447:                            ;   in Loop: Header=BB256_386 Depth=1
	s_or_b64 exec, exec, s[20:21]
.LBB256_448:                            ;   in Loop: Header=BB256_386 Depth=1
	s_or_b64 exec, exec, s[18:19]
.LBB256_449:                            ;   in Loop: Header=BB256_386 Depth=1
	s_or_b64 exec, exec, s[16:17]
	v_lshrrev_b32_e32 v8, 16, v18
	v_cmp_ne_u16_sdwa s[0:1], v8, v9 src0_sel:BYTE_0 src1_sel:DWORD
	v_mov_b32_e32 v21, 0
	v_mov_b32_e32 v20, 0
	s_and_saveexec_b64 s[16:17], s[0:1]
	s_cbranch_execz .LBB256_455
; %bb.450:                              ;   in Loop: Header=BB256_386 Depth=1
	v_cmp_ne_u16_sdwa s[0:1], v8, s28 src0_sel:BYTE_0 src1_sel:DWORD
	v_mov_b32_e32 v20, 0x8000
	s_and_saveexec_b64 s[18:19], s[0:1]
	s_cbranch_execz .LBB256_454
; %bb.451:                              ;   in Loop: Header=BB256_386 Depth=1
	v_bfe_u32 v22, v18, 16, 7
	v_cmp_ne_u32_e64 s[0:1], s29, v22
	v_mov_b32_e32 v20, 0x7c01
	s_and_saveexec_b64 s[20:21], s[0:1]
	s_cbranch_execz .LBB256_453
; %bb.452:                              ;   in Loop: Header=BB256_386 Depth=1
	v_and_b32_e32 v20, 7, v8
	v_ffbh_u32_e32 v24, v20
	v_min_u32_e32 v51, 32, v24
	v_subrev_u32_e32 v24, 28, v51
	v_lshlrev_b64 v[24:25], v24, v[8:9]
	v_lshrrev_b32_e32 v23, 3, v22
	v_sub_u32_e32 v25, 29, v51
	v_cmp_gt_u32_e64 s[0:1], 8, v22
	v_lshlrev_b32_e32 v8, 8, v8
	s_nop 0
	v_cndmask_b32_e64 v22, v23, v25, s[0:1]
	v_lshl_add_u32 v22, v22, 10, v36
	v_and_b32_e32 v23, 7, v24
	v_and_b32_e32 v22, 0xfc00, v22
	v_cndmask_b32_e64 v20, v20, v23, s[0:1]
	v_and_or_b32 v8, v8, s30, v22
	v_lshl_or_b32 v20, v20, 7, v8
.LBB256_453:                            ;   in Loop: Header=BB256_386 Depth=1
	s_or_b64 exec, exec, s[20:21]
.LBB256_454:                            ;   in Loop: Header=BB256_386 Depth=1
	s_or_b64 exec, exec, s[18:19]
.LBB256_455:                            ;   in Loop: Header=BB256_386 Depth=1
	s_or_b64 exec, exec, s[16:17]
	v_cmp_lt_u32_e64 s[0:1], s7, v18
	s_and_saveexec_b64 s[16:17], s[0:1]
	s_cbranch_execz .LBB256_461
; %bb.456:                              ;   in Loop: Header=BB256_386 Depth=1
	v_lshrrev_b32_e32 v8, 24, v18
	v_cmp_ne_u32_e64 s[0:1], s28, v8
	v_bfrev_b32_e32 v21, 1
	s_and_saveexec_b64 s[18:19], s[0:1]
	s_cbranch_execz .LBB256_460
; %bb.457:                              ;   in Loop: Header=BB256_386 Depth=1
	v_and_b32_e32 v22, 0x7f, v8
	v_cmp_ne_u32_e64 s[0:1], s29, v22
	v_mov_b32_e32 v21, 0x7c010000
	s_and_saveexec_b64 s[20:21], s[0:1]
	s_cbranch_execz .LBB256_459
; %bb.458:                              ;   in Loop: Header=BB256_386 Depth=1
	v_and_b32_e32 v21, 7, v8
	v_ffbh_u32_e32 v24, v21
	v_min_u32_e32 v51, 32, v24
	v_subrev_u32_e32 v24, 28, v51
	v_lshlrev_b64 v[24:25], v24, v[8:9]
	v_lshrrev_b32_e32 v23, 3, v22
	v_sub_u32_e32 v25, 29, v51
	v_cmp_gt_u32_e64 s[0:1], 8, v22
	v_lshlrev_b32_e32 v8, 8, v8
	s_nop 0
	v_cndmask_b32_e64 v22, v23, v25, s[0:1]
	v_lshl_add_u32 v22, v22, 10, v36
	v_and_b32_e32 v23, 7, v24
	v_and_or_b32 v8, v8, s30, v22
	v_cndmask_b32_e64 v21, v21, v23, s[0:1]
	v_lshlrev_b32_e32 v8, 16, v8
	v_lshl_or_b32 v21, v21, 23, v8
.LBB256_459:                            ;   in Loop: Header=BB256_386 Depth=1
	s_or_b64 exec, exec, s[20:21]
.LBB256_460:                            ;   in Loop: Header=BB256_386 Depth=1
	s_or_b64 exec, exec, s[18:19]
.LBB256_461:                            ;   in Loop: Header=BB256_386 Depth=1
	s_or_b64 exec, exec, s[16:17]
	v_mov_b32_e32 v8, v19
	v_cmp_ne_u16_sdwa s[0:1], v19, v9 src0_sel:BYTE_0 src1_sel:DWORD
	v_mov_b32_e32 v22, 0
	v_mov_b32_e32 v23, 0
	s_and_saveexec_b64 s[16:17], s[0:1]
	s_cbranch_execz .LBB256_467
; %bb.462:                              ;   in Loop: Header=BB256_386 Depth=1
	v_cmp_ne_u16_sdwa s[0:1], v19, s28 src0_sel:BYTE_0 src1_sel:DWORD
	v_mov_b32_e32 v23, 0x8000
	s_and_saveexec_b64 s[18:19], s[0:1]
	s_cbranch_execz .LBB256_466
; %bb.463:                              ;   in Loop: Header=BB256_386 Depth=1
	v_and_b32_e32 v24, 0x7f, v19
	v_cmp_ne_u32_e64 s[0:1], s29, v24
	v_mov_b32_e32 v23, 0x7c01
	s_and_saveexec_b64 s[20:21], s[0:1]
	s_cbranch_execz .LBB256_465
; %bb.464:                              ;   in Loop: Header=BB256_386 Depth=1
	v_and_b32_e32 v23, 7, v19
	v_ffbh_u32_e32 v51, v23
	v_min_u32_e32 v51, 32, v51
	v_lshrrev_b32_e32 v25, 3, v24
	v_subrev_u32_e32 v52, 28, v51
	v_sub_u32_e32 v51, 29, v51
	v_cmp_gt_u32_e64 s[0:1], 8, v24
	v_lshlrev_b64 v[52:53], v52, v[8:9]
	s_nop 0
	v_cndmask_b32_e64 v24, v25, v51, s[0:1]
	v_lshl_add_u32 v24, v24, 10, v36
	v_lshlrev_b32_e32 v25, 8, v19
	v_and_b32_e32 v51, 7, v52
	v_and_b32_e32 v24, 0xfc00, v24
	v_cndmask_b32_e64 v23, v23, v51, s[0:1]
	v_and_or_b32 v24, v25, s30, v24
	v_lshl_or_b32 v23, v23, 7, v24
.LBB256_465:                            ;   in Loop: Header=BB256_386 Depth=1
	s_or_b64 exec, exec, s[20:21]
.LBB256_466:                            ;   in Loop: Header=BB256_386 Depth=1
	s_or_b64 exec, exec, s[18:19]
.LBB256_467:                            ;   in Loop: Header=BB256_386 Depth=1
	s_or_b64 exec, exec, s[16:17]
	v_lshrrev_b16_e32 v8, 8, v8
	v_cmp_ne_u16_e64 s[0:1], 0, v8
	v_mov_b32_e32 v24, 0
	s_and_saveexec_b64 s[16:17], s[0:1]
	s_cbranch_execz .LBB256_473
; %bb.468:                              ;   in Loop: Header=BB256_386 Depth=1
	v_cmp_ne_u16_e64 s[0:1], s28, v8
	v_bfrev_b32_e32 v24, 1
	s_and_saveexec_b64 s[18:19], s[0:1]
	s_cbranch_execz .LBB256_472
; %bb.469:                              ;   in Loop: Header=BB256_386 Depth=1
	v_and_b32_e32 v25, 0x7f, v8
	v_cmp_ne_u32_e64 s[0:1], s29, v25
	v_mov_b32_e32 v24, 0x7c010000
	s_and_saveexec_b64 s[20:21], s[0:1]
	s_cbranch_execz .LBB256_471
; %bb.470:                              ;   in Loop: Header=BB256_386 Depth=1
	v_and_b32_e32 v24, 7, v8
	v_ffbh_u32_e32 v52, v24
	v_min_u32_e32 v54, 32, v52
	v_subrev_u32_e32 v52, 28, v54
	v_lshlrev_b64 v[52:53], v52, v[8:9]
	v_lshrrev_b32_e32 v51, 3, v25
	v_sub_u32_e32 v53, 29, v54
	v_cmp_gt_u32_e64 s[0:1], 8, v25
	v_lshlrev_b32_e32 v8, 8, v8
	s_nop 0
	v_cndmask_b32_e64 v25, v51, v53, s[0:1]
	v_lshl_add_u32 v25, v25, 10, v36
	v_and_b32_e32 v51, 7, v52
	v_and_or_b32 v8, v8, s30, v25
	v_cndmask_b32_e64 v24, v24, v51, s[0:1]
	v_lshlrev_b32_e32 v8, 16, v8
	v_lshl_or_b32 v24, v24, 23, v8
.LBB256_471:                            ;   in Loop: Header=BB256_386 Depth=1
	s_or_b64 exec, exec, s[20:21]
.LBB256_472:                            ;   in Loop: Header=BB256_386 Depth=1
	s_or_b64 exec, exec, s[18:19]
.LBB256_473:                            ;   in Loop: Header=BB256_386 Depth=1
	s_or_b64 exec, exec, s[16:17]
	v_lshrrev_b32_e32 v8, 16, v19
	v_cmp_ne_u16_sdwa s[0:1], v8, v9 src0_sel:BYTE_0 src1_sel:DWORD
	s_and_saveexec_b64 s[16:17], s[0:1]
	s_cbranch_execz .LBB256_479
; %bb.474:                              ;   in Loop: Header=BB256_386 Depth=1
	v_cmp_ne_u16_sdwa s[0:1], v8, s28 src0_sel:BYTE_0 src1_sel:DWORD
	v_mov_b32_e32 v22, 0x8000
	s_and_saveexec_b64 s[18:19], s[0:1]
	s_cbranch_execz .LBB256_478
; %bb.475:                              ;   in Loop: Header=BB256_386 Depth=1
	v_bfe_u32 v25, v19, 16, 7
	v_cmp_ne_u32_e64 s[0:1], s29, v25
	v_mov_b32_e32 v22, 0x7c01
	s_and_saveexec_b64 s[20:21], s[0:1]
	s_cbranch_execz .LBB256_477
; %bb.476:                              ;   in Loop: Header=BB256_386 Depth=1
	v_and_b32_e32 v22, 7, v8
	v_ffbh_u32_e32 v52, v22
	v_min_u32_e32 v54, 32, v52
	v_subrev_u32_e32 v52, 28, v54
	v_lshlrev_b64 v[52:53], v52, v[8:9]
	v_lshrrev_b32_e32 v51, 3, v25
	v_sub_u32_e32 v53, 29, v54
	v_cmp_gt_u32_e64 s[0:1], 8, v25
	v_lshlrev_b32_e32 v8, 8, v8
	s_nop 0
	v_cndmask_b32_e64 v25, v51, v53, s[0:1]
	v_lshl_add_u32 v25, v25, 10, v36
	v_and_b32_e32 v51, 7, v52
	v_and_b32_e32 v25, 0xfc00, v25
	v_cndmask_b32_e64 v22, v22, v51, s[0:1]
	v_and_or_b32 v8, v8, s30, v25
	v_lshl_or_b32 v22, v22, 7, v8
.LBB256_477:                            ;   in Loop: Header=BB256_386 Depth=1
	s_or_b64 exec, exec, s[20:21]
.LBB256_478:                            ;   in Loop: Header=BB256_386 Depth=1
	s_or_b64 exec, exec, s[18:19]
.LBB256_479:                            ;   in Loop: Header=BB256_386 Depth=1
	s_or_b64 exec, exec, s[16:17]
	v_cmp_lt_u64_e64 s[0:1], s[6:7], v[18:19]
	v_mov_b32_e32 v18, 0
	s_and_saveexec_b64 s[16:17], s[0:1]
	s_cbranch_execz .LBB256_485
; %bb.480:                              ;   in Loop: Header=BB256_386 Depth=1
	v_lshrrev_b32_e32 v8, 24, v19
	v_cmp_ne_u32_e64 s[0:1], s28, v8
	v_bfrev_b32_e32 v18, 1
	s_and_saveexec_b64 s[18:19], s[0:1]
	s_cbranch_execz .LBB256_484
; %bb.481:                              ;   in Loop: Header=BB256_386 Depth=1
	v_and_b32_e32 v19, 0x7f, v8
	v_cmp_ne_u32_e64 s[0:1], s29, v19
	v_mov_b32_e32 v18, 0x7c010000
	s_and_saveexec_b64 s[20:21], s[0:1]
	s_cbranch_execz .LBB256_483
; %bb.482:                              ;   in Loop: Header=BB256_386 Depth=1
	v_and_b32_e32 v18, 7, v8
	v_ffbh_u32_e32 v51, v18
	v_min_u32_e32 v51, 32, v51
	v_lshrrev_b32_e32 v25, 3, v19
	v_subrev_u32_e32 v52, 28, v51
	v_sub_u32_e32 v51, 29, v51
	v_cmp_gt_u32_e64 s[0:1], 8, v19
	v_lshlrev_b64 v[52:53], v52, v[8:9]
	v_lshlrev_b32_e32 v8, 8, v8
	v_cndmask_b32_e64 v19, v25, v51, s[0:1]
	v_lshl_add_u32 v19, v19, 10, v36
	v_and_b32_e32 v25, 7, v52
	v_and_or_b32 v8, v8, s30, v19
	v_cndmask_b32_e64 v18, v18, v25, s[0:1]
	v_lshlrev_b32_e32 v8, 16, v8
	v_lshl_or_b32 v18, v18, 23, v8
.LBB256_483:                            ;   in Loop: Header=BB256_386 Depth=1
	s_or_b64 exec, exec, s[20:21]
.LBB256_484:                            ;   in Loop: Header=BB256_386 Depth=1
	s_or_b64 exec, exec, s[18:19]
.LBB256_485:                            ;   in Loop: Header=BB256_386 Depth=1
	s_or_b64 exec, exec, s[16:17]
	v_cvt_f32_f16_sdwa v53, v1 dst_sel:DWORD dst_unused:UNUSED_PAD src0_sel:WORD_1
	v_cvt_f32_f16_sdwa v52, v21 dst_sel:DWORD dst_unused:UNUSED_PAD src0_sel:WORD_1
	v_or_b32_e32 v1, v1, v17
	v_or_b32_e32 v8, v21, v20
	;; [unrolled: 1-line block ×3, first 2 shown]
	s_waitcnt vmcnt(0)
	v_pk_mul_f32 v[20:21], v[16:17], v[52:53] op_sel_hi:[0,1]
	v_cvt_f32_f16_e32 v52, v8
	v_cvt_f32_f16_e32 v53, v1
	v_cvt_pk_f16_f32 v1, v20, v21
	v_and_b32_e32 v17, 0xffff0000, v1
	v_lshlrev_b32_e32 v8, 16, v1
	v_pk_mul_f32 v[20:21], v[16:17], v[52:53] op_sel_hi:[0,1]
	v_cvt_pk_f16_f32 v1, v20, v21
	v_or_b32_e32 v21, v24, v23
	v_cvt_f32_f16_e32 v22, v22
	v_cvt_f32_f16_e32 v23, v21
	v_cvt_f32_f16_sdwa v25, v24 dst_sel:DWORD dst_unused:UNUSED_PAD src0_sel:WORD_1
	v_cvt_f32_f16_sdwa v24, v18 dst_sel:DWORD dst_unused:UNUSED_PAD src0_sel:WORD_1
	v_lshrrev_b32_e32 v19, 16, v1
	v_pk_mul_f32 v[22:23], v[16:17], v[22:23] op_sel_hi:[0,1]
	v_cvt_pk_f16_f32 v51, v22, v23
	v_pk_mul_f32 v[22:23], v[16:17], v[24:25] op_sel_hi:[0,1]
	v_cvt_pk_f16_f32 v16, v22, v23
	v_and_b32_e32 v20, 0xffff, v1
	v_and_b32_e32 v21, 0xffff0000, v16
	v_lshlrev_b32_e32 v16, 16, v16
	v_lshrrev_b32_e32 v23, 16, v51
	v_and_b32_e32 v22, 0xffff, v51
	v_or_b32_e32 v1, v17, v19
	v_or_b32_e32 v18, v8, v20
	v_or_b32_e32 v25, v21, v23
	v_or_b32_e32 v24, v16, v22
	s_and_saveexec_b64 s[16:17], vcc
	s_cbranch_execz .LBB256_487
; %bb.486:                              ;   in Loop: Header=BB256_386 Depth=1
	v_cmp_gt_i32_e64 s[0:1], s38, v37
	s_nop 1
	v_cndmask_b32_e64 v1, 0, v19, s[0:1]
	v_cmp_gt_i32_e64 s[0:1], s33, v44
	s_nop 1
	v_cndmask_b32_e64 v18, 0, v20, s[0:1]
	;; [unrolled: 3-line block ×3, first 2 shown]
	v_cmp_gt_i32_e64 s[0:1], s33, v42
	v_or_b32_e32 v1, v17, v1
	s_nop 0
	v_cndmask_b32_e64 v8, 0, v8, s[0:1]
	v_cmp_gt_i32_e64 s[0:1], s38, v41
	v_or_b32_e32 v18, v8, v18
	s_nop 0
	v_cndmask_b32_e64 v8, 0, v23, s[0:1]
	v_cmp_gt_i32_e64 s[0:1], s33, v40
	s_nop 1
	v_cndmask_b32_e64 v17, 0, v22, s[0:1]
	v_cmp_gt_i32_e64 s[0:1], s38, v39
	;; [unrolled: 3-line block ×3, first 2 shown]
	v_or_b32_e32 v25, v19, v8
	s_nop 0
	v_cndmask_b32_e64 v16, 0, v16, s[0:1]
	v_or_b32_e32 v24, v16, v17
.LBB256_487:                            ;   in Loop: Header=BB256_386 Depth=1
	s_or_b64 exec, exec, s[16:17]
	;;#ASMSTART
	v_pk_mul_f16 v1, v48, v1;

	;;#ASMEND
	;;#ASMSTART
	v_pk_mul_f16 v8, v47, v18;

	;;#ASMEND
	;; [unrolled: 4-line block ×4, first 2 shown]
	s_nop 0
	;;#ASMSTART
	v_pk_add_f16 v1, v1, v8;

	;;#ASMEND
	s_nop 0
	;;#ASMSTART
	v_pk_add_f16 v1, v1, v16;

	;;#ASMEND
	;; [unrolled: 5-line block ×3, first 2 shown]
	v_mov_b32_e32 v17, 0
	v_lshrrev_b32_e32 v8, 16, v1
	v_and_b32_e32 v1, 0xffff, v1
	;;#ASMSTART
	v_cvt_f32_f16 v51, v1;
	;;#ASMEND
	;;#ASMSTART
	v_cvt_f32_f16 v52, v8;
	;;#ASMEND
	global_load_dwordx2 v[18:19], v[14:15], off offset:1024
	v_mov_b32_e32 v1, 0
	global_load_dword v16, v1, s[14:15]
	s_waitcnt vmcnt(1)
	v_cmp_ne_u16_sdwa s[0:1], v18, v9 src0_sel:BYTE_0 src1_sel:DWORD
	s_and_saveexec_b64 s[16:17], s[0:1]
	s_cbranch_execz .LBB256_493
; %bb.488:                              ;   in Loop: Header=BB256_386 Depth=1
	v_cmp_ne_u16_sdwa s[0:1], v18, s28 src0_sel:BYTE_0 src1_sel:DWORD
	v_mov_b32_e32 v17, 0x8000
	s_and_saveexec_b64 s[18:19], s[0:1]
	s_cbranch_execz .LBB256_492
; %bb.489:                              ;   in Loop: Header=BB256_386 Depth=1
	v_and_b32_e32 v8, 0x7f, v18
	v_cmp_ne_u32_e64 s[0:1], s29, v8
	v_mov_b32_e32 v17, 0x7c01
	s_and_saveexec_b64 s[20:21], s[0:1]
	s_cbranch_execz .LBB256_491
; %bb.490:                              ;   in Loop: Header=BB256_386 Depth=1
	v_and_b32_e32 v17, 7, v18
	v_ffbh_u32_e32 v20, v17
	v_min_u32_e32 v23, 32, v20
	v_subrev_u32_e32 v20, 28, v23
	v_lshlrev_b64 v[20:21], v20, v[18:19]
	v_lshrrev_b32_e32 v22, 3, v8
	v_sub_u32_e32 v21, 29, v23
	v_cmp_gt_u32_e64 s[0:1], 8, v8
	v_and_b32_e32 v20, 7, v20
	s_nop 0
	v_cndmask_b32_e64 v8, v22, v21, s[0:1]
	v_lshl_add_u32 v8, v8, 10, v36
	v_lshlrev_b32_e32 v21, 8, v18
	v_and_b32_e32 v8, 0xfc00, v8
	v_cndmask_b32_e64 v17, v17, v20, s[0:1]
	v_and_or_b32 v8, v21, s30, v8
	v_lshl_or_b32 v17, v17, 7, v8
.LBB256_491:                            ;   in Loop: Header=BB256_386 Depth=1
	s_or_b64 exec, exec, s[20:21]
.LBB256_492:                            ;   in Loop: Header=BB256_386 Depth=1
	s_or_b64 exec, exec, s[18:19]
.LBB256_493:                            ;   in Loop: Header=BB256_386 Depth=1
	s_or_b64 exec, exec, s[16:17]
	v_lshrrev_b16_e32 v8, 8, v18
	v_cmp_ne_u16_e64 s[0:1], 0, v8
	s_and_saveexec_b64 s[16:17], s[0:1]
	s_cbranch_execz .LBB256_499
; %bb.494:                              ;   in Loop: Header=BB256_386 Depth=1
	v_cmp_ne_u16_e64 s[0:1], s28, v8
	v_bfrev_b32_e32 v1, 1
	s_and_saveexec_b64 s[18:19], s[0:1]
	s_cbranch_execz .LBB256_498
; %bb.495:                              ;   in Loop: Header=BB256_386 Depth=1
	v_and_b32_e32 v20, 0x7f, v8
	v_cmp_ne_u32_e64 s[0:1], s29, v20
	v_mov_b32_e32 v1, 0x7c010000
	s_and_saveexec_b64 s[20:21], s[0:1]
	s_cbranch_execz .LBB256_497
; %bb.496:                              ;   in Loop: Header=BB256_386 Depth=1
	v_and_b32_e32 v1, 7, v8
	v_ffbh_u32_e32 v22, v1
	v_min_u32_e32 v24, 32, v22
	v_subrev_u32_e32 v22, 28, v24
	v_lshlrev_b64 v[22:23], v22, v[8:9]
	v_lshrrev_b32_e32 v21, 3, v20
	v_sub_u32_e32 v23, 29, v24
	v_cmp_gt_u32_e64 s[0:1], 8, v20
	v_lshlrev_b32_e32 v8, 8, v8
	s_nop 0
	v_cndmask_b32_e64 v20, v21, v23, s[0:1]
	v_lshl_add_u32 v20, v20, 10, v36
	v_and_b32_e32 v21, 7, v22
	v_and_or_b32 v8, v8, s30, v20
	v_cndmask_b32_e64 v1, v1, v21, s[0:1]
	v_lshlrev_b32_e32 v8, 16, v8
	v_lshl_or_b32 v1, v1, 23, v8
.LBB256_497:                            ;   in Loop: Header=BB256_386 Depth=1
	s_or_b64 exec, exec, s[20:21]
.LBB256_498:                            ;   in Loop: Header=BB256_386 Depth=1
	s_or_b64 exec, exec, s[18:19]
.LBB256_499:                            ;   in Loop: Header=BB256_386 Depth=1
	s_or_b64 exec, exec, s[16:17]
	v_lshrrev_b32_e32 v8, 16, v18
	v_cmp_ne_u16_sdwa s[0:1], v8, v9 src0_sel:BYTE_0 src1_sel:DWORD
	v_mov_b32_e32 v21, 0
	v_mov_b32_e32 v20, 0
	s_and_saveexec_b64 s[16:17], s[0:1]
	s_cbranch_execz .LBB256_505
; %bb.500:                              ;   in Loop: Header=BB256_386 Depth=1
	v_cmp_ne_u16_sdwa s[0:1], v8, s28 src0_sel:BYTE_0 src1_sel:DWORD
	v_mov_b32_e32 v20, 0x8000
	s_and_saveexec_b64 s[18:19], s[0:1]
	s_cbranch_execz .LBB256_504
; %bb.501:                              ;   in Loop: Header=BB256_386 Depth=1
	v_bfe_u32 v22, v18, 16, 7
	v_cmp_ne_u32_e64 s[0:1], s29, v22
	v_mov_b32_e32 v20, 0x7c01
	s_and_saveexec_b64 s[20:21], s[0:1]
	s_cbranch_execz .LBB256_503
; %bb.502:                              ;   in Loop: Header=BB256_386 Depth=1
	v_and_b32_e32 v20, 7, v8
	v_ffbh_u32_e32 v24, v20
	v_min_u32_e32 v53, 32, v24
	v_subrev_u32_e32 v24, 28, v53
	v_lshlrev_b64 v[24:25], v24, v[8:9]
	v_lshrrev_b32_e32 v23, 3, v22
	v_sub_u32_e32 v25, 29, v53
	v_cmp_gt_u32_e64 s[0:1], 8, v22
	v_lshlrev_b32_e32 v8, 8, v8
	s_nop 0
	v_cndmask_b32_e64 v22, v23, v25, s[0:1]
	v_lshl_add_u32 v22, v22, 10, v36
	v_and_b32_e32 v23, 7, v24
	v_and_b32_e32 v22, 0xfc00, v22
	v_cndmask_b32_e64 v20, v20, v23, s[0:1]
	v_and_or_b32 v8, v8, s30, v22
	v_lshl_or_b32 v20, v20, 7, v8
.LBB256_503:                            ;   in Loop: Header=BB256_386 Depth=1
	s_or_b64 exec, exec, s[20:21]
.LBB256_504:                            ;   in Loop: Header=BB256_386 Depth=1
	s_or_b64 exec, exec, s[18:19]
.LBB256_505:                            ;   in Loop: Header=BB256_386 Depth=1
	s_or_b64 exec, exec, s[16:17]
	v_cmp_lt_u32_e64 s[0:1], s7, v18
	s_and_saveexec_b64 s[16:17], s[0:1]
	s_cbranch_execz .LBB256_511
; %bb.506:                              ;   in Loop: Header=BB256_386 Depth=1
	v_lshrrev_b32_e32 v8, 24, v18
	v_cmp_ne_u32_e64 s[0:1], s28, v8
	v_bfrev_b32_e32 v21, 1
	s_and_saveexec_b64 s[18:19], s[0:1]
	s_cbranch_execz .LBB256_510
; %bb.507:                              ;   in Loop: Header=BB256_386 Depth=1
	v_and_b32_e32 v22, 0x7f, v8
	v_cmp_ne_u32_e64 s[0:1], s29, v22
	v_mov_b32_e32 v21, 0x7c010000
	s_and_saveexec_b64 s[20:21], s[0:1]
	s_cbranch_execz .LBB256_509
; %bb.508:                              ;   in Loop: Header=BB256_386 Depth=1
	v_and_b32_e32 v21, 7, v8
	v_ffbh_u32_e32 v24, v21
	v_min_u32_e32 v53, 32, v24
	v_subrev_u32_e32 v24, 28, v53
	v_lshlrev_b64 v[24:25], v24, v[8:9]
	v_lshrrev_b32_e32 v23, 3, v22
	v_sub_u32_e32 v25, 29, v53
	v_cmp_gt_u32_e64 s[0:1], 8, v22
	v_lshlrev_b32_e32 v8, 8, v8
	s_nop 0
	v_cndmask_b32_e64 v22, v23, v25, s[0:1]
	v_lshl_add_u32 v22, v22, 10, v36
	v_and_b32_e32 v23, 7, v24
	v_and_or_b32 v8, v8, s30, v22
	v_cndmask_b32_e64 v21, v21, v23, s[0:1]
	v_lshlrev_b32_e32 v8, 16, v8
	v_lshl_or_b32 v21, v21, 23, v8
.LBB256_509:                            ;   in Loop: Header=BB256_386 Depth=1
	s_or_b64 exec, exec, s[20:21]
.LBB256_510:                            ;   in Loop: Header=BB256_386 Depth=1
	s_or_b64 exec, exec, s[18:19]
.LBB256_511:                            ;   in Loop: Header=BB256_386 Depth=1
	s_or_b64 exec, exec, s[16:17]
	v_mov_b32_e32 v8, v19
	v_cmp_ne_u16_sdwa s[0:1], v19, v9 src0_sel:BYTE_0 src1_sel:DWORD
	v_mov_b32_e32 v22, 0
	v_mov_b32_e32 v23, 0
	s_and_saveexec_b64 s[16:17], s[0:1]
	s_cbranch_execz .LBB256_517
; %bb.512:                              ;   in Loop: Header=BB256_386 Depth=1
	v_cmp_ne_u16_sdwa s[0:1], v19, s28 src0_sel:BYTE_0 src1_sel:DWORD
	v_mov_b32_e32 v23, 0x8000
	s_and_saveexec_b64 s[18:19], s[0:1]
	s_cbranch_execz .LBB256_516
; %bb.513:                              ;   in Loop: Header=BB256_386 Depth=1
	v_and_b32_e32 v24, 0x7f, v19
	v_cmp_ne_u32_e64 s[0:1], s29, v24
	v_mov_b32_e32 v23, 0x7c01
	s_and_saveexec_b64 s[20:21], s[0:1]
	s_cbranch_execz .LBB256_515
; %bb.514:                              ;   in Loop: Header=BB256_386 Depth=1
	v_and_b32_e32 v23, 7, v19
	v_ffbh_u32_e32 v53, v23
	v_min_u32_e32 v53, 32, v53
	v_lshrrev_b32_e32 v25, 3, v24
	v_subrev_u32_e32 v54, 28, v53
	v_sub_u32_e32 v53, 29, v53
	v_cmp_gt_u32_e64 s[0:1], 8, v24
	v_lshlrev_b64 v[54:55], v54, v[8:9]
	s_nop 0
	v_cndmask_b32_e64 v24, v25, v53, s[0:1]
	v_lshl_add_u32 v24, v24, 10, v36
	v_lshlrev_b32_e32 v25, 8, v19
	v_and_b32_e32 v53, 7, v54
	v_and_b32_e32 v24, 0xfc00, v24
	v_cndmask_b32_e64 v23, v23, v53, s[0:1]
	v_and_or_b32 v24, v25, s30, v24
	v_lshl_or_b32 v23, v23, 7, v24
.LBB256_515:                            ;   in Loop: Header=BB256_386 Depth=1
	s_or_b64 exec, exec, s[20:21]
.LBB256_516:                            ;   in Loop: Header=BB256_386 Depth=1
	s_or_b64 exec, exec, s[18:19]
.LBB256_517:                            ;   in Loop: Header=BB256_386 Depth=1
	s_or_b64 exec, exec, s[16:17]
	v_lshrrev_b16_e32 v8, 8, v8
	v_cmp_ne_u16_e64 s[0:1], 0, v8
	v_mov_b32_e32 v24, 0
	s_and_saveexec_b64 s[16:17], s[0:1]
	s_cbranch_execz .LBB256_523
; %bb.518:                              ;   in Loop: Header=BB256_386 Depth=1
	v_cmp_ne_u16_e64 s[0:1], s28, v8
	v_bfrev_b32_e32 v24, 1
	s_and_saveexec_b64 s[18:19], s[0:1]
	s_cbranch_execz .LBB256_522
; %bb.519:                              ;   in Loop: Header=BB256_386 Depth=1
	v_and_b32_e32 v25, 0x7f, v8
	v_cmp_ne_u32_e64 s[0:1], s29, v25
	v_mov_b32_e32 v24, 0x7c010000
	s_and_saveexec_b64 s[20:21], s[0:1]
	s_cbranch_execz .LBB256_521
; %bb.520:                              ;   in Loop: Header=BB256_386 Depth=1
	v_and_b32_e32 v24, 7, v8
	v_ffbh_u32_e32 v54, v24
	v_min_u32_e32 v56, 32, v54
	v_subrev_u32_e32 v54, 28, v56
	v_lshlrev_b64 v[54:55], v54, v[8:9]
	v_lshrrev_b32_e32 v53, 3, v25
	v_sub_u32_e32 v55, 29, v56
	v_cmp_gt_u32_e64 s[0:1], 8, v25
	v_lshlrev_b32_e32 v8, 8, v8
	s_nop 0
	v_cndmask_b32_e64 v25, v53, v55, s[0:1]
	v_lshl_add_u32 v25, v25, 10, v36
	v_and_b32_e32 v53, 7, v54
	v_and_or_b32 v8, v8, s30, v25
	v_cndmask_b32_e64 v24, v24, v53, s[0:1]
	v_lshlrev_b32_e32 v8, 16, v8
	v_lshl_or_b32 v24, v24, 23, v8
.LBB256_521:                            ;   in Loop: Header=BB256_386 Depth=1
	s_or_b64 exec, exec, s[20:21]
.LBB256_522:                            ;   in Loop: Header=BB256_386 Depth=1
	s_or_b64 exec, exec, s[18:19]
.LBB256_523:                            ;   in Loop: Header=BB256_386 Depth=1
	s_or_b64 exec, exec, s[16:17]
	v_lshrrev_b32_e32 v8, 16, v19
	v_cmp_ne_u16_sdwa s[0:1], v8, v9 src0_sel:BYTE_0 src1_sel:DWORD
	s_and_saveexec_b64 s[16:17], s[0:1]
	s_cbranch_execz .LBB256_529
; %bb.524:                              ;   in Loop: Header=BB256_386 Depth=1
	v_cmp_ne_u16_sdwa s[0:1], v8, s28 src0_sel:BYTE_0 src1_sel:DWORD
	v_mov_b32_e32 v22, 0x8000
	s_and_saveexec_b64 s[18:19], s[0:1]
	s_cbranch_execz .LBB256_528
; %bb.525:                              ;   in Loop: Header=BB256_386 Depth=1
	v_bfe_u32 v25, v19, 16, 7
	v_cmp_ne_u32_e64 s[0:1], s29, v25
	v_mov_b32_e32 v22, 0x7c01
	s_and_saveexec_b64 s[20:21], s[0:1]
	s_cbranch_execz .LBB256_527
; %bb.526:                              ;   in Loop: Header=BB256_386 Depth=1
	v_and_b32_e32 v22, 7, v8
	v_ffbh_u32_e32 v54, v22
	v_min_u32_e32 v56, 32, v54
	v_subrev_u32_e32 v54, 28, v56
	v_lshlrev_b64 v[54:55], v54, v[8:9]
	v_lshrrev_b32_e32 v53, 3, v25
	v_sub_u32_e32 v55, 29, v56
	v_cmp_gt_u32_e64 s[0:1], 8, v25
	v_lshlrev_b32_e32 v8, 8, v8
	s_nop 0
	v_cndmask_b32_e64 v25, v53, v55, s[0:1]
	v_lshl_add_u32 v25, v25, 10, v36
	v_and_b32_e32 v53, 7, v54
	v_and_b32_e32 v25, 0xfc00, v25
	v_cndmask_b32_e64 v22, v22, v53, s[0:1]
	v_and_or_b32 v8, v8, s30, v25
	v_lshl_or_b32 v22, v22, 7, v8
.LBB256_527:                            ;   in Loop: Header=BB256_386 Depth=1
	s_or_b64 exec, exec, s[20:21]
.LBB256_528:                            ;   in Loop: Header=BB256_386 Depth=1
	s_or_b64 exec, exec, s[18:19]
.LBB256_529:                            ;   in Loop: Header=BB256_386 Depth=1
	s_or_b64 exec, exec, s[16:17]
	v_cmp_lt_u64_e64 s[0:1], s[6:7], v[18:19]
	v_mov_b32_e32 v18, 0
	s_and_saveexec_b64 s[16:17], s[0:1]
	s_cbranch_execz .LBB256_535
; %bb.530:                              ;   in Loop: Header=BB256_386 Depth=1
	v_lshrrev_b32_e32 v8, 24, v19
	v_cmp_ne_u32_e64 s[0:1], s28, v8
	v_bfrev_b32_e32 v18, 1
	s_and_saveexec_b64 s[18:19], s[0:1]
	s_cbranch_execz .LBB256_534
; %bb.531:                              ;   in Loop: Header=BB256_386 Depth=1
	v_and_b32_e32 v19, 0x7f, v8
	v_cmp_ne_u32_e64 s[0:1], s29, v19
	v_mov_b32_e32 v18, 0x7c010000
	s_and_saveexec_b64 s[20:21], s[0:1]
	s_cbranch_execz .LBB256_533
; %bb.532:                              ;   in Loop: Header=BB256_386 Depth=1
	v_and_b32_e32 v18, 7, v8
	v_ffbh_u32_e32 v53, v18
	v_min_u32_e32 v53, 32, v53
	v_lshrrev_b32_e32 v25, 3, v19
	v_subrev_u32_e32 v54, 28, v53
	v_sub_u32_e32 v53, 29, v53
	v_cmp_gt_u32_e64 s[0:1], 8, v19
	v_lshlrev_b64 v[54:55], v54, v[8:9]
	v_lshlrev_b32_e32 v8, 8, v8
	v_cndmask_b32_e64 v19, v25, v53, s[0:1]
	v_lshl_add_u32 v19, v19, 10, v36
	v_and_b32_e32 v25, 7, v54
	v_and_or_b32 v8, v8, s30, v19
	v_cndmask_b32_e64 v18, v18, v25, s[0:1]
	v_lshlrev_b32_e32 v8, 16, v8
	v_lshl_or_b32 v18, v18, 23, v8
.LBB256_533:                            ;   in Loop: Header=BB256_386 Depth=1
	s_or_b64 exec, exec, s[20:21]
.LBB256_534:                            ;   in Loop: Header=BB256_386 Depth=1
	s_or_b64 exec, exec, s[18:19]
.LBB256_535:                            ;   in Loop: Header=BB256_386 Depth=1
	s_or_b64 exec, exec, s[16:17]
	v_cvt_f32_f16_sdwa v55, v1 dst_sel:DWORD dst_unused:UNUSED_PAD src0_sel:WORD_1
	v_cvt_f32_f16_sdwa v54, v21 dst_sel:DWORD dst_unused:UNUSED_PAD src0_sel:WORD_1
	v_or_b32_e32 v1, v1, v17
	v_or_b32_e32 v8, v21, v20
	;; [unrolled: 1-line block ×3, first 2 shown]
	s_waitcnt vmcnt(0)
	v_pk_mul_f32 v[20:21], v[16:17], v[54:55] op_sel_hi:[0,1]
	v_cvt_f32_f16_e32 v54, v8
	v_cvt_f32_f16_e32 v55, v1
	v_cvt_pk_f16_f32 v1, v20, v21
	v_and_b32_e32 v17, 0xffff0000, v1
	v_lshlrev_b32_e32 v8, 16, v1
	v_pk_mul_f32 v[20:21], v[16:17], v[54:55] op_sel_hi:[0,1]
	v_cvt_pk_f16_f32 v1, v20, v21
	v_or_b32_e32 v21, v24, v23
	v_cvt_f32_f16_e32 v22, v22
	v_cvt_f32_f16_e32 v23, v21
	v_cvt_f32_f16_sdwa v25, v24 dst_sel:DWORD dst_unused:UNUSED_PAD src0_sel:WORD_1
	v_cvt_f32_f16_sdwa v24, v18 dst_sel:DWORD dst_unused:UNUSED_PAD src0_sel:WORD_1
	v_lshrrev_b32_e32 v19, 16, v1
	v_pk_mul_f32 v[22:23], v[16:17], v[22:23] op_sel_hi:[0,1]
	v_cvt_pk_f16_f32 v53, v22, v23
	v_pk_mul_f32 v[22:23], v[16:17], v[24:25] op_sel_hi:[0,1]
	v_cvt_pk_f16_f32 v16, v22, v23
	v_and_b32_e32 v20, 0xffff, v1
	v_and_b32_e32 v21, 0xffff0000, v16
	v_lshlrev_b32_e32 v16, 16, v16
	v_lshrrev_b32_e32 v23, 16, v53
	v_and_b32_e32 v22, 0xffff, v53
	v_or_b32_e32 v1, v17, v19
	v_or_b32_e32 v18, v8, v20
	;; [unrolled: 1-line block ×4, first 2 shown]
	s_and_saveexec_b64 s[16:17], vcc
	s_cbranch_execz .LBB256_537
; %bb.536:                              ;   in Loop: Header=BB256_386 Depth=1
	v_cmp_gt_i32_e64 s[0:1], s38, v37
	s_nop 1
	v_cndmask_b32_e64 v1, 0, v19, s[0:1]
	v_cmp_gt_i32_e64 s[0:1], s33, v44
	s_nop 1
	v_cndmask_b32_e64 v18, 0, v20, s[0:1]
	;; [unrolled: 3-line block ×3, first 2 shown]
	v_cmp_gt_i32_e64 s[0:1], s33, v42
	v_or_b32_e32 v1, v17, v1
	s_nop 0
	v_cndmask_b32_e64 v8, 0, v8, s[0:1]
	v_cmp_gt_i32_e64 s[0:1], s38, v41
	v_or_b32_e32 v18, v8, v18
	s_nop 0
	v_cndmask_b32_e64 v8, 0, v23, s[0:1]
	v_cmp_gt_i32_e64 s[0:1], s33, v40
	s_nop 1
	v_cndmask_b32_e64 v17, 0, v22, s[0:1]
	v_cmp_gt_i32_e64 s[0:1], s38, v39
	;; [unrolled: 3-line block ×3, first 2 shown]
	v_or_b32_e32 v25, v19, v8
	s_nop 0
	v_cndmask_b32_e64 v16, 0, v16, s[0:1]
	v_or_b32_e32 v24, v16, v17
.LBB256_537:                            ;   in Loop: Header=BB256_386 Depth=1
	s_or_b64 exec, exec, s[16:17]
	;;#ASMSTART
	v_pk_mul_f16 v1, v48, v1;

	;;#ASMEND
	;;#ASMSTART
	v_pk_mul_f16 v8, v47, v18;

	;;#ASMEND
	;; [unrolled: 4-line block ×4, first 2 shown]
	s_nop 0
	;;#ASMSTART
	v_pk_add_f16 v1, v1, v8;

	;;#ASMEND
	s_nop 0
	;;#ASMSTART
	v_pk_add_f16 v1, v1, v16;

	;;#ASMEND
	;; [unrolled: 5-line block ×3, first 2 shown]
	v_mov_b32_e32 v17, 0
	v_lshrrev_b32_e32 v8, 16, v1
	v_and_b32_e32 v1, 0xffff, v1
	;;#ASMSTART
	v_cvt_f32_f16 v53, v1;
	;;#ASMEND
	;;#ASMSTART
	v_cvt_f32_f16 v54, v8;
	;;#ASMEND
	global_load_dwordx2 v[18:19], v[14:15], off offset:1536
	v_mov_b32_e32 v1, 0
	global_load_dword v16, v1, s[14:15]
	s_waitcnt vmcnt(1)
	v_cmp_ne_u16_sdwa s[0:1], v18, v9 src0_sel:BYTE_0 src1_sel:DWORD
	s_and_saveexec_b64 s[16:17], s[0:1]
	s_cbranch_execz .LBB256_543
; %bb.538:                              ;   in Loop: Header=BB256_386 Depth=1
	v_cmp_ne_u16_sdwa s[0:1], v18, s28 src0_sel:BYTE_0 src1_sel:DWORD
	v_mov_b32_e32 v17, 0x8000
	s_and_saveexec_b64 s[18:19], s[0:1]
	s_cbranch_execz .LBB256_542
; %bb.539:                              ;   in Loop: Header=BB256_386 Depth=1
	v_and_b32_e32 v8, 0x7f, v18
	v_cmp_ne_u32_e64 s[0:1], s29, v8
	v_mov_b32_e32 v17, 0x7c01
	s_and_saveexec_b64 s[20:21], s[0:1]
	s_cbranch_execz .LBB256_541
; %bb.540:                              ;   in Loop: Header=BB256_386 Depth=1
	v_and_b32_e32 v17, 7, v18
	v_ffbh_u32_e32 v20, v17
	v_min_u32_e32 v23, 32, v20
	v_subrev_u32_e32 v20, 28, v23
	v_lshlrev_b64 v[20:21], v20, v[18:19]
	v_lshrrev_b32_e32 v22, 3, v8
	v_sub_u32_e32 v21, 29, v23
	v_cmp_gt_u32_e64 s[0:1], 8, v8
	v_and_b32_e32 v20, 7, v20
	s_nop 0
	v_cndmask_b32_e64 v8, v22, v21, s[0:1]
	v_lshl_add_u32 v8, v8, 10, v36
	v_lshlrev_b32_e32 v21, 8, v18
	v_and_b32_e32 v8, 0xfc00, v8
	v_cndmask_b32_e64 v17, v17, v20, s[0:1]
	v_and_or_b32 v8, v21, s30, v8
	v_lshl_or_b32 v17, v17, 7, v8
.LBB256_541:                            ;   in Loop: Header=BB256_386 Depth=1
	s_or_b64 exec, exec, s[20:21]
.LBB256_542:                            ;   in Loop: Header=BB256_386 Depth=1
	s_or_b64 exec, exec, s[18:19]
.LBB256_543:                            ;   in Loop: Header=BB256_386 Depth=1
	s_or_b64 exec, exec, s[16:17]
	v_lshrrev_b16_e32 v8, 8, v18
	v_cmp_ne_u16_e64 s[0:1], 0, v8
	s_and_saveexec_b64 s[16:17], s[0:1]
	s_cbranch_execz .LBB256_549
; %bb.544:                              ;   in Loop: Header=BB256_386 Depth=1
	v_cmp_ne_u16_e64 s[0:1], s28, v8
	v_bfrev_b32_e32 v1, 1
	s_and_saveexec_b64 s[18:19], s[0:1]
	s_cbranch_execz .LBB256_548
; %bb.545:                              ;   in Loop: Header=BB256_386 Depth=1
	v_and_b32_e32 v20, 0x7f, v8
	v_cmp_ne_u32_e64 s[0:1], s29, v20
	v_mov_b32_e32 v1, 0x7c010000
	s_and_saveexec_b64 s[20:21], s[0:1]
	s_cbranch_execz .LBB256_547
; %bb.546:                              ;   in Loop: Header=BB256_386 Depth=1
	v_and_b32_e32 v1, 7, v8
	v_ffbh_u32_e32 v22, v1
	v_min_u32_e32 v24, 32, v22
	v_subrev_u32_e32 v22, 28, v24
	v_lshlrev_b64 v[22:23], v22, v[8:9]
	v_lshrrev_b32_e32 v21, 3, v20
	v_sub_u32_e32 v23, 29, v24
	v_cmp_gt_u32_e64 s[0:1], 8, v20
	v_lshlrev_b32_e32 v8, 8, v8
	s_nop 0
	v_cndmask_b32_e64 v20, v21, v23, s[0:1]
	v_lshl_add_u32 v20, v20, 10, v36
	v_and_b32_e32 v21, 7, v22
	v_and_or_b32 v8, v8, s30, v20
	v_cndmask_b32_e64 v1, v1, v21, s[0:1]
	v_lshlrev_b32_e32 v8, 16, v8
	v_lshl_or_b32 v1, v1, 23, v8
.LBB256_547:                            ;   in Loop: Header=BB256_386 Depth=1
	s_or_b64 exec, exec, s[20:21]
.LBB256_548:                            ;   in Loop: Header=BB256_386 Depth=1
	s_or_b64 exec, exec, s[18:19]
.LBB256_549:                            ;   in Loop: Header=BB256_386 Depth=1
	s_or_b64 exec, exec, s[16:17]
	v_lshrrev_b32_e32 v8, 16, v18
	v_cmp_ne_u16_sdwa s[0:1], v8, v9 src0_sel:BYTE_0 src1_sel:DWORD
	v_mov_b32_e32 v21, 0
	v_mov_b32_e32 v20, 0
	s_and_saveexec_b64 s[16:17], s[0:1]
	s_cbranch_execz .LBB256_555
; %bb.550:                              ;   in Loop: Header=BB256_386 Depth=1
	v_cmp_ne_u16_sdwa s[0:1], v8, s28 src0_sel:BYTE_0 src1_sel:DWORD
	v_mov_b32_e32 v20, 0x8000
	s_and_saveexec_b64 s[18:19], s[0:1]
	s_cbranch_execz .LBB256_554
; %bb.551:                              ;   in Loop: Header=BB256_386 Depth=1
	v_bfe_u32 v22, v18, 16, 7
	v_cmp_ne_u32_e64 s[0:1], s29, v22
	v_mov_b32_e32 v20, 0x7c01
	s_and_saveexec_b64 s[20:21], s[0:1]
	s_cbranch_execz .LBB256_553
; %bb.552:                              ;   in Loop: Header=BB256_386 Depth=1
	v_and_b32_e32 v20, 7, v8
	v_ffbh_u32_e32 v24, v20
	v_min_u32_e32 v55, 32, v24
	v_subrev_u32_e32 v24, 28, v55
	v_lshlrev_b64 v[24:25], v24, v[8:9]
	v_lshrrev_b32_e32 v23, 3, v22
	v_sub_u32_e32 v25, 29, v55
	v_cmp_gt_u32_e64 s[0:1], 8, v22
	v_lshlrev_b32_e32 v8, 8, v8
	s_nop 0
	v_cndmask_b32_e64 v22, v23, v25, s[0:1]
	v_lshl_add_u32 v22, v22, 10, v36
	v_and_b32_e32 v23, 7, v24
	v_and_b32_e32 v22, 0xfc00, v22
	v_cndmask_b32_e64 v20, v20, v23, s[0:1]
	v_and_or_b32 v8, v8, s30, v22
	v_lshl_or_b32 v20, v20, 7, v8
.LBB256_553:                            ;   in Loop: Header=BB256_386 Depth=1
	s_or_b64 exec, exec, s[20:21]
.LBB256_554:                            ;   in Loop: Header=BB256_386 Depth=1
	s_or_b64 exec, exec, s[18:19]
.LBB256_555:                            ;   in Loop: Header=BB256_386 Depth=1
	s_or_b64 exec, exec, s[16:17]
	v_cmp_lt_u32_e64 s[0:1], s7, v18
	s_and_saveexec_b64 s[16:17], s[0:1]
	s_cbranch_execz .LBB256_561
; %bb.556:                              ;   in Loop: Header=BB256_386 Depth=1
	v_lshrrev_b32_e32 v8, 24, v18
	v_cmp_ne_u32_e64 s[0:1], s28, v8
	v_bfrev_b32_e32 v21, 1
	s_and_saveexec_b64 s[18:19], s[0:1]
	s_cbranch_execz .LBB256_560
; %bb.557:                              ;   in Loop: Header=BB256_386 Depth=1
	v_and_b32_e32 v22, 0x7f, v8
	v_cmp_ne_u32_e64 s[0:1], s29, v22
	v_mov_b32_e32 v21, 0x7c010000
	s_and_saveexec_b64 s[20:21], s[0:1]
	s_cbranch_execz .LBB256_559
; %bb.558:                              ;   in Loop: Header=BB256_386 Depth=1
	v_and_b32_e32 v21, 7, v8
	v_ffbh_u32_e32 v24, v21
	v_min_u32_e32 v55, 32, v24
	v_subrev_u32_e32 v24, 28, v55
	v_lshlrev_b64 v[24:25], v24, v[8:9]
	v_lshrrev_b32_e32 v23, 3, v22
	v_sub_u32_e32 v25, 29, v55
	v_cmp_gt_u32_e64 s[0:1], 8, v22
	v_lshlrev_b32_e32 v8, 8, v8
	s_nop 0
	v_cndmask_b32_e64 v22, v23, v25, s[0:1]
	v_lshl_add_u32 v22, v22, 10, v36
	v_and_b32_e32 v23, 7, v24
	v_and_or_b32 v8, v8, s30, v22
	v_cndmask_b32_e64 v21, v21, v23, s[0:1]
	v_lshlrev_b32_e32 v8, 16, v8
	v_lshl_or_b32 v21, v21, 23, v8
.LBB256_559:                            ;   in Loop: Header=BB256_386 Depth=1
	s_or_b64 exec, exec, s[20:21]
.LBB256_560:                            ;   in Loop: Header=BB256_386 Depth=1
	s_or_b64 exec, exec, s[18:19]
.LBB256_561:                            ;   in Loop: Header=BB256_386 Depth=1
	s_or_b64 exec, exec, s[16:17]
	v_mov_b32_e32 v8, v19
	v_cmp_ne_u16_sdwa s[0:1], v19, v9 src0_sel:BYTE_0 src1_sel:DWORD
	v_mov_b32_e32 v22, 0
	v_mov_b32_e32 v23, 0
	s_and_saveexec_b64 s[16:17], s[0:1]
	s_cbranch_execz .LBB256_567
; %bb.562:                              ;   in Loop: Header=BB256_386 Depth=1
	v_cmp_ne_u16_sdwa s[0:1], v19, s28 src0_sel:BYTE_0 src1_sel:DWORD
	v_mov_b32_e32 v23, 0x8000
	s_and_saveexec_b64 s[18:19], s[0:1]
	s_cbranch_execz .LBB256_566
; %bb.563:                              ;   in Loop: Header=BB256_386 Depth=1
	v_and_b32_e32 v24, 0x7f, v19
	v_cmp_ne_u32_e64 s[0:1], s29, v24
	v_mov_b32_e32 v23, 0x7c01
	s_and_saveexec_b64 s[20:21], s[0:1]
	s_cbranch_execz .LBB256_565
; %bb.564:                              ;   in Loop: Header=BB256_386 Depth=1
	v_and_b32_e32 v23, 7, v19
	v_ffbh_u32_e32 v55, v23
	v_min_u32_e32 v55, 32, v55
	v_lshrrev_b32_e32 v25, 3, v24
	v_subrev_u32_e32 v56, 28, v55
	v_sub_u32_e32 v55, 29, v55
	v_cmp_gt_u32_e64 s[0:1], 8, v24
	v_lshlrev_b64 v[56:57], v56, v[8:9]
	s_nop 0
	v_cndmask_b32_e64 v24, v25, v55, s[0:1]
	v_lshl_add_u32 v24, v24, 10, v36
	v_lshlrev_b32_e32 v25, 8, v19
	v_and_b32_e32 v55, 7, v56
	v_and_b32_e32 v24, 0xfc00, v24
	v_cndmask_b32_e64 v23, v23, v55, s[0:1]
	v_and_or_b32 v24, v25, s30, v24
	v_lshl_or_b32 v23, v23, 7, v24
.LBB256_565:                            ;   in Loop: Header=BB256_386 Depth=1
	s_or_b64 exec, exec, s[20:21]
.LBB256_566:                            ;   in Loop: Header=BB256_386 Depth=1
	s_or_b64 exec, exec, s[18:19]
.LBB256_567:                            ;   in Loop: Header=BB256_386 Depth=1
	s_or_b64 exec, exec, s[16:17]
	v_lshrrev_b16_e32 v8, 8, v8
	v_cmp_ne_u16_e64 s[0:1], 0, v8
	v_mov_b32_e32 v24, 0
	s_and_saveexec_b64 s[16:17], s[0:1]
	s_cbranch_execz .LBB256_573
; %bb.568:                              ;   in Loop: Header=BB256_386 Depth=1
	v_cmp_ne_u16_e64 s[0:1], s28, v8
	v_bfrev_b32_e32 v24, 1
	s_and_saveexec_b64 s[18:19], s[0:1]
	s_cbranch_execz .LBB256_572
; %bb.569:                              ;   in Loop: Header=BB256_386 Depth=1
	v_and_b32_e32 v25, 0x7f, v8
	v_cmp_ne_u32_e64 s[0:1], s29, v25
	v_mov_b32_e32 v24, 0x7c010000
	s_and_saveexec_b64 s[20:21], s[0:1]
	s_cbranch_execz .LBB256_571
; %bb.570:                              ;   in Loop: Header=BB256_386 Depth=1
	v_and_b32_e32 v24, 7, v8
	v_ffbh_u32_e32 v56, v24
	v_min_u32_e32 v58, 32, v56
	v_subrev_u32_e32 v56, 28, v58
	v_lshlrev_b64 v[56:57], v56, v[8:9]
	v_lshrrev_b32_e32 v55, 3, v25
	v_sub_u32_e32 v57, 29, v58
	v_cmp_gt_u32_e64 s[0:1], 8, v25
	v_lshlrev_b32_e32 v8, 8, v8
	s_nop 0
	v_cndmask_b32_e64 v25, v55, v57, s[0:1]
	v_lshl_add_u32 v25, v25, 10, v36
	v_and_b32_e32 v55, 7, v56
	v_and_or_b32 v8, v8, s30, v25
	v_cndmask_b32_e64 v24, v24, v55, s[0:1]
	v_lshlrev_b32_e32 v8, 16, v8
	v_lshl_or_b32 v24, v24, 23, v8
.LBB256_571:                            ;   in Loop: Header=BB256_386 Depth=1
	s_or_b64 exec, exec, s[20:21]
.LBB256_572:                            ;   in Loop: Header=BB256_386 Depth=1
	s_or_b64 exec, exec, s[18:19]
.LBB256_573:                            ;   in Loop: Header=BB256_386 Depth=1
	s_or_b64 exec, exec, s[16:17]
	v_lshrrev_b32_e32 v8, 16, v19
	v_cmp_ne_u16_sdwa s[0:1], v8, v9 src0_sel:BYTE_0 src1_sel:DWORD
	s_and_saveexec_b64 s[16:17], s[0:1]
	s_cbranch_execz .LBB256_579
; %bb.574:                              ;   in Loop: Header=BB256_386 Depth=1
	v_cmp_ne_u16_sdwa s[0:1], v8, s28 src0_sel:BYTE_0 src1_sel:DWORD
	v_mov_b32_e32 v22, 0x8000
	s_and_saveexec_b64 s[18:19], s[0:1]
	s_cbranch_execz .LBB256_578
; %bb.575:                              ;   in Loop: Header=BB256_386 Depth=1
	v_bfe_u32 v25, v19, 16, 7
	v_cmp_ne_u32_e64 s[0:1], s29, v25
	v_mov_b32_e32 v22, 0x7c01
	s_and_saveexec_b64 s[20:21], s[0:1]
	s_cbranch_execz .LBB256_577
; %bb.576:                              ;   in Loop: Header=BB256_386 Depth=1
	v_and_b32_e32 v22, 7, v8
	v_ffbh_u32_e32 v56, v22
	v_min_u32_e32 v58, 32, v56
	v_subrev_u32_e32 v56, 28, v58
	v_lshlrev_b64 v[56:57], v56, v[8:9]
	v_lshrrev_b32_e32 v55, 3, v25
	v_sub_u32_e32 v57, 29, v58
	v_cmp_gt_u32_e64 s[0:1], 8, v25
	v_lshlrev_b32_e32 v8, 8, v8
	s_nop 0
	v_cndmask_b32_e64 v25, v55, v57, s[0:1]
	v_lshl_add_u32 v25, v25, 10, v36
	v_and_b32_e32 v55, 7, v56
	v_and_b32_e32 v25, 0xfc00, v25
	v_cndmask_b32_e64 v22, v22, v55, s[0:1]
	v_and_or_b32 v8, v8, s30, v25
	v_lshl_or_b32 v22, v22, 7, v8
.LBB256_577:                            ;   in Loop: Header=BB256_386 Depth=1
	s_or_b64 exec, exec, s[20:21]
.LBB256_578:                            ;   in Loop: Header=BB256_386 Depth=1
	s_or_b64 exec, exec, s[18:19]
.LBB256_579:                            ;   in Loop: Header=BB256_386 Depth=1
	s_or_b64 exec, exec, s[16:17]
	v_cmp_lt_u64_e64 s[0:1], s[6:7], v[18:19]
	v_mov_b32_e32 v18, 0
	s_and_saveexec_b64 s[16:17], s[0:1]
	s_cbranch_execz .LBB256_585
; %bb.580:                              ;   in Loop: Header=BB256_386 Depth=1
	v_lshrrev_b32_e32 v8, 24, v19
	v_cmp_ne_u32_e64 s[0:1], s28, v8
	v_bfrev_b32_e32 v18, 1
	s_and_saveexec_b64 s[18:19], s[0:1]
	s_cbranch_execz .LBB256_584
; %bb.581:                              ;   in Loop: Header=BB256_386 Depth=1
	v_and_b32_e32 v19, 0x7f, v8
	v_cmp_ne_u32_e64 s[0:1], s29, v19
	v_mov_b32_e32 v18, 0x7c010000
	s_and_saveexec_b64 s[20:21], s[0:1]
	s_cbranch_execz .LBB256_583
; %bb.582:                              ;   in Loop: Header=BB256_386 Depth=1
	v_and_b32_e32 v18, 7, v8
	v_ffbh_u32_e32 v55, v18
	v_min_u32_e32 v55, 32, v55
	v_lshrrev_b32_e32 v25, 3, v19
	v_subrev_u32_e32 v56, 28, v55
	v_sub_u32_e32 v55, 29, v55
	v_cmp_gt_u32_e64 s[0:1], 8, v19
	v_lshlrev_b64 v[56:57], v56, v[8:9]
	v_lshlrev_b32_e32 v8, 8, v8
	v_cndmask_b32_e64 v19, v25, v55, s[0:1]
	v_lshl_add_u32 v19, v19, 10, v36
	v_and_b32_e32 v25, 7, v56
	v_and_or_b32 v8, v8, s30, v19
	v_cndmask_b32_e64 v18, v18, v25, s[0:1]
	v_lshlrev_b32_e32 v8, 16, v8
	v_lshl_or_b32 v18, v18, 23, v8
.LBB256_583:                            ;   in Loop: Header=BB256_386 Depth=1
	s_or_b64 exec, exec, s[20:21]
.LBB256_584:                            ;   in Loop: Header=BB256_386 Depth=1
	s_or_b64 exec, exec, s[18:19]
.LBB256_585:                            ;   in Loop: Header=BB256_386 Depth=1
	s_or_b64 exec, exec, s[16:17]
	v_cvt_f32_f16_sdwa v57, v1 dst_sel:DWORD dst_unused:UNUSED_PAD src0_sel:WORD_1
	v_cvt_f32_f16_sdwa v56, v21 dst_sel:DWORD dst_unused:UNUSED_PAD src0_sel:WORD_1
	v_or_b32_e32 v1, v1, v17
	v_or_b32_e32 v8, v21, v20
	;; [unrolled: 1-line block ×3, first 2 shown]
	s_waitcnt vmcnt(0)
	v_pk_mul_f32 v[20:21], v[16:17], v[56:57] op_sel_hi:[0,1]
	v_cvt_f32_f16_e32 v56, v8
	v_cvt_f32_f16_e32 v57, v1
	v_cvt_pk_f16_f32 v1, v20, v21
	v_and_b32_e32 v17, 0xffff0000, v1
	v_lshlrev_b32_e32 v8, 16, v1
	v_pk_mul_f32 v[20:21], v[16:17], v[56:57] op_sel_hi:[0,1]
	v_cvt_pk_f16_f32 v1, v20, v21
	v_or_b32_e32 v21, v24, v23
	v_cvt_f32_f16_e32 v22, v22
	v_cvt_f32_f16_e32 v23, v21
	v_cvt_f32_f16_sdwa v25, v24 dst_sel:DWORD dst_unused:UNUSED_PAD src0_sel:WORD_1
	v_cvt_f32_f16_sdwa v24, v18 dst_sel:DWORD dst_unused:UNUSED_PAD src0_sel:WORD_1
	v_lshrrev_b32_e32 v19, 16, v1
	v_pk_mul_f32 v[22:23], v[16:17], v[22:23] op_sel_hi:[0,1]
	v_cvt_pk_f16_f32 v55, v22, v23
	v_pk_mul_f32 v[22:23], v[16:17], v[24:25] op_sel_hi:[0,1]
	v_cvt_pk_f16_f32 v16, v22, v23
	v_and_b32_e32 v20, 0xffff, v1
	v_and_b32_e32 v21, 0xffff0000, v16
	v_lshlrev_b32_e32 v16, 16, v16
	v_lshrrev_b32_e32 v23, 16, v55
	v_and_b32_e32 v22, 0xffff, v55
	v_or_b32_e32 v1, v17, v19
	v_or_b32_e32 v18, v8, v20
	;; [unrolled: 1-line block ×4, first 2 shown]
	s_and_saveexec_b64 s[16:17], vcc
	s_cbranch_execz .LBB256_587
; %bb.586:                              ;   in Loop: Header=BB256_386 Depth=1
	v_cmp_gt_i32_e64 s[0:1], s38, v37
	s_nop 1
	v_cndmask_b32_e64 v1, 0, v19, s[0:1]
	v_cmp_gt_i32_e64 s[0:1], s33, v44
	s_nop 1
	v_cndmask_b32_e64 v18, 0, v20, s[0:1]
	;; [unrolled: 3-line block ×3, first 2 shown]
	v_cmp_gt_i32_e64 s[0:1], s33, v42
	v_or_b32_e32 v1, v17, v1
	s_nop 0
	v_cndmask_b32_e64 v8, 0, v8, s[0:1]
	v_cmp_gt_i32_e64 s[0:1], s38, v41
	v_or_b32_e32 v18, v8, v18
	s_nop 0
	v_cndmask_b32_e64 v8, 0, v23, s[0:1]
	v_cmp_gt_i32_e64 s[0:1], s33, v40
	s_nop 1
	v_cndmask_b32_e64 v17, 0, v22, s[0:1]
	v_cmp_gt_i32_e64 s[0:1], s38, v39
	;; [unrolled: 3-line block ×3, first 2 shown]
	v_or_b32_e32 v25, v19, v8
	s_nop 0
	v_cndmask_b32_e64 v16, 0, v16, s[0:1]
	v_or_b32_e32 v24, v16, v17
.LBB256_587:                            ;   in Loop: Header=BB256_386 Depth=1
	s_or_b64 exec, exec, s[16:17]
	;;#ASMSTART
	v_pk_mul_f16 v1, v48, v1;

	;;#ASMEND
	;;#ASMSTART
	v_pk_mul_f16 v8, v47, v18;

	;;#ASMEND
	;;#ASMSTART
	v_pk_mul_f16 v16, v46, v25;

	;;#ASMEND
	;;#ASMSTART
	v_pk_mul_f16 v17, v45, v24;

	;;#ASMEND
	s_nop 0
	;;#ASMSTART
	v_pk_add_f16 v1, v1, v8;

	;;#ASMEND
	s_nop 0
	;;#ASMSTART
	v_pk_add_f16 v1, v1, v16;

	;;#ASMEND
	;; [unrolled: 5-line block ×3, first 2 shown]
	v_mov_b32_e32 v17, 0
	v_lshrrev_b32_e32 v8, 16, v1
	v_and_b32_e32 v1, 0xffff, v1
	;;#ASMSTART
	v_cvt_f32_f16 v55, v1;
	;;#ASMEND
	;;#ASMSTART
	v_cvt_f32_f16 v56, v8;
	;;#ASMEND
	global_load_dwordx2 v[18:19], v[14:15], off offset:2048
	v_mov_b32_e32 v1, 0
	global_load_dword v16, v1, s[14:15]
	s_waitcnt vmcnt(1)
	v_cmp_ne_u16_sdwa s[0:1], v18, v9 src0_sel:BYTE_0 src1_sel:DWORD
	s_and_saveexec_b64 s[16:17], s[0:1]
	s_cbranch_execz .LBB256_593
; %bb.588:                              ;   in Loop: Header=BB256_386 Depth=1
	v_cmp_ne_u16_sdwa s[0:1], v18, s28 src0_sel:BYTE_0 src1_sel:DWORD
	v_mov_b32_e32 v17, 0x8000
	s_and_saveexec_b64 s[18:19], s[0:1]
	s_cbranch_execz .LBB256_592
; %bb.589:                              ;   in Loop: Header=BB256_386 Depth=1
	v_and_b32_e32 v8, 0x7f, v18
	v_cmp_ne_u32_e64 s[0:1], s29, v8
	v_mov_b32_e32 v17, 0x7c01
	s_and_saveexec_b64 s[20:21], s[0:1]
	s_cbranch_execz .LBB256_591
; %bb.590:                              ;   in Loop: Header=BB256_386 Depth=1
	v_and_b32_e32 v17, 7, v18
	v_ffbh_u32_e32 v20, v17
	v_min_u32_e32 v23, 32, v20
	v_subrev_u32_e32 v20, 28, v23
	v_lshlrev_b64 v[20:21], v20, v[18:19]
	v_lshrrev_b32_e32 v22, 3, v8
	v_sub_u32_e32 v21, 29, v23
	v_cmp_gt_u32_e64 s[0:1], 8, v8
	v_and_b32_e32 v20, 7, v20
	s_nop 0
	v_cndmask_b32_e64 v8, v22, v21, s[0:1]
	v_lshl_add_u32 v8, v8, 10, v36
	v_lshlrev_b32_e32 v21, 8, v18
	v_and_b32_e32 v8, 0xfc00, v8
	v_cndmask_b32_e64 v17, v17, v20, s[0:1]
	v_and_or_b32 v8, v21, s30, v8
	v_lshl_or_b32 v17, v17, 7, v8
.LBB256_591:                            ;   in Loop: Header=BB256_386 Depth=1
	s_or_b64 exec, exec, s[20:21]
.LBB256_592:                            ;   in Loop: Header=BB256_386 Depth=1
	s_or_b64 exec, exec, s[18:19]
.LBB256_593:                            ;   in Loop: Header=BB256_386 Depth=1
	s_or_b64 exec, exec, s[16:17]
	v_lshrrev_b16_e32 v8, 8, v18
	v_cmp_ne_u16_e64 s[0:1], 0, v8
	s_and_saveexec_b64 s[16:17], s[0:1]
	s_cbranch_execz .LBB256_599
; %bb.594:                              ;   in Loop: Header=BB256_386 Depth=1
	v_cmp_ne_u16_e64 s[0:1], s28, v8
	v_bfrev_b32_e32 v1, 1
	s_and_saveexec_b64 s[18:19], s[0:1]
	s_cbranch_execz .LBB256_598
; %bb.595:                              ;   in Loop: Header=BB256_386 Depth=1
	v_and_b32_e32 v20, 0x7f, v8
	v_cmp_ne_u32_e64 s[0:1], s29, v20
	v_mov_b32_e32 v1, 0x7c010000
	s_and_saveexec_b64 s[20:21], s[0:1]
	s_cbranch_execz .LBB256_597
; %bb.596:                              ;   in Loop: Header=BB256_386 Depth=1
	v_and_b32_e32 v1, 7, v8
	v_ffbh_u32_e32 v22, v1
	v_min_u32_e32 v24, 32, v22
	v_subrev_u32_e32 v22, 28, v24
	v_lshlrev_b64 v[22:23], v22, v[8:9]
	v_lshrrev_b32_e32 v21, 3, v20
	v_sub_u32_e32 v23, 29, v24
	v_cmp_gt_u32_e64 s[0:1], 8, v20
	v_lshlrev_b32_e32 v8, 8, v8
	s_nop 0
	v_cndmask_b32_e64 v20, v21, v23, s[0:1]
	v_lshl_add_u32 v20, v20, 10, v36
	v_and_b32_e32 v21, 7, v22
	v_and_or_b32 v8, v8, s30, v20
	v_cndmask_b32_e64 v1, v1, v21, s[0:1]
	v_lshlrev_b32_e32 v8, 16, v8
	v_lshl_or_b32 v1, v1, 23, v8
.LBB256_597:                            ;   in Loop: Header=BB256_386 Depth=1
	s_or_b64 exec, exec, s[20:21]
.LBB256_598:                            ;   in Loop: Header=BB256_386 Depth=1
	s_or_b64 exec, exec, s[18:19]
.LBB256_599:                            ;   in Loop: Header=BB256_386 Depth=1
	s_or_b64 exec, exec, s[16:17]
	v_lshrrev_b32_e32 v8, 16, v18
	v_cmp_ne_u16_sdwa s[0:1], v8, v9 src0_sel:BYTE_0 src1_sel:DWORD
	v_mov_b32_e32 v21, 0
	v_mov_b32_e32 v20, 0
	s_and_saveexec_b64 s[16:17], s[0:1]
	s_cbranch_execz .LBB256_605
; %bb.600:                              ;   in Loop: Header=BB256_386 Depth=1
	v_cmp_ne_u16_sdwa s[0:1], v8, s28 src0_sel:BYTE_0 src1_sel:DWORD
	v_mov_b32_e32 v20, 0x8000
	s_and_saveexec_b64 s[18:19], s[0:1]
	s_cbranch_execz .LBB256_604
; %bb.601:                              ;   in Loop: Header=BB256_386 Depth=1
	v_bfe_u32 v22, v18, 16, 7
	v_cmp_ne_u32_e64 s[0:1], s29, v22
	v_mov_b32_e32 v20, 0x7c01
	s_and_saveexec_b64 s[20:21], s[0:1]
	s_cbranch_execz .LBB256_603
; %bb.602:                              ;   in Loop: Header=BB256_386 Depth=1
	v_and_b32_e32 v20, 7, v8
	v_ffbh_u32_e32 v24, v20
	v_min_u32_e32 v57, 32, v24
	v_subrev_u32_e32 v24, 28, v57
	v_lshlrev_b64 v[24:25], v24, v[8:9]
	v_lshrrev_b32_e32 v23, 3, v22
	v_sub_u32_e32 v25, 29, v57
	v_cmp_gt_u32_e64 s[0:1], 8, v22
	v_lshlrev_b32_e32 v8, 8, v8
	s_nop 0
	v_cndmask_b32_e64 v22, v23, v25, s[0:1]
	v_lshl_add_u32 v22, v22, 10, v36
	v_and_b32_e32 v23, 7, v24
	v_and_b32_e32 v22, 0xfc00, v22
	v_cndmask_b32_e64 v20, v20, v23, s[0:1]
	v_and_or_b32 v8, v8, s30, v22
	v_lshl_or_b32 v20, v20, 7, v8
.LBB256_603:                            ;   in Loop: Header=BB256_386 Depth=1
	s_or_b64 exec, exec, s[20:21]
.LBB256_604:                            ;   in Loop: Header=BB256_386 Depth=1
	s_or_b64 exec, exec, s[18:19]
.LBB256_605:                            ;   in Loop: Header=BB256_386 Depth=1
	s_or_b64 exec, exec, s[16:17]
	v_cmp_lt_u32_e64 s[0:1], s7, v18
	s_and_saveexec_b64 s[16:17], s[0:1]
	s_cbranch_execz .LBB256_611
; %bb.606:                              ;   in Loop: Header=BB256_386 Depth=1
	v_lshrrev_b32_e32 v8, 24, v18
	v_cmp_ne_u32_e64 s[0:1], s28, v8
	v_bfrev_b32_e32 v21, 1
	s_and_saveexec_b64 s[18:19], s[0:1]
	s_cbranch_execz .LBB256_610
; %bb.607:                              ;   in Loop: Header=BB256_386 Depth=1
	v_and_b32_e32 v22, 0x7f, v8
	v_cmp_ne_u32_e64 s[0:1], s29, v22
	v_mov_b32_e32 v21, 0x7c010000
	s_and_saveexec_b64 s[20:21], s[0:1]
	s_cbranch_execz .LBB256_609
; %bb.608:                              ;   in Loop: Header=BB256_386 Depth=1
	v_and_b32_e32 v21, 7, v8
	v_ffbh_u32_e32 v24, v21
	v_min_u32_e32 v57, 32, v24
	v_subrev_u32_e32 v24, 28, v57
	v_lshlrev_b64 v[24:25], v24, v[8:9]
	v_lshrrev_b32_e32 v23, 3, v22
	v_sub_u32_e32 v25, 29, v57
	v_cmp_gt_u32_e64 s[0:1], 8, v22
	v_lshlrev_b32_e32 v8, 8, v8
	s_nop 0
	v_cndmask_b32_e64 v22, v23, v25, s[0:1]
	v_lshl_add_u32 v22, v22, 10, v36
	v_and_b32_e32 v23, 7, v24
	v_and_or_b32 v8, v8, s30, v22
	v_cndmask_b32_e64 v21, v21, v23, s[0:1]
	v_lshlrev_b32_e32 v8, 16, v8
	v_lshl_or_b32 v21, v21, 23, v8
.LBB256_609:                            ;   in Loop: Header=BB256_386 Depth=1
	s_or_b64 exec, exec, s[20:21]
.LBB256_610:                            ;   in Loop: Header=BB256_386 Depth=1
	s_or_b64 exec, exec, s[18:19]
.LBB256_611:                            ;   in Loop: Header=BB256_386 Depth=1
	s_or_b64 exec, exec, s[16:17]
	v_mov_b32_e32 v8, v19
	v_cmp_ne_u16_sdwa s[0:1], v19, v9 src0_sel:BYTE_0 src1_sel:DWORD
	v_mov_b32_e32 v22, 0
	v_mov_b32_e32 v23, 0
	s_and_saveexec_b64 s[16:17], s[0:1]
	s_cbranch_execz .LBB256_617
; %bb.612:                              ;   in Loop: Header=BB256_386 Depth=1
	v_cmp_ne_u16_sdwa s[0:1], v19, s28 src0_sel:BYTE_0 src1_sel:DWORD
	v_mov_b32_e32 v23, 0x8000
	s_and_saveexec_b64 s[18:19], s[0:1]
	s_cbranch_execz .LBB256_616
; %bb.613:                              ;   in Loop: Header=BB256_386 Depth=1
	v_and_b32_e32 v24, 0x7f, v19
	v_cmp_ne_u32_e64 s[0:1], s29, v24
	v_mov_b32_e32 v23, 0x7c01
	s_and_saveexec_b64 s[20:21], s[0:1]
	s_cbranch_execz .LBB256_615
; %bb.614:                              ;   in Loop: Header=BB256_386 Depth=1
	v_and_b32_e32 v23, 7, v19
	v_ffbh_u32_e32 v57, v23
	v_min_u32_e32 v57, 32, v57
	v_lshrrev_b32_e32 v25, 3, v24
	v_subrev_u32_e32 v58, 28, v57
	v_sub_u32_e32 v57, 29, v57
	v_cmp_gt_u32_e64 s[0:1], 8, v24
	v_lshlrev_b64 v[58:59], v58, v[8:9]
	s_nop 0
	v_cndmask_b32_e64 v24, v25, v57, s[0:1]
	v_lshl_add_u32 v24, v24, 10, v36
	v_lshlrev_b32_e32 v25, 8, v19
	v_and_b32_e32 v57, 7, v58
	v_and_b32_e32 v24, 0xfc00, v24
	v_cndmask_b32_e64 v23, v23, v57, s[0:1]
	v_and_or_b32 v24, v25, s30, v24
	v_lshl_or_b32 v23, v23, 7, v24
.LBB256_615:                            ;   in Loop: Header=BB256_386 Depth=1
	s_or_b64 exec, exec, s[20:21]
.LBB256_616:                            ;   in Loop: Header=BB256_386 Depth=1
	s_or_b64 exec, exec, s[18:19]
.LBB256_617:                            ;   in Loop: Header=BB256_386 Depth=1
	s_or_b64 exec, exec, s[16:17]
	v_lshrrev_b16_e32 v8, 8, v8
	v_cmp_ne_u16_e64 s[0:1], 0, v8
	v_mov_b32_e32 v24, 0
	s_and_saveexec_b64 s[16:17], s[0:1]
	s_cbranch_execz .LBB256_623
; %bb.618:                              ;   in Loop: Header=BB256_386 Depth=1
	v_cmp_ne_u16_e64 s[0:1], s28, v8
	v_bfrev_b32_e32 v24, 1
	s_and_saveexec_b64 s[18:19], s[0:1]
	s_cbranch_execz .LBB256_622
; %bb.619:                              ;   in Loop: Header=BB256_386 Depth=1
	v_and_b32_e32 v25, 0x7f, v8
	v_cmp_ne_u32_e64 s[0:1], s29, v25
	v_mov_b32_e32 v24, 0x7c010000
	s_and_saveexec_b64 s[20:21], s[0:1]
	s_cbranch_execz .LBB256_621
; %bb.620:                              ;   in Loop: Header=BB256_386 Depth=1
	v_and_b32_e32 v24, 7, v8
	v_ffbh_u32_e32 v58, v24
	v_min_u32_e32 v60, 32, v58
	v_subrev_u32_e32 v58, 28, v60
	v_lshlrev_b64 v[58:59], v58, v[8:9]
	v_lshrrev_b32_e32 v57, 3, v25
	v_sub_u32_e32 v59, 29, v60
	v_cmp_gt_u32_e64 s[0:1], 8, v25
	v_lshlrev_b32_e32 v8, 8, v8
	s_nop 0
	v_cndmask_b32_e64 v25, v57, v59, s[0:1]
	v_lshl_add_u32 v25, v25, 10, v36
	v_and_b32_e32 v57, 7, v58
	v_and_or_b32 v8, v8, s30, v25
	v_cndmask_b32_e64 v24, v24, v57, s[0:1]
	v_lshlrev_b32_e32 v8, 16, v8
	v_lshl_or_b32 v24, v24, 23, v8
.LBB256_621:                            ;   in Loop: Header=BB256_386 Depth=1
	s_or_b64 exec, exec, s[20:21]
.LBB256_622:                            ;   in Loop: Header=BB256_386 Depth=1
	s_or_b64 exec, exec, s[18:19]
.LBB256_623:                            ;   in Loop: Header=BB256_386 Depth=1
	s_or_b64 exec, exec, s[16:17]
	v_lshrrev_b32_e32 v8, 16, v19
	v_cmp_ne_u16_sdwa s[0:1], v8, v9 src0_sel:BYTE_0 src1_sel:DWORD
	s_and_saveexec_b64 s[16:17], s[0:1]
	s_cbranch_execz .LBB256_629
; %bb.624:                              ;   in Loop: Header=BB256_386 Depth=1
	v_cmp_ne_u16_sdwa s[0:1], v8, s28 src0_sel:BYTE_0 src1_sel:DWORD
	v_mov_b32_e32 v22, 0x8000
	s_and_saveexec_b64 s[18:19], s[0:1]
	s_cbranch_execz .LBB256_628
; %bb.625:                              ;   in Loop: Header=BB256_386 Depth=1
	v_bfe_u32 v25, v19, 16, 7
	v_cmp_ne_u32_e64 s[0:1], s29, v25
	v_mov_b32_e32 v22, 0x7c01
	s_and_saveexec_b64 s[20:21], s[0:1]
	s_cbranch_execz .LBB256_627
; %bb.626:                              ;   in Loop: Header=BB256_386 Depth=1
	v_and_b32_e32 v22, 7, v8
	v_ffbh_u32_e32 v58, v22
	v_min_u32_e32 v60, 32, v58
	v_subrev_u32_e32 v58, 28, v60
	v_lshlrev_b64 v[58:59], v58, v[8:9]
	v_lshrrev_b32_e32 v57, 3, v25
	v_sub_u32_e32 v59, 29, v60
	v_cmp_gt_u32_e64 s[0:1], 8, v25
	v_lshlrev_b32_e32 v8, 8, v8
	s_nop 0
	v_cndmask_b32_e64 v25, v57, v59, s[0:1]
	v_lshl_add_u32 v25, v25, 10, v36
	v_and_b32_e32 v57, 7, v58
	v_and_b32_e32 v25, 0xfc00, v25
	v_cndmask_b32_e64 v22, v22, v57, s[0:1]
	v_and_or_b32 v8, v8, s30, v25
	v_lshl_or_b32 v22, v22, 7, v8
.LBB256_627:                            ;   in Loop: Header=BB256_386 Depth=1
	s_or_b64 exec, exec, s[20:21]
.LBB256_628:                            ;   in Loop: Header=BB256_386 Depth=1
	s_or_b64 exec, exec, s[18:19]
.LBB256_629:                            ;   in Loop: Header=BB256_386 Depth=1
	s_or_b64 exec, exec, s[16:17]
	v_cmp_lt_u64_e64 s[0:1], s[6:7], v[18:19]
	v_mov_b32_e32 v18, 0
	s_and_saveexec_b64 s[16:17], s[0:1]
	s_cbranch_execz .LBB256_635
; %bb.630:                              ;   in Loop: Header=BB256_386 Depth=1
	v_lshrrev_b32_e32 v8, 24, v19
	v_cmp_ne_u32_e64 s[0:1], s28, v8
	v_bfrev_b32_e32 v18, 1
	s_and_saveexec_b64 s[18:19], s[0:1]
	s_cbranch_execz .LBB256_634
; %bb.631:                              ;   in Loop: Header=BB256_386 Depth=1
	v_and_b32_e32 v19, 0x7f, v8
	v_cmp_ne_u32_e64 s[0:1], s29, v19
	v_mov_b32_e32 v18, 0x7c010000
	s_and_saveexec_b64 s[20:21], s[0:1]
	s_cbranch_execz .LBB256_633
; %bb.632:                              ;   in Loop: Header=BB256_386 Depth=1
	v_and_b32_e32 v18, 7, v8
	v_ffbh_u32_e32 v57, v18
	v_min_u32_e32 v57, 32, v57
	v_lshrrev_b32_e32 v25, 3, v19
	v_subrev_u32_e32 v58, 28, v57
	v_sub_u32_e32 v57, 29, v57
	v_cmp_gt_u32_e64 s[0:1], 8, v19
	v_lshlrev_b64 v[58:59], v58, v[8:9]
	v_lshlrev_b32_e32 v8, 8, v8
	v_cndmask_b32_e64 v19, v25, v57, s[0:1]
	v_lshl_add_u32 v19, v19, 10, v36
	v_and_b32_e32 v25, 7, v58
	v_and_or_b32 v8, v8, s30, v19
	v_cndmask_b32_e64 v18, v18, v25, s[0:1]
	v_lshlrev_b32_e32 v8, 16, v8
	v_lshl_or_b32 v18, v18, 23, v8
.LBB256_633:                            ;   in Loop: Header=BB256_386 Depth=1
	s_or_b64 exec, exec, s[20:21]
.LBB256_634:                            ;   in Loop: Header=BB256_386 Depth=1
	s_or_b64 exec, exec, s[18:19]
.LBB256_635:                            ;   in Loop: Header=BB256_386 Depth=1
	s_or_b64 exec, exec, s[16:17]
	v_cvt_f32_f16_sdwa v59, v1 dst_sel:DWORD dst_unused:UNUSED_PAD src0_sel:WORD_1
	v_cvt_f32_f16_sdwa v58, v21 dst_sel:DWORD dst_unused:UNUSED_PAD src0_sel:WORD_1
	v_or_b32_e32 v1, v1, v17
	v_or_b32_e32 v8, v21, v20
	;; [unrolled: 1-line block ×3, first 2 shown]
	s_waitcnt vmcnt(0)
	v_pk_mul_f32 v[20:21], v[16:17], v[58:59] op_sel_hi:[0,1]
	v_cvt_f32_f16_e32 v58, v8
	v_cvt_f32_f16_e32 v59, v1
	v_cvt_pk_f16_f32 v1, v20, v21
	v_and_b32_e32 v17, 0xffff0000, v1
	v_lshlrev_b32_e32 v8, 16, v1
	v_pk_mul_f32 v[20:21], v[16:17], v[58:59] op_sel_hi:[0,1]
	v_cvt_pk_f16_f32 v1, v20, v21
	v_or_b32_e32 v21, v24, v23
	v_cvt_f32_f16_e32 v22, v22
	v_cvt_f32_f16_e32 v23, v21
	v_cvt_f32_f16_sdwa v25, v24 dst_sel:DWORD dst_unused:UNUSED_PAD src0_sel:WORD_1
	v_cvt_f32_f16_sdwa v24, v18 dst_sel:DWORD dst_unused:UNUSED_PAD src0_sel:WORD_1
	v_lshrrev_b32_e32 v19, 16, v1
	v_pk_mul_f32 v[22:23], v[16:17], v[22:23] op_sel_hi:[0,1]
	v_cvt_pk_f16_f32 v57, v22, v23
	v_pk_mul_f32 v[22:23], v[16:17], v[24:25] op_sel_hi:[0,1]
	v_cvt_pk_f16_f32 v16, v22, v23
	v_and_b32_e32 v20, 0xffff, v1
	v_and_b32_e32 v21, 0xffff0000, v16
	v_lshlrev_b32_e32 v16, 16, v16
	v_lshrrev_b32_e32 v23, 16, v57
	v_and_b32_e32 v22, 0xffff, v57
	v_or_b32_e32 v1, v17, v19
	v_or_b32_e32 v18, v8, v20
	;; [unrolled: 1-line block ×4, first 2 shown]
	s_and_saveexec_b64 s[16:17], vcc
	s_cbranch_execz .LBB256_637
; %bb.636:                              ;   in Loop: Header=BB256_386 Depth=1
	v_cmp_gt_i32_e64 s[0:1], s38, v37
	s_nop 1
	v_cndmask_b32_e64 v1, 0, v19, s[0:1]
	v_cmp_gt_i32_e64 s[0:1], s33, v44
	s_nop 1
	v_cndmask_b32_e64 v18, 0, v20, s[0:1]
	;; [unrolled: 3-line block ×3, first 2 shown]
	v_cmp_gt_i32_e64 s[0:1], s33, v42
	v_or_b32_e32 v1, v17, v1
	s_nop 0
	v_cndmask_b32_e64 v8, 0, v8, s[0:1]
	v_cmp_gt_i32_e64 s[0:1], s38, v41
	v_or_b32_e32 v18, v8, v18
	s_nop 0
	v_cndmask_b32_e64 v8, 0, v23, s[0:1]
	v_cmp_gt_i32_e64 s[0:1], s33, v40
	s_nop 1
	v_cndmask_b32_e64 v17, 0, v22, s[0:1]
	v_cmp_gt_i32_e64 s[0:1], s38, v39
	;; [unrolled: 3-line block ×3, first 2 shown]
	v_or_b32_e32 v25, v19, v8
	s_nop 0
	v_cndmask_b32_e64 v16, 0, v16, s[0:1]
	v_or_b32_e32 v24, v16, v17
.LBB256_637:                            ;   in Loop: Header=BB256_386 Depth=1
	s_or_b64 exec, exec, s[16:17]
	;;#ASMSTART
	v_pk_mul_f16 v1, v48, v1;

	;;#ASMEND
	;;#ASMSTART
	v_pk_mul_f16 v8, v47, v18;

	;;#ASMEND
	;; [unrolled: 4-line block ×4, first 2 shown]
	s_nop 0
	;;#ASMSTART
	v_pk_add_f16 v1, v1, v8;

	;;#ASMEND
	s_nop 0
	;;#ASMSTART
	v_pk_add_f16 v1, v1, v16;

	;;#ASMEND
	s_nop 0
	;;#ASMSTART
	v_pk_add_f16 v1, v1, v17;

	;;#ASMEND
	v_mov_b32_e32 v17, 0
	v_lshrrev_b32_e32 v8, 16, v1
	v_and_b32_e32 v1, 0xffff, v1
	;;#ASMSTART
	v_cvt_f32_f16 v57, v1;
	;;#ASMEND
	;;#ASMSTART
	v_cvt_f32_f16 v58, v8;
	;;#ASMEND
	global_load_dwordx2 v[18:19], v[14:15], off offset:2560
	v_mov_b32_e32 v1, 0
	global_load_dword v16, v1, s[14:15]
	s_waitcnt vmcnt(1)
	v_cmp_ne_u16_sdwa s[0:1], v18, v9 src0_sel:BYTE_0 src1_sel:DWORD
	s_and_saveexec_b64 s[16:17], s[0:1]
	s_cbranch_execz .LBB256_643
; %bb.638:                              ;   in Loop: Header=BB256_386 Depth=1
	v_cmp_ne_u16_sdwa s[0:1], v18, s28 src0_sel:BYTE_0 src1_sel:DWORD
	v_mov_b32_e32 v17, 0x8000
	s_and_saveexec_b64 s[18:19], s[0:1]
	s_cbranch_execz .LBB256_642
; %bb.639:                              ;   in Loop: Header=BB256_386 Depth=1
	v_and_b32_e32 v8, 0x7f, v18
	v_cmp_ne_u32_e64 s[0:1], s29, v8
	v_mov_b32_e32 v17, 0x7c01
	s_and_saveexec_b64 s[20:21], s[0:1]
	s_cbranch_execz .LBB256_641
; %bb.640:                              ;   in Loop: Header=BB256_386 Depth=1
	v_and_b32_e32 v17, 7, v18
	v_ffbh_u32_e32 v20, v17
	v_min_u32_e32 v23, 32, v20
	v_subrev_u32_e32 v20, 28, v23
	v_lshlrev_b64 v[20:21], v20, v[18:19]
	v_lshrrev_b32_e32 v22, 3, v8
	v_sub_u32_e32 v21, 29, v23
	v_cmp_gt_u32_e64 s[0:1], 8, v8
	v_and_b32_e32 v20, 7, v20
	s_nop 0
	v_cndmask_b32_e64 v8, v22, v21, s[0:1]
	v_lshl_add_u32 v8, v8, 10, v36
	v_lshlrev_b32_e32 v21, 8, v18
	v_and_b32_e32 v8, 0xfc00, v8
	v_cndmask_b32_e64 v17, v17, v20, s[0:1]
	v_and_or_b32 v8, v21, s30, v8
	v_lshl_or_b32 v17, v17, 7, v8
.LBB256_641:                            ;   in Loop: Header=BB256_386 Depth=1
	s_or_b64 exec, exec, s[20:21]
.LBB256_642:                            ;   in Loop: Header=BB256_386 Depth=1
	s_or_b64 exec, exec, s[18:19]
.LBB256_643:                            ;   in Loop: Header=BB256_386 Depth=1
	s_or_b64 exec, exec, s[16:17]
	v_lshrrev_b16_e32 v8, 8, v18
	v_cmp_ne_u16_e64 s[0:1], 0, v8
	s_and_saveexec_b64 s[16:17], s[0:1]
	s_cbranch_execz .LBB256_649
; %bb.644:                              ;   in Loop: Header=BB256_386 Depth=1
	v_cmp_ne_u16_e64 s[0:1], s28, v8
	v_bfrev_b32_e32 v1, 1
	s_and_saveexec_b64 s[18:19], s[0:1]
	s_cbranch_execz .LBB256_648
; %bb.645:                              ;   in Loop: Header=BB256_386 Depth=1
	v_and_b32_e32 v20, 0x7f, v8
	v_cmp_ne_u32_e64 s[0:1], s29, v20
	v_mov_b32_e32 v1, 0x7c010000
	s_and_saveexec_b64 s[20:21], s[0:1]
	s_cbranch_execz .LBB256_647
; %bb.646:                              ;   in Loop: Header=BB256_386 Depth=1
	v_and_b32_e32 v1, 7, v8
	v_ffbh_u32_e32 v22, v1
	v_min_u32_e32 v24, 32, v22
	v_subrev_u32_e32 v22, 28, v24
	v_lshlrev_b64 v[22:23], v22, v[8:9]
	v_lshrrev_b32_e32 v21, 3, v20
	v_sub_u32_e32 v23, 29, v24
	v_cmp_gt_u32_e64 s[0:1], 8, v20
	v_lshlrev_b32_e32 v8, 8, v8
	s_nop 0
	v_cndmask_b32_e64 v20, v21, v23, s[0:1]
	v_lshl_add_u32 v20, v20, 10, v36
	v_and_b32_e32 v21, 7, v22
	v_and_or_b32 v8, v8, s30, v20
	v_cndmask_b32_e64 v1, v1, v21, s[0:1]
	v_lshlrev_b32_e32 v8, 16, v8
	v_lshl_or_b32 v1, v1, 23, v8
.LBB256_647:                            ;   in Loop: Header=BB256_386 Depth=1
	s_or_b64 exec, exec, s[20:21]
.LBB256_648:                            ;   in Loop: Header=BB256_386 Depth=1
	s_or_b64 exec, exec, s[18:19]
.LBB256_649:                            ;   in Loop: Header=BB256_386 Depth=1
	s_or_b64 exec, exec, s[16:17]
	v_lshrrev_b32_e32 v8, 16, v18
	v_cmp_ne_u16_sdwa s[0:1], v8, v9 src0_sel:BYTE_0 src1_sel:DWORD
	v_mov_b32_e32 v21, 0
	v_mov_b32_e32 v20, 0
	s_and_saveexec_b64 s[16:17], s[0:1]
	s_cbranch_execz .LBB256_655
; %bb.650:                              ;   in Loop: Header=BB256_386 Depth=1
	v_cmp_ne_u16_sdwa s[0:1], v8, s28 src0_sel:BYTE_0 src1_sel:DWORD
	v_mov_b32_e32 v20, 0x8000
	s_and_saveexec_b64 s[18:19], s[0:1]
	s_cbranch_execz .LBB256_654
; %bb.651:                              ;   in Loop: Header=BB256_386 Depth=1
	v_bfe_u32 v22, v18, 16, 7
	v_cmp_ne_u32_e64 s[0:1], s29, v22
	v_mov_b32_e32 v20, 0x7c01
	s_and_saveexec_b64 s[20:21], s[0:1]
	s_cbranch_execz .LBB256_653
; %bb.652:                              ;   in Loop: Header=BB256_386 Depth=1
	v_and_b32_e32 v20, 7, v8
	v_ffbh_u32_e32 v24, v20
	v_min_u32_e32 v59, 32, v24
	v_subrev_u32_e32 v24, 28, v59
	v_lshlrev_b64 v[24:25], v24, v[8:9]
	v_lshrrev_b32_e32 v23, 3, v22
	v_sub_u32_e32 v25, 29, v59
	v_cmp_gt_u32_e64 s[0:1], 8, v22
	v_lshlrev_b32_e32 v8, 8, v8
	s_nop 0
	v_cndmask_b32_e64 v22, v23, v25, s[0:1]
	v_lshl_add_u32 v22, v22, 10, v36
	v_and_b32_e32 v23, 7, v24
	v_and_b32_e32 v22, 0xfc00, v22
	v_cndmask_b32_e64 v20, v20, v23, s[0:1]
	v_and_or_b32 v8, v8, s30, v22
	v_lshl_or_b32 v20, v20, 7, v8
.LBB256_653:                            ;   in Loop: Header=BB256_386 Depth=1
	s_or_b64 exec, exec, s[20:21]
.LBB256_654:                            ;   in Loop: Header=BB256_386 Depth=1
	s_or_b64 exec, exec, s[18:19]
.LBB256_655:                            ;   in Loop: Header=BB256_386 Depth=1
	s_or_b64 exec, exec, s[16:17]
	v_cmp_lt_u32_e64 s[0:1], s7, v18
	s_and_saveexec_b64 s[16:17], s[0:1]
	s_cbranch_execz .LBB256_661
; %bb.656:                              ;   in Loop: Header=BB256_386 Depth=1
	v_lshrrev_b32_e32 v8, 24, v18
	v_cmp_ne_u32_e64 s[0:1], s28, v8
	v_bfrev_b32_e32 v21, 1
	s_and_saveexec_b64 s[18:19], s[0:1]
	s_cbranch_execz .LBB256_660
; %bb.657:                              ;   in Loop: Header=BB256_386 Depth=1
	v_and_b32_e32 v22, 0x7f, v8
	v_cmp_ne_u32_e64 s[0:1], s29, v22
	v_mov_b32_e32 v21, 0x7c010000
	s_and_saveexec_b64 s[20:21], s[0:1]
	s_cbranch_execz .LBB256_659
; %bb.658:                              ;   in Loop: Header=BB256_386 Depth=1
	v_and_b32_e32 v21, 7, v8
	v_ffbh_u32_e32 v24, v21
	v_min_u32_e32 v59, 32, v24
	v_subrev_u32_e32 v24, 28, v59
	v_lshlrev_b64 v[24:25], v24, v[8:9]
	v_lshrrev_b32_e32 v23, 3, v22
	v_sub_u32_e32 v25, 29, v59
	v_cmp_gt_u32_e64 s[0:1], 8, v22
	v_lshlrev_b32_e32 v8, 8, v8
	s_nop 0
	v_cndmask_b32_e64 v22, v23, v25, s[0:1]
	v_lshl_add_u32 v22, v22, 10, v36
	v_and_b32_e32 v23, 7, v24
	v_and_or_b32 v8, v8, s30, v22
	v_cndmask_b32_e64 v21, v21, v23, s[0:1]
	v_lshlrev_b32_e32 v8, 16, v8
	v_lshl_or_b32 v21, v21, 23, v8
.LBB256_659:                            ;   in Loop: Header=BB256_386 Depth=1
	s_or_b64 exec, exec, s[20:21]
.LBB256_660:                            ;   in Loop: Header=BB256_386 Depth=1
	s_or_b64 exec, exec, s[18:19]
.LBB256_661:                            ;   in Loop: Header=BB256_386 Depth=1
	s_or_b64 exec, exec, s[16:17]
	v_mov_b32_e32 v8, v19
	v_cmp_ne_u16_sdwa s[0:1], v19, v9 src0_sel:BYTE_0 src1_sel:DWORD
	v_mov_b32_e32 v22, 0
	v_mov_b32_e32 v23, 0
	s_and_saveexec_b64 s[16:17], s[0:1]
	s_cbranch_execz .LBB256_667
; %bb.662:                              ;   in Loop: Header=BB256_386 Depth=1
	v_cmp_ne_u16_sdwa s[0:1], v19, s28 src0_sel:BYTE_0 src1_sel:DWORD
	v_mov_b32_e32 v23, 0x8000
	s_and_saveexec_b64 s[18:19], s[0:1]
	s_cbranch_execz .LBB256_666
; %bb.663:                              ;   in Loop: Header=BB256_386 Depth=1
	v_and_b32_e32 v24, 0x7f, v19
	v_cmp_ne_u32_e64 s[0:1], s29, v24
	v_mov_b32_e32 v23, 0x7c01
	s_and_saveexec_b64 s[20:21], s[0:1]
	s_cbranch_execz .LBB256_665
; %bb.664:                              ;   in Loop: Header=BB256_386 Depth=1
	v_and_b32_e32 v23, 7, v19
	v_ffbh_u32_e32 v59, v23
	v_min_u32_e32 v59, 32, v59
	v_lshrrev_b32_e32 v25, 3, v24
	v_subrev_u32_e32 v60, 28, v59
	v_sub_u32_e32 v59, 29, v59
	v_cmp_gt_u32_e64 s[0:1], 8, v24
	v_lshlrev_b64 v[60:61], v60, v[8:9]
	s_nop 0
	v_cndmask_b32_e64 v24, v25, v59, s[0:1]
	v_lshl_add_u32 v24, v24, 10, v36
	v_lshlrev_b32_e32 v25, 8, v19
	v_and_b32_e32 v59, 7, v60
	v_and_b32_e32 v24, 0xfc00, v24
	v_cndmask_b32_e64 v23, v23, v59, s[0:1]
	v_and_or_b32 v24, v25, s30, v24
	v_lshl_or_b32 v23, v23, 7, v24
.LBB256_665:                            ;   in Loop: Header=BB256_386 Depth=1
	s_or_b64 exec, exec, s[20:21]
.LBB256_666:                            ;   in Loop: Header=BB256_386 Depth=1
	s_or_b64 exec, exec, s[18:19]
.LBB256_667:                            ;   in Loop: Header=BB256_386 Depth=1
	s_or_b64 exec, exec, s[16:17]
	v_lshrrev_b16_e32 v8, 8, v8
	v_cmp_ne_u16_e64 s[0:1], 0, v8
	v_mov_b32_e32 v24, 0
	s_and_saveexec_b64 s[16:17], s[0:1]
	s_cbranch_execz .LBB256_673
; %bb.668:                              ;   in Loop: Header=BB256_386 Depth=1
	v_cmp_ne_u16_e64 s[0:1], s28, v8
	v_bfrev_b32_e32 v24, 1
	s_and_saveexec_b64 s[18:19], s[0:1]
	s_cbranch_execz .LBB256_672
; %bb.669:                              ;   in Loop: Header=BB256_386 Depth=1
	v_and_b32_e32 v25, 0x7f, v8
	v_cmp_ne_u32_e64 s[0:1], s29, v25
	v_mov_b32_e32 v24, 0x7c010000
	s_and_saveexec_b64 s[20:21], s[0:1]
	s_cbranch_execz .LBB256_671
; %bb.670:                              ;   in Loop: Header=BB256_386 Depth=1
	v_and_b32_e32 v24, 7, v8
	v_ffbh_u32_e32 v60, v24
	v_min_u32_e32 v62, 32, v60
	v_subrev_u32_e32 v60, 28, v62
	v_lshlrev_b64 v[60:61], v60, v[8:9]
	v_lshrrev_b32_e32 v59, 3, v25
	v_sub_u32_e32 v61, 29, v62
	v_cmp_gt_u32_e64 s[0:1], 8, v25
	v_lshlrev_b32_e32 v8, 8, v8
	s_nop 0
	v_cndmask_b32_e64 v25, v59, v61, s[0:1]
	v_lshl_add_u32 v25, v25, 10, v36
	v_and_b32_e32 v59, 7, v60
	v_and_or_b32 v8, v8, s30, v25
	v_cndmask_b32_e64 v24, v24, v59, s[0:1]
	v_lshlrev_b32_e32 v8, 16, v8
	v_lshl_or_b32 v24, v24, 23, v8
.LBB256_671:                            ;   in Loop: Header=BB256_386 Depth=1
	s_or_b64 exec, exec, s[20:21]
.LBB256_672:                            ;   in Loop: Header=BB256_386 Depth=1
	s_or_b64 exec, exec, s[18:19]
.LBB256_673:                            ;   in Loop: Header=BB256_386 Depth=1
	s_or_b64 exec, exec, s[16:17]
	v_lshrrev_b32_e32 v8, 16, v19
	v_cmp_ne_u16_sdwa s[0:1], v8, v9 src0_sel:BYTE_0 src1_sel:DWORD
	s_and_saveexec_b64 s[16:17], s[0:1]
	s_cbranch_execz .LBB256_679
; %bb.674:                              ;   in Loop: Header=BB256_386 Depth=1
	v_cmp_ne_u16_sdwa s[0:1], v8, s28 src0_sel:BYTE_0 src1_sel:DWORD
	v_mov_b32_e32 v22, 0x8000
	s_and_saveexec_b64 s[18:19], s[0:1]
	s_cbranch_execz .LBB256_678
; %bb.675:                              ;   in Loop: Header=BB256_386 Depth=1
	v_bfe_u32 v25, v19, 16, 7
	v_cmp_ne_u32_e64 s[0:1], s29, v25
	v_mov_b32_e32 v22, 0x7c01
	s_and_saveexec_b64 s[20:21], s[0:1]
	s_cbranch_execz .LBB256_677
; %bb.676:                              ;   in Loop: Header=BB256_386 Depth=1
	v_and_b32_e32 v22, 7, v8
	v_ffbh_u32_e32 v60, v22
	v_min_u32_e32 v62, 32, v60
	v_subrev_u32_e32 v60, 28, v62
	v_lshlrev_b64 v[60:61], v60, v[8:9]
	v_lshrrev_b32_e32 v59, 3, v25
	v_sub_u32_e32 v61, 29, v62
	v_cmp_gt_u32_e64 s[0:1], 8, v25
	v_lshlrev_b32_e32 v8, 8, v8
	s_nop 0
	v_cndmask_b32_e64 v25, v59, v61, s[0:1]
	v_lshl_add_u32 v25, v25, 10, v36
	v_and_b32_e32 v59, 7, v60
	v_and_b32_e32 v25, 0xfc00, v25
	v_cndmask_b32_e64 v22, v22, v59, s[0:1]
	v_and_or_b32 v8, v8, s30, v25
	v_lshl_or_b32 v22, v22, 7, v8
.LBB256_677:                            ;   in Loop: Header=BB256_386 Depth=1
	s_or_b64 exec, exec, s[20:21]
.LBB256_678:                            ;   in Loop: Header=BB256_386 Depth=1
	s_or_b64 exec, exec, s[18:19]
.LBB256_679:                            ;   in Loop: Header=BB256_386 Depth=1
	s_or_b64 exec, exec, s[16:17]
	v_cmp_lt_u64_e64 s[0:1], s[6:7], v[18:19]
	v_mov_b32_e32 v18, 0
	s_and_saveexec_b64 s[16:17], s[0:1]
	s_cbranch_execz .LBB256_685
; %bb.680:                              ;   in Loop: Header=BB256_386 Depth=1
	v_lshrrev_b32_e32 v8, 24, v19
	v_cmp_ne_u32_e64 s[0:1], s28, v8
	v_bfrev_b32_e32 v18, 1
	s_and_saveexec_b64 s[18:19], s[0:1]
	s_cbranch_execz .LBB256_684
; %bb.681:                              ;   in Loop: Header=BB256_386 Depth=1
	v_and_b32_e32 v19, 0x7f, v8
	v_cmp_ne_u32_e64 s[0:1], s29, v19
	v_mov_b32_e32 v18, 0x7c010000
	s_and_saveexec_b64 s[20:21], s[0:1]
	s_cbranch_execz .LBB256_683
; %bb.682:                              ;   in Loop: Header=BB256_386 Depth=1
	v_and_b32_e32 v18, 7, v8
	v_ffbh_u32_e32 v59, v18
	v_min_u32_e32 v59, 32, v59
	v_lshrrev_b32_e32 v25, 3, v19
	v_subrev_u32_e32 v60, 28, v59
	v_sub_u32_e32 v59, 29, v59
	v_cmp_gt_u32_e64 s[0:1], 8, v19
	v_lshlrev_b64 v[60:61], v60, v[8:9]
	v_lshlrev_b32_e32 v8, 8, v8
	v_cndmask_b32_e64 v19, v25, v59, s[0:1]
	v_lshl_add_u32 v19, v19, 10, v36
	v_and_b32_e32 v25, 7, v60
	v_and_or_b32 v8, v8, s30, v19
	v_cndmask_b32_e64 v18, v18, v25, s[0:1]
	v_lshlrev_b32_e32 v8, 16, v8
	v_lshl_or_b32 v18, v18, 23, v8
.LBB256_683:                            ;   in Loop: Header=BB256_386 Depth=1
	s_or_b64 exec, exec, s[20:21]
.LBB256_684:                            ;   in Loop: Header=BB256_386 Depth=1
	s_or_b64 exec, exec, s[18:19]
.LBB256_685:                            ;   in Loop: Header=BB256_386 Depth=1
	s_or_b64 exec, exec, s[16:17]
	v_cvt_f32_f16_sdwa v61, v1 dst_sel:DWORD dst_unused:UNUSED_PAD src0_sel:WORD_1
	v_cvt_f32_f16_sdwa v60, v21 dst_sel:DWORD dst_unused:UNUSED_PAD src0_sel:WORD_1
	v_or_b32_e32 v1, v1, v17
	v_or_b32_e32 v8, v21, v20
	;; [unrolled: 1-line block ×3, first 2 shown]
	s_waitcnt vmcnt(0)
	v_pk_mul_f32 v[20:21], v[16:17], v[60:61] op_sel_hi:[0,1]
	v_cvt_f32_f16_e32 v60, v8
	v_cvt_f32_f16_e32 v61, v1
	v_cvt_pk_f16_f32 v1, v20, v21
	v_and_b32_e32 v17, 0xffff0000, v1
	v_lshlrev_b32_e32 v8, 16, v1
	v_pk_mul_f32 v[20:21], v[16:17], v[60:61] op_sel_hi:[0,1]
	v_cvt_pk_f16_f32 v1, v20, v21
	v_or_b32_e32 v21, v24, v23
	v_cvt_f32_f16_e32 v22, v22
	v_cvt_f32_f16_e32 v23, v21
	v_cvt_f32_f16_sdwa v25, v24 dst_sel:DWORD dst_unused:UNUSED_PAD src0_sel:WORD_1
	v_cvt_f32_f16_sdwa v24, v18 dst_sel:DWORD dst_unused:UNUSED_PAD src0_sel:WORD_1
	v_lshrrev_b32_e32 v19, 16, v1
	v_pk_mul_f32 v[22:23], v[16:17], v[22:23] op_sel_hi:[0,1]
	v_cvt_pk_f16_f32 v59, v22, v23
	v_pk_mul_f32 v[22:23], v[16:17], v[24:25] op_sel_hi:[0,1]
	v_cvt_pk_f16_f32 v16, v22, v23
	v_and_b32_e32 v20, 0xffff, v1
	v_and_b32_e32 v21, 0xffff0000, v16
	v_lshlrev_b32_e32 v16, 16, v16
	v_lshrrev_b32_e32 v23, 16, v59
	v_and_b32_e32 v22, 0xffff, v59
	v_or_b32_e32 v1, v17, v19
	v_or_b32_e32 v18, v8, v20
	;; [unrolled: 1-line block ×4, first 2 shown]
	s_and_saveexec_b64 s[16:17], vcc
	s_cbranch_execz .LBB256_687
; %bb.686:                              ;   in Loop: Header=BB256_386 Depth=1
	v_cmp_gt_i32_e64 s[0:1], s38, v37
	s_nop 1
	v_cndmask_b32_e64 v1, 0, v19, s[0:1]
	v_cmp_gt_i32_e64 s[0:1], s33, v44
	s_nop 1
	v_cndmask_b32_e64 v18, 0, v20, s[0:1]
	;; [unrolled: 3-line block ×3, first 2 shown]
	v_cmp_gt_i32_e64 s[0:1], s33, v42
	v_or_b32_e32 v1, v17, v1
	s_nop 0
	v_cndmask_b32_e64 v8, 0, v8, s[0:1]
	v_cmp_gt_i32_e64 s[0:1], s38, v41
	v_or_b32_e32 v18, v8, v18
	s_nop 0
	v_cndmask_b32_e64 v8, 0, v23, s[0:1]
	v_cmp_gt_i32_e64 s[0:1], s33, v40
	s_nop 1
	v_cndmask_b32_e64 v17, 0, v22, s[0:1]
	v_cmp_gt_i32_e64 s[0:1], s38, v39
	;; [unrolled: 3-line block ×3, first 2 shown]
	v_or_b32_e32 v25, v19, v8
	s_nop 0
	v_cndmask_b32_e64 v16, 0, v16, s[0:1]
	v_or_b32_e32 v24, v16, v17
.LBB256_687:                            ;   in Loop: Header=BB256_386 Depth=1
	s_or_b64 exec, exec, s[16:17]
	;;#ASMSTART
	v_pk_mul_f16 v1, v48, v1;

	;;#ASMEND
	;;#ASMSTART
	v_pk_mul_f16 v8, v47, v18;

	;;#ASMEND
	;; [unrolled: 4-line block ×4, first 2 shown]
	s_nop 0
	;;#ASMSTART
	v_pk_add_f16 v1, v1, v8;

	;;#ASMEND
	s_nop 0
	;;#ASMSTART
	v_pk_add_f16 v1, v1, v16;

	;;#ASMEND
	;; [unrolled: 5-line block ×3, first 2 shown]
	s_nop 0
	v_lshrrev_b32_e32 v8, 16, v1
	v_and_b32_e32 v1, 0xffff, v1
	;;#ASMSTART
	v_cvt_f32_f16 v24, v1;
	;;#ASMEND
	;;#ASMSTART
	v_cvt_f32_f16 v25, v8;
	;;#ASMEND
	global_load_dwordx2 v[16:17], v[14:15], off offset:3072
	v_mov_b32_e32 v1, 0
	global_load_dword v14, v1, s[14:15]
	v_mov_b32_e32 v15, 0
	s_waitcnt vmcnt(1)
	v_cmp_ne_u16_sdwa s[0:1], v16, v9 src0_sel:BYTE_0 src1_sel:DWORD
	s_and_saveexec_b64 s[16:17], s[0:1]
	s_cbranch_execz .LBB256_693
; %bb.688:                              ;   in Loop: Header=BB256_386 Depth=1
	v_cmp_ne_u16_sdwa s[0:1], v16, s28 src0_sel:BYTE_0 src1_sel:DWORD
	v_mov_b32_e32 v15, 0x8000
	s_and_saveexec_b64 s[18:19], s[0:1]
	s_cbranch_execz .LBB256_692
; %bb.689:                              ;   in Loop: Header=BB256_386 Depth=1
	v_and_b32_e32 v8, 0x7f, v16
	v_cmp_ne_u32_e64 s[0:1], s29, v8
	v_mov_b32_e32 v15, 0x7c01
	s_and_saveexec_b64 s[20:21], s[0:1]
	s_cbranch_execz .LBB256_691
; %bb.690:                              ;   in Loop: Header=BB256_386 Depth=1
	v_and_b32_e32 v15, 7, v16
	v_ffbh_u32_e32 v18, v15
	v_min_u32_e32 v21, 32, v18
	v_subrev_u32_e32 v18, 28, v21
	v_lshlrev_b64 v[18:19], v18, v[16:17]
	v_lshrrev_b32_e32 v20, 3, v8
	v_sub_u32_e32 v19, 29, v21
	v_cmp_gt_u32_e64 s[0:1], 8, v8
	v_and_b32_e32 v18, 7, v18
	s_nop 0
	v_cndmask_b32_e64 v8, v20, v19, s[0:1]
	v_lshl_add_u32 v8, v8, 10, v36
	v_lshlrev_b32_e32 v19, 8, v16
	v_and_b32_e32 v8, 0xfc00, v8
	v_cndmask_b32_e64 v15, v15, v18, s[0:1]
	v_and_or_b32 v8, v19, s30, v8
	v_lshl_or_b32 v15, v15, 7, v8
.LBB256_691:                            ;   in Loop: Header=BB256_386 Depth=1
	s_or_b64 exec, exec, s[20:21]
.LBB256_692:                            ;   in Loop: Header=BB256_386 Depth=1
	s_or_b64 exec, exec, s[18:19]
.LBB256_693:                            ;   in Loop: Header=BB256_386 Depth=1
	s_or_b64 exec, exec, s[16:17]
	v_lshrrev_b16_e32 v8, 8, v16
	v_cmp_ne_u16_e64 s[0:1], 0, v8
	s_and_saveexec_b64 s[16:17], s[0:1]
	s_cbranch_execz .LBB256_699
; %bb.694:                              ;   in Loop: Header=BB256_386 Depth=1
	v_cmp_ne_u16_e64 s[0:1], s28, v8
	v_bfrev_b32_e32 v1, 1
	s_and_saveexec_b64 s[18:19], s[0:1]
	s_cbranch_execz .LBB256_698
; %bb.695:                              ;   in Loop: Header=BB256_386 Depth=1
	v_and_b32_e32 v18, 0x7f, v8
	v_cmp_ne_u32_e64 s[0:1], s29, v18
	v_mov_b32_e32 v1, 0x7c010000
	s_and_saveexec_b64 s[20:21], s[0:1]
	s_cbranch_execz .LBB256_697
; %bb.696:                              ;   in Loop: Header=BB256_386 Depth=1
	v_and_b32_e32 v1, 7, v8
	v_ffbh_u32_e32 v20, v1
	v_min_u32_e32 v22, 32, v20
	v_subrev_u32_e32 v20, 28, v22
	v_lshlrev_b64 v[20:21], v20, v[8:9]
	v_lshrrev_b32_e32 v19, 3, v18
	v_sub_u32_e32 v21, 29, v22
	v_cmp_gt_u32_e64 s[0:1], 8, v18
	v_lshlrev_b32_e32 v8, 8, v8
	s_nop 0
	v_cndmask_b32_e64 v18, v19, v21, s[0:1]
	v_lshl_add_u32 v18, v18, 10, v36
	v_and_b32_e32 v19, 7, v20
	v_and_or_b32 v8, v8, s30, v18
	v_cndmask_b32_e64 v1, v1, v19, s[0:1]
	v_lshlrev_b32_e32 v8, 16, v8
	v_lshl_or_b32 v1, v1, 23, v8
.LBB256_697:                            ;   in Loop: Header=BB256_386 Depth=1
	s_or_b64 exec, exec, s[20:21]
.LBB256_698:                            ;   in Loop: Header=BB256_386 Depth=1
	s_or_b64 exec, exec, s[18:19]
.LBB256_699:                            ;   in Loop: Header=BB256_386 Depth=1
	s_or_b64 exec, exec, s[16:17]
	v_lshrrev_b32_e32 v8, 16, v16
	v_cmp_ne_u16_sdwa s[0:1], v8, v9 src0_sel:BYTE_0 src1_sel:DWORD
	v_mov_b32_e32 v19, 0
	v_mov_b32_e32 v18, 0
	s_and_saveexec_b64 s[16:17], s[0:1]
	s_cbranch_execz .LBB256_705
; %bb.700:                              ;   in Loop: Header=BB256_386 Depth=1
	v_cmp_ne_u16_sdwa s[0:1], v8, s28 src0_sel:BYTE_0 src1_sel:DWORD
	v_mov_b32_e32 v18, 0x8000
	s_and_saveexec_b64 s[18:19], s[0:1]
	s_cbranch_execz .LBB256_704
; %bb.701:                              ;   in Loop: Header=BB256_386 Depth=1
	v_bfe_u32 v20, v16, 16, 7
	v_cmp_ne_u32_e64 s[0:1], s29, v20
	v_mov_b32_e32 v18, 0x7c01
	s_and_saveexec_b64 s[20:21], s[0:1]
	s_cbranch_execz .LBB256_703
; %bb.702:                              ;   in Loop: Header=BB256_386 Depth=1
	v_and_b32_e32 v18, 7, v8
	v_ffbh_u32_e32 v22, v18
	v_min_u32_e32 v59, 32, v22
	v_subrev_u32_e32 v22, 28, v59
	v_lshlrev_b64 v[22:23], v22, v[8:9]
	v_lshrrev_b32_e32 v21, 3, v20
	v_sub_u32_e32 v23, 29, v59
	v_cmp_gt_u32_e64 s[0:1], 8, v20
	v_lshlrev_b32_e32 v8, 8, v8
	s_nop 0
	v_cndmask_b32_e64 v20, v21, v23, s[0:1]
	v_lshl_add_u32 v20, v20, 10, v36
	v_and_b32_e32 v21, 7, v22
	v_and_b32_e32 v20, 0xfc00, v20
	v_cndmask_b32_e64 v18, v18, v21, s[0:1]
	v_and_or_b32 v8, v8, s30, v20
	v_lshl_or_b32 v18, v18, 7, v8
.LBB256_703:                            ;   in Loop: Header=BB256_386 Depth=1
	s_or_b64 exec, exec, s[20:21]
.LBB256_704:                            ;   in Loop: Header=BB256_386 Depth=1
	s_or_b64 exec, exec, s[18:19]
.LBB256_705:                            ;   in Loop: Header=BB256_386 Depth=1
	s_or_b64 exec, exec, s[16:17]
	v_cmp_lt_u32_e64 s[0:1], s7, v16
	s_and_saveexec_b64 s[16:17], s[0:1]
	s_cbranch_execz .LBB256_711
; %bb.706:                              ;   in Loop: Header=BB256_386 Depth=1
	v_lshrrev_b32_e32 v8, 24, v16
	v_cmp_ne_u32_e64 s[0:1], s28, v8
	v_bfrev_b32_e32 v19, 1
	s_and_saveexec_b64 s[18:19], s[0:1]
	s_cbranch_execz .LBB256_710
; %bb.707:                              ;   in Loop: Header=BB256_386 Depth=1
	v_and_b32_e32 v20, 0x7f, v8
	v_cmp_ne_u32_e64 s[0:1], s29, v20
	v_mov_b32_e32 v19, 0x7c010000
	s_and_saveexec_b64 s[20:21], s[0:1]
	s_cbranch_execz .LBB256_709
; %bb.708:                              ;   in Loop: Header=BB256_386 Depth=1
	v_and_b32_e32 v19, 7, v8
	v_ffbh_u32_e32 v22, v19
	v_min_u32_e32 v59, 32, v22
	v_subrev_u32_e32 v22, 28, v59
	v_lshlrev_b64 v[22:23], v22, v[8:9]
	v_lshrrev_b32_e32 v21, 3, v20
	v_sub_u32_e32 v23, 29, v59
	v_cmp_gt_u32_e64 s[0:1], 8, v20
	v_lshlrev_b32_e32 v8, 8, v8
	s_nop 0
	v_cndmask_b32_e64 v20, v21, v23, s[0:1]
	v_lshl_add_u32 v20, v20, 10, v36
	v_and_b32_e32 v21, 7, v22
	v_and_or_b32 v8, v8, s30, v20
	v_cndmask_b32_e64 v19, v19, v21, s[0:1]
	v_lshlrev_b32_e32 v8, 16, v8
	v_lshl_or_b32 v19, v19, 23, v8
.LBB256_709:                            ;   in Loop: Header=BB256_386 Depth=1
	s_or_b64 exec, exec, s[20:21]
.LBB256_710:                            ;   in Loop: Header=BB256_386 Depth=1
	s_or_b64 exec, exec, s[18:19]
.LBB256_711:                            ;   in Loop: Header=BB256_386 Depth=1
	s_or_b64 exec, exec, s[16:17]
	v_mov_b32_e32 v8, v17
	v_cmp_ne_u16_sdwa s[0:1], v17, v9 src0_sel:BYTE_0 src1_sel:DWORD
	v_mov_b32_e32 v20, 0
	v_mov_b32_e32 v21, 0
	s_and_saveexec_b64 s[16:17], s[0:1]
	s_cbranch_execz .LBB256_717
; %bb.712:                              ;   in Loop: Header=BB256_386 Depth=1
	v_cmp_ne_u16_sdwa s[0:1], v17, s28 src0_sel:BYTE_0 src1_sel:DWORD
	v_mov_b32_e32 v21, 0x8000
	s_and_saveexec_b64 s[18:19], s[0:1]
	s_cbranch_execz .LBB256_716
; %bb.713:                              ;   in Loop: Header=BB256_386 Depth=1
	v_and_b32_e32 v22, 0x7f, v17
	v_cmp_ne_u32_e64 s[0:1], s29, v22
	v_mov_b32_e32 v21, 0x7c01
	s_and_saveexec_b64 s[20:21], s[0:1]
	s_cbranch_execz .LBB256_715
; %bb.714:                              ;   in Loop: Header=BB256_386 Depth=1
	v_and_b32_e32 v21, 7, v17
	v_ffbh_u32_e32 v59, v21
	v_min_u32_e32 v59, 32, v59
	v_lshrrev_b32_e32 v23, 3, v22
	v_subrev_u32_e32 v60, 28, v59
	v_sub_u32_e32 v59, 29, v59
	v_cmp_gt_u32_e64 s[0:1], 8, v22
	v_lshlrev_b64 v[60:61], v60, v[8:9]
	s_nop 0
	v_cndmask_b32_e64 v22, v23, v59, s[0:1]
	v_lshl_add_u32 v22, v22, 10, v36
	v_lshlrev_b32_e32 v23, 8, v17
	v_and_b32_e32 v59, 7, v60
	v_and_b32_e32 v22, 0xfc00, v22
	v_cndmask_b32_e64 v21, v21, v59, s[0:1]
	v_and_or_b32 v22, v23, s30, v22
	v_lshl_or_b32 v21, v21, 7, v22
.LBB256_715:                            ;   in Loop: Header=BB256_386 Depth=1
	s_or_b64 exec, exec, s[20:21]
.LBB256_716:                            ;   in Loop: Header=BB256_386 Depth=1
	s_or_b64 exec, exec, s[18:19]
.LBB256_717:                            ;   in Loop: Header=BB256_386 Depth=1
	s_or_b64 exec, exec, s[16:17]
	v_lshrrev_b16_e32 v8, 8, v8
	v_cmp_ne_u16_e64 s[0:1], 0, v8
	v_mov_b32_e32 v22, 0
	s_and_saveexec_b64 s[16:17], s[0:1]
	s_cbranch_execz .LBB256_723
; %bb.718:                              ;   in Loop: Header=BB256_386 Depth=1
	v_cmp_ne_u16_e64 s[0:1], s28, v8
	v_bfrev_b32_e32 v22, 1
	s_and_saveexec_b64 s[18:19], s[0:1]
	s_cbranch_execz .LBB256_722
; %bb.719:                              ;   in Loop: Header=BB256_386 Depth=1
	v_and_b32_e32 v23, 0x7f, v8
	v_cmp_ne_u32_e64 s[0:1], s29, v23
	v_mov_b32_e32 v22, 0x7c010000
	s_and_saveexec_b64 s[20:21], s[0:1]
	s_cbranch_execz .LBB256_721
; %bb.720:                              ;   in Loop: Header=BB256_386 Depth=1
	v_and_b32_e32 v22, 7, v8
	v_ffbh_u32_e32 v60, v22
	v_min_u32_e32 v62, 32, v60
	v_subrev_u32_e32 v60, 28, v62
	v_lshlrev_b64 v[60:61], v60, v[8:9]
	v_lshrrev_b32_e32 v59, 3, v23
	v_sub_u32_e32 v61, 29, v62
	v_cmp_gt_u32_e64 s[0:1], 8, v23
	v_lshlrev_b32_e32 v8, 8, v8
	s_nop 0
	v_cndmask_b32_e64 v23, v59, v61, s[0:1]
	v_lshl_add_u32 v23, v23, 10, v36
	v_and_b32_e32 v59, 7, v60
	v_and_or_b32 v8, v8, s30, v23
	v_cndmask_b32_e64 v22, v22, v59, s[0:1]
	v_lshlrev_b32_e32 v8, 16, v8
	v_lshl_or_b32 v22, v22, 23, v8
.LBB256_721:                            ;   in Loop: Header=BB256_386 Depth=1
	s_or_b64 exec, exec, s[20:21]
.LBB256_722:                            ;   in Loop: Header=BB256_386 Depth=1
	s_or_b64 exec, exec, s[18:19]
.LBB256_723:                            ;   in Loop: Header=BB256_386 Depth=1
	s_or_b64 exec, exec, s[16:17]
	v_lshrrev_b32_e32 v8, 16, v17
	v_cmp_ne_u16_sdwa s[0:1], v8, v9 src0_sel:BYTE_0 src1_sel:DWORD
	s_and_saveexec_b64 s[16:17], s[0:1]
	s_cbranch_execz .LBB256_729
; %bb.724:                              ;   in Loop: Header=BB256_386 Depth=1
	v_cmp_ne_u16_sdwa s[0:1], v8, s28 src0_sel:BYTE_0 src1_sel:DWORD
	v_mov_b32_e32 v20, 0x8000
	s_and_saveexec_b64 s[18:19], s[0:1]
	s_cbranch_execz .LBB256_728
; %bb.725:                              ;   in Loop: Header=BB256_386 Depth=1
	v_bfe_u32 v23, v17, 16, 7
	v_cmp_ne_u32_e64 s[0:1], s29, v23
	v_mov_b32_e32 v20, 0x7c01
	s_and_saveexec_b64 s[20:21], s[0:1]
	s_cbranch_execz .LBB256_727
; %bb.726:                              ;   in Loop: Header=BB256_386 Depth=1
	v_and_b32_e32 v20, 7, v8
	v_ffbh_u32_e32 v60, v20
	v_min_u32_e32 v62, 32, v60
	v_subrev_u32_e32 v60, 28, v62
	v_lshlrev_b64 v[60:61], v60, v[8:9]
	v_lshrrev_b32_e32 v59, 3, v23
	v_sub_u32_e32 v61, 29, v62
	v_cmp_gt_u32_e64 s[0:1], 8, v23
	v_lshlrev_b32_e32 v8, 8, v8
	s_nop 0
	v_cndmask_b32_e64 v23, v59, v61, s[0:1]
	v_lshl_add_u32 v23, v23, 10, v36
	v_and_b32_e32 v59, 7, v60
	v_and_b32_e32 v23, 0xfc00, v23
	v_cndmask_b32_e64 v20, v20, v59, s[0:1]
	v_and_or_b32 v8, v8, s30, v23
	v_lshl_or_b32 v20, v20, 7, v8
.LBB256_727:                            ;   in Loop: Header=BB256_386 Depth=1
	s_or_b64 exec, exec, s[20:21]
.LBB256_728:                            ;   in Loop: Header=BB256_386 Depth=1
	s_or_b64 exec, exec, s[18:19]
.LBB256_729:                            ;   in Loop: Header=BB256_386 Depth=1
	s_or_b64 exec, exec, s[16:17]
	v_cmp_lt_u64_e64 s[0:1], s[6:7], v[16:17]
	v_mov_b32_e32 v23, 0
	s_and_saveexec_b64 s[16:17], s[0:1]
	s_cbranch_execz .LBB256_735
; %bb.730:                              ;   in Loop: Header=BB256_386 Depth=1
	v_lshrrev_b32_e32 v8, 24, v17
	v_cmp_ne_u32_e64 s[0:1], s28, v8
	v_bfrev_b32_e32 v23, 1
	s_and_saveexec_b64 s[18:19], s[0:1]
	s_cbranch_execz .LBB256_734
; %bb.731:                              ;   in Loop: Header=BB256_386 Depth=1
	v_and_b32_e32 v16, 0x7f, v8
	v_cmp_ne_u32_e64 s[0:1], s29, v16
	v_mov_b32_e32 v23, 0x7c010000
	s_and_saveexec_b64 s[20:21], s[0:1]
	s_cbranch_execz .LBB256_733
; %bb.732:                              ;   in Loop: Header=BB256_386 Depth=1
	v_and_b32_e32 v17, 7, v8
	v_ffbh_u32_e32 v59, v17
	v_min_u32_e32 v59, 32, v59
	v_lshrrev_b32_e32 v23, 3, v16
	v_subrev_u32_e32 v60, 28, v59
	v_sub_u32_e32 v59, 29, v59
	v_cmp_gt_u32_e64 s[0:1], 8, v16
	v_lshlrev_b64 v[60:61], v60, v[8:9]
	v_lshlrev_b32_e32 v8, 8, v8
	v_cndmask_b32_e64 v16, v23, v59, s[0:1]
	v_lshl_add_u32 v16, v16, 10, v36
	v_and_b32_e32 v23, 7, v60
	v_and_or_b32 v8, v8, s30, v16
	v_cndmask_b32_e64 v17, v17, v23, s[0:1]
	v_lshlrev_b32_e32 v8, 16, v8
	v_lshl_or_b32 v23, v17, 23, v8
.LBB256_733:                            ;   in Loop: Header=BB256_386 Depth=1
	s_or_b64 exec, exec, s[20:21]
.LBB256_734:                            ;   in Loop: Header=BB256_386 Depth=1
	s_or_b64 exec, exec, s[18:19]
.LBB256_735:                            ;   in Loop: Header=BB256_386 Depth=1
	s_or_b64 exec, exec, s[16:17]
	v_cvt_f32_f16_sdwa v17, v1 dst_sel:DWORD dst_unused:UNUSED_PAD src0_sel:WORD_1
	v_cvt_f32_f16_sdwa v16, v19 dst_sel:DWORD dst_unused:UNUSED_PAD src0_sel:WORD_1
	v_or_b32_e32 v1, v1, v15
	v_or_b32_e32 v8, v19, v18
	v_cvt_f32_f16_e32 v18, v8
	v_cvt_f32_f16_e32 v19, v1
	s_waitcnt vmcnt(0)
	v_pk_mul_f32 v[16:17], v[14:15], v[16:17] op_sel_hi:[0,1]
	v_cvt_pk_f16_f32 v1, v16, v17
	v_and_b32_e32 v15, 0xffff0000, v1
	v_pk_mul_f32 v[18:19], v[14:15], v[18:19] op_sel_hi:[0,1]
	v_lshlrev_b32_e32 v16, 16, v1
	v_cvt_pk_f16_f32 v1, v18, v19
	v_or_b32_e32 v8, v22, v21
	v_or_b32_e32 v19, v23, v20
	v_cvt_f32_f16_e32 v20, v19
	v_cvt_f32_f16_e32 v21, v8
	v_cvt_f32_f16_sdwa v61, v22 dst_sel:DWORD dst_unused:UNUSED_PAD src0_sel:WORD_1
	v_cvt_f32_f16_sdwa v60, v23 dst_sel:DWORD dst_unused:UNUSED_PAD src0_sel:WORD_1
	v_lshrrev_b32_e32 v17, 16, v1
	v_pk_mul_f32 v[20:21], v[14:15], v[20:21] op_sel_hi:[0,1]
	v_cvt_pk_f16_f32 v22, v20, v21
	v_pk_mul_f32 v[20:21], v[14:15], v[60:61] op_sel_hi:[0,1]
	v_cvt_pk_f16_f32 v14, v20, v21
	v_and_b32_e32 v18, 0xffff, v1
	v_and_b32_e32 v19, 0xffff0000, v14
	v_lshlrev_b32_e32 v14, 16, v14
	v_lshrrev_b32_e32 v23, 16, v22
	v_and_b32_e32 v22, 0xffff, v22
	v_or_b32_e32 v1, v15, v17
	v_or_b32_e32 v8, v16, v18
	;; [unrolled: 1-line block ×4, first 2 shown]
	s_and_saveexec_b64 s[0:1], vcc
	s_cbranch_execz .LBB256_384
; %bb.736:                              ;   in Loop: Header=BB256_386 Depth=1
	v_cmp_gt_i32_e32 vcc, s38, v37
	s_nop 1
	v_cndmask_b32_e32 v1, 0, v17, vcc
	v_cmp_gt_i32_e32 vcc, s33, v44
	s_nop 1
	v_cndmask_b32_e32 v8, 0, v18, vcc
	v_cmp_gt_i32_e32 vcc, s38, v43
	s_nop 1
	v_cndmask_b32_e32 v15, 0, v15, vcc
	v_cmp_gt_i32_e32 vcc, s33, v42
	v_or_b32_e32 v1, v15, v1
	s_nop 0
	v_cndmask_b32_e32 v16, 0, v16, vcc
	v_cmp_gt_i32_e32 vcc, s38, v41
	v_or_b32_e32 v8, v16, v8
	s_nop 0
	v_cndmask_b32_e32 v15, 0, v23, vcc
	v_cmp_gt_i32_e32 vcc, s33, v40
	s_nop 1
	v_cndmask_b32_e32 v16, 0, v22, vcc
	v_cmp_gt_i32_e32 vcc, s38, v39
	;; [unrolled: 3-line block ×3, first 2 shown]
	v_or_b32_e32 v21, v17, v15
	s_nop 0
	v_cndmask_b32_e32 v14, 0, v14, vcc
	v_or_b32_e32 v20, v14, v16
	s_branch .LBB256_384
.LBB256_737:
	s_or_b64 exec, exec, s[8:9]
.LBB256_738:
	s_or_b64 exec, exec, s[2:3]
	ds_bpermute_b32 v8, v29, v6
	ds_bpermute_b32 v9, v29, v7
	;; [unrolled: 1-line block ×6, first 2 shown]
	s_waitcnt lgkmcnt(4)
	v_pk_add_f32 v[6:7], v[6:7], v[8:9]
	ds_bpermute_b32 v8, v30, v6
	ds_bpermute_b32 v9, v30, v7
	;; [unrolled: 1-line block ×3, first 2 shown]
	s_waitcnt lgkmcnt(5)
	v_pk_add_f32 v[4:5], v[4:5], v[10:11]
	s_waitcnt lgkmcnt(3)
	v_pk_add_f32 v[2:3], v[2:3], v[12:13]
	ds_bpermute_b32 v10, v30, v4
	ds_bpermute_b32 v11, v30, v5
	;; [unrolled: 1-line block ×4, first 2 shown]
	s_waitcnt lgkmcnt(5)
	v_pk_add_f32 v[6:7], v[6:7], v[8:9]
	s_waitcnt lgkmcnt(4)
	v_add_f32_e32 v8, v32, v1
	ds_bpermute_b32 v9, v30, v8
	v_and_b32_e32 v1, 0x3c3, v0
	s_waitcnt lgkmcnt(3)
	v_pk_add_f32 v[4:5], v[4:5], v[10:11]
	s_waitcnt lgkmcnt(1)
	v_pk_add_f32 v[2:3], v[2:3], v[12:13]
	v_cmp_ne_u32_e32 vcc, 64, v1
	s_waitcnt lgkmcnt(0)
	s_barrier
	s_and_saveexec_b64 s[0:1], vcc
	s_xor_b64 s[0:1], exec, s[0:1]
; %bb.739:
                                        ; implicit-def: $vgpr28
; %bb.740:
	s_or_saveexec_b64 s[0:1], s[0:1]
	v_add_f32_e32 v8, v8, v9
	s_xor_b64 exec, exec, s[0:1]
	s_cbranch_execz .LBB256_742
; %bb.741:
	v_add_u32_e32 v9, 0xf0, v28
	ds_write2_b32 v9, v6, v7 offset1:16
	ds_write2_b32 v9, v4, v5 offset0:32 offset1:48
	ds_write2_b32 v9, v2, v3 offset0:64 offset1:80
	ds_write_b32 v9, v8 offset:384
.LBB256_742:
	s_or_b64 exec, exec, s[0:1]
	v_cmp_gt_u32_e32 vcc, 64, v0
	v_lshrrev_b32_e32 v0, 2, v0
	s_waitcnt lgkmcnt(0)
	s_barrier
	s_and_saveexec_b64 s[0:1], vcc
	s_cbranch_execz .LBB256_752
; %bb.743:
	v_mov_b32_e32 v9, 0xf0
	v_cmp_eq_u32_e32 vcc, 0, v31
	v_lshl_add_u32 v9, v0, 2, v9
	s_and_saveexec_b64 s[2:3], vcc
	s_cbranch_execnz .LBB256_755
; %bb.744:
	s_or_b64 exec, exec, s[2:3]
	s_and_saveexec_b64 s[2:3], vcc
	s_cbranch_execnz .LBB256_756
.LBB256_745:
	s_or_b64 exec, exec, s[2:3]
	s_and_saveexec_b64 s[2:3], vcc
	s_cbranch_execnz .LBB256_757
.LBB256_746:
	s_or_b64 exec, exec, s[2:3]
	s_and_saveexec_b64 s[2:3], vcc
	s_cbranch_execnz .LBB256_758
.LBB256_747:
	s_or_b64 exec, exec, s[2:3]
	s_and_saveexec_b64 s[2:3], vcc
	s_cbranch_execnz .LBB256_759
.LBB256_748:
	s_or_b64 exec, exec, s[2:3]
	s_and_saveexec_b64 s[2:3], vcc
	s_cbranch_execnz .LBB256_760
.LBB256_749:
	s_or_b64 exec, exec, s[2:3]
	s_and_saveexec_b64 s[2:3], vcc
	s_cbranch_execz .LBB256_751
.LBB256_750:
	ds_read_b32 v9, v9 offset:384
	s_waitcnt lgkmcnt(0)
	v_add_f32_e32 v8, v8, v9
.LBB256_751:
	s_or_b64 exec, exec, s[2:3]
.LBB256_752:
	s_or_b64 exec, exec, s[0:1]
	v_cmp_eq_u32_e32 vcc, 0, v1
	s_barrier
	s_and_saveexec_b64 s[0:1], vcc
	s_cbranch_execz .LBB256_754
; %bb.753:
	s_mul_i32 s0, s10, s11
	s_mul_i32 s0, s0, s5
	s_mulk_i32 s0, 0x70
	s_ashr_i32 s1, s0, 31
	s_lshl_b64 s[0:1], s[0:1], 1
	s_add_u32 s2, s26, s0
	s_mul_i32 s0, s11, s24
	s_addc_u32 s3, s27, s1
	s_ashr_i32 s1, s0, 31
	s_lshl_b64 s[0:1], s[0:1], 1
	s_add_u32 s2, s2, s0
	s_mul_i32 s0, s4, 0x70
	s_addc_u32 s3, s3, s1
	s_ashr_i32 s1, s0, 31
	s_lshl_b64 s[0:1], s[0:1], 1
	s_add_u32 s0, s2, s0
	s_addc_u32 s1, s3, s1
	v_lshlrev_b32_e32 v0, 1, v0
	;;#ASMSTART
	v_cvt_f16_f32 v1, v6;

	;;#ASMEND
	global_store_short v0, v1, s[0:1]
	;;#ASMSTART
	v_cvt_f16_f32 v1, v7;

	;;#ASMEND
	global_store_short v0, v1, s[0:1] offset:32
	;;#ASMSTART
	v_cvt_f16_f32 v1, v4;

	;;#ASMEND
	global_store_short v0, v1, s[0:1] offset:64
	;; [unrolled: 5-line block ×6, first 2 shown]
.LBB256_754:
	s_endpgm
.LBB256_755:
	ds_read_b32 v10, v9
	s_waitcnt lgkmcnt(0)
	v_add_f32_e32 v6, v6, v10
	s_or_b64 exec, exec, s[2:3]
	s_and_saveexec_b64 s[2:3], vcc
	s_cbranch_execz .LBB256_745
.LBB256_756:
	ds_read_b32 v10, v9 offset:64
	s_waitcnt lgkmcnt(0)
	v_add_f32_e32 v7, v7, v10
	s_or_b64 exec, exec, s[2:3]
	s_and_saveexec_b64 s[2:3], vcc
	s_cbranch_execz .LBB256_746
.LBB256_757:
	ds_read_b32 v10, v9 offset:128
	s_waitcnt lgkmcnt(0)
	v_add_f32_e32 v4, v4, v10
	s_or_b64 exec, exec, s[2:3]
	s_and_saveexec_b64 s[2:3], vcc
	s_cbranch_execz .LBB256_747
.LBB256_758:
	ds_read_b32 v10, v9 offset:192
	s_waitcnt lgkmcnt(0)
	v_add_f32_e32 v5, v5, v10
	s_or_b64 exec, exec, s[2:3]
	s_and_saveexec_b64 s[2:3], vcc
	s_cbranch_execz .LBB256_748
.LBB256_759:
	ds_read_b32 v10, v9 offset:256
	s_waitcnt lgkmcnt(0)
	v_add_f32_e32 v2, v2, v10
	s_or_b64 exec, exec, s[2:3]
	s_and_saveexec_b64 s[2:3], vcc
	s_cbranch_execz .LBB256_749
.LBB256_760:
	ds_read_b32 v10, v9 offset:320
	s_waitcnt lgkmcnt(0)
	v_add_f32_e32 v3, v3, v10
	s_or_b64 exec, exec, s[2:3]
	s_and_saveexec_b64 s[2:3], vcc
	s_cbranch_execnz .LBB256_750
	s_branch .LBB256_751
	.section	.rodata,"a",@progbits
	.p2align	6, 0x0
	.amdhsa_kernel _ZN4vllm25paged_attention_v1_kernelIthLi112ELi32ELi128ELNS_18Fp8KVCacheDataTypeE1ELb1EEEvPT_PKS2_PKT0_S8_ifPKiSA_iPKfiiiSC_SC_iiiii
		.amdhsa_group_segment_fixed_size 240
		.amdhsa_private_segment_fixed_size 0
		.amdhsa_kernarg_size 384
		.amdhsa_user_sgpr_count 2
		.amdhsa_user_sgpr_dispatch_ptr 0
		.amdhsa_user_sgpr_queue_ptr 0
		.amdhsa_user_sgpr_kernarg_segment_ptr 1
		.amdhsa_user_sgpr_dispatch_id 0
		.amdhsa_user_sgpr_kernarg_preload_length 0
		.amdhsa_user_sgpr_kernarg_preload_offset 0
		.amdhsa_user_sgpr_private_segment_size 0
		.amdhsa_uses_dynamic_stack 0
		.amdhsa_enable_private_segment 0
		.amdhsa_system_sgpr_workgroup_id_x 1
		.amdhsa_system_sgpr_workgroup_id_y 1
		.amdhsa_system_sgpr_workgroup_id_z 1
		.amdhsa_system_sgpr_workgroup_info 0
		.amdhsa_system_vgpr_workitem_id 0
		.amdhsa_next_free_vgpr 88
		.amdhsa_next_free_sgpr 56
		.amdhsa_accum_offset 88
		.amdhsa_reserve_vcc 1
		.amdhsa_float_round_mode_32 0
		.amdhsa_float_round_mode_16_64 0
		.amdhsa_float_denorm_mode_32 3
		.amdhsa_float_denorm_mode_16_64 3
		.amdhsa_dx10_clamp 1
		.amdhsa_ieee_mode 1
		.amdhsa_fp16_overflow 0
		.amdhsa_tg_split 0
		.amdhsa_exception_fp_ieee_invalid_op 0
		.amdhsa_exception_fp_denorm_src 0
		.amdhsa_exception_fp_ieee_div_zero 0
		.amdhsa_exception_fp_ieee_overflow 0
		.amdhsa_exception_fp_ieee_underflow 0
		.amdhsa_exception_fp_ieee_inexact 0
		.amdhsa_exception_int_div_zero 0
	.end_amdhsa_kernel
	.section	.text._ZN4vllm25paged_attention_v1_kernelIthLi112ELi32ELi128ELNS_18Fp8KVCacheDataTypeE1ELb1EEEvPT_PKS2_PKT0_S8_ifPKiSA_iPKfiiiSC_SC_iiiii,"axG",@progbits,_ZN4vllm25paged_attention_v1_kernelIthLi112ELi32ELi128ELNS_18Fp8KVCacheDataTypeE1ELb1EEEvPT_PKS2_PKT0_S8_ifPKiSA_iPKfiiiSC_SC_iiiii,comdat
.Lfunc_end256:
	.size	_ZN4vllm25paged_attention_v1_kernelIthLi112ELi32ELi128ELNS_18Fp8KVCacheDataTypeE1ELb1EEEvPT_PKS2_PKT0_S8_ifPKiSA_iPKfiiiSC_SC_iiiii, .Lfunc_end256-_ZN4vllm25paged_attention_v1_kernelIthLi112ELi32ELi128ELNS_18Fp8KVCacheDataTypeE1ELb1EEEvPT_PKS2_PKT0_S8_ifPKiSA_iPKfiiiSC_SC_iiiii
                                        ; -- End function
	.set _ZN4vllm25paged_attention_v1_kernelIthLi112ELi32ELi128ELNS_18Fp8KVCacheDataTypeE1ELb1EEEvPT_PKS2_PKT0_S8_ifPKiSA_iPKfiiiSC_SC_iiiii.num_vgpr, 88
	.set _ZN4vllm25paged_attention_v1_kernelIthLi112ELi32ELi128ELNS_18Fp8KVCacheDataTypeE1ELb1EEEvPT_PKS2_PKT0_S8_ifPKiSA_iPKfiiiSC_SC_iiiii.num_agpr, 0
	.set _ZN4vllm25paged_attention_v1_kernelIthLi112ELi32ELi128ELNS_18Fp8KVCacheDataTypeE1ELb1EEEvPT_PKS2_PKT0_S8_ifPKiSA_iPKfiiiSC_SC_iiiii.numbered_sgpr, 56
	.set _ZN4vllm25paged_attention_v1_kernelIthLi112ELi32ELi128ELNS_18Fp8KVCacheDataTypeE1ELb1EEEvPT_PKS2_PKT0_S8_ifPKiSA_iPKfiiiSC_SC_iiiii.num_named_barrier, 0
	.set _ZN4vllm25paged_attention_v1_kernelIthLi112ELi32ELi128ELNS_18Fp8KVCacheDataTypeE1ELb1EEEvPT_PKS2_PKT0_S8_ifPKiSA_iPKfiiiSC_SC_iiiii.private_seg_size, 0
	.set _ZN4vllm25paged_attention_v1_kernelIthLi112ELi32ELi128ELNS_18Fp8KVCacheDataTypeE1ELb1EEEvPT_PKS2_PKT0_S8_ifPKiSA_iPKfiiiSC_SC_iiiii.uses_vcc, 1
	.set _ZN4vllm25paged_attention_v1_kernelIthLi112ELi32ELi128ELNS_18Fp8KVCacheDataTypeE1ELb1EEEvPT_PKS2_PKT0_S8_ifPKiSA_iPKfiiiSC_SC_iiiii.uses_flat_scratch, 0
	.set _ZN4vllm25paged_attention_v1_kernelIthLi112ELi32ELi128ELNS_18Fp8KVCacheDataTypeE1ELb1EEEvPT_PKS2_PKT0_S8_ifPKiSA_iPKfiiiSC_SC_iiiii.has_dyn_sized_stack, 0
	.set _ZN4vllm25paged_attention_v1_kernelIthLi112ELi32ELi128ELNS_18Fp8KVCacheDataTypeE1ELb1EEEvPT_PKS2_PKT0_S8_ifPKiSA_iPKfiiiSC_SC_iiiii.has_recursion, 0
	.set _ZN4vllm25paged_attention_v1_kernelIthLi112ELi32ELi128ELNS_18Fp8KVCacheDataTypeE1ELb1EEEvPT_PKS2_PKT0_S8_ifPKiSA_iPKfiiiSC_SC_iiiii.has_indirect_call, 0
	.section	.AMDGPU.csdata,"",@progbits
; Kernel info:
; codeLenInByte = 32864
; TotalNumSgprs: 62
; NumVgprs: 88
; NumAgprs: 0
; TotalNumVgprs: 88
; ScratchSize: 0
; MemoryBound: 0
; FloatMode: 240
; IeeeMode: 1
; LDSByteSize: 240 bytes/workgroup (compile time only)
; SGPRBlocks: 7
; VGPRBlocks: 10
; NumSGPRsForWavesPerEU: 62
; NumVGPRsForWavesPerEU: 88
; AccumOffset: 88
; Occupancy: 5
; WaveLimiterHint : 1
; COMPUTE_PGM_RSRC2:SCRATCH_EN: 0
; COMPUTE_PGM_RSRC2:USER_SGPR: 2
; COMPUTE_PGM_RSRC2:TRAP_HANDLER: 0
; COMPUTE_PGM_RSRC2:TGID_X_EN: 1
; COMPUTE_PGM_RSRC2:TGID_Y_EN: 1
; COMPUTE_PGM_RSRC2:TGID_Z_EN: 1
; COMPUTE_PGM_RSRC2:TIDIG_COMP_CNT: 0
; COMPUTE_PGM_RSRC3_GFX90A:ACCUM_OFFSET: 21
; COMPUTE_PGM_RSRC3_GFX90A:TG_SPLIT: 0
	.section	.text._ZN4vllm25paged_attention_v1_kernelIthLi120ELi32ELi128ELNS_18Fp8KVCacheDataTypeE1ELb1EEEvPT_PKS2_PKT0_S8_ifPKiSA_iPKfiiiSC_SC_iiiii,"axG",@progbits,_ZN4vllm25paged_attention_v1_kernelIthLi120ELi32ELi128ELNS_18Fp8KVCacheDataTypeE1ELb1EEEvPT_PKS2_PKT0_S8_ifPKiSA_iPKfiiiSC_SC_iiiii,comdat
	.protected	_ZN4vllm25paged_attention_v1_kernelIthLi120ELi32ELi128ELNS_18Fp8KVCacheDataTypeE1ELb1EEEvPT_PKS2_PKT0_S8_ifPKiSA_iPKfiiiSC_SC_iiiii ; -- Begin function _ZN4vllm25paged_attention_v1_kernelIthLi120ELi32ELi128ELNS_18Fp8KVCacheDataTypeE1ELb1EEEvPT_PKS2_PKT0_S8_ifPKiSA_iPKfiiiSC_SC_iiiii
	.globl	_ZN4vllm25paged_attention_v1_kernelIthLi120ELi32ELi128ELNS_18Fp8KVCacheDataTypeE1ELb1EEEvPT_PKS2_PKT0_S8_ifPKiSA_iPKfiiiSC_SC_iiiii
	.p2align	8
	.type	_ZN4vllm25paged_attention_v1_kernelIthLi120ELi32ELi128ELNS_18Fp8KVCacheDataTypeE1ELb1EEEvPT_PKS2_PKT0_S8_ifPKiSA_iPKfiiiSC_SC_iiiii,@function
_ZN4vllm25paged_attention_v1_kernelIthLi120ELi32ELi128ELNS_18Fp8KVCacheDataTypeE1ELb1EEEvPT_PKS2_PKT0_S8_ifPKiSA_iPKfiiiSC_SC_iiiii: ; @_ZN4vllm25paged_attention_v1_kernelIthLi120ELi32ELi128ELNS_18Fp8KVCacheDataTypeE1ELb1EEEvPT_PKS2_PKT0_S8_ifPKiSA_iPKfiiiSC_SC_iiiii
; %bb.0:
	s_load_dword s5, s[0:1], 0x80
	s_load_dwordx2 s[6:7], s[0:1], 0x30
	s_load_dwordx2 s[36:37], s[0:1], 0x20
	s_mov_b32 s10, s3
	s_ashr_i32 s11, s3, 31
	s_lshl_b64 s[8:9], s[10:11], 2
	s_waitcnt lgkmcnt(0)
	s_add_u32 s6, s6, s8
	s_addc_u32 s7, s7, s9
	s_abs_i32 s3, s36
	v_cvt_f32_u32_e32 v1, s3
	s_sub_i32 s11, 0, s3
	s_abs_i32 s9, s5
	s_xor_b32 s8, s5, s36
	v_rcp_iflag_f32_e32 v1, v1
	s_ashr_i32 s8, s8, 31
	s_mov_b32 s49, 0
	v_mul_f32_e32 v1, 0x4f7ffffe, v1
	v_cvt_u32_f32_e32 v1, v1
	s_nop 0
	v_readfirstlane_b32 s12, v1
	s_mul_i32 s11, s11, s12
	s_mul_hi_u32 s11, s12, s11
	s_add_i32 s12, s12, s11
	s_mul_hi_u32 s11, s9, s12
	s_mul_i32 s12, s11, s3
	s_sub_i32 s9, s9, s12
	s_add_i32 s12, s11, 1
	s_sub_i32 s13, s9, s3
	s_cmp_ge_u32 s9, s3
	s_cselect_b32 s11, s12, s11
	s_cselect_b32 s9, s13, s9
	s_add_i32 s12, s11, 1
	s_cmp_ge_u32 s9, s3
	s_cselect_b32 s3, s12, s11
	s_xor_b32 s3, s3, s8
	s_sub_i32 s14, s3, s8
	s_abs_i32 s11, s14
	v_cvt_f32_u32_e32 v1, s11
	s_load_dwordx2 s[8:9], s[0:1], 0x40
	s_sub_i32 s3, 0, s11
	s_abs_i32 s12, s2
	v_rcp_iflag_f32_e32 v1, v1
	s_nop 0
	v_mul_f32_e32 v1, 0x4f7ffffe, v1
	v_cvt_u32_f32_e32 v1, v1
	s_nop 0
	v_readfirstlane_b32 s13, v1
	s_mul_i32 s3, s3, s13
	s_mul_hi_u32 s3, s13, s3
	s_add_i32 s13, s13, s3
	s_waitcnt lgkmcnt(0)
	s_cmp_eq_u64 s[8:9], 0
	s_mul_hi_u32 s13, s12, s13
	s_cbranch_scc1 .LBB257_2
; %bb.1:
	s_ashr_i32 s3, s2, 31
	s_lshl_b64 s[16:17], s[2:3], 2
	s_add_u32 s8, s8, s16
	s_addc_u32 s9, s9, s17
	s_load_dword s49, s[8:9], 0x0
.LBB257_2:
	s_load_dword s33, s[6:7], 0x0
	s_load_dwordx4 s[16:19], s[0:1], 0x48
	s_ashr_i32 s3, s2, 31
	s_ashr_i32 s9, s14, 31
	v_and_b32_e32 v4, 1, v0
	s_movk_i32 s8, 0x78
	s_mul_i32 s24, s2, 0x78
	v_cmp_gt_u32_e32 vcc, 30, v0
	v_lshlrev_b32_e32 v1, 3, v0
	s_and_saveexec_b64 s[6:7], vcc
	s_cbranch_execz .LBB257_4
; %bb.3:
	s_load_dwordx2 s[14:15], s[0:1], 0x8
	s_waitcnt lgkmcnt(0)
	s_mul_i32 s20, s16, s10
	s_ashr_i32 s21, s20, 31
	s_lshl_b64 s[20:21], s[20:21], 1
	v_lshlrev_b32_e32 v5, 2, v0
	s_add_u32 s16, s14, s20
	s_addc_u32 s19, s15, s21
	s_ashr_i32 s25, s24, 31
	s_lshl_b64 s[14:15], s[24:25], 1
	s_add_u32 s14, s16, s14
	s_addc_u32 s15, s19, s15
	global_load_dwordx2 v[2:3], v1, s[14:15]
	v_and_b32_e32 v5, 0xff8, v5
	v_mad_u32_u24 v5, v4, s8, v5
	s_waitcnt vmcnt(0)
	ds_write_b64 v5, v[2:3]
.LBB257_4:
	s_or_b64 exec, exec, s[6:7]
	s_mul_i32 s6, s13, s11
	s_sub_i32 s6, s12, s6
	s_xor_b32 s3, s3, s9
	s_add_i32 s7, s13, 1
	s_sub_i32 s9, s6, s11
	s_load_dwordx4 s[20:23], s[0:1], 0x68
	s_load_dword s8, s[0:1], 0x78
	s_cmp_ge_u32 s6, s11
	s_cselect_b32 s7, s7, s13
	s_cselect_b32 s6, s9, s6
	s_add_i32 s9, s7, 1
	s_cmp_ge_u32 s6, s11
	s_cselect_b32 s6, s9, s7
	s_waitcnt lgkmcnt(0)
	s_abs_i32 s25, s23
	v_cvt_f32_u32_e32 v2, s25
	s_xor_b32 s6, s6, s3
	s_sub_i32 s3, s6, s3
	s_sub_i32 s6, 0, s25
	v_rcp_iflag_f32_e32 v2, v2
	s_add_i32 s11, s33, -1
	s_abs_i32 s9, s11
	v_mul_f32_e32 v2, 0x4f7ffffe, v2
	v_cvt_u32_f32_e32 v2, v2
	s_barrier
	v_readfirstlane_b32 s46, v2
	s_mul_i32 s6, s6, s46
	s_mul_hi_u32 s6, s46, s6
	s_add_i32 s46, s46, s6
	s_cmp_lt_i32 s8, 0
	s_mul_hi_u32 s16, s9, s46
	s_cbranch_scc0 .LBB257_6
; %bb.5:
	s_mul_i32 s6, s20, s36
	s_add_i32 s6, s3, s6
	s_mul_i32 s6, s6, s8
	s_sub_i32 s36, 1, s6
	s_mov_b64 s[6:7], 0
	s_branch .LBB257_7
.LBB257_6:
	s_mov_b64 s[6:7], -1
                                        ; implicit-def: $sgpr36
.LBB257_7:
	s_load_dwordx2 s[28:29], s[0:1], 0x28
	s_ashr_i32 s19, s11, 31
	s_andn2_b64 vcc, exec, s[6:7]
	s_ashr_i32 s47, s23, 31
	s_cbranch_vccnz .LBB257_9
; %bb.8:
	s_mul_i32 s6, s5, s20
	s_add_i32 s2, s6, s2
	s_mul_i32 s2, s2, s8
	s_add_i32 s36, s2, 1
.LBB257_9:
	s_load_dword s2, s[0:1], 0x38
	s_load_dwordx2 s[26:27], s[0:1], 0x0
	s_load_dwordx2 s[34:35], s[0:1], 0x18
	s_load_dword s11, s[0:1], 0x88
	s_load_dwordx4 s[12:15], s[0:1], 0x58
	s_mul_i32 s6, s16, s25
	s_waitcnt lgkmcnt(0)
	s_mul_i32 s30, s2, s10
	s_sub_i32 s6, s9, s6
	s_ashr_i32 s31, s30, 31
	s_xor_b32 s2, s19, s47
	s_add_i32 s7, s16, 1
	s_sub_i32 s8, s6, s25
	s_cmp_ge_u32 s6, s25
	s_cselect_b32 s7, s7, s16
	s_cselect_b32 s6, s8, s6
	s_add_i32 s8, s7, 1
	s_cmp_ge_u32 s6, s25
	s_cselect_b32 s6, s8, s7
	s_xor_b32 s6, s6, s2
	s_sub_i32 s16, s6, s2
	s_add_i32 s2, s33, 31
	s_ashr_i32 s6, s2, 31
	s_lshr_b32 s6, s6, 27
	s_add_i32 s2, s2, s6
	s_ashr_i32 s48, s2, 5
	v_lshrrev_b32_e32 v32, 6, v0
	v_cmp_le_i32_e64 s[6:7], s48, v32
	v_cmp_gt_i32_e32 vcc, s48, v32
	v_mov_b32_e32 v15, 0xff7fffff
	s_mul_i32 s20, s3, s18
	v_lshrrev_b32_e32 v12, 4, v0
	v_lshlrev_b32_e32 v33, 5, v32
	v_mbcnt_lo_u32_b32 v11, -1, 0
	s_and_saveexec_b64 s[18:19], vcc
	s_cbranch_execz .LBB257_381
; %bb.10:
	s_load_dwordx2 s[0:1], s[0:1], 0x10
	s_sub_i32 s23, s16, s21
	s_ashr_i32 s2, s20, 31
	v_bfe_u32 v13, v0, 1, 5
	v_mov_b32_e32 v3, 0
	s_waitcnt lgkmcnt(0)
	s_add_u32 s0, s0, s20
	s_addc_u32 s1, s1, s2
	s_abs_i32 s50, s22
	v_cvt_f32_u32_e32 v2, s50
	v_cmp_eq_u32_e32 vcc, 0, v4
	v_mul_u32_u24_e32 v14, 0x78, v4
	s_mov_b32 s51, s17
	v_rcp_iflag_f32_e32 v5, v2
	v_lshlrev_b32_e32 v2, 4, v13
	v_lshl_add_u64 v[6:7], s[0:1], 0, v[2:3]
	s_sub_i32 s0, 0, s50
	v_mul_f32_e32 v5, 0x4f7ffffe, v5
	v_cvt_u32_f32_e32 v5, v5
	v_lshlrev_b32_e32 v2, 2, v4
	v_cmp_neq_f32_e64 s[2:3], s49, 0
	v_lshlrev_b32_e32 v17, 5, v32
	v_mul_lo_u32 v4, s0, v5
	s_lshl_b64 s[0:1], s[30:31], 2
	v_mul_hi_u32 v4, v5, v4
	s_add_u32 s0, s28, s0
	v_add_u32_e32 v16, v5, v4
	v_lshl_add_u64 v[4:5], v[6:7], 0, v[2:3]
	v_and_b32_e32 v2, 60, v12
	s_addc_u32 s1, s29, s1
	v_lshl_add_u64 v[6:7], s[0:1], 0, v[2:3]
	v_subrev_u32_e32 v2, s33, v13
	v_add_u32_e32 v18, 1, v2
	v_lshlrev_b32_e32 v2, 2, v13
	v_lshl_or_b32 v2, v32, 7, v2
	v_add_u32_e32 v19, 0x100, v2
	v_mov_b32_e32 v20, 0xff7fffff
	s_mov_b64 s[38:39], 0
	s_movk_i32 s52, 0x80
	s_movk_i32 s53, 0x7f
	s_mov_b32 s54, 0x8000
	s_mov_b32 s55, 0xffffff
	v_mov_b32_e32 v21, 0x2000
	v_mbcnt_hi_u32_b32 v22, -1, v11
	v_mov_b32_e32 v15, 0xff7fffff
	v_mov_b32_e32 v23, v32
	s_branch .LBB257_13
.LBB257_11:                             ;   in Loop: Header=BB257_13 Depth=1
	s_or_b64 exec, exec, s[40:41]
.LBB257_12:                             ;   in Loop: Header=BB257_13 Depth=1
	s_or_b64 exec, exec, s[8:9]
	v_add_u32_e32 v23, 2, v23
	v_cmp_le_i32_e64 s[0:1], s48, v23
	v_lshl_add_u64 v[6:7], v[6:7], 0, 8
	v_add_u32_e32 v17, 64, v17
	s_or_b64 s[38:39], s[0:1], s[38:39]
	v_add_u32_e32 v19, 0x100, v19
	s_andn2_b64 exec, exec, s[38:39]
	s_cbranch_execz .LBB257_380
.LBB257_13:                             ; =>This Inner Loop Header: Depth=1
	v_mul_hi_u32 v2, v17, s46
	s_waitcnt lgkmcnt(0)
	v_mul_lo_u32 v8, v2, s25
	v_sub_u32_e32 v8, v17, v8
	v_add_u32_e32 v9, 1, v2
	v_cmp_le_u32_e64 s[0:1], s25, v8
	s_nop 1
	v_cndmask_b32_e64 v2, v2, v9, s[0:1]
	v_subrev_u32_e32 v9, s25, v8
	v_cndmask_b32_e64 v8, v8, v9, s[0:1]
	v_add_u32_e32 v9, 1, v2
	v_cmp_le_u32_e64 s[0:1], s25, v8
	s_nop 1
	v_cndmask_b32_e64 v2, v2, v9, s[0:1]
	v_xor_b32_e32 v2, s47, v2
	v_subrev_u32_e32 v2, s47, v2
	v_add_u32_e32 v8, s36, v2
	v_sub_u32_e32 v10, 0, v8
	v_ashrrev_i32_e32 v9, 31, v8
	v_max_i32_e32 v8, v8, v10
	v_mul_hi_u32 v10, v8, v16
	v_mul_lo_u32 v10, v10, s50
	v_sub_u32_e32 v8, v8, v10
	v_subrev_u32_e32 v10, s50, v8
	v_cmp_le_u32_e64 s[0:1], s50, v8
	v_cmp_ge_i32_e64 s[8:9], s23, v2
	s_nop 0
	v_cndmask_b32_e64 v8, v8, v10, s[0:1]
	v_subrev_u32_e32 v10, s50, v8
	v_cmp_le_u32_e64 s[0:1], s50, v8
	s_nop 1
	v_cndmask_b32_e64 v8, v8, v10, s[0:1]
	v_xor_b32_e32 v8, v8, v9
	v_sub_u32_e32 v8, v8, v9
	v_cmp_ne_u32_e64 s[0:1], 0, v8
	s_and_b64 s[0:1], s[0:1], s[8:9]
	s_and_saveexec_b64 s[8:9], s[0:1]
	s_xor_b64 s[0:1], exec, s[8:9]
	s_cbranch_execz .LBB257_17
; %bb.14:                               ;   in Loop: Header=BB257_13 Depth=1
	s_and_saveexec_b64 s[8:9], vcc
; %bb.15:                               ;   in Loop: Header=BB257_13 Depth=1
	ds_write_b32 v19, v20
; %bb.16:                               ;   in Loop: Header=BB257_13 Depth=1
	s_or_b64 exec, exec, s[8:9]
.LBB257_17:                             ;   in Loop: Header=BB257_13 Depth=1
	s_andn2_saveexec_b64 s[8:9], s[0:1]
	s_cbranch_execz .LBB257_12
; %bb.18:                               ;   in Loop: Header=BB257_13 Depth=1
	global_load_dword v2, v[6:7], off
	v_mov_b32_e32 v25, 0
	global_load_dword v24, v25, s[12:13]
	v_mov_b32_e32 v26, 0
	s_waitcnt vmcnt(1)
	v_mad_i64_i32 v[8:9], s[0:1], v2, s51, v[4:5]
	global_load_dword v10, v[8:9], off
	s_waitcnt vmcnt(0)
	v_cmp_ne_u16_sdwa s[0:1], v10, v3 src0_sel:BYTE_0 src1_sel:DWORD
	s_and_saveexec_b64 s[40:41], s[0:1]
	s_cbranch_execz .LBB257_24
; %bb.19:                               ;   in Loop: Header=BB257_13 Depth=1
	v_cmp_ne_u16_sdwa s[0:1], v10, s52 src0_sel:BYTE_0 src1_sel:DWORD
	v_mov_b32_e32 v26, 0x8000
	s_and_saveexec_b64 s[42:43], s[0:1]
	s_cbranch_execz .LBB257_23
; %bb.20:                               ;   in Loop: Header=BB257_13 Depth=1
	v_and_b32_e32 v2, 0x7f, v10
	v_cmp_ne_u32_e64 s[0:1], s53, v2
	v_mov_b32_e32 v26, 0x7c01
	s_and_saveexec_b64 s[44:45], s[0:1]
	s_cbranch_execz .LBB257_22
; %bb.21:                               ;   in Loop: Header=BB257_13 Depth=1
	v_and_b32_e32 v28, 7, v10
	v_ffbh_u32_e32 v26, v28
	v_min_u32_e32 v30, 32, v26
	v_subrev_u32_e32 v26, 28, v30
	v_lshlrev_b64 v[26:27], v26, v[10:11]
	v_lshrrev_b32_e32 v29, 3, v2
	v_sub_u32_e32 v27, 29, v30
	v_cmp_gt_u32_e64 s[0:1], 8, v2
	v_and_b32_e32 v26, 7, v26
	s_nop 0
	v_cndmask_b32_e64 v2, v29, v27, s[0:1]
	v_lshl_add_u32 v2, v2, 10, v21
	v_lshlrev_b32_e32 v27, 8, v10
	v_and_b32_e32 v2, 0xfc00, v2
	v_cndmask_b32_e64 v26, v28, v26, s[0:1]
	v_and_or_b32 v2, v27, s54, v2
	v_lshl_or_b32 v26, v26, 7, v2
.LBB257_22:                             ;   in Loop: Header=BB257_13 Depth=1
	s_or_b64 exec, exec, s[44:45]
.LBB257_23:                             ;   in Loop: Header=BB257_13 Depth=1
	s_or_b64 exec, exec, s[42:43]
.LBB257_24:                             ;   in Loop: Header=BB257_13 Depth=1
	s_or_b64 exec, exec, s[40:41]
	v_lshrrev_b16_e32 v2, 8, v10
	v_cmp_ne_u16_e64 s[0:1], 0, v2
	s_and_saveexec_b64 s[40:41], s[0:1]
	s_cbranch_execz .LBB257_30
; %bb.25:                               ;   in Loop: Header=BB257_13 Depth=1
	v_cmp_ne_u16_e64 s[0:1], s52, v2
	v_bfrev_b32_e32 v25, 1
	s_and_saveexec_b64 s[42:43], s[0:1]
	s_cbranch_execz .LBB257_29
; %bb.26:                               ;   in Loop: Header=BB257_13 Depth=1
	v_and_b32_e32 v27, 0x7f, v2
	v_cmp_ne_u32_e64 s[0:1], s53, v27
	v_mov_b32_e32 v25, 0x7c010000
	s_and_saveexec_b64 s[44:45], s[0:1]
	s_cbranch_execz .LBB257_28
; %bb.27:                               ;   in Loop: Header=BB257_13 Depth=1
	v_and_b32_e32 v25, 7, v2
	v_ffbh_u32_e32 v28, v25
	v_min_u32_e32 v31, 32, v28
	v_subrev_u32_e32 v28, 28, v31
	v_lshlrev_b64 v[28:29], v28, v[2:3]
	v_lshrrev_b32_e32 v30, 3, v27
	v_sub_u32_e32 v29, 29, v31
	v_cmp_gt_u32_e64 s[0:1], 8, v27
	v_lshlrev_b32_e32 v2, 8, v2
	v_and_b32_e32 v28, 7, v28
	v_cndmask_b32_e64 v27, v30, v29, s[0:1]
	v_lshl_add_u32 v27, v27, 10, v21
	v_and_or_b32 v2, v2, s54, v27
	v_cndmask_b32_e64 v25, v25, v28, s[0:1]
	v_lshlrev_b32_e32 v2, 16, v2
	v_lshl_or_b32 v25, v25, 23, v2
.LBB257_28:                             ;   in Loop: Header=BB257_13 Depth=1
	s_or_b64 exec, exec, s[44:45]
.LBB257_29:                             ;   in Loop: Header=BB257_13 Depth=1
	s_or_b64 exec, exec, s[42:43]
.LBB257_30:                             ;   in Loop: Header=BB257_13 Depth=1
	s_or_b64 exec, exec, s[40:41]
	v_lshrrev_b32_e32 v2, 16, v10
	v_cmp_ne_u16_sdwa s[0:1], v2, v3 src0_sel:BYTE_0 src1_sel:DWORD
	v_mov_b32_e32 v27, 0
	v_mov_b32_e32 v28, 0
	s_and_saveexec_b64 s[40:41], s[0:1]
	s_cbranch_execz .LBB257_36
; %bb.31:                               ;   in Loop: Header=BB257_13 Depth=1
	v_cmp_ne_u16_sdwa s[0:1], v2, s52 src0_sel:BYTE_0 src1_sel:DWORD
	v_mov_b32_e32 v28, 0x8000
	s_and_saveexec_b64 s[42:43], s[0:1]
	s_cbranch_execz .LBB257_35
; %bb.32:                               ;   in Loop: Header=BB257_13 Depth=1
	v_bfe_u32 v29, v10, 16, 7
	v_cmp_ne_u32_e64 s[0:1], s53, v29
	v_mov_b32_e32 v28, 0x7c01
	s_and_saveexec_b64 s[44:45], s[0:1]
	s_cbranch_execz .LBB257_34
; %bb.33:                               ;   in Loop: Header=BB257_13 Depth=1
	v_and_b32_e32 v28, 7, v2
	v_ffbh_u32_e32 v30, v28
	v_min_u32_e32 v35, 32, v30
	v_subrev_u32_e32 v30, 28, v35
	v_lshlrev_b64 v[30:31], v30, v[2:3]
	v_lshrrev_b32_e32 v34, 3, v29
	v_sub_u32_e32 v31, 29, v35
	v_cmp_gt_u32_e64 s[0:1], 8, v29
	v_lshlrev_b32_e32 v2, 8, v2
	v_and_b32_e32 v30, 7, v30
	v_cndmask_b32_e64 v29, v34, v31, s[0:1]
	v_lshl_add_u32 v29, v29, 10, v21
	v_and_b32_e32 v29, 0xfc00, v29
	v_cndmask_b32_e64 v28, v28, v30, s[0:1]
	v_and_or_b32 v2, v2, s54, v29
	v_lshl_or_b32 v28, v28, 7, v2
.LBB257_34:                             ;   in Loop: Header=BB257_13 Depth=1
	s_or_b64 exec, exec, s[44:45]
.LBB257_35:                             ;   in Loop: Header=BB257_13 Depth=1
	s_or_b64 exec, exec, s[42:43]
.LBB257_36:                             ;   in Loop: Header=BB257_13 Depth=1
	s_or_b64 exec, exec, s[40:41]
	v_cmp_lt_u32_e64 s[0:1], s55, v10
	s_and_saveexec_b64 s[40:41], s[0:1]
	s_cbranch_execz .LBB257_42
; %bb.37:                               ;   in Loop: Header=BB257_13 Depth=1
	v_lshrrev_b32_e32 v2, 24, v10
	v_cmp_ne_u32_e64 s[0:1], s52, v2
	v_bfrev_b32_e32 v27, 1
	s_and_saveexec_b64 s[42:43], s[0:1]
	s_cbranch_execz .LBB257_41
; %bb.38:                               ;   in Loop: Header=BB257_13 Depth=1
	v_and_b32_e32 v10, 0x7f, v2
	v_cmp_ne_u32_e64 s[0:1], s53, v10
	v_mov_b32_e32 v27, 0x7c010000
	s_and_saveexec_b64 s[44:45], s[0:1]
	s_cbranch_execz .LBB257_40
; %bb.39:                               ;   in Loop: Header=BB257_13 Depth=1
	v_and_b32_e32 v27, 7, v2
	v_ffbh_u32_e32 v30, v27
	v_min_u32_e32 v34, 32, v30
	v_subrev_u32_e32 v30, 28, v34
	v_lshlrev_b64 v[30:31], v30, v[2:3]
	v_lshrrev_b32_e32 v29, 3, v10
	v_sub_u32_e32 v31, 29, v34
	v_cmp_gt_u32_e64 s[0:1], 8, v10
	v_lshlrev_b32_e32 v2, 8, v2
	s_nop 0
	v_cndmask_b32_e64 v10, v29, v31, s[0:1]
	v_lshl_add_u32 v10, v10, 10, v21
	v_and_b32_e32 v29, 7, v30
	v_and_or_b32 v2, v2, s54, v10
	v_cndmask_b32_e64 v27, v27, v29, s[0:1]
	v_lshlrev_b32_e32 v2, 16, v2
	v_lshl_or_b32 v27, v27, 23, v2
.LBB257_40:                             ;   in Loop: Header=BB257_13 Depth=1
	s_or_b64 exec, exec, s[44:45]
.LBB257_41:                             ;   in Loop: Header=BB257_13 Depth=1
	s_or_b64 exec, exec, s[42:43]
.LBB257_42:                             ;   in Loop: Header=BB257_13 Depth=1
	s_or_b64 exec, exec, s[40:41]
	global_load_dword v10, v[8:9], off offset:8
	v_mov_b32_e32 v29, 0
	v_mov_b32_e32 v30, 0
	s_waitcnt vmcnt(0)
	v_cmp_ne_u16_sdwa s[0:1], v10, v3 src0_sel:BYTE_0 src1_sel:DWORD
	s_and_saveexec_b64 s[40:41], s[0:1]
	s_cbranch_execz .LBB257_48
; %bb.43:                               ;   in Loop: Header=BB257_13 Depth=1
	v_cmp_ne_u16_sdwa s[0:1], v10, s52 src0_sel:BYTE_0 src1_sel:DWORD
	v_mov_b32_e32 v30, 0x8000
	s_and_saveexec_b64 s[42:43], s[0:1]
	s_cbranch_execz .LBB257_47
; %bb.44:                               ;   in Loop: Header=BB257_13 Depth=1
	v_and_b32_e32 v2, 0x7f, v10
	v_cmp_ne_u32_e64 s[0:1], s53, v2
	v_mov_b32_e32 v30, 0x7c01
	s_and_saveexec_b64 s[44:45], s[0:1]
	s_cbranch_execz .LBB257_46
; %bb.45:                               ;   in Loop: Header=BB257_13 Depth=1
	v_and_b32_e32 v34, 7, v10
	v_ffbh_u32_e32 v30, v34
	v_min_u32_e32 v36, 32, v30
	v_subrev_u32_e32 v30, 28, v36
	v_lshlrev_b64 v[30:31], v30, v[10:11]
	v_lshrrev_b32_e32 v35, 3, v2
	v_sub_u32_e32 v31, 29, v36
	v_cmp_gt_u32_e64 s[0:1], 8, v2
	v_and_b32_e32 v30, 7, v30
	s_nop 0
	v_cndmask_b32_e64 v2, v35, v31, s[0:1]
	v_lshl_add_u32 v2, v2, 10, v21
	v_lshlrev_b32_e32 v31, 8, v10
	v_and_b32_e32 v2, 0xfc00, v2
	v_cndmask_b32_e64 v30, v34, v30, s[0:1]
	v_and_or_b32 v2, v31, s54, v2
	v_lshl_or_b32 v30, v30, 7, v2
.LBB257_46:                             ;   in Loop: Header=BB257_13 Depth=1
	s_or_b64 exec, exec, s[44:45]
.LBB257_47:                             ;   in Loop: Header=BB257_13 Depth=1
	s_or_b64 exec, exec, s[42:43]
.LBB257_48:                             ;   in Loop: Header=BB257_13 Depth=1
	s_or_b64 exec, exec, s[40:41]
	v_lshrrev_b16_e32 v2, 8, v10
	v_cmp_ne_u16_e64 s[0:1], 0, v2
	s_and_saveexec_b64 s[40:41], s[0:1]
	s_cbranch_execz .LBB257_54
; %bb.49:                               ;   in Loop: Header=BB257_13 Depth=1
	v_cmp_ne_u16_e64 s[0:1], s52, v2
	v_bfrev_b32_e32 v29, 1
	s_and_saveexec_b64 s[42:43], s[0:1]
	s_cbranch_execz .LBB257_53
; %bb.50:                               ;   in Loop: Header=BB257_13 Depth=1
	v_and_b32_e32 v31, 0x7f, v2
	v_cmp_ne_u32_e64 s[0:1], s53, v31
	v_mov_b32_e32 v29, 0x7c010000
	s_and_saveexec_b64 s[44:45], s[0:1]
	s_cbranch_execz .LBB257_52
; %bb.51:                               ;   in Loop: Header=BB257_13 Depth=1
	v_and_b32_e32 v29, 7, v2
	v_ffbh_u32_e32 v34, v29
	v_min_u32_e32 v37, 32, v34
	v_subrev_u32_e32 v34, 28, v37
	v_lshlrev_b64 v[34:35], v34, v[2:3]
	v_lshrrev_b32_e32 v36, 3, v31
	v_sub_u32_e32 v35, 29, v37
	v_cmp_gt_u32_e64 s[0:1], 8, v31
	v_lshlrev_b32_e32 v2, 8, v2
	v_and_b32_e32 v34, 7, v34
	v_cndmask_b32_e64 v31, v36, v35, s[0:1]
	v_lshl_add_u32 v31, v31, 10, v21
	v_and_or_b32 v2, v2, s54, v31
	v_cndmask_b32_e64 v29, v29, v34, s[0:1]
	v_lshlrev_b32_e32 v2, 16, v2
	v_lshl_or_b32 v29, v29, 23, v2
.LBB257_52:                             ;   in Loop: Header=BB257_13 Depth=1
	s_or_b64 exec, exec, s[44:45]
.LBB257_53:                             ;   in Loop: Header=BB257_13 Depth=1
	s_or_b64 exec, exec, s[42:43]
.LBB257_54:                             ;   in Loop: Header=BB257_13 Depth=1
	s_or_b64 exec, exec, s[40:41]
	v_lshrrev_b32_e32 v2, 16, v10
	v_cmp_ne_u16_sdwa s[0:1], v2, v3 src0_sel:BYTE_0 src1_sel:DWORD
	v_mov_b32_e32 v31, 0
	v_mov_b32_e32 v34, 0
	s_and_saveexec_b64 s[40:41], s[0:1]
	s_cbranch_execz .LBB257_60
; %bb.55:                               ;   in Loop: Header=BB257_13 Depth=1
	v_cmp_ne_u16_sdwa s[0:1], v2, s52 src0_sel:BYTE_0 src1_sel:DWORD
	v_mov_b32_e32 v34, 0x8000
	s_and_saveexec_b64 s[42:43], s[0:1]
	s_cbranch_execz .LBB257_59
; %bb.56:                               ;   in Loop: Header=BB257_13 Depth=1
	v_bfe_u32 v35, v10, 16, 7
	v_cmp_ne_u32_e64 s[0:1], s53, v35
	v_mov_b32_e32 v34, 0x7c01
	s_and_saveexec_b64 s[44:45], s[0:1]
	s_cbranch_execz .LBB257_58
; %bb.57:                               ;   in Loop: Header=BB257_13 Depth=1
	v_and_b32_e32 v34, 7, v2
	v_ffbh_u32_e32 v36, v34
	v_min_u32_e32 v39, 32, v36
	v_subrev_u32_e32 v36, 28, v39
	v_lshlrev_b64 v[36:37], v36, v[2:3]
	v_lshrrev_b32_e32 v38, 3, v35
	v_sub_u32_e32 v37, 29, v39
	v_cmp_gt_u32_e64 s[0:1], 8, v35
	v_lshlrev_b32_e32 v2, 8, v2
	v_and_b32_e32 v36, 7, v36
	v_cndmask_b32_e64 v35, v38, v37, s[0:1]
	v_lshl_add_u32 v35, v35, 10, v21
	v_and_b32_e32 v35, 0xfc00, v35
	v_cndmask_b32_e64 v34, v34, v36, s[0:1]
	v_and_or_b32 v2, v2, s54, v35
	v_lshl_or_b32 v34, v34, 7, v2
.LBB257_58:                             ;   in Loop: Header=BB257_13 Depth=1
	s_or_b64 exec, exec, s[44:45]
.LBB257_59:                             ;   in Loop: Header=BB257_13 Depth=1
	s_or_b64 exec, exec, s[42:43]
.LBB257_60:                             ;   in Loop: Header=BB257_13 Depth=1
	s_or_b64 exec, exec, s[40:41]
	v_cmp_lt_u32_e64 s[0:1], s55, v10
	s_and_saveexec_b64 s[40:41], s[0:1]
	s_cbranch_execz .LBB257_66
; %bb.61:                               ;   in Loop: Header=BB257_13 Depth=1
	v_lshrrev_b32_e32 v2, 24, v10
	v_cmp_ne_u32_e64 s[0:1], s52, v2
	v_bfrev_b32_e32 v31, 1
	s_and_saveexec_b64 s[42:43], s[0:1]
	s_cbranch_execz .LBB257_65
; %bb.62:                               ;   in Loop: Header=BB257_13 Depth=1
	v_and_b32_e32 v10, 0x7f, v2
	v_cmp_ne_u32_e64 s[0:1], s53, v10
	v_mov_b32_e32 v31, 0x7c010000
	s_and_saveexec_b64 s[44:45], s[0:1]
	s_cbranch_execz .LBB257_64
; %bb.63:                               ;   in Loop: Header=BB257_13 Depth=1
	v_and_b32_e32 v31, 7, v2
	v_ffbh_u32_e32 v36, v31
	v_min_u32_e32 v38, 32, v36
	v_subrev_u32_e32 v36, 28, v38
	v_lshlrev_b64 v[36:37], v36, v[2:3]
	v_lshrrev_b32_e32 v35, 3, v10
	v_sub_u32_e32 v37, 29, v38
	v_cmp_gt_u32_e64 s[0:1], 8, v10
	v_lshlrev_b32_e32 v2, 8, v2
	s_nop 0
	v_cndmask_b32_e64 v10, v35, v37, s[0:1]
	v_lshl_add_u32 v10, v10, 10, v21
	v_and_b32_e32 v35, 7, v36
	v_and_or_b32 v2, v2, s54, v10
	v_cndmask_b32_e64 v31, v31, v35, s[0:1]
	v_lshlrev_b32_e32 v2, 16, v2
	v_lshl_or_b32 v31, v31, 23, v2
.LBB257_64:                             ;   in Loop: Header=BB257_13 Depth=1
	s_or_b64 exec, exec, s[44:45]
.LBB257_65:                             ;   in Loop: Header=BB257_13 Depth=1
	s_or_b64 exec, exec, s[42:43]
.LBB257_66:                             ;   in Loop: Header=BB257_13 Depth=1
	s_or_b64 exec, exec, s[40:41]
	global_load_dword v10, v[8:9], off offset:512
	v_mov_b32_e32 v35, 0
	v_mov_b32_e32 v36, 0
	s_waitcnt vmcnt(0)
	v_cmp_ne_u16_sdwa s[0:1], v10, v3 src0_sel:BYTE_0 src1_sel:DWORD
	s_and_saveexec_b64 s[40:41], s[0:1]
	s_cbranch_execz .LBB257_72
; %bb.67:                               ;   in Loop: Header=BB257_13 Depth=1
	v_cmp_ne_u16_sdwa s[0:1], v10, s52 src0_sel:BYTE_0 src1_sel:DWORD
	v_mov_b32_e32 v36, 0x8000
	s_and_saveexec_b64 s[42:43], s[0:1]
	s_cbranch_execz .LBB257_71
; %bb.68:                               ;   in Loop: Header=BB257_13 Depth=1
	v_and_b32_e32 v2, 0x7f, v10
	v_cmp_ne_u32_e64 s[0:1], s53, v2
	v_mov_b32_e32 v36, 0x7c01
	s_and_saveexec_b64 s[44:45], s[0:1]
	s_cbranch_execz .LBB257_70
; %bb.69:                               ;   in Loop: Header=BB257_13 Depth=1
	v_and_b32_e32 v38, 7, v10
	v_ffbh_u32_e32 v36, v38
	v_min_u32_e32 v40, 32, v36
	v_subrev_u32_e32 v36, 28, v40
	v_lshlrev_b64 v[36:37], v36, v[10:11]
	v_lshrrev_b32_e32 v39, 3, v2
	v_sub_u32_e32 v37, 29, v40
	v_cmp_gt_u32_e64 s[0:1], 8, v2
	v_and_b32_e32 v36, 7, v36
	s_nop 0
	v_cndmask_b32_e64 v2, v39, v37, s[0:1]
	v_lshl_add_u32 v2, v2, 10, v21
	v_lshlrev_b32_e32 v37, 8, v10
	v_and_b32_e32 v2, 0xfc00, v2
	v_cndmask_b32_e64 v36, v38, v36, s[0:1]
	v_and_or_b32 v2, v37, s54, v2
	v_lshl_or_b32 v36, v36, 7, v2
.LBB257_70:                             ;   in Loop: Header=BB257_13 Depth=1
	s_or_b64 exec, exec, s[44:45]
.LBB257_71:                             ;   in Loop: Header=BB257_13 Depth=1
	s_or_b64 exec, exec, s[42:43]
.LBB257_72:                             ;   in Loop: Header=BB257_13 Depth=1
	s_or_b64 exec, exec, s[40:41]
	v_lshrrev_b16_e32 v2, 8, v10
	v_cmp_ne_u16_e64 s[0:1], 0, v2
	s_and_saveexec_b64 s[40:41], s[0:1]
	s_cbranch_execz .LBB257_78
; %bb.73:                               ;   in Loop: Header=BB257_13 Depth=1
	v_cmp_ne_u16_e64 s[0:1], s52, v2
	v_bfrev_b32_e32 v35, 1
	s_and_saveexec_b64 s[42:43], s[0:1]
	s_cbranch_execz .LBB257_77
; %bb.74:                               ;   in Loop: Header=BB257_13 Depth=1
	v_and_b32_e32 v37, 0x7f, v2
	v_cmp_ne_u32_e64 s[0:1], s53, v37
	v_mov_b32_e32 v35, 0x7c010000
	s_and_saveexec_b64 s[44:45], s[0:1]
	s_cbranch_execz .LBB257_76
; %bb.75:                               ;   in Loop: Header=BB257_13 Depth=1
	v_and_b32_e32 v35, 7, v2
	v_ffbh_u32_e32 v38, v35
	v_min_u32_e32 v41, 32, v38
	v_subrev_u32_e32 v38, 28, v41
	v_lshlrev_b64 v[38:39], v38, v[2:3]
	v_lshrrev_b32_e32 v40, 3, v37
	v_sub_u32_e32 v39, 29, v41
	v_cmp_gt_u32_e64 s[0:1], 8, v37
	v_lshlrev_b32_e32 v2, 8, v2
	v_and_b32_e32 v38, 7, v38
	v_cndmask_b32_e64 v37, v40, v39, s[0:1]
	v_lshl_add_u32 v37, v37, 10, v21
	v_and_or_b32 v2, v2, s54, v37
	v_cndmask_b32_e64 v35, v35, v38, s[0:1]
	v_lshlrev_b32_e32 v2, 16, v2
	v_lshl_or_b32 v35, v35, 23, v2
.LBB257_76:                             ;   in Loop: Header=BB257_13 Depth=1
	s_or_b64 exec, exec, s[44:45]
.LBB257_77:                             ;   in Loop: Header=BB257_13 Depth=1
	s_or_b64 exec, exec, s[42:43]
.LBB257_78:                             ;   in Loop: Header=BB257_13 Depth=1
	s_or_b64 exec, exec, s[40:41]
	v_lshrrev_b32_e32 v2, 16, v10
	v_cmp_ne_u16_sdwa s[0:1], v2, v3 src0_sel:BYTE_0 src1_sel:DWORD
	v_mov_b32_e32 v37, 0
	v_mov_b32_e32 v38, 0
	s_and_saveexec_b64 s[40:41], s[0:1]
	s_cbranch_execz .LBB257_84
; %bb.79:                               ;   in Loop: Header=BB257_13 Depth=1
	v_cmp_ne_u16_sdwa s[0:1], v2, s52 src0_sel:BYTE_0 src1_sel:DWORD
	v_mov_b32_e32 v38, 0x8000
	s_and_saveexec_b64 s[42:43], s[0:1]
	s_cbranch_execz .LBB257_83
; %bb.80:                               ;   in Loop: Header=BB257_13 Depth=1
	v_bfe_u32 v39, v10, 16, 7
	v_cmp_ne_u32_e64 s[0:1], s53, v39
	v_mov_b32_e32 v38, 0x7c01
	s_and_saveexec_b64 s[44:45], s[0:1]
	s_cbranch_execz .LBB257_82
; %bb.81:                               ;   in Loop: Header=BB257_13 Depth=1
	v_and_b32_e32 v38, 7, v2
	v_ffbh_u32_e32 v40, v38
	v_min_u32_e32 v43, 32, v40
	v_subrev_u32_e32 v40, 28, v43
	v_lshlrev_b64 v[40:41], v40, v[2:3]
	v_lshrrev_b32_e32 v42, 3, v39
	v_sub_u32_e32 v41, 29, v43
	v_cmp_gt_u32_e64 s[0:1], 8, v39
	v_lshlrev_b32_e32 v2, 8, v2
	v_and_b32_e32 v40, 7, v40
	v_cndmask_b32_e64 v39, v42, v41, s[0:1]
	v_lshl_add_u32 v39, v39, 10, v21
	v_and_b32_e32 v39, 0xfc00, v39
	v_cndmask_b32_e64 v38, v38, v40, s[0:1]
	v_and_or_b32 v2, v2, s54, v39
	v_lshl_or_b32 v38, v38, 7, v2
.LBB257_82:                             ;   in Loop: Header=BB257_13 Depth=1
	s_or_b64 exec, exec, s[44:45]
.LBB257_83:                             ;   in Loop: Header=BB257_13 Depth=1
	s_or_b64 exec, exec, s[42:43]
.LBB257_84:                             ;   in Loop: Header=BB257_13 Depth=1
	s_or_b64 exec, exec, s[40:41]
	v_cmp_lt_u32_e64 s[0:1], s55, v10
	s_and_saveexec_b64 s[40:41], s[0:1]
	s_cbranch_execz .LBB257_90
; %bb.85:                               ;   in Loop: Header=BB257_13 Depth=1
	v_lshrrev_b32_e32 v2, 24, v10
	v_cmp_ne_u32_e64 s[0:1], s52, v2
	v_bfrev_b32_e32 v37, 1
	s_and_saveexec_b64 s[42:43], s[0:1]
	s_cbranch_execz .LBB257_89
; %bb.86:                               ;   in Loop: Header=BB257_13 Depth=1
	v_and_b32_e32 v10, 0x7f, v2
	v_cmp_ne_u32_e64 s[0:1], s53, v10
	v_mov_b32_e32 v37, 0x7c010000
	s_and_saveexec_b64 s[44:45], s[0:1]
	s_cbranch_execz .LBB257_88
; %bb.87:                               ;   in Loop: Header=BB257_13 Depth=1
	v_and_b32_e32 v37, 7, v2
	v_ffbh_u32_e32 v40, v37
	v_min_u32_e32 v42, 32, v40
	v_subrev_u32_e32 v40, 28, v42
	v_lshlrev_b64 v[40:41], v40, v[2:3]
	v_lshrrev_b32_e32 v39, 3, v10
	v_sub_u32_e32 v41, 29, v42
	v_cmp_gt_u32_e64 s[0:1], 8, v10
	v_lshlrev_b32_e32 v2, 8, v2
	s_nop 0
	v_cndmask_b32_e64 v10, v39, v41, s[0:1]
	v_lshl_add_u32 v10, v10, 10, v21
	v_and_b32_e32 v39, 7, v40
	v_and_or_b32 v2, v2, s54, v10
	v_cndmask_b32_e64 v37, v37, v39, s[0:1]
	v_lshlrev_b32_e32 v2, 16, v2
	v_lshl_or_b32 v37, v37, 23, v2
.LBB257_88:                             ;   in Loop: Header=BB257_13 Depth=1
	s_or_b64 exec, exec, s[44:45]
.LBB257_89:                             ;   in Loop: Header=BB257_13 Depth=1
	s_or_b64 exec, exec, s[42:43]
.LBB257_90:                             ;   in Loop: Header=BB257_13 Depth=1
	s_or_b64 exec, exec, s[40:41]
	global_load_dword v10, v[8:9], off offset:520
	v_mov_b32_e32 v39, 0
	v_mov_b32_e32 v40, 0
	s_waitcnt vmcnt(0)
	v_cmp_ne_u16_sdwa s[0:1], v10, v3 src0_sel:BYTE_0 src1_sel:DWORD
	s_and_saveexec_b64 s[40:41], s[0:1]
	s_cbranch_execz .LBB257_96
; %bb.91:                               ;   in Loop: Header=BB257_13 Depth=1
	v_cmp_ne_u16_sdwa s[0:1], v10, s52 src0_sel:BYTE_0 src1_sel:DWORD
	v_mov_b32_e32 v40, 0x8000
	s_and_saveexec_b64 s[42:43], s[0:1]
	s_cbranch_execz .LBB257_95
; %bb.92:                               ;   in Loop: Header=BB257_13 Depth=1
	v_and_b32_e32 v2, 0x7f, v10
	v_cmp_ne_u32_e64 s[0:1], s53, v2
	v_mov_b32_e32 v40, 0x7c01
	s_and_saveexec_b64 s[44:45], s[0:1]
	s_cbranch_execz .LBB257_94
; %bb.93:                               ;   in Loop: Header=BB257_13 Depth=1
	v_and_b32_e32 v42, 7, v10
	v_ffbh_u32_e32 v40, v42
	v_min_u32_e32 v44, 32, v40
	v_subrev_u32_e32 v40, 28, v44
	v_lshlrev_b64 v[40:41], v40, v[10:11]
	v_lshrrev_b32_e32 v43, 3, v2
	v_sub_u32_e32 v41, 29, v44
	v_cmp_gt_u32_e64 s[0:1], 8, v2
	v_and_b32_e32 v40, 7, v40
	s_nop 0
	v_cndmask_b32_e64 v2, v43, v41, s[0:1]
	v_lshl_add_u32 v2, v2, 10, v21
	v_lshlrev_b32_e32 v41, 8, v10
	v_and_b32_e32 v2, 0xfc00, v2
	v_cndmask_b32_e64 v40, v42, v40, s[0:1]
	v_and_or_b32 v2, v41, s54, v2
	v_lshl_or_b32 v40, v40, 7, v2
.LBB257_94:                             ;   in Loop: Header=BB257_13 Depth=1
	s_or_b64 exec, exec, s[44:45]
.LBB257_95:                             ;   in Loop: Header=BB257_13 Depth=1
	s_or_b64 exec, exec, s[42:43]
.LBB257_96:                             ;   in Loop: Header=BB257_13 Depth=1
	s_or_b64 exec, exec, s[40:41]
	v_lshrrev_b16_e32 v2, 8, v10
	v_cmp_ne_u16_e64 s[0:1], 0, v2
	s_and_saveexec_b64 s[40:41], s[0:1]
	s_cbranch_execz .LBB257_102
; %bb.97:                               ;   in Loop: Header=BB257_13 Depth=1
	v_cmp_ne_u16_e64 s[0:1], s52, v2
	v_bfrev_b32_e32 v39, 1
	s_and_saveexec_b64 s[42:43], s[0:1]
	s_cbranch_execz .LBB257_101
; %bb.98:                               ;   in Loop: Header=BB257_13 Depth=1
	v_and_b32_e32 v41, 0x7f, v2
	v_cmp_ne_u32_e64 s[0:1], s53, v41
	v_mov_b32_e32 v39, 0x7c010000
	s_and_saveexec_b64 s[44:45], s[0:1]
	s_cbranch_execz .LBB257_100
; %bb.99:                               ;   in Loop: Header=BB257_13 Depth=1
	v_and_b32_e32 v39, 7, v2
	v_ffbh_u32_e32 v42, v39
	v_min_u32_e32 v45, 32, v42
	v_subrev_u32_e32 v42, 28, v45
	v_lshlrev_b64 v[42:43], v42, v[2:3]
	v_lshrrev_b32_e32 v44, 3, v41
	v_sub_u32_e32 v43, 29, v45
	v_cmp_gt_u32_e64 s[0:1], 8, v41
	v_lshlrev_b32_e32 v2, 8, v2
	v_and_b32_e32 v42, 7, v42
	v_cndmask_b32_e64 v41, v44, v43, s[0:1]
	v_lshl_add_u32 v41, v41, 10, v21
	v_and_or_b32 v2, v2, s54, v41
	v_cndmask_b32_e64 v39, v39, v42, s[0:1]
	v_lshlrev_b32_e32 v2, 16, v2
	v_lshl_or_b32 v39, v39, 23, v2
.LBB257_100:                            ;   in Loop: Header=BB257_13 Depth=1
	s_or_b64 exec, exec, s[44:45]
.LBB257_101:                            ;   in Loop: Header=BB257_13 Depth=1
	s_or_b64 exec, exec, s[42:43]
.LBB257_102:                            ;   in Loop: Header=BB257_13 Depth=1
	s_or_b64 exec, exec, s[40:41]
	v_lshrrev_b32_e32 v2, 16, v10
	v_cmp_ne_u16_sdwa s[0:1], v2, v3 src0_sel:BYTE_0 src1_sel:DWORD
	v_mov_b32_e32 v41, 0
	v_mov_b32_e32 v42, 0
	s_and_saveexec_b64 s[40:41], s[0:1]
	s_cbranch_execz .LBB257_108
; %bb.103:                              ;   in Loop: Header=BB257_13 Depth=1
	v_cmp_ne_u16_sdwa s[0:1], v2, s52 src0_sel:BYTE_0 src1_sel:DWORD
	v_mov_b32_e32 v42, 0x8000
	s_and_saveexec_b64 s[42:43], s[0:1]
	s_cbranch_execz .LBB257_107
; %bb.104:                              ;   in Loop: Header=BB257_13 Depth=1
	v_bfe_u32 v43, v10, 16, 7
	v_cmp_ne_u32_e64 s[0:1], s53, v43
	v_mov_b32_e32 v42, 0x7c01
	s_and_saveexec_b64 s[44:45], s[0:1]
	s_cbranch_execz .LBB257_106
; %bb.105:                              ;   in Loop: Header=BB257_13 Depth=1
	v_and_b32_e32 v42, 7, v2
	v_ffbh_u32_e32 v44, v42
	v_min_u32_e32 v47, 32, v44
	v_subrev_u32_e32 v44, 28, v47
	v_lshlrev_b64 v[44:45], v44, v[2:3]
	v_lshrrev_b32_e32 v46, 3, v43
	v_sub_u32_e32 v45, 29, v47
	v_cmp_gt_u32_e64 s[0:1], 8, v43
	v_lshlrev_b32_e32 v2, 8, v2
	v_and_b32_e32 v44, 7, v44
	v_cndmask_b32_e64 v43, v46, v45, s[0:1]
	v_lshl_add_u32 v43, v43, 10, v21
	v_and_b32_e32 v43, 0xfc00, v43
	v_cndmask_b32_e64 v42, v42, v44, s[0:1]
	v_and_or_b32 v2, v2, s54, v43
	v_lshl_or_b32 v42, v42, 7, v2
.LBB257_106:                            ;   in Loop: Header=BB257_13 Depth=1
	s_or_b64 exec, exec, s[44:45]
.LBB257_107:                            ;   in Loop: Header=BB257_13 Depth=1
	s_or_b64 exec, exec, s[42:43]
.LBB257_108:                            ;   in Loop: Header=BB257_13 Depth=1
	s_or_b64 exec, exec, s[40:41]
	v_cmp_lt_u32_e64 s[0:1], s55, v10
	s_and_saveexec_b64 s[40:41], s[0:1]
	s_cbranch_execz .LBB257_114
; %bb.109:                              ;   in Loop: Header=BB257_13 Depth=1
	v_lshrrev_b32_e32 v2, 24, v10
	v_cmp_ne_u32_e64 s[0:1], s52, v2
	v_bfrev_b32_e32 v41, 1
	s_and_saveexec_b64 s[42:43], s[0:1]
	s_cbranch_execz .LBB257_113
; %bb.110:                              ;   in Loop: Header=BB257_13 Depth=1
	v_and_b32_e32 v10, 0x7f, v2
	v_cmp_ne_u32_e64 s[0:1], s53, v10
	v_mov_b32_e32 v41, 0x7c010000
	s_and_saveexec_b64 s[44:45], s[0:1]
	s_cbranch_execz .LBB257_112
; %bb.111:                              ;   in Loop: Header=BB257_13 Depth=1
	v_and_b32_e32 v41, 7, v2
	v_ffbh_u32_e32 v44, v41
	v_min_u32_e32 v46, 32, v44
	v_subrev_u32_e32 v44, 28, v46
	v_lshlrev_b64 v[44:45], v44, v[2:3]
	v_lshrrev_b32_e32 v43, 3, v10
	v_sub_u32_e32 v45, 29, v46
	v_cmp_gt_u32_e64 s[0:1], 8, v10
	v_lshlrev_b32_e32 v2, 8, v2
	s_nop 0
	v_cndmask_b32_e64 v10, v43, v45, s[0:1]
	v_lshl_add_u32 v10, v10, 10, v21
	v_and_b32_e32 v43, 7, v44
	v_and_or_b32 v2, v2, s54, v10
	v_cndmask_b32_e64 v41, v41, v43, s[0:1]
	v_lshlrev_b32_e32 v2, 16, v2
	v_lshl_or_b32 v41, v41, 23, v2
.LBB257_112:                            ;   in Loop: Header=BB257_13 Depth=1
	s_or_b64 exec, exec, s[44:45]
.LBB257_113:                            ;   in Loop: Header=BB257_13 Depth=1
	s_or_b64 exec, exec, s[42:43]
.LBB257_114:                            ;   in Loop: Header=BB257_13 Depth=1
	s_or_b64 exec, exec, s[40:41]
	global_load_dword v10, v[8:9], off offset:1024
	v_mov_b32_e32 v43, 0
	v_mov_b32_e32 v44, 0
	s_waitcnt vmcnt(0)
	v_cmp_ne_u16_sdwa s[0:1], v10, v3 src0_sel:BYTE_0 src1_sel:DWORD
	s_and_saveexec_b64 s[40:41], s[0:1]
	s_cbranch_execz .LBB257_120
; %bb.115:                              ;   in Loop: Header=BB257_13 Depth=1
	v_cmp_ne_u16_sdwa s[0:1], v10, s52 src0_sel:BYTE_0 src1_sel:DWORD
	v_mov_b32_e32 v44, 0x8000
	s_and_saveexec_b64 s[42:43], s[0:1]
	s_cbranch_execz .LBB257_119
; %bb.116:                              ;   in Loop: Header=BB257_13 Depth=1
	v_and_b32_e32 v2, 0x7f, v10
	v_cmp_ne_u32_e64 s[0:1], s53, v2
	v_mov_b32_e32 v44, 0x7c01
	s_and_saveexec_b64 s[44:45], s[0:1]
	s_cbranch_execz .LBB257_118
; %bb.117:                              ;   in Loop: Header=BB257_13 Depth=1
	v_and_b32_e32 v46, 7, v10
	v_ffbh_u32_e32 v44, v46
	v_min_u32_e32 v48, 32, v44
	v_subrev_u32_e32 v44, 28, v48
	v_lshlrev_b64 v[44:45], v44, v[10:11]
	v_lshrrev_b32_e32 v47, 3, v2
	v_sub_u32_e32 v45, 29, v48
	v_cmp_gt_u32_e64 s[0:1], 8, v2
	v_and_b32_e32 v44, 7, v44
	s_nop 0
	v_cndmask_b32_e64 v2, v47, v45, s[0:1]
	v_lshl_add_u32 v2, v2, 10, v21
	v_lshlrev_b32_e32 v45, 8, v10
	v_and_b32_e32 v2, 0xfc00, v2
	v_cndmask_b32_e64 v44, v46, v44, s[0:1]
	v_and_or_b32 v2, v45, s54, v2
	v_lshl_or_b32 v44, v44, 7, v2
.LBB257_118:                            ;   in Loop: Header=BB257_13 Depth=1
	s_or_b64 exec, exec, s[44:45]
.LBB257_119:                            ;   in Loop: Header=BB257_13 Depth=1
	s_or_b64 exec, exec, s[42:43]
.LBB257_120:                            ;   in Loop: Header=BB257_13 Depth=1
	s_or_b64 exec, exec, s[40:41]
	v_lshrrev_b16_e32 v2, 8, v10
	v_cmp_ne_u16_e64 s[0:1], 0, v2
	s_and_saveexec_b64 s[40:41], s[0:1]
	s_cbranch_execz .LBB257_126
; %bb.121:                              ;   in Loop: Header=BB257_13 Depth=1
	v_cmp_ne_u16_e64 s[0:1], s52, v2
	v_bfrev_b32_e32 v43, 1
	s_and_saveexec_b64 s[42:43], s[0:1]
	s_cbranch_execz .LBB257_125
; %bb.122:                              ;   in Loop: Header=BB257_13 Depth=1
	v_and_b32_e32 v45, 0x7f, v2
	v_cmp_ne_u32_e64 s[0:1], s53, v45
	v_mov_b32_e32 v43, 0x7c010000
	s_and_saveexec_b64 s[44:45], s[0:1]
	s_cbranch_execz .LBB257_124
; %bb.123:                              ;   in Loop: Header=BB257_13 Depth=1
	v_and_b32_e32 v43, 7, v2
	v_ffbh_u32_e32 v46, v43
	v_min_u32_e32 v49, 32, v46
	v_subrev_u32_e32 v46, 28, v49
	v_lshlrev_b64 v[46:47], v46, v[2:3]
	v_lshrrev_b32_e32 v48, 3, v45
	v_sub_u32_e32 v47, 29, v49
	v_cmp_gt_u32_e64 s[0:1], 8, v45
	v_lshlrev_b32_e32 v2, 8, v2
	v_and_b32_e32 v46, 7, v46
	v_cndmask_b32_e64 v45, v48, v47, s[0:1]
	v_lshl_add_u32 v45, v45, 10, v21
	v_and_or_b32 v2, v2, s54, v45
	v_cndmask_b32_e64 v43, v43, v46, s[0:1]
	v_lshlrev_b32_e32 v2, 16, v2
	v_lshl_or_b32 v43, v43, 23, v2
.LBB257_124:                            ;   in Loop: Header=BB257_13 Depth=1
	s_or_b64 exec, exec, s[44:45]
.LBB257_125:                            ;   in Loop: Header=BB257_13 Depth=1
	s_or_b64 exec, exec, s[42:43]
.LBB257_126:                            ;   in Loop: Header=BB257_13 Depth=1
	s_or_b64 exec, exec, s[40:41]
	v_lshrrev_b32_e32 v2, 16, v10
	v_cmp_ne_u16_sdwa s[0:1], v2, v3 src0_sel:BYTE_0 src1_sel:DWORD
	v_mov_b32_e32 v45, 0
	v_mov_b32_e32 v46, 0
	s_and_saveexec_b64 s[40:41], s[0:1]
	s_cbranch_execz .LBB257_132
; %bb.127:                              ;   in Loop: Header=BB257_13 Depth=1
	v_cmp_ne_u16_sdwa s[0:1], v2, s52 src0_sel:BYTE_0 src1_sel:DWORD
	v_mov_b32_e32 v46, 0x8000
	s_and_saveexec_b64 s[42:43], s[0:1]
	s_cbranch_execz .LBB257_131
; %bb.128:                              ;   in Loop: Header=BB257_13 Depth=1
	v_bfe_u32 v47, v10, 16, 7
	v_cmp_ne_u32_e64 s[0:1], s53, v47
	v_mov_b32_e32 v46, 0x7c01
	s_and_saveexec_b64 s[44:45], s[0:1]
	s_cbranch_execz .LBB257_130
; %bb.129:                              ;   in Loop: Header=BB257_13 Depth=1
	v_and_b32_e32 v46, 7, v2
	v_ffbh_u32_e32 v48, v46
	v_min_u32_e32 v51, 32, v48
	v_subrev_u32_e32 v48, 28, v51
	v_lshlrev_b64 v[48:49], v48, v[2:3]
	v_lshrrev_b32_e32 v50, 3, v47
	v_sub_u32_e32 v49, 29, v51
	v_cmp_gt_u32_e64 s[0:1], 8, v47
	v_lshlrev_b32_e32 v2, 8, v2
	v_and_b32_e32 v48, 7, v48
	v_cndmask_b32_e64 v47, v50, v49, s[0:1]
	v_lshl_add_u32 v47, v47, 10, v21
	v_and_b32_e32 v47, 0xfc00, v47
	v_cndmask_b32_e64 v46, v46, v48, s[0:1]
	v_and_or_b32 v2, v2, s54, v47
	v_lshl_or_b32 v46, v46, 7, v2
.LBB257_130:                            ;   in Loop: Header=BB257_13 Depth=1
	s_or_b64 exec, exec, s[44:45]
.LBB257_131:                            ;   in Loop: Header=BB257_13 Depth=1
	s_or_b64 exec, exec, s[42:43]
.LBB257_132:                            ;   in Loop: Header=BB257_13 Depth=1
	s_or_b64 exec, exec, s[40:41]
	v_cmp_lt_u32_e64 s[0:1], s55, v10
	s_and_saveexec_b64 s[40:41], s[0:1]
	s_cbranch_execz .LBB257_138
; %bb.133:                              ;   in Loop: Header=BB257_13 Depth=1
	v_lshrrev_b32_e32 v2, 24, v10
	v_cmp_ne_u32_e64 s[0:1], s52, v2
	v_bfrev_b32_e32 v45, 1
	s_and_saveexec_b64 s[42:43], s[0:1]
	s_cbranch_execz .LBB257_137
; %bb.134:                              ;   in Loop: Header=BB257_13 Depth=1
	v_and_b32_e32 v10, 0x7f, v2
	v_cmp_ne_u32_e64 s[0:1], s53, v10
	v_mov_b32_e32 v45, 0x7c010000
	s_and_saveexec_b64 s[44:45], s[0:1]
	s_cbranch_execz .LBB257_136
; %bb.135:                              ;   in Loop: Header=BB257_13 Depth=1
	v_and_b32_e32 v45, 7, v2
	v_ffbh_u32_e32 v48, v45
	v_min_u32_e32 v50, 32, v48
	v_subrev_u32_e32 v48, 28, v50
	v_lshlrev_b64 v[48:49], v48, v[2:3]
	v_lshrrev_b32_e32 v47, 3, v10
	v_sub_u32_e32 v49, 29, v50
	v_cmp_gt_u32_e64 s[0:1], 8, v10
	v_lshlrev_b32_e32 v2, 8, v2
	s_nop 0
	v_cndmask_b32_e64 v10, v47, v49, s[0:1]
	v_lshl_add_u32 v10, v10, 10, v21
	v_and_b32_e32 v47, 7, v48
	v_and_or_b32 v2, v2, s54, v10
	v_cndmask_b32_e64 v45, v45, v47, s[0:1]
	v_lshlrev_b32_e32 v2, 16, v2
	v_lshl_or_b32 v45, v45, 23, v2
.LBB257_136:                            ;   in Loop: Header=BB257_13 Depth=1
	s_or_b64 exec, exec, s[44:45]
.LBB257_137:                            ;   in Loop: Header=BB257_13 Depth=1
	s_or_b64 exec, exec, s[42:43]
.LBB257_138:                            ;   in Loop: Header=BB257_13 Depth=1
	s_or_b64 exec, exec, s[40:41]
	global_load_dword v10, v[8:9], off offset:1032
	v_mov_b32_e32 v47, 0
	v_mov_b32_e32 v48, 0
	s_waitcnt vmcnt(0)
	v_cmp_ne_u16_sdwa s[0:1], v10, v3 src0_sel:BYTE_0 src1_sel:DWORD
	s_and_saveexec_b64 s[40:41], s[0:1]
	s_cbranch_execz .LBB257_144
; %bb.139:                              ;   in Loop: Header=BB257_13 Depth=1
	v_cmp_ne_u16_sdwa s[0:1], v10, s52 src0_sel:BYTE_0 src1_sel:DWORD
	v_mov_b32_e32 v48, 0x8000
	s_and_saveexec_b64 s[42:43], s[0:1]
	s_cbranch_execz .LBB257_143
; %bb.140:                              ;   in Loop: Header=BB257_13 Depth=1
	v_and_b32_e32 v2, 0x7f, v10
	v_cmp_ne_u32_e64 s[0:1], s53, v2
	v_mov_b32_e32 v48, 0x7c01
	s_and_saveexec_b64 s[44:45], s[0:1]
	s_cbranch_execz .LBB257_142
; %bb.141:                              ;   in Loop: Header=BB257_13 Depth=1
	v_and_b32_e32 v50, 7, v10
	v_ffbh_u32_e32 v48, v50
	v_min_u32_e32 v52, 32, v48
	v_subrev_u32_e32 v48, 28, v52
	v_lshlrev_b64 v[48:49], v48, v[10:11]
	v_lshrrev_b32_e32 v51, 3, v2
	v_sub_u32_e32 v49, 29, v52
	v_cmp_gt_u32_e64 s[0:1], 8, v2
	v_and_b32_e32 v48, 7, v48
	s_nop 0
	v_cndmask_b32_e64 v2, v51, v49, s[0:1]
	v_lshl_add_u32 v2, v2, 10, v21
	v_lshlrev_b32_e32 v49, 8, v10
	v_and_b32_e32 v2, 0xfc00, v2
	v_cndmask_b32_e64 v48, v50, v48, s[0:1]
	v_and_or_b32 v2, v49, s54, v2
	v_lshl_or_b32 v48, v48, 7, v2
.LBB257_142:                            ;   in Loop: Header=BB257_13 Depth=1
	s_or_b64 exec, exec, s[44:45]
.LBB257_143:                            ;   in Loop: Header=BB257_13 Depth=1
	s_or_b64 exec, exec, s[42:43]
.LBB257_144:                            ;   in Loop: Header=BB257_13 Depth=1
	s_or_b64 exec, exec, s[40:41]
	v_lshrrev_b16_e32 v2, 8, v10
	v_cmp_ne_u16_e64 s[0:1], 0, v2
	s_and_saveexec_b64 s[40:41], s[0:1]
	s_cbranch_execz .LBB257_150
; %bb.145:                              ;   in Loop: Header=BB257_13 Depth=1
	v_cmp_ne_u16_e64 s[0:1], s52, v2
	v_bfrev_b32_e32 v47, 1
	s_and_saveexec_b64 s[42:43], s[0:1]
	s_cbranch_execz .LBB257_149
; %bb.146:                              ;   in Loop: Header=BB257_13 Depth=1
	v_and_b32_e32 v49, 0x7f, v2
	v_cmp_ne_u32_e64 s[0:1], s53, v49
	v_mov_b32_e32 v47, 0x7c010000
	s_and_saveexec_b64 s[44:45], s[0:1]
	s_cbranch_execz .LBB257_148
; %bb.147:                              ;   in Loop: Header=BB257_13 Depth=1
	v_and_b32_e32 v47, 7, v2
	v_ffbh_u32_e32 v50, v47
	v_min_u32_e32 v53, 32, v50
	v_subrev_u32_e32 v50, 28, v53
	v_lshlrev_b64 v[50:51], v50, v[2:3]
	v_lshrrev_b32_e32 v52, 3, v49
	v_sub_u32_e32 v51, 29, v53
	v_cmp_gt_u32_e64 s[0:1], 8, v49
	v_lshlrev_b32_e32 v2, 8, v2
	v_and_b32_e32 v50, 7, v50
	v_cndmask_b32_e64 v49, v52, v51, s[0:1]
	v_lshl_add_u32 v49, v49, 10, v21
	v_and_or_b32 v2, v2, s54, v49
	v_cndmask_b32_e64 v47, v47, v50, s[0:1]
	v_lshlrev_b32_e32 v2, 16, v2
	v_lshl_or_b32 v47, v47, 23, v2
.LBB257_148:                            ;   in Loop: Header=BB257_13 Depth=1
	s_or_b64 exec, exec, s[44:45]
.LBB257_149:                            ;   in Loop: Header=BB257_13 Depth=1
	s_or_b64 exec, exec, s[42:43]
.LBB257_150:                            ;   in Loop: Header=BB257_13 Depth=1
	s_or_b64 exec, exec, s[40:41]
	v_lshrrev_b32_e32 v2, 16, v10
	v_cmp_ne_u16_sdwa s[0:1], v2, v3 src0_sel:BYTE_0 src1_sel:DWORD
	v_mov_b32_e32 v49, 0
	v_mov_b32_e32 v50, 0
	s_and_saveexec_b64 s[40:41], s[0:1]
	s_cbranch_execz .LBB257_156
; %bb.151:                              ;   in Loop: Header=BB257_13 Depth=1
	v_cmp_ne_u16_sdwa s[0:1], v2, s52 src0_sel:BYTE_0 src1_sel:DWORD
	v_mov_b32_e32 v50, 0x8000
	s_and_saveexec_b64 s[42:43], s[0:1]
	s_cbranch_execz .LBB257_155
; %bb.152:                              ;   in Loop: Header=BB257_13 Depth=1
	v_bfe_u32 v51, v10, 16, 7
	v_cmp_ne_u32_e64 s[0:1], s53, v51
	v_mov_b32_e32 v50, 0x7c01
	s_and_saveexec_b64 s[44:45], s[0:1]
	s_cbranch_execz .LBB257_154
; %bb.153:                              ;   in Loop: Header=BB257_13 Depth=1
	v_and_b32_e32 v50, 7, v2
	v_ffbh_u32_e32 v52, v50
	v_min_u32_e32 v55, 32, v52
	v_subrev_u32_e32 v52, 28, v55
	v_lshlrev_b64 v[52:53], v52, v[2:3]
	v_lshrrev_b32_e32 v54, 3, v51
	v_sub_u32_e32 v53, 29, v55
	v_cmp_gt_u32_e64 s[0:1], 8, v51
	v_lshlrev_b32_e32 v2, 8, v2
	v_and_b32_e32 v52, 7, v52
	v_cndmask_b32_e64 v51, v54, v53, s[0:1]
	v_lshl_add_u32 v51, v51, 10, v21
	v_and_b32_e32 v51, 0xfc00, v51
	v_cndmask_b32_e64 v50, v50, v52, s[0:1]
	v_and_or_b32 v2, v2, s54, v51
	v_lshl_or_b32 v50, v50, 7, v2
.LBB257_154:                            ;   in Loop: Header=BB257_13 Depth=1
	s_or_b64 exec, exec, s[44:45]
.LBB257_155:                            ;   in Loop: Header=BB257_13 Depth=1
	s_or_b64 exec, exec, s[42:43]
.LBB257_156:                            ;   in Loop: Header=BB257_13 Depth=1
	s_or_b64 exec, exec, s[40:41]
	v_cmp_lt_u32_e64 s[0:1], s55, v10
	s_and_saveexec_b64 s[40:41], s[0:1]
	s_cbranch_execz .LBB257_162
; %bb.157:                              ;   in Loop: Header=BB257_13 Depth=1
	v_lshrrev_b32_e32 v2, 24, v10
	v_cmp_ne_u32_e64 s[0:1], s52, v2
	v_bfrev_b32_e32 v49, 1
	s_and_saveexec_b64 s[42:43], s[0:1]
	s_cbranch_execz .LBB257_161
; %bb.158:                              ;   in Loop: Header=BB257_13 Depth=1
	v_and_b32_e32 v10, 0x7f, v2
	v_cmp_ne_u32_e64 s[0:1], s53, v10
	v_mov_b32_e32 v49, 0x7c010000
	s_and_saveexec_b64 s[44:45], s[0:1]
	s_cbranch_execz .LBB257_160
; %bb.159:                              ;   in Loop: Header=BB257_13 Depth=1
	v_and_b32_e32 v49, 7, v2
	v_ffbh_u32_e32 v52, v49
	v_min_u32_e32 v54, 32, v52
	v_subrev_u32_e32 v52, 28, v54
	v_lshlrev_b64 v[52:53], v52, v[2:3]
	v_lshrrev_b32_e32 v51, 3, v10
	v_sub_u32_e32 v53, 29, v54
	v_cmp_gt_u32_e64 s[0:1], 8, v10
	v_lshlrev_b32_e32 v2, 8, v2
	s_nop 0
	v_cndmask_b32_e64 v10, v51, v53, s[0:1]
	v_lshl_add_u32 v10, v10, 10, v21
	v_and_b32_e32 v51, 7, v52
	v_and_or_b32 v2, v2, s54, v10
	v_cndmask_b32_e64 v49, v49, v51, s[0:1]
	v_lshlrev_b32_e32 v2, 16, v2
	v_lshl_or_b32 v49, v49, 23, v2
.LBB257_160:                            ;   in Loop: Header=BB257_13 Depth=1
	s_or_b64 exec, exec, s[44:45]
.LBB257_161:                            ;   in Loop: Header=BB257_13 Depth=1
	s_or_b64 exec, exec, s[42:43]
.LBB257_162:                            ;   in Loop: Header=BB257_13 Depth=1
	s_or_b64 exec, exec, s[40:41]
	global_load_dword v10, v[8:9], off offset:1536
	v_mov_b32_e32 v51, 0
	v_mov_b32_e32 v52, 0
	s_waitcnt vmcnt(0)
	v_cmp_ne_u16_sdwa s[0:1], v10, v3 src0_sel:BYTE_0 src1_sel:DWORD
	s_and_saveexec_b64 s[40:41], s[0:1]
	s_cbranch_execz .LBB257_168
; %bb.163:                              ;   in Loop: Header=BB257_13 Depth=1
	v_cmp_ne_u16_sdwa s[0:1], v10, s52 src0_sel:BYTE_0 src1_sel:DWORD
	v_mov_b32_e32 v52, 0x8000
	s_and_saveexec_b64 s[42:43], s[0:1]
	s_cbranch_execz .LBB257_167
; %bb.164:                              ;   in Loop: Header=BB257_13 Depth=1
	v_and_b32_e32 v2, 0x7f, v10
	v_cmp_ne_u32_e64 s[0:1], s53, v2
	v_mov_b32_e32 v52, 0x7c01
	s_and_saveexec_b64 s[44:45], s[0:1]
	s_cbranch_execz .LBB257_166
; %bb.165:                              ;   in Loop: Header=BB257_13 Depth=1
	v_and_b32_e32 v54, 7, v10
	v_ffbh_u32_e32 v52, v54
	v_min_u32_e32 v56, 32, v52
	v_subrev_u32_e32 v52, 28, v56
	v_lshlrev_b64 v[52:53], v52, v[10:11]
	v_lshrrev_b32_e32 v55, 3, v2
	v_sub_u32_e32 v53, 29, v56
	v_cmp_gt_u32_e64 s[0:1], 8, v2
	v_and_b32_e32 v52, 7, v52
	s_nop 0
	v_cndmask_b32_e64 v2, v55, v53, s[0:1]
	v_lshl_add_u32 v2, v2, 10, v21
	v_lshlrev_b32_e32 v53, 8, v10
	v_and_b32_e32 v2, 0xfc00, v2
	v_cndmask_b32_e64 v52, v54, v52, s[0:1]
	v_and_or_b32 v2, v53, s54, v2
	v_lshl_or_b32 v52, v52, 7, v2
.LBB257_166:                            ;   in Loop: Header=BB257_13 Depth=1
	s_or_b64 exec, exec, s[44:45]
.LBB257_167:                            ;   in Loop: Header=BB257_13 Depth=1
	s_or_b64 exec, exec, s[42:43]
.LBB257_168:                            ;   in Loop: Header=BB257_13 Depth=1
	s_or_b64 exec, exec, s[40:41]
	v_lshrrev_b16_e32 v2, 8, v10
	v_cmp_ne_u16_e64 s[0:1], 0, v2
	s_and_saveexec_b64 s[40:41], s[0:1]
	s_cbranch_execz .LBB257_174
; %bb.169:                              ;   in Loop: Header=BB257_13 Depth=1
	v_cmp_ne_u16_e64 s[0:1], s52, v2
	v_bfrev_b32_e32 v51, 1
	s_and_saveexec_b64 s[42:43], s[0:1]
	s_cbranch_execz .LBB257_173
; %bb.170:                              ;   in Loop: Header=BB257_13 Depth=1
	v_and_b32_e32 v53, 0x7f, v2
	v_cmp_ne_u32_e64 s[0:1], s53, v53
	v_mov_b32_e32 v51, 0x7c010000
	s_and_saveexec_b64 s[44:45], s[0:1]
	s_cbranch_execz .LBB257_172
; %bb.171:                              ;   in Loop: Header=BB257_13 Depth=1
	v_and_b32_e32 v51, 7, v2
	v_ffbh_u32_e32 v54, v51
	v_min_u32_e32 v57, 32, v54
	v_subrev_u32_e32 v54, 28, v57
	v_lshlrev_b64 v[54:55], v54, v[2:3]
	v_lshrrev_b32_e32 v56, 3, v53
	v_sub_u32_e32 v55, 29, v57
	v_cmp_gt_u32_e64 s[0:1], 8, v53
	v_lshlrev_b32_e32 v2, 8, v2
	v_and_b32_e32 v54, 7, v54
	v_cndmask_b32_e64 v53, v56, v55, s[0:1]
	v_lshl_add_u32 v53, v53, 10, v21
	v_and_or_b32 v2, v2, s54, v53
	v_cndmask_b32_e64 v51, v51, v54, s[0:1]
	v_lshlrev_b32_e32 v2, 16, v2
	v_lshl_or_b32 v51, v51, 23, v2
.LBB257_172:                            ;   in Loop: Header=BB257_13 Depth=1
	s_or_b64 exec, exec, s[44:45]
.LBB257_173:                            ;   in Loop: Header=BB257_13 Depth=1
	s_or_b64 exec, exec, s[42:43]
.LBB257_174:                            ;   in Loop: Header=BB257_13 Depth=1
	s_or_b64 exec, exec, s[40:41]
	v_lshrrev_b32_e32 v2, 16, v10
	v_cmp_ne_u16_sdwa s[0:1], v2, v3 src0_sel:BYTE_0 src1_sel:DWORD
	v_mov_b32_e32 v53, 0
	v_mov_b32_e32 v54, 0
	s_and_saveexec_b64 s[40:41], s[0:1]
	s_cbranch_execz .LBB257_180
; %bb.175:                              ;   in Loop: Header=BB257_13 Depth=1
	v_cmp_ne_u16_sdwa s[0:1], v2, s52 src0_sel:BYTE_0 src1_sel:DWORD
	v_mov_b32_e32 v54, 0x8000
	s_and_saveexec_b64 s[42:43], s[0:1]
	s_cbranch_execz .LBB257_179
; %bb.176:                              ;   in Loop: Header=BB257_13 Depth=1
	v_bfe_u32 v55, v10, 16, 7
	v_cmp_ne_u32_e64 s[0:1], s53, v55
	v_mov_b32_e32 v54, 0x7c01
	s_and_saveexec_b64 s[44:45], s[0:1]
	s_cbranch_execz .LBB257_178
; %bb.177:                              ;   in Loop: Header=BB257_13 Depth=1
	v_and_b32_e32 v54, 7, v2
	v_ffbh_u32_e32 v56, v54
	v_min_u32_e32 v59, 32, v56
	v_subrev_u32_e32 v56, 28, v59
	v_lshlrev_b64 v[56:57], v56, v[2:3]
	v_lshrrev_b32_e32 v58, 3, v55
	v_sub_u32_e32 v57, 29, v59
	v_cmp_gt_u32_e64 s[0:1], 8, v55
	v_lshlrev_b32_e32 v2, 8, v2
	v_and_b32_e32 v56, 7, v56
	v_cndmask_b32_e64 v55, v58, v57, s[0:1]
	v_lshl_add_u32 v55, v55, 10, v21
	v_and_b32_e32 v55, 0xfc00, v55
	v_cndmask_b32_e64 v54, v54, v56, s[0:1]
	v_and_or_b32 v2, v2, s54, v55
	v_lshl_or_b32 v54, v54, 7, v2
.LBB257_178:                            ;   in Loop: Header=BB257_13 Depth=1
	s_or_b64 exec, exec, s[44:45]
.LBB257_179:                            ;   in Loop: Header=BB257_13 Depth=1
	s_or_b64 exec, exec, s[42:43]
.LBB257_180:                            ;   in Loop: Header=BB257_13 Depth=1
	s_or_b64 exec, exec, s[40:41]
	v_cmp_lt_u32_e64 s[0:1], s55, v10
	s_and_saveexec_b64 s[40:41], s[0:1]
	s_cbranch_execz .LBB257_186
; %bb.181:                              ;   in Loop: Header=BB257_13 Depth=1
	v_lshrrev_b32_e32 v2, 24, v10
	v_cmp_ne_u32_e64 s[0:1], s52, v2
	v_bfrev_b32_e32 v53, 1
	s_and_saveexec_b64 s[42:43], s[0:1]
	s_cbranch_execz .LBB257_185
; %bb.182:                              ;   in Loop: Header=BB257_13 Depth=1
	v_and_b32_e32 v10, 0x7f, v2
	v_cmp_ne_u32_e64 s[0:1], s53, v10
	v_mov_b32_e32 v53, 0x7c010000
	s_and_saveexec_b64 s[44:45], s[0:1]
	s_cbranch_execz .LBB257_184
; %bb.183:                              ;   in Loop: Header=BB257_13 Depth=1
	v_and_b32_e32 v53, 7, v2
	v_ffbh_u32_e32 v56, v53
	v_min_u32_e32 v58, 32, v56
	v_subrev_u32_e32 v56, 28, v58
	v_lshlrev_b64 v[56:57], v56, v[2:3]
	v_lshrrev_b32_e32 v55, 3, v10
	v_sub_u32_e32 v57, 29, v58
	v_cmp_gt_u32_e64 s[0:1], 8, v10
	v_lshlrev_b32_e32 v2, 8, v2
	s_nop 0
	v_cndmask_b32_e64 v10, v55, v57, s[0:1]
	v_lshl_add_u32 v10, v10, 10, v21
	v_and_b32_e32 v55, 7, v56
	v_and_or_b32 v2, v2, s54, v10
	v_cndmask_b32_e64 v53, v53, v55, s[0:1]
	v_lshlrev_b32_e32 v2, 16, v2
	v_lshl_or_b32 v53, v53, 23, v2
.LBB257_184:                            ;   in Loop: Header=BB257_13 Depth=1
	s_or_b64 exec, exec, s[44:45]
.LBB257_185:                            ;   in Loop: Header=BB257_13 Depth=1
	s_or_b64 exec, exec, s[42:43]
.LBB257_186:                            ;   in Loop: Header=BB257_13 Depth=1
	s_or_b64 exec, exec, s[40:41]
	global_load_dword v10, v[8:9], off offset:1544
	v_mov_b32_e32 v55, 0
	v_mov_b32_e32 v56, 0
	s_waitcnt vmcnt(0)
	v_cmp_ne_u16_sdwa s[0:1], v10, v3 src0_sel:BYTE_0 src1_sel:DWORD
	s_and_saveexec_b64 s[40:41], s[0:1]
	s_cbranch_execz .LBB257_192
; %bb.187:                              ;   in Loop: Header=BB257_13 Depth=1
	v_cmp_ne_u16_sdwa s[0:1], v10, s52 src0_sel:BYTE_0 src1_sel:DWORD
	v_mov_b32_e32 v56, 0x8000
	s_and_saveexec_b64 s[42:43], s[0:1]
	s_cbranch_execz .LBB257_191
; %bb.188:                              ;   in Loop: Header=BB257_13 Depth=1
	v_and_b32_e32 v2, 0x7f, v10
	v_cmp_ne_u32_e64 s[0:1], s53, v2
	v_mov_b32_e32 v56, 0x7c01
	s_and_saveexec_b64 s[44:45], s[0:1]
	s_cbranch_execz .LBB257_190
; %bb.189:                              ;   in Loop: Header=BB257_13 Depth=1
	v_and_b32_e32 v58, 7, v10
	v_ffbh_u32_e32 v56, v58
	v_min_u32_e32 v60, 32, v56
	v_subrev_u32_e32 v56, 28, v60
	v_lshlrev_b64 v[56:57], v56, v[10:11]
	v_lshrrev_b32_e32 v59, 3, v2
	v_sub_u32_e32 v57, 29, v60
	v_cmp_gt_u32_e64 s[0:1], 8, v2
	v_and_b32_e32 v56, 7, v56
	s_nop 0
	v_cndmask_b32_e64 v2, v59, v57, s[0:1]
	v_lshl_add_u32 v2, v2, 10, v21
	v_lshlrev_b32_e32 v57, 8, v10
	v_and_b32_e32 v2, 0xfc00, v2
	v_cndmask_b32_e64 v56, v58, v56, s[0:1]
	v_and_or_b32 v2, v57, s54, v2
	v_lshl_or_b32 v56, v56, 7, v2
.LBB257_190:                            ;   in Loop: Header=BB257_13 Depth=1
	s_or_b64 exec, exec, s[44:45]
.LBB257_191:                            ;   in Loop: Header=BB257_13 Depth=1
	s_or_b64 exec, exec, s[42:43]
.LBB257_192:                            ;   in Loop: Header=BB257_13 Depth=1
	s_or_b64 exec, exec, s[40:41]
	v_lshrrev_b16_e32 v2, 8, v10
	v_cmp_ne_u16_e64 s[0:1], 0, v2
	s_and_saveexec_b64 s[40:41], s[0:1]
	s_cbranch_execz .LBB257_198
; %bb.193:                              ;   in Loop: Header=BB257_13 Depth=1
	v_cmp_ne_u16_e64 s[0:1], s52, v2
	v_bfrev_b32_e32 v55, 1
	s_and_saveexec_b64 s[42:43], s[0:1]
	s_cbranch_execz .LBB257_197
; %bb.194:                              ;   in Loop: Header=BB257_13 Depth=1
	v_and_b32_e32 v57, 0x7f, v2
	v_cmp_ne_u32_e64 s[0:1], s53, v57
	v_mov_b32_e32 v55, 0x7c010000
	s_and_saveexec_b64 s[44:45], s[0:1]
	s_cbranch_execz .LBB257_196
; %bb.195:                              ;   in Loop: Header=BB257_13 Depth=1
	v_and_b32_e32 v55, 7, v2
	v_ffbh_u32_e32 v58, v55
	v_min_u32_e32 v61, 32, v58
	v_subrev_u32_e32 v58, 28, v61
	v_lshlrev_b64 v[58:59], v58, v[2:3]
	v_lshrrev_b32_e32 v60, 3, v57
	v_sub_u32_e32 v59, 29, v61
	v_cmp_gt_u32_e64 s[0:1], 8, v57
	v_lshlrev_b32_e32 v2, 8, v2
	v_and_b32_e32 v58, 7, v58
	v_cndmask_b32_e64 v57, v60, v59, s[0:1]
	v_lshl_add_u32 v57, v57, 10, v21
	v_and_or_b32 v2, v2, s54, v57
	v_cndmask_b32_e64 v55, v55, v58, s[0:1]
	v_lshlrev_b32_e32 v2, 16, v2
	v_lshl_or_b32 v55, v55, 23, v2
.LBB257_196:                            ;   in Loop: Header=BB257_13 Depth=1
	s_or_b64 exec, exec, s[44:45]
.LBB257_197:                            ;   in Loop: Header=BB257_13 Depth=1
	s_or_b64 exec, exec, s[42:43]
.LBB257_198:                            ;   in Loop: Header=BB257_13 Depth=1
	s_or_b64 exec, exec, s[40:41]
	v_lshrrev_b32_e32 v2, 16, v10
	v_cmp_ne_u16_sdwa s[0:1], v2, v3 src0_sel:BYTE_0 src1_sel:DWORD
	v_mov_b32_e32 v57, 0
	v_mov_b32_e32 v58, 0
	s_and_saveexec_b64 s[40:41], s[0:1]
	s_cbranch_execz .LBB257_204
; %bb.199:                              ;   in Loop: Header=BB257_13 Depth=1
	v_cmp_ne_u16_sdwa s[0:1], v2, s52 src0_sel:BYTE_0 src1_sel:DWORD
	v_mov_b32_e32 v58, 0x8000
	s_and_saveexec_b64 s[42:43], s[0:1]
	s_cbranch_execz .LBB257_203
; %bb.200:                              ;   in Loop: Header=BB257_13 Depth=1
	v_bfe_u32 v59, v10, 16, 7
	v_cmp_ne_u32_e64 s[0:1], s53, v59
	v_mov_b32_e32 v58, 0x7c01
	s_and_saveexec_b64 s[44:45], s[0:1]
	s_cbranch_execz .LBB257_202
; %bb.201:                              ;   in Loop: Header=BB257_13 Depth=1
	v_and_b32_e32 v58, 7, v2
	v_ffbh_u32_e32 v60, v58
	v_min_u32_e32 v63, 32, v60
	v_subrev_u32_e32 v60, 28, v63
	v_lshlrev_b64 v[60:61], v60, v[2:3]
	v_lshrrev_b32_e32 v62, 3, v59
	v_sub_u32_e32 v61, 29, v63
	v_cmp_gt_u32_e64 s[0:1], 8, v59
	v_lshlrev_b32_e32 v2, 8, v2
	v_and_b32_e32 v60, 7, v60
	v_cndmask_b32_e64 v59, v62, v61, s[0:1]
	v_lshl_add_u32 v59, v59, 10, v21
	v_and_b32_e32 v59, 0xfc00, v59
	v_cndmask_b32_e64 v58, v58, v60, s[0:1]
	v_and_or_b32 v2, v2, s54, v59
	v_lshl_or_b32 v58, v58, 7, v2
.LBB257_202:                            ;   in Loop: Header=BB257_13 Depth=1
	s_or_b64 exec, exec, s[44:45]
.LBB257_203:                            ;   in Loop: Header=BB257_13 Depth=1
	s_or_b64 exec, exec, s[42:43]
.LBB257_204:                            ;   in Loop: Header=BB257_13 Depth=1
	s_or_b64 exec, exec, s[40:41]
	v_cmp_lt_u32_e64 s[0:1], s55, v10
	s_and_saveexec_b64 s[40:41], s[0:1]
	s_cbranch_execz .LBB257_210
; %bb.205:                              ;   in Loop: Header=BB257_13 Depth=1
	v_lshrrev_b32_e32 v2, 24, v10
	v_cmp_ne_u32_e64 s[0:1], s52, v2
	v_bfrev_b32_e32 v57, 1
	s_and_saveexec_b64 s[42:43], s[0:1]
	s_cbranch_execz .LBB257_209
; %bb.206:                              ;   in Loop: Header=BB257_13 Depth=1
	v_and_b32_e32 v10, 0x7f, v2
	v_cmp_ne_u32_e64 s[0:1], s53, v10
	v_mov_b32_e32 v57, 0x7c010000
	s_and_saveexec_b64 s[44:45], s[0:1]
	s_cbranch_execz .LBB257_208
; %bb.207:                              ;   in Loop: Header=BB257_13 Depth=1
	v_and_b32_e32 v57, 7, v2
	v_ffbh_u32_e32 v60, v57
	v_min_u32_e32 v62, 32, v60
	v_subrev_u32_e32 v60, 28, v62
	v_lshlrev_b64 v[60:61], v60, v[2:3]
	v_lshrrev_b32_e32 v59, 3, v10
	v_sub_u32_e32 v61, 29, v62
	v_cmp_gt_u32_e64 s[0:1], 8, v10
	v_lshlrev_b32_e32 v2, 8, v2
	s_nop 0
	v_cndmask_b32_e64 v10, v59, v61, s[0:1]
	v_lshl_add_u32 v10, v10, 10, v21
	v_and_b32_e32 v59, 7, v60
	v_and_or_b32 v2, v2, s54, v10
	v_cndmask_b32_e64 v57, v57, v59, s[0:1]
	v_lshlrev_b32_e32 v2, 16, v2
	v_lshl_or_b32 v57, v57, 23, v2
.LBB257_208:                            ;   in Loop: Header=BB257_13 Depth=1
	s_or_b64 exec, exec, s[44:45]
.LBB257_209:                            ;   in Loop: Header=BB257_13 Depth=1
	s_or_b64 exec, exec, s[42:43]
.LBB257_210:                            ;   in Loop: Header=BB257_13 Depth=1
	s_or_b64 exec, exec, s[40:41]
	global_load_dword v10, v[8:9], off offset:2048
	v_mov_b32_e32 v59, 0
	v_mov_b32_e32 v60, 0
	s_waitcnt vmcnt(0)
	v_cmp_ne_u16_sdwa s[0:1], v10, v3 src0_sel:BYTE_0 src1_sel:DWORD
	s_and_saveexec_b64 s[40:41], s[0:1]
	s_cbranch_execz .LBB257_216
; %bb.211:                              ;   in Loop: Header=BB257_13 Depth=1
	v_cmp_ne_u16_sdwa s[0:1], v10, s52 src0_sel:BYTE_0 src1_sel:DWORD
	v_mov_b32_e32 v60, 0x8000
	s_and_saveexec_b64 s[42:43], s[0:1]
	s_cbranch_execz .LBB257_215
; %bb.212:                              ;   in Loop: Header=BB257_13 Depth=1
	v_and_b32_e32 v2, 0x7f, v10
	v_cmp_ne_u32_e64 s[0:1], s53, v2
	v_mov_b32_e32 v60, 0x7c01
	s_and_saveexec_b64 s[44:45], s[0:1]
	s_cbranch_execz .LBB257_214
; %bb.213:                              ;   in Loop: Header=BB257_13 Depth=1
	v_and_b32_e32 v62, 7, v10
	v_ffbh_u32_e32 v60, v62
	v_min_u32_e32 v64, 32, v60
	v_subrev_u32_e32 v60, 28, v64
	v_lshlrev_b64 v[60:61], v60, v[10:11]
	v_lshrrev_b32_e32 v63, 3, v2
	v_sub_u32_e32 v61, 29, v64
	v_cmp_gt_u32_e64 s[0:1], 8, v2
	v_and_b32_e32 v60, 7, v60
	s_nop 0
	v_cndmask_b32_e64 v2, v63, v61, s[0:1]
	v_lshl_add_u32 v2, v2, 10, v21
	v_lshlrev_b32_e32 v61, 8, v10
	v_and_b32_e32 v2, 0xfc00, v2
	v_cndmask_b32_e64 v60, v62, v60, s[0:1]
	v_and_or_b32 v2, v61, s54, v2
	v_lshl_or_b32 v60, v60, 7, v2
.LBB257_214:                            ;   in Loop: Header=BB257_13 Depth=1
	s_or_b64 exec, exec, s[44:45]
.LBB257_215:                            ;   in Loop: Header=BB257_13 Depth=1
	s_or_b64 exec, exec, s[42:43]
.LBB257_216:                            ;   in Loop: Header=BB257_13 Depth=1
	s_or_b64 exec, exec, s[40:41]
	v_lshrrev_b16_e32 v2, 8, v10
	v_cmp_ne_u16_e64 s[0:1], 0, v2
	s_and_saveexec_b64 s[40:41], s[0:1]
	s_cbranch_execz .LBB257_222
; %bb.217:                              ;   in Loop: Header=BB257_13 Depth=1
	v_cmp_ne_u16_e64 s[0:1], s52, v2
	v_bfrev_b32_e32 v59, 1
	s_and_saveexec_b64 s[42:43], s[0:1]
	s_cbranch_execz .LBB257_221
; %bb.218:                              ;   in Loop: Header=BB257_13 Depth=1
	v_and_b32_e32 v61, 0x7f, v2
	v_cmp_ne_u32_e64 s[0:1], s53, v61
	v_mov_b32_e32 v59, 0x7c010000
	s_and_saveexec_b64 s[44:45], s[0:1]
	s_cbranch_execz .LBB257_220
; %bb.219:                              ;   in Loop: Header=BB257_13 Depth=1
	v_and_b32_e32 v59, 7, v2
	v_ffbh_u32_e32 v62, v59
	v_min_u32_e32 v65, 32, v62
	v_subrev_u32_e32 v62, 28, v65
	v_lshlrev_b64 v[62:63], v62, v[2:3]
	v_lshrrev_b32_e32 v64, 3, v61
	v_sub_u32_e32 v63, 29, v65
	v_cmp_gt_u32_e64 s[0:1], 8, v61
	v_lshlrev_b32_e32 v2, 8, v2
	v_and_b32_e32 v62, 7, v62
	v_cndmask_b32_e64 v61, v64, v63, s[0:1]
	v_lshl_add_u32 v61, v61, 10, v21
	v_and_or_b32 v2, v2, s54, v61
	v_cndmask_b32_e64 v59, v59, v62, s[0:1]
	v_lshlrev_b32_e32 v2, 16, v2
	v_lshl_or_b32 v59, v59, 23, v2
.LBB257_220:                            ;   in Loop: Header=BB257_13 Depth=1
	s_or_b64 exec, exec, s[44:45]
.LBB257_221:                            ;   in Loop: Header=BB257_13 Depth=1
	s_or_b64 exec, exec, s[42:43]
.LBB257_222:                            ;   in Loop: Header=BB257_13 Depth=1
	s_or_b64 exec, exec, s[40:41]
	v_lshrrev_b32_e32 v2, 16, v10
	v_cmp_ne_u16_sdwa s[0:1], v2, v3 src0_sel:BYTE_0 src1_sel:DWORD
	v_mov_b32_e32 v61, 0
	v_mov_b32_e32 v62, 0
	s_and_saveexec_b64 s[40:41], s[0:1]
	s_cbranch_execz .LBB257_228
; %bb.223:                              ;   in Loop: Header=BB257_13 Depth=1
	v_cmp_ne_u16_sdwa s[0:1], v2, s52 src0_sel:BYTE_0 src1_sel:DWORD
	v_mov_b32_e32 v62, 0x8000
	s_and_saveexec_b64 s[42:43], s[0:1]
	s_cbranch_execz .LBB257_227
; %bb.224:                              ;   in Loop: Header=BB257_13 Depth=1
	v_bfe_u32 v63, v10, 16, 7
	v_cmp_ne_u32_e64 s[0:1], s53, v63
	v_mov_b32_e32 v62, 0x7c01
	s_and_saveexec_b64 s[44:45], s[0:1]
	s_cbranch_execz .LBB257_226
; %bb.225:                              ;   in Loop: Header=BB257_13 Depth=1
	v_and_b32_e32 v62, 7, v2
	v_ffbh_u32_e32 v64, v62
	v_min_u32_e32 v67, 32, v64
	v_subrev_u32_e32 v64, 28, v67
	v_lshlrev_b64 v[64:65], v64, v[2:3]
	v_lshrrev_b32_e32 v66, 3, v63
	v_sub_u32_e32 v65, 29, v67
	v_cmp_gt_u32_e64 s[0:1], 8, v63
	v_lshlrev_b32_e32 v2, 8, v2
	v_and_b32_e32 v64, 7, v64
	v_cndmask_b32_e64 v63, v66, v65, s[0:1]
	v_lshl_add_u32 v63, v63, 10, v21
	v_and_b32_e32 v63, 0xfc00, v63
	v_cndmask_b32_e64 v62, v62, v64, s[0:1]
	v_and_or_b32 v2, v2, s54, v63
	v_lshl_or_b32 v62, v62, 7, v2
.LBB257_226:                            ;   in Loop: Header=BB257_13 Depth=1
	s_or_b64 exec, exec, s[44:45]
.LBB257_227:                            ;   in Loop: Header=BB257_13 Depth=1
	s_or_b64 exec, exec, s[42:43]
.LBB257_228:                            ;   in Loop: Header=BB257_13 Depth=1
	s_or_b64 exec, exec, s[40:41]
	v_cmp_lt_u32_e64 s[0:1], s55, v10
	s_and_saveexec_b64 s[40:41], s[0:1]
	s_cbranch_execz .LBB257_234
; %bb.229:                              ;   in Loop: Header=BB257_13 Depth=1
	v_lshrrev_b32_e32 v2, 24, v10
	v_cmp_ne_u32_e64 s[0:1], s52, v2
	v_bfrev_b32_e32 v61, 1
	s_and_saveexec_b64 s[42:43], s[0:1]
	s_cbranch_execz .LBB257_233
; %bb.230:                              ;   in Loop: Header=BB257_13 Depth=1
	v_and_b32_e32 v10, 0x7f, v2
	v_cmp_ne_u32_e64 s[0:1], s53, v10
	v_mov_b32_e32 v61, 0x7c010000
	s_and_saveexec_b64 s[44:45], s[0:1]
	s_cbranch_execz .LBB257_232
; %bb.231:                              ;   in Loop: Header=BB257_13 Depth=1
	v_and_b32_e32 v61, 7, v2
	v_ffbh_u32_e32 v64, v61
	v_min_u32_e32 v66, 32, v64
	v_subrev_u32_e32 v64, 28, v66
	v_lshlrev_b64 v[64:65], v64, v[2:3]
	v_lshrrev_b32_e32 v63, 3, v10
	v_sub_u32_e32 v65, 29, v66
	v_cmp_gt_u32_e64 s[0:1], 8, v10
	v_lshlrev_b32_e32 v2, 8, v2
	s_nop 0
	v_cndmask_b32_e64 v10, v63, v65, s[0:1]
	v_lshl_add_u32 v10, v10, 10, v21
	v_and_b32_e32 v63, 7, v64
	v_and_or_b32 v2, v2, s54, v10
	v_cndmask_b32_e64 v61, v61, v63, s[0:1]
	v_lshlrev_b32_e32 v2, 16, v2
	v_lshl_or_b32 v61, v61, 23, v2
.LBB257_232:                            ;   in Loop: Header=BB257_13 Depth=1
	s_or_b64 exec, exec, s[44:45]
.LBB257_233:                            ;   in Loop: Header=BB257_13 Depth=1
	s_or_b64 exec, exec, s[42:43]
.LBB257_234:                            ;   in Loop: Header=BB257_13 Depth=1
	s_or_b64 exec, exec, s[40:41]
	global_load_dword v10, v[8:9], off offset:2056
	v_mov_b32_e32 v63, 0
	v_mov_b32_e32 v64, 0
	s_waitcnt vmcnt(0)
	v_cmp_ne_u16_sdwa s[0:1], v10, v3 src0_sel:BYTE_0 src1_sel:DWORD
	s_and_saveexec_b64 s[40:41], s[0:1]
	s_cbranch_execz .LBB257_240
; %bb.235:                              ;   in Loop: Header=BB257_13 Depth=1
	v_cmp_ne_u16_sdwa s[0:1], v10, s52 src0_sel:BYTE_0 src1_sel:DWORD
	v_mov_b32_e32 v64, 0x8000
	s_and_saveexec_b64 s[42:43], s[0:1]
	s_cbranch_execz .LBB257_239
; %bb.236:                              ;   in Loop: Header=BB257_13 Depth=1
	v_and_b32_e32 v2, 0x7f, v10
	v_cmp_ne_u32_e64 s[0:1], s53, v2
	v_mov_b32_e32 v64, 0x7c01
	s_and_saveexec_b64 s[44:45], s[0:1]
	s_cbranch_execz .LBB257_238
; %bb.237:                              ;   in Loop: Header=BB257_13 Depth=1
	v_and_b32_e32 v66, 7, v10
	v_ffbh_u32_e32 v64, v66
	v_min_u32_e32 v68, 32, v64
	v_subrev_u32_e32 v64, 28, v68
	v_lshlrev_b64 v[64:65], v64, v[10:11]
	v_lshrrev_b32_e32 v67, 3, v2
	v_sub_u32_e32 v65, 29, v68
	v_cmp_gt_u32_e64 s[0:1], 8, v2
	v_and_b32_e32 v64, 7, v64
	s_nop 0
	v_cndmask_b32_e64 v2, v67, v65, s[0:1]
	v_lshl_add_u32 v2, v2, 10, v21
	v_lshlrev_b32_e32 v65, 8, v10
	v_and_b32_e32 v2, 0xfc00, v2
	v_cndmask_b32_e64 v64, v66, v64, s[0:1]
	v_and_or_b32 v2, v65, s54, v2
	v_lshl_or_b32 v64, v64, 7, v2
.LBB257_238:                            ;   in Loop: Header=BB257_13 Depth=1
	s_or_b64 exec, exec, s[44:45]
.LBB257_239:                            ;   in Loop: Header=BB257_13 Depth=1
	s_or_b64 exec, exec, s[42:43]
.LBB257_240:                            ;   in Loop: Header=BB257_13 Depth=1
	s_or_b64 exec, exec, s[40:41]
	v_lshrrev_b16_e32 v2, 8, v10
	v_cmp_ne_u16_e64 s[0:1], 0, v2
	s_and_saveexec_b64 s[40:41], s[0:1]
	s_cbranch_execz .LBB257_246
; %bb.241:                              ;   in Loop: Header=BB257_13 Depth=1
	v_cmp_ne_u16_e64 s[0:1], s52, v2
	v_bfrev_b32_e32 v63, 1
	s_and_saveexec_b64 s[42:43], s[0:1]
	s_cbranch_execz .LBB257_245
; %bb.242:                              ;   in Loop: Header=BB257_13 Depth=1
	v_and_b32_e32 v65, 0x7f, v2
	v_cmp_ne_u32_e64 s[0:1], s53, v65
	v_mov_b32_e32 v63, 0x7c010000
	s_and_saveexec_b64 s[44:45], s[0:1]
	s_cbranch_execz .LBB257_244
; %bb.243:                              ;   in Loop: Header=BB257_13 Depth=1
	v_and_b32_e32 v63, 7, v2
	v_ffbh_u32_e32 v66, v63
	v_min_u32_e32 v69, 32, v66
	v_subrev_u32_e32 v66, 28, v69
	v_lshlrev_b64 v[66:67], v66, v[2:3]
	v_lshrrev_b32_e32 v68, 3, v65
	v_sub_u32_e32 v67, 29, v69
	v_cmp_gt_u32_e64 s[0:1], 8, v65
	v_lshlrev_b32_e32 v2, 8, v2
	v_and_b32_e32 v66, 7, v66
	v_cndmask_b32_e64 v65, v68, v67, s[0:1]
	v_lshl_add_u32 v65, v65, 10, v21
	v_and_or_b32 v2, v2, s54, v65
	v_cndmask_b32_e64 v63, v63, v66, s[0:1]
	v_lshlrev_b32_e32 v2, 16, v2
	v_lshl_or_b32 v63, v63, 23, v2
.LBB257_244:                            ;   in Loop: Header=BB257_13 Depth=1
	s_or_b64 exec, exec, s[44:45]
.LBB257_245:                            ;   in Loop: Header=BB257_13 Depth=1
	s_or_b64 exec, exec, s[42:43]
.LBB257_246:                            ;   in Loop: Header=BB257_13 Depth=1
	s_or_b64 exec, exec, s[40:41]
	v_lshrrev_b32_e32 v2, 16, v10
	v_cmp_ne_u16_sdwa s[0:1], v2, v3 src0_sel:BYTE_0 src1_sel:DWORD
	v_mov_b32_e32 v65, 0
	v_mov_b32_e32 v66, 0
	s_and_saveexec_b64 s[40:41], s[0:1]
	s_cbranch_execz .LBB257_252
; %bb.247:                              ;   in Loop: Header=BB257_13 Depth=1
	v_cmp_ne_u16_sdwa s[0:1], v2, s52 src0_sel:BYTE_0 src1_sel:DWORD
	v_mov_b32_e32 v66, 0x8000
	s_and_saveexec_b64 s[42:43], s[0:1]
	s_cbranch_execz .LBB257_251
; %bb.248:                              ;   in Loop: Header=BB257_13 Depth=1
	v_bfe_u32 v67, v10, 16, 7
	v_cmp_ne_u32_e64 s[0:1], s53, v67
	v_mov_b32_e32 v66, 0x7c01
	s_and_saveexec_b64 s[44:45], s[0:1]
	s_cbranch_execz .LBB257_250
; %bb.249:                              ;   in Loop: Header=BB257_13 Depth=1
	v_and_b32_e32 v66, 7, v2
	v_ffbh_u32_e32 v68, v66
	v_min_u32_e32 v71, 32, v68
	v_subrev_u32_e32 v68, 28, v71
	v_lshlrev_b64 v[68:69], v68, v[2:3]
	v_lshrrev_b32_e32 v70, 3, v67
	v_sub_u32_e32 v69, 29, v71
	v_cmp_gt_u32_e64 s[0:1], 8, v67
	v_lshlrev_b32_e32 v2, 8, v2
	v_and_b32_e32 v68, 7, v68
	v_cndmask_b32_e64 v67, v70, v69, s[0:1]
	v_lshl_add_u32 v67, v67, 10, v21
	v_and_b32_e32 v67, 0xfc00, v67
	v_cndmask_b32_e64 v66, v66, v68, s[0:1]
	v_and_or_b32 v2, v2, s54, v67
	v_lshl_or_b32 v66, v66, 7, v2
.LBB257_250:                            ;   in Loop: Header=BB257_13 Depth=1
	s_or_b64 exec, exec, s[44:45]
.LBB257_251:                            ;   in Loop: Header=BB257_13 Depth=1
	s_or_b64 exec, exec, s[42:43]
.LBB257_252:                            ;   in Loop: Header=BB257_13 Depth=1
	s_or_b64 exec, exec, s[40:41]
	v_cmp_lt_u32_e64 s[0:1], s55, v10
	s_and_saveexec_b64 s[40:41], s[0:1]
	s_cbranch_execz .LBB257_258
; %bb.253:                              ;   in Loop: Header=BB257_13 Depth=1
	v_lshrrev_b32_e32 v2, 24, v10
	v_cmp_ne_u32_e64 s[0:1], s52, v2
	v_bfrev_b32_e32 v65, 1
	s_and_saveexec_b64 s[42:43], s[0:1]
	s_cbranch_execz .LBB257_257
; %bb.254:                              ;   in Loop: Header=BB257_13 Depth=1
	v_and_b32_e32 v10, 0x7f, v2
	v_cmp_ne_u32_e64 s[0:1], s53, v10
	v_mov_b32_e32 v65, 0x7c010000
	s_and_saveexec_b64 s[44:45], s[0:1]
	s_cbranch_execz .LBB257_256
; %bb.255:                              ;   in Loop: Header=BB257_13 Depth=1
	v_and_b32_e32 v65, 7, v2
	v_ffbh_u32_e32 v68, v65
	v_min_u32_e32 v70, 32, v68
	v_subrev_u32_e32 v68, 28, v70
	v_lshlrev_b64 v[68:69], v68, v[2:3]
	v_lshrrev_b32_e32 v67, 3, v10
	v_sub_u32_e32 v69, 29, v70
	v_cmp_gt_u32_e64 s[0:1], 8, v10
	v_lshlrev_b32_e32 v2, 8, v2
	s_nop 0
	v_cndmask_b32_e64 v10, v67, v69, s[0:1]
	v_lshl_add_u32 v10, v10, 10, v21
	v_and_b32_e32 v67, 7, v68
	v_and_or_b32 v2, v2, s54, v10
	v_cndmask_b32_e64 v65, v65, v67, s[0:1]
	v_lshlrev_b32_e32 v2, 16, v2
	v_lshl_or_b32 v65, v65, 23, v2
.LBB257_256:                            ;   in Loop: Header=BB257_13 Depth=1
	s_or_b64 exec, exec, s[44:45]
.LBB257_257:                            ;   in Loop: Header=BB257_13 Depth=1
	s_or_b64 exec, exec, s[42:43]
.LBB257_258:                            ;   in Loop: Header=BB257_13 Depth=1
	s_or_b64 exec, exec, s[40:41]
	global_load_dword v10, v[8:9], off offset:2560
	v_mov_b32_e32 v67, 0
	v_mov_b32_e32 v68, 0
	s_waitcnt vmcnt(0)
	v_cmp_ne_u16_sdwa s[0:1], v10, v3 src0_sel:BYTE_0 src1_sel:DWORD
	s_and_saveexec_b64 s[40:41], s[0:1]
	s_cbranch_execz .LBB257_264
; %bb.259:                              ;   in Loop: Header=BB257_13 Depth=1
	v_cmp_ne_u16_sdwa s[0:1], v10, s52 src0_sel:BYTE_0 src1_sel:DWORD
	v_mov_b32_e32 v68, 0x8000
	s_and_saveexec_b64 s[42:43], s[0:1]
	s_cbranch_execz .LBB257_263
; %bb.260:                              ;   in Loop: Header=BB257_13 Depth=1
	v_and_b32_e32 v2, 0x7f, v10
	v_cmp_ne_u32_e64 s[0:1], s53, v2
	v_mov_b32_e32 v68, 0x7c01
	s_and_saveexec_b64 s[44:45], s[0:1]
	s_cbranch_execz .LBB257_262
; %bb.261:                              ;   in Loop: Header=BB257_13 Depth=1
	v_and_b32_e32 v70, 7, v10
	v_ffbh_u32_e32 v68, v70
	v_min_u32_e32 v72, 32, v68
	v_subrev_u32_e32 v68, 28, v72
	v_lshlrev_b64 v[68:69], v68, v[10:11]
	v_lshrrev_b32_e32 v71, 3, v2
	v_sub_u32_e32 v69, 29, v72
	v_cmp_gt_u32_e64 s[0:1], 8, v2
	v_and_b32_e32 v68, 7, v68
	s_nop 0
	v_cndmask_b32_e64 v2, v71, v69, s[0:1]
	v_lshl_add_u32 v2, v2, 10, v21
	v_lshlrev_b32_e32 v69, 8, v10
	v_and_b32_e32 v2, 0xfc00, v2
	v_cndmask_b32_e64 v68, v70, v68, s[0:1]
	v_and_or_b32 v2, v69, s54, v2
	v_lshl_or_b32 v68, v68, 7, v2
.LBB257_262:                            ;   in Loop: Header=BB257_13 Depth=1
	s_or_b64 exec, exec, s[44:45]
.LBB257_263:                            ;   in Loop: Header=BB257_13 Depth=1
	s_or_b64 exec, exec, s[42:43]
.LBB257_264:                            ;   in Loop: Header=BB257_13 Depth=1
	s_or_b64 exec, exec, s[40:41]
	v_lshrrev_b16_e32 v2, 8, v10
	v_cmp_ne_u16_e64 s[0:1], 0, v2
	s_and_saveexec_b64 s[40:41], s[0:1]
	s_cbranch_execz .LBB257_270
; %bb.265:                              ;   in Loop: Header=BB257_13 Depth=1
	v_cmp_ne_u16_e64 s[0:1], s52, v2
	v_bfrev_b32_e32 v67, 1
	s_and_saveexec_b64 s[42:43], s[0:1]
	s_cbranch_execz .LBB257_269
; %bb.266:                              ;   in Loop: Header=BB257_13 Depth=1
	v_and_b32_e32 v69, 0x7f, v2
	v_cmp_ne_u32_e64 s[0:1], s53, v69
	v_mov_b32_e32 v67, 0x7c010000
	s_and_saveexec_b64 s[44:45], s[0:1]
	s_cbranch_execz .LBB257_268
; %bb.267:                              ;   in Loop: Header=BB257_13 Depth=1
	v_and_b32_e32 v67, 7, v2
	v_ffbh_u32_e32 v70, v67
	v_min_u32_e32 v73, 32, v70
	v_subrev_u32_e32 v70, 28, v73
	v_lshlrev_b64 v[70:71], v70, v[2:3]
	v_lshrrev_b32_e32 v72, 3, v69
	v_sub_u32_e32 v71, 29, v73
	v_cmp_gt_u32_e64 s[0:1], 8, v69
	v_lshlrev_b32_e32 v2, 8, v2
	v_and_b32_e32 v70, 7, v70
	v_cndmask_b32_e64 v69, v72, v71, s[0:1]
	v_lshl_add_u32 v69, v69, 10, v21
	v_and_or_b32 v2, v2, s54, v69
	v_cndmask_b32_e64 v67, v67, v70, s[0:1]
	v_lshlrev_b32_e32 v2, 16, v2
	v_lshl_or_b32 v67, v67, 23, v2
.LBB257_268:                            ;   in Loop: Header=BB257_13 Depth=1
	s_or_b64 exec, exec, s[44:45]
.LBB257_269:                            ;   in Loop: Header=BB257_13 Depth=1
	s_or_b64 exec, exec, s[42:43]
.LBB257_270:                            ;   in Loop: Header=BB257_13 Depth=1
	s_or_b64 exec, exec, s[40:41]
	v_lshrrev_b32_e32 v2, 16, v10
	v_cmp_ne_u16_sdwa s[0:1], v2, v3 src0_sel:BYTE_0 src1_sel:DWORD
	v_mov_b32_e32 v69, 0
	v_mov_b32_e32 v70, 0
	s_and_saveexec_b64 s[40:41], s[0:1]
	s_cbranch_execz .LBB257_276
; %bb.271:                              ;   in Loop: Header=BB257_13 Depth=1
	v_cmp_ne_u16_sdwa s[0:1], v2, s52 src0_sel:BYTE_0 src1_sel:DWORD
	v_mov_b32_e32 v70, 0x8000
	s_and_saveexec_b64 s[42:43], s[0:1]
	s_cbranch_execz .LBB257_275
; %bb.272:                              ;   in Loop: Header=BB257_13 Depth=1
	v_bfe_u32 v71, v10, 16, 7
	v_cmp_ne_u32_e64 s[0:1], s53, v71
	v_mov_b32_e32 v70, 0x7c01
	s_and_saveexec_b64 s[44:45], s[0:1]
	s_cbranch_execz .LBB257_274
; %bb.273:                              ;   in Loop: Header=BB257_13 Depth=1
	v_and_b32_e32 v70, 7, v2
	v_ffbh_u32_e32 v72, v70
	v_min_u32_e32 v75, 32, v72
	v_subrev_u32_e32 v72, 28, v75
	v_lshlrev_b64 v[72:73], v72, v[2:3]
	v_lshrrev_b32_e32 v74, 3, v71
	v_sub_u32_e32 v73, 29, v75
	v_cmp_gt_u32_e64 s[0:1], 8, v71
	v_lshlrev_b32_e32 v2, 8, v2
	v_and_b32_e32 v72, 7, v72
	v_cndmask_b32_e64 v71, v74, v73, s[0:1]
	v_lshl_add_u32 v71, v71, 10, v21
	v_and_b32_e32 v71, 0xfc00, v71
	v_cndmask_b32_e64 v70, v70, v72, s[0:1]
	v_and_or_b32 v2, v2, s54, v71
	v_lshl_or_b32 v70, v70, 7, v2
.LBB257_274:                            ;   in Loop: Header=BB257_13 Depth=1
	s_or_b64 exec, exec, s[44:45]
.LBB257_275:                            ;   in Loop: Header=BB257_13 Depth=1
	s_or_b64 exec, exec, s[42:43]
.LBB257_276:                            ;   in Loop: Header=BB257_13 Depth=1
	s_or_b64 exec, exec, s[40:41]
	v_cmp_lt_u32_e64 s[0:1], s55, v10
	s_and_saveexec_b64 s[40:41], s[0:1]
	s_cbranch_execz .LBB257_282
; %bb.277:                              ;   in Loop: Header=BB257_13 Depth=1
	v_lshrrev_b32_e32 v2, 24, v10
	v_cmp_ne_u32_e64 s[0:1], s52, v2
	v_bfrev_b32_e32 v69, 1
	s_and_saveexec_b64 s[42:43], s[0:1]
	s_cbranch_execz .LBB257_281
; %bb.278:                              ;   in Loop: Header=BB257_13 Depth=1
	v_and_b32_e32 v10, 0x7f, v2
	v_cmp_ne_u32_e64 s[0:1], s53, v10
	v_mov_b32_e32 v69, 0x7c010000
	s_and_saveexec_b64 s[44:45], s[0:1]
	s_cbranch_execz .LBB257_280
; %bb.279:                              ;   in Loop: Header=BB257_13 Depth=1
	v_and_b32_e32 v69, 7, v2
	v_ffbh_u32_e32 v72, v69
	v_min_u32_e32 v74, 32, v72
	v_subrev_u32_e32 v72, 28, v74
	v_lshlrev_b64 v[72:73], v72, v[2:3]
	v_lshrrev_b32_e32 v71, 3, v10
	v_sub_u32_e32 v73, 29, v74
	v_cmp_gt_u32_e64 s[0:1], 8, v10
	v_lshlrev_b32_e32 v2, 8, v2
	s_nop 0
	v_cndmask_b32_e64 v10, v71, v73, s[0:1]
	v_lshl_add_u32 v10, v10, 10, v21
	v_and_b32_e32 v71, 7, v72
	v_and_or_b32 v2, v2, s54, v10
	v_cndmask_b32_e64 v69, v69, v71, s[0:1]
	v_lshlrev_b32_e32 v2, 16, v2
	v_lshl_or_b32 v69, v69, 23, v2
.LBB257_280:                            ;   in Loop: Header=BB257_13 Depth=1
	s_or_b64 exec, exec, s[44:45]
.LBB257_281:                            ;   in Loop: Header=BB257_13 Depth=1
	s_or_b64 exec, exec, s[42:43]
.LBB257_282:                            ;   in Loop: Header=BB257_13 Depth=1
	s_or_b64 exec, exec, s[40:41]
	global_load_dword v10, v[8:9], off offset:2568
	v_mov_b32_e32 v71, 0
	v_mov_b32_e32 v72, 0
	s_waitcnt vmcnt(0)
	v_cmp_ne_u16_sdwa s[0:1], v10, v3 src0_sel:BYTE_0 src1_sel:DWORD
	s_and_saveexec_b64 s[40:41], s[0:1]
	s_cbranch_execz .LBB257_288
; %bb.283:                              ;   in Loop: Header=BB257_13 Depth=1
	v_cmp_ne_u16_sdwa s[0:1], v10, s52 src0_sel:BYTE_0 src1_sel:DWORD
	v_mov_b32_e32 v72, 0x8000
	s_and_saveexec_b64 s[42:43], s[0:1]
	s_cbranch_execz .LBB257_287
; %bb.284:                              ;   in Loop: Header=BB257_13 Depth=1
	v_and_b32_e32 v2, 0x7f, v10
	v_cmp_ne_u32_e64 s[0:1], s53, v2
	v_mov_b32_e32 v72, 0x7c01
	s_and_saveexec_b64 s[44:45], s[0:1]
	s_cbranch_execz .LBB257_286
; %bb.285:                              ;   in Loop: Header=BB257_13 Depth=1
	v_and_b32_e32 v74, 7, v10
	v_ffbh_u32_e32 v72, v74
	v_min_u32_e32 v76, 32, v72
	v_subrev_u32_e32 v72, 28, v76
	v_lshlrev_b64 v[72:73], v72, v[10:11]
	v_lshrrev_b32_e32 v75, 3, v2
	v_sub_u32_e32 v73, 29, v76
	v_cmp_gt_u32_e64 s[0:1], 8, v2
	v_and_b32_e32 v72, 7, v72
	s_nop 0
	v_cndmask_b32_e64 v2, v75, v73, s[0:1]
	v_lshl_add_u32 v2, v2, 10, v21
	v_lshlrev_b32_e32 v73, 8, v10
	v_and_b32_e32 v2, 0xfc00, v2
	v_cndmask_b32_e64 v72, v74, v72, s[0:1]
	v_and_or_b32 v2, v73, s54, v2
	v_lshl_or_b32 v72, v72, 7, v2
.LBB257_286:                            ;   in Loop: Header=BB257_13 Depth=1
	s_or_b64 exec, exec, s[44:45]
.LBB257_287:                            ;   in Loop: Header=BB257_13 Depth=1
	s_or_b64 exec, exec, s[42:43]
.LBB257_288:                            ;   in Loop: Header=BB257_13 Depth=1
	s_or_b64 exec, exec, s[40:41]
	v_lshrrev_b16_e32 v2, 8, v10
	v_cmp_ne_u16_e64 s[0:1], 0, v2
	s_and_saveexec_b64 s[40:41], s[0:1]
	s_cbranch_execz .LBB257_294
; %bb.289:                              ;   in Loop: Header=BB257_13 Depth=1
	v_cmp_ne_u16_e64 s[0:1], s52, v2
	v_bfrev_b32_e32 v71, 1
	s_and_saveexec_b64 s[42:43], s[0:1]
	s_cbranch_execz .LBB257_293
; %bb.290:                              ;   in Loop: Header=BB257_13 Depth=1
	v_and_b32_e32 v73, 0x7f, v2
	v_cmp_ne_u32_e64 s[0:1], s53, v73
	v_mov_b32_e32 v71, 0x7c010000
	s_and_saveexec_b64 s[44:45], s[0:1]
	s_cbranch_execz .LBB257_292
; %bb.291:                              ;   in Loop: Header=BB257_13 Depth=1
	v_and_b32_e32 v71, 7, v2
	v_ffbh_u32_e32 v74, v71
	v_min_u32_e32 v77, 32, v74
	v_subrev_u32_e32 v74, 28, v77
	v_lshlrev_b64 v[74:75], v74, v[2:3]
	v_lshrrev_b32_e32 v76, 3, v73
	v_sub_u32_e32 v75, 29, v77
	v_cmp_gt_u32_e64 s[0:1], 8, v73
	v_lshlrev_b32_e32 v2, 8, v2
	v_and_b32_e32 v74, 7, v74
	v_cndmask_b32_e64 v73, v76, v75, s[0:1]
	v_lshl_add_u32 v73, v73, 10, v21
	v_and_or_b32 v2, v2, s54, v73
	v_cndmask_b32_e64 v71, v71, v74, s[0:1]
	v_lshlrev_b32_e32 v2, 16, v2
	v_lshl_or_b32 v71, v71, 23, v2
.LBB257_292:                            ;   in Loop: Header=BB257_13 Depth=1
	s_or_b64 exec, exec, s[44:45]
.LBB257_293:                            ;   in Loop: Header=BB257_13 Depth=1
	s_or_b64 exec, exec, s[42:43]
.LBB257_294:                            ;   in Loop: Header=BB257_13 Depth=1
	s_or_b64 exec, exec, s[40:41]
	v_lshrrev_b32_e32 v2, 16, v10
	v_cmp_ne_u16_sdwa s[0:1], v2, v3 src0_sel:BYTE_0 src1_sel:DWORD
	v_mov_b32_e32 v73, 0
	v_mov_b32_e32 v74, 0
	s_and_saveexec_b64 s[40:41], s[0:1]
	s_cbranch_execz .LBB257_300
; %bb.295:                              ;   in Loop: Header=BB257_13 Depth=1
	v_cmp_ne_u16_sdwa s[0:1], v2, s52 src0_sel:BYTE_0 src1_sel:DWORD
	v_mov_b32_e32 v74, 0x8000
	s_and_saveexec_b64 s[42:43], s[0:1]
	s_cbranch_execz .LBB257_299
; %bb.296:                              ;   in Loop: Header=BB257_13 Depth=1
	v_bfe_u32 v75, v10, 16, 7
	v_cmp_ne_u32_e64 s[0:1], s53, v75
	v_mov_b32_e32 v74, 0x7c01
	s_and_saveexec_b64 s[44:45], s[0:1]
	s_cbranch_execz .LBB257_298
; %bb.297:                              ;   in Loop: Header=BB257_13 Depth=1
	v_and_b32_e32 v74, 7, v2
	v_ffbh_u32_e32 v76, v74
	v_min_u32_e32 v79, 32, v76
	v_subrev_u32_e32 v76, 28, v79
	v_lshlrev_b64 v[76:77], v76, v[2:3]
	v_lshrrev_b32_e32 v78, 3, v75
	v_sub_u32_e32 v77, 29, v79
	v_cmp_gt_u32_e64 s[0:1], 8, v75
	v_lshlrev_b32_e32 v2, 8, v2
	v_and_b32_e32 v76, 7, v76
	v_cndmask_b32_e64 v75, v78, v77, s[0:1]
	v_lshl_add_u32 v75, v75, 10, v21
	v_and_b32_e32 v75, 0xfc00, v75
	v_cndmask_b32_e64 v74, v74, v76, s[0:1]
	v_and_or_b32 v2, v2, s54, v75
	v_lshl_or_b32 v74, v74, 7, v2
.LBB257_298:                            ;   in Loop: Header=BB257_13 Depth=1
	s_or_b64 exec, exec, s[44:45]
.LBB257_299:                            ;   in Loop: Header=BB257_13 Depth=1
	s_or_b64 exec, exec, s[42:43]
.LBB257_300:                            ;   in Loop: Header=BB257_13 Depth=1
	s_or_b64 exec, exec, s[40:41]
	v_cmp_lt_u32_e64 s[0:1], s55, v10
	s_and_saveexec_b64 s[40:41], s[0:1]
	s_cbranch_execz .LBB257_306
; %bb.301:                              ;   in Loop: Header=BB257_13 Depth=1
	v_lshrrev_b32_e32 v2, 24, v10
	v_cmp_ne_u32_e64 s[0:1], s52, v2
	v_bfrev_b32_e32 v73, 1
	s_and_saveexec_b64 s[42:43], s[0:1]
	s_cbranch_execz .LBB257_305
; %bb.302:                              ;   in Loop: Header=BB257_13 Depth=1
	v_and_b32_e32 v10, 0x7f, v2
	v_cmp_ne_u32_e64 s[0:1], s53, v10
	v_mov_b32_e32 v73, 0x7c010000
	s_and_saveexec_b64 s[44:45], s[0:1]
	s_cbranch_execz .LBB257_304
; %bb.303:                              ;   in Loop: Header=BB257_13 Depth=1
	v_and_b32_e32 v73, 7, v2
	v_ffbh_u32_e32 v76, v73
	v_min_u32_e32 v78, 32, v76
	v_subrev_u32_e32 v76, 28, v78
	v_lshlrev_b64 v[76:77], v76, v[2:3]
	v_lshrrev_b32_e32 v75, 3, v10
	v_sub_u32_e32 v77, 29, v78
	v_cmp_gt_u32_e64 s[0:1], 8, v10
	v_lshlrev_b32_e32 v2, 8, v2
	s_nop 0
	v_cndmask_b32_e64 v10, v75, v77, s[0:1]
	v_lshl_add_u32 v10, v10, 10, v21
	v_and_b32_e32 v75, 7, v76
	v_and_or_b32 v2, v2, s54, v10
	v_cndmask_b32_e64 v73, v73, v75, s[0:1]
	v_lshlrev_b32_e32 v2, 16, v2
	v_lshl_or_b32 v73, v73, 23, v2
.LBB257_304:                            ;   in Loop: Header=BB257_13 Depth=1
	s_or_b64 exec, exec, s[44:45]
.LBB257_305:                            ;   in Loop: Header=BB257_13 Depth=1
	s_or_b64 exec, exec, s[42:43]
.LBB257_306:                            ;   in Loop: Header=BB257_13 Depth=1
	s_or_b64 exec, exec, s[40:41]
	global_load_dword v10, v[8:9], off offset:3072
	v_mov_b32_e32 v75, 0
	v_mov_b32_e32 v76, 0
	s_waitcnt vmcnt(0)
	v_cmp_ne_u16_sdwa s[0:1], v10, v3 src0_sel:BYTE_0 src1_sel:DWORD
	s_and_saveexec_b64 s[40:41], s[0:1]
	s_cbranch_execz .LBB257_312
; %bb.307:                              ;   in Loop: Header=BB257_13 Depth=1
	v_cmp_ne_u16_sdwa s[0:1], v10, s52 src0_sel:BYTE_0 src1_sel:DWORD
	v_mov_b32_e32 v76, 0x8000
	s_and_saveexec_b64 s[42:43], s[0:1]
	s_cbranch_execz .LBB257_311
; %bb.308:                              ;   in Loop: Header=BB257_13 Depth=1
	v_and_b32_e32 v2, 0x7f, v10
	v_cmp_ne_u32_e64 s[0:1], s53, v2
	v_mov_b32_e32 v76, 0x7c01
	s_and_saveexec_b64 s[44:45], s[0:1]
	s_cbranch_execz .LBB257_310
; %bb.309:                              ;   in Loop: Header=BB257_13 Depth=1
	v_and_b32_e32 v78, 7, v10
	v_ffbh_u32_e32 v76, v78
	v_min_u32_e32 v80, 32, v76
	v_subrev_u32_e32 v76, 28, v80
	v_lshlrev_b64 v[76:77], v76, v[10:11]
	v_lshrrev_b32_e32 v79, 3, v2
	v_sub_u32_e32 v77, 29, v80
	v_cmp_gt_u32_e64 s[0:1], 8, v2
	v_and_b32_e32 v76, 7, v76
	s_nop 0
	v_cndmask_b32_e64 v2, v79, v77, s[0:1]
	v_lshl_add_u32 v2, v2, 10, v21
	v_lshlrev_b32_e32 v77, 8, v10
	v_and_b32_e32 v2, 0xfc00, v2
	v_cndmask_b32_e64 v76, v78, v76, s[0:1]
	v_and_or_b32 v2, v77, s54, v2
	v_lshl_or_b32 v76, v76, 7, v2
.LBB257_310:                            ;   in Loop: Header=BB257_13 Depth=1
	s_or_b64 exec, exec, s[44:45]
.LBB257_311:                            ;   in Loop: Header=BB257_13 Depth=1
	s_or_b64 exec, exec, s[42:43]
.LBB257_312:                            ;   in Loop: Header=BB257_13 Depth=1
	s_or_b64 exec, exec, s[40:41]
	v_lshrrev_b16_e32 v2, 8, v10
	v_cmp_ne_u16_e64 s[0:1], 0, v2
	s_and_saveexec_b64 s[40:41], s[0:1]
	s_cbranch_execz .LBB257_318
; %bb.313:                              ;   in Loop: Header=BB257_13 Depth=1
	v_cmp_ne_u16_e64 s[0:1], s52, v2
	v_bfrev_b32_e32 v75, 1
	s_and_saveexec_b64 s[42:43], s[0:1]
	s_cbranch_execz .LBB257_317
; %bb.314:                              ;   in Loop: Header=BB257_13 Depth=1
	v_and_b32_e32 v77, 0x7f, v2
	v_cmp_ne_u32_e64 s[0:1], s53, v77
	v_mov_b32_e32 v75, 0x7c010000
	s_and_saveexec_b64 s[44:45], s[0:1]
	s_cbranch_execz .LBB257_316
; %bb.315:                              ;   in Loop: Header=BB257_13 Depth=1
	v_and_b32_e32 v75, 7, v2
	v_ffbh_u32_e32 v78, v75
	v_min_u32_e32 v81, 32, v78
	v_subrev_u32_e32 v78, 28, v81
	v_lshlrev_b64 v[78:79], v78, v[2:3]
	v_lshrrev_b32_e32 v80, 3, v77
	v_sub_u32_e32 v79, 29, v81
	v_cmp_gt_u32_e64 s[0:1], 8, v77
	v_lshlrev_b32_e32 v2, 8, v2
	v_and_b32_e32 v78, 7, v78
	v_cndmask_b32_e64 v77, v80, v79, s[0:1]
	v_lshl_add_u32 v77, v77, 10, v21
	v_and_or_b32 v2, v2, s54, v77
	v_cndmask_b32_e64 v75, v75, v78, s[0:1]
	v_lshlrev_b32_e32 v2, 16, v2
	v_lshl_or_b32 v75, v75, 23, v2
.LBB257_316:                            ;   in Loop: Header=BB257_13 Depth=1
	s_or_b64 exec, exec, s[44:45]
.LBB257_317:                            ;   in Loop: Header=BB257_13 Depth=1
	s_or_b64 exec, exec, s[42:43]
.LBB257_318:                            ;   in Loop: Header=BB257_13 Depth=1
	s_or_b64 exec, exec, s[40:41]
	v_lshrrev_b32_e32 v2, 16, v10
	v_cmp_ne_u16_sdwa s[0:1], v2, v3 src0_sel:BYTE_0 src1_sel:DWORD
	v_mov_b32_e32 v77, 0
	v_mov_b32_e32 v78, 0
	s_and_saveexec_b64 s[40:41], s[0:1]
	s_cbranch_execz .LBB257_324
; %bb.319:                              ;   in Loop: Header=BB257_13 Depth=1
	v_cmp_ne_u16_sdwa s[0:1], v2, s52 src0_sel:BYTE_0 src1_sel:DWORD
	v_mov_b32_e32 v78, 0x8000
	s_and_saveexec_b64 s[42:43], s[0:1]
	s_cbranch_execz .LBB257_323
; %bb.320:                              ;   in Loop: Header=BB257_13 Depth=1
	v_bfe_u32 v79, v10, 16, 7
	v_cmp_ne_u32_e64 s[0:1], s53, v79
	v_mov_b32_e32 v78, 0x7c01
	s_and_saveexec_b64 s[44:45], s[0:1]
	s_cbranch_execz .LBB257_322
; %bb.321:                              ;   in Loop: Header=BB257_13 Depth=1
	v_and_b32_e32 v78, 7, v2
	v_ffbh_u32_e32 v80, v78
	v_min_u32_e32 v83, 32, v80
	v_subrev_u32_e32 v80, 28, v83
	v_lshlrev_b64 v[80:81], v80, v[2:3]
	v_lshrrev_b32_e32 v82, 3, v79
	v_sub_u32_e32 v81, 29, v83
	v_cmp_gt_u32_e64 s[0:1], 8, v79
	v_lshlrev_b32_e32 v2, 8, v2
	v_and_b32_e32 v80, 7, v80
	v_cndmask_b32_e64 v79, v82, v81, s[0:1]
	v_lshl_add_u32 v79, v79, 10, v21
	v_and_b32_e32 v79, 0xfc00, v79
	v_cndmask_b32_e64 v78, v78, v80, s[0:1]
	v_and_or_b32 v2, v2, s54, v79
	v_lshl_or_b32 v78, v78, 7, v2
.LBB257_322:                            ;   in Loop: Header=BB257_13 Depth=1
	s_or_b64 exec, exec, s[44:45]
.LBB257_323:                            ;   in Loop: Header=BB257_13 Depth=1
	s_or_b64 exec, exec, s[42:43]
.LBB257_324:                            ;   in Loop: Header=BB257_13 Depth=1
	s_or_b64 exec, exec, s[40:41]
	v_cmp_lt_u32_e64 s[0:1], s55, v10
	s_and_saveexec_b64 s[40:41], s[0:1]
	s_cbranch_execz .LBB257_330
; %bb.325:                              ;   in Loop: Header=BB257_13 Depth=1
	v_lshrrev_b32_e32 v2, 24, v10
	v_cmp_ne_u32_e64 s[0:1], s52, v2
	v_bfrev_b32_e32 v77, 1
	s_and_saveexec_b64 s[42:43], s[0:1]
	s_cbranch_execz .LBB257_329
; %bb.326:                              ;   in Loop: Header=BB257_13 Depth=1
	v_and_b32_e32 v10, 0x7f, v2
	v_cmp_ne_u32_e64 s[0:1], s53, v10
	v_mov_b32_e32 v77, 0x7c010000
	s_and_saveexec_b64 s[44:45], s[0:1]
	s_cbranch_execz .LBB257_328
; %bb.327:                              ;   in Loop: Header=BB257_13 Depth=1
	v_and_b32_e32 v77, 7, v2
	v_ffbh_u32_e32 v80, v77
	v_min_u32_e32 v82, 32, v80
	v_subrev_u32_e32 v80, 28, v82
	v_lshlrev_b64 v[80:81], v80, v[2:3]
	v_lshrrev_b32_e32 v79, 3, v10
	v_sub_u32_e32 v81, 29, v82
	v_cmp_gt_u32_e64 s[0:1], 8, v10
	v_lshlrev_b32_e32 v2, 8, v2
	s_nop 0
	v_cndmask_b32_e64 v10, v79, v81, s[0:1]
	v_lshl_add_u32 v10, v10, 10, v21
	v_and_b32_e32 v79, 7, v80
	v_and_or_b32 v2, v2, s54, v10
	v_cndmask_b32_e64 v77, v77, v79, s[0:1]
	v_lshlrev_b32_e32 v2, 16, v2
	v_lshl_or_b32 v77, v77, 23, v2
.LBB257_328:                            ;   in Loop: Header=BB257_13 Depth=1
	s_or_b64 exec, exec, s[44:45]
.LBB257_329:                            ;   in Loop: Header=BB257_13 Depth=1
	s_or_b64 exec, exec, s[42:43]
.LBB257_330:                            ;   in Loop: Header=BB257_13 Depth=1
	s_or_b64 exec, exec, s[40:41]
	global_load_dword v10, v[8:9], off offset:3080
	v_mov_b32_e32 v79, 0
	v_mov_b32_e32 v80, 0
	s_waitcnt vmcnt(0)
	v_cmp_ne_u16_sdwa s[0:1], v10, v3 src0_sel:BYTE_0 src1_sel:DWORD
	s_and_saveexec_b64 s[40:41], s[0:1]
	s_cbranch_execz .LBB257_336
; %bb.331:                              ;   in Loop: Header=BB257_13 Depth=1
	v_cmp_ne_u16_sdwa s[0:1], v10, s52 src0_sel:BYTE_0 src1_sel:DWORD
	v_mov_b32_e32 v80, 0x8000
	s_and_saveexec_b64 s[42:43], s[0:1]
	s_cbranch_execz .LBB257_335
; %bb.332:                              ;   in Loop: Header=BB257_13 Depth=1
	v_and_b32_e32 v2, 0x7f, v10
	v_cmp_ne_u32_e64 s[0:1], s53, v2
	v_mov_b32_e32 v80, 0x7c01
	s_and_saveexec_b64 s[44:45], s[0:1]
	s_cbranch_execz .LBB257_334
; %bb.333:                              ;   in Loop: Header=BB257_13 Depth=1
	v_and_b32_e32 v82, 7, v10
	v_ffbh_u32_e32 v80, v82
	v_min_u32_e32 v84, 32, v80
	v_subrev_u32_e32 v80, 28, v84
	v_lshlrev_b64 v[80:81], v80, v[10:11]
	v_lshrrev_b32_e32 v83, 3, v2
	v_sub_u32_e32 v81, 29, v84
	v_cmp_gt_u32_e64 s[0:1], 8, v2
	v_and_b32_e32 v80, 7, v80
	s_nop 0
	v_cndmask_b32_e64 v2, v83, v81, s[0:1]
	v_lshl_add_u32 v2, v2, 10, v21
	v_lshlrev_b32_e32 v81, 8, v10
	v_and_b32_e32 v2, 0xfc00, v2
	v_cndmask_b32_e64 v80, v82, v80, s[0:1]
	v_and_or_b32 v2, v81, s54, v2
	v_lshl_or_b32 v80, v80, 7, v2
.LBB257_334:                            ;   in Loop: Header=BB257_13 Depth=1
	s_or_b64 exec, exec, s[44:45]
.LBB257_335:                            ;   in Loop: Header=BB257_13 Depth=1
	s_or_b64 exec, exec, s[42:43]
.LBB257_336:                            ;   in Loop: Header=BB257_13 Depth=1
	s_or_b64 exec, exec, s[40:41]
	v_lshrrev_b16_e32 v2, 8, v10
	v_cmp_ne_u16_e64 s[0:1], 0, v2
	s_and_saveexec_b64 s[40:41], s[0:1]
	s_cbranch_execz .LBB257_342
; %bb.337:                              ;   in Loop: Header=BB257_13 Depth=1
	v_cmp_ne_u16_e64 s[0:1], s52, v2
	v_bfrev_b32_e32 v79, 1
	s_and_saveexec_b64 s[42:43], s[0:1]
	s_cbranch_execz .LBB257_341
; %bb.338:                              ;   in Loop: Header=BB257_13 Depth=1
	v_and_b32_e32 v81, 0x7f, v2
	v_cmp_ne_u32_e64 s[0:1], s53, v81
	v_mov_b32_e32 v79, 0x7c010000
	s_and_saveexec_b64 s[44:45], s[0:1]
	s_cbranch_execz .LBB257_340
; %bb.339:                              ;   in Loop: Header=BB257_13 Depth=1
	v_and_b32_e32 v79, 7, v2
	v_ffbh_u32_e32 v82, v79
	v_min_u32_e32 v85, 32, v82
	v_subrev_u32_e32 v82, 28, v85
	v_lshlrev_b64 v[82:83], v82, v[2:3]
	v_lshrrev_b32_e32 v84, 3, v81
	v_sub_u32_e32 v83, 29, v85
	v_cmp_gt_u32_e64 s[0:1], 8, v81
	v_lshlrev_b32_e32 v2, 8, v2
	v_and_b32_e32 v82, 7, v82
	v_cndmask_b32_e64 v81, v84, v83, s[0:1]
	v_lshl_add_u32 v81, v81, 10, v21
	v_and_or_b32 v2, v2, s54, v81
	v_cndmask_b32_e64 v79, v79, v82, s[0:1]
	v_lshlrev_b32_e32 v2, 16, v2
	v_lshl_or_b32 v79, v79, 23, v2
.LBB257_340:                            ;   in Loop: Header=BB257_13 Depth=1
	s_or_b64 exec, exec, s[44:45]
.LBB257_341:                            ;   in Loop: Header=BB257_13 Depth=1
	s_or_b64 exec, exec, s[42:43]
.LBB257_342:                            ;   in Loop: Header=BB257_13 Depth=1
	s_or_b64 exec, exec, s[40:41]
	v_lshrrev_b32_e32 v2, 16, v10
	v_cmp_ne_u16_sdwa s[0:1], v2, v3 src0_sel:BYTE_0 src1_sel:DWORD
	v_mov_b32_e32 v81, 0
	v_mov_b32_e32 v82, 0
	s_and_saveexec_b64 s[40:41], s[0:1]
	s_cbranch_execz .LBB257_348
; %bb.343:                              ;   in Loop: Header=BB257_13 Depth=1
	v_cmp_ne_u16_sdwa s[0:1], v2, s52 src0_sel:BYTE_0 src1_sel:DWORD
	v_mov_b32_e32 v82, 0x8000
	s_and_saveexec_b64 s[42:43], s[0:1]
	s_cbranch_execz .LBB257_347
; %bb.344:                              ;   in Loop: Header=BB257_13 Depth=1
	v_bfe_u32 v83, v10, 16, 7
	v_cmp_ne_u32_e64 s[0:1], s53, v83
	v_mov_b32_e32 v82, 0x7c01
	s_and_saveexec_b64 s[44:45], s[0:1]
	s_cbranch_execz .LBB257_346
; %bb.345:                              ;   in Loop: Header=BB257_13 Depth=1
	v_and_b32_e32 v82, 7, v2
	v_ffbh_u32_e32 v84, v82
	v_min_u32_e32 v87, 32, v84
	v_subrev_u32_e32 v84, 28, v87
	v_lshlrev_b64 v[84:85], v84, v[2:3]
	v_lshrrev_b32_e32 v86, 3, v83
	v_sub_u32_e32 v85, 29, v87
	v_cmp_gt_u32_e64 s[0:1], 8, v83
	v_lshlrev_b32_e32 v2, 8, v2
	v_and_b32_e32 v84, 7, v84
	v_cndmask_b32_e64 v83, v86, v85, s[0:1]
	v_lshl_add_u32 v83, v83, 10, v21
	v_and_b32_e32 v83, 0xfc00, v83
	v_cndmask_b32_e64 v82, v82, v84, s[0:1]
	v_and_or_b32 v2, v2, s54, v83
	v_lshl_or_b32 v82, v82, 7, v2
.LBB257_346:                            ;   in Loop: Header=BB257_13 Depth=1
	s_or_b64 exec, exec, s[44:45]
.LBB257_347:                            ;   in Loop: Header=BB257_13 Depth=1
	s_or_b64 exec, exec, s[42:43]
.LBB257_348:                            ;   in Loop: Header=BB257_13 Depth=1
	s_or_b64 exec, exec, s[40:41]
	v_cmp_lt_u32_e64 s[0:1], s55, v10
	s_and_saveexec_b64 s[40:41], s[0:1]
	s_cbranch_execz .LBB257_354
; %bb.349:                              ;   in Loop: Header=BB257_13 Depth=1
	v_lshrrev_b32_e32 v2, 24, v10
	v_cmp_ne_u32_e64 s[0:1], s52, v2
	v_bfrev_b32_e32 v81, 1
	s_and_saveexec_b64 s[42:43], s[0:1]
	s_cbranch_execz .LBB257_353
; %bb.350:                              ;   in Loop: Header=BB257_13 Depth=1
	v_and_b32_e32 v10, 0x7f, v2
	v_cmp_ne_u32_e64 s[0:1], s53, v10
	v_mov_b32_e32 v81, 0x7c010000
	s_and_saveexec_b64 s[44:45], s[0:1]
	s_cbranch_execz .LBB257_352
; %bb.351:                              ;   in Loop: Header=BB257_13 Depth=1
	v_and_b32_e32 v81, 7, v2
	v_ffbh_u32_e32 v84, v81
	v_min_u32_e32 v86, 32, v84
	v_subrev_u32_e32 v84, 28, v86
	v_lshlrev_b64 v[84:85], v84, v[2:3]
	v_lshrrev_b32_e32 v83, 3, v10
	v_sub_u32_e32 v85, 29, v86
	v_cmp_gt_u32_e64 s[0:1], 8, v10
	v_lshlrev_b32_e32 v2, 8, v2
	s_nop 0
	v_cndmask_b32_e64 v10, v83, v85, s[0:1]
	v_lshl_add_u32 v10, v10, 10, v21
	v_and_b32_e32 v83, 7, v84
	v_and_or_b32 v2, v2, s54, v10
	v_cndmask_b32_e64 v81, v81, v83, s[0:1]
	v_lshlrev_b32_e32 v2, 16, v2
	v_lshl_or_b32 v81, v81, 23, v2
.LBB257_352:                            ;   in Loop: Header=BB257_13 Depth=1
	s_or_b64 exec, exec, s[44:45]
.LBB257_353:                            ;   in Loop: Header=BB257_13 Depth=1
	s_or_b64 exec, exec, s[42:43]
.LBB257_354:                            ;   in Loop: Header=BB257_13 Depth=1
	s_or_b64 exec, exec, s[40:41]
	global_load_dword v8, v[8:9], off offset:3584
	v_mov_b32_e32 v83, 0
	v_mov_b32_e32 v84, 0
	s_waitcnt vmcnt(0)
	v_cmp_ne_u16_sdwa s[0:1], v8, v3 src0_sel:BYTE_0 src1_sel:DWORD
	s_and_saveexec_b64 s[40:41], s[0:1]
	s_cbranch_execz .LBB257_360
; %bb.355:                              ;   in Loop: Header=BB257_13 Depth=1
	v_cmp_ne_u16_sdwa s[0:1], v8, s52 src0_sel:BYTE_0 src1_sel:DWORD
	v_mov_b32_e32 v84, 0x8000
	s_and_saveexec_b64 s[42:43], s[0:1]
	s_cbranch_execz .LBB257_359
; %bb.356:                              ;   in Loop: Header=BB257_13 Depth=1
	v_and_b32_e32 v2, 0x7f, v8
	v_cmp_ne_u32_e64 s[0:1], s53, v2
	v_mov_b32_e32 v84, 0x7c01
	s_and_saveexec_b64 s[44:45], s[0:1]
	s_cbranch_execz .LBB257_358
; %bb.357:                              ;   in Loop: Header=BB257_13 Depth=1
	v_and_b32_e32 v9, 7, v8
	v_ffbh_u32_e32 v84, v9
	v_min_u32_e32 v86, 32, v84
	v_subrev_u32_e32 v84, 28, v86
	v_lshlrev_b64 v[84:85], v84, v[8:9]
	v_lshrrev_b32_e32 v10, 3, v2
	v_sub_u32_e32 v85, 29, v86
	v_cmp_gt_u32_e64 s[0:1], 8, v2
	v_and_b32_e32 v84, 7, v84
	s_nop 0
	v_cndmask_b32_e64 v2, v10, v85, s[0:1]
	v_lshl_add_u32 v2, v2, 10, v21
	v_lshlrev_b32_e32 v10, 8, v8
	v_and_b32_e32 v2, 0xfc00, v2
	v_cndmask_b32_e64 v9, v9, v84, s[0:1]
	v_and_or_b32 v2, v10, s54, v2
	v_lshl_or_b32 v84, v9, 7, v2
.LBB257_358:                            ;   in Loop: Header=BB257_13 Depth=1
	s_or_b64 exec, exec, s[44:45]
.LBB257_359:                            ;   in Loop: Header=BB257_13 Depth=1
	s_or_b64 exec, exec, s[42:43]
.LBB257_360:                            ;   in Loop: Header=BB257_13 Depth=1
	s_or_b64 exec, exec, s[40:41]
	v_lshrrev_b16_e32 v2, 8, v8
	v_cmp_ne_u16_e64 s[0:1], 0, v2
	s_and_saveexec_b64 s[40:41], s[0:1]
	s_cbranch_execz .LBB257_366
; %bb.361:                              ;   in Loop: Header=BB257_13 Depth=1
	v_cmp_ne_u16_e64 s[0:1], s52, v2
	v_bfrev_b32_e32 v83, 1
	s_and_saveexec_b64 s[42:43], s[0:1]
	s_cbranch_execz .LBB257_365
; %bb.362:                              ;   in Loop: Header=BB257_13 Depth=1
	v_and_b32_e32 v9, 0x7f, v2
	v_cmp_ne_u32_e64 s[0:1], s53, v9
	v_mov_b32_e32 v83, 0x7c010000
	s_and_saveexec_b64 s[44:45], s[0:1]
	s_cbranch_execz .LBB257_364
; %bb.363:                              ;   in Loop: Header=BB257_13 Depth=1
	v_and_b32_e32 v10, 7, v2
	v_ffbh_u32_e32 v85, v10
	v_min_u32_e32 v85, 32, v85
	v_lshrrev_b32_e32 v83, 3, v9
	v_subrev_u32_e32 v86, 28, v85
	v_sub_u32_e32 v85, 29, v85
	v_cmp_gt_u32_e64 s[0:1], 8, v9
	v_lshlrev_b64 v[86:87], v86, v[2:3]
	v_lshlrev_b32_e32 v2, 8, v2
	v_cndmask_b32_e64 v9, v83, v85, s[0:1]
	v_lshl_add_u32 v9, v9, 10, v21
	v_and_b32_e32 v83, 7, v86
	v_and_or_b32 v2, v2, s54, v9
	v_cndmask_b32_e64 v10, v10, v83, s[0:1]
	v_lshlrev_b32_e32 v2, 16, v2
	v_lshl_or_b32 v83, v10, 23, v2
.LBB257_364:                            ;   in Loop: Header=BB257_13 Depth=1
	s_or_b64 exec, exec, s[44:45]
.LBB257_365:                            ;   in Loop: Header=BB257_13 Depth=1
	s_or_b64 exec, exec, s[42:43]
.LBB257_366:                            ;   in Loop: Header=BB257_13 Depth=1
	s_or_b64 exec, exec, s[40:41]
	v_lshrrev_b32_e32 v2, 16, v8
	v_cmp_ne_u16_sdwa s[0:1], v2, v3 src0_sel:BYTE_0 src1_sel:DWORD
	v_mov_b32_e32 v85, 0
	v_mov_b32_e32 v86, 0
	s_and_saveexec_b64 s[40:41], s[0:1]
	s_cbranch_execz .LBB257_372
; %bb.367:                              ;   in Loop: Header=BB257_13 Depth=1
	v_cmp_ne_u16_sdwa s[0:1], v2, s52 src0_sel:BYTE_0 src1_sel:DWORD
	v_mov_b32_e32 v86, 0x8000
	s_and_saveexec_b64 s[42:43], s[0:1]
	s_cbranch_execz .LBB257_371
; %bb.368:                              ;   in Loop: Header=BB257_13 Depth=1
	v_bfe_u32 v9, v8, 16, 7
	v_cmp_ne_u32_e64 s[0:1], s53, v9
	v_mov_b32_e32 v86, 0x7c01
	s_and_saveexec_b64 s[44:45], s[0:1]
	s_cbranch_execz .LBB257_370
; %bb.369:                              ;   in Loop: Header=BB257_13 Depth=1
	v_and_b32_e32 v10, 7, v2
	v_ffbh_u32_e32 v86, v10
	v_min_u32_e32 v89, 32, v86
	v_subrev_u32_e32 v86, 28, v89
	v_lshlrev_b64 v[86:87], v86, v[2:3]
	v_lshrrev_b32_e32 v88, 3, v9
	v_sub_u32_e32 v87, 29, v89
	v_cmp_gt_u32_e64 s[0:1], 8, v9
	v_lshlrev_b32_e32 v2, 8, v2
	v_and_b32_e32 v86, 7, v86
	v_cndmask_b32_e64 v9, v88, v87, s[0:1]
	v_lshl_add_u32 v9, v9, 10, v21
	v_and_b32_e32 v9, 0xfc00, v9
	v_cndmask_b32_e64 v10, v10, v86, s[0:1]
	v_and_or_b32 v2, v2, s54, v9
	v_lshl_or_b32 v86, v10, 7, v2
.LBB257_370:                            ;   in Loop: Header=BB257_13 Depth=1
	s_or_b64 exec, exec, s[44:45]
.LBB257_371:                            ;   in Loop: Header=BB257_13 Depth=1
	s_or_b64 exec, exec, s[42:43]
.LBB257_372:                            ;   in Loop: Header=BB257_13 Depth=1
	s_or_b64 exec, exec, s[40:41]
	v_cmp_lt_u32_e64 s[0:1], s55, v8
	s_and_saveexec_b64 s[40:41], s[0:1]
	s_cbranch_execz .LBB257_378
; %bb.373:                              ;   in Loop: Header=BB257_13 Depth=1
	v_lshrrev_b32_e32 v2, 24, v8
	v_cmp_ne_u32_e64 s[0:1], s52, v2
	v_bfrev_b32_e32 v85, 1
	s_and_saveexec_b64 s[42:43], s[0:1]
	s_cbranch_execz .LBB257_377
; %bb.374:                              ;   in Loop: Header=BB257_13 Depth=1
	v_and_b32_e32 v8, 0x7f, v2
	v_cmp_ne_u32_e64 s[0:1], s53, v8
	v_mov_b32_e32 v85, 0x7c010000
	s_and_saveexec_b64 s[44:45], s[0:1]
	s_cbranch_execz .LBB257_376
; %bb.375:                              ;   in Loop: Header=BB257_13 Depth=1
	v_and_b32_e32 v9, 7, v2
	v_ffbh_u32_e32 v85, v9
	v_min_u32_e32 v85, 32, v85
	v_lshrrev_b32_e32 v10, 3, v8
	v_subrev_u32_e32 v87, 28, v85
	v_sub_u32_e32 v85, 29, v85
	v_cmp_gt_u32_e64 s[0:1], 8, v8
	v_lshlrev_b64 v[88:89], v87, v[2:3]
	v_lshlrev_b32_e32 v2, 8, v2
	v_cndmask_b32_e64 v8, v10, v85, s[0:1]
	v_lshl_add_u32 v8, v8, 10, v21
	v_and_b32_e32 v10, 7, v88
	v_and_or_b32 v2, v2, s54, v8
	v_cndmask_b32_e64 v9, v9, v10, s[0:1]
	v_lshlrev_b32_e32 v2, 16, v2
	v_lshl_or_b32 v85, v9, 23, v2
.LBB257_376:                            ;   in Loop: Header=BB257_13 Depth=1
	s_or_b64 exec, exec, s[44:45]
.LBB257_377:                            ;   in Loop: Header=BB257_13 Depth=1
	s_or_b64 exec, exec, s[42:43]
.LBB257_378:                            ;   in Loop: Header=BB257_13 Depth=1
	s_or_b64 exec, exec, s[40:41]
	v_or_b32_e32 v2, v79, v80
	v_fma_mixlo_f16 v9, v24, v79, 0 op_sel:[0,1,0] op_sel_hi:[0,1,0]
	v_or_b32_e32 v76, v75, v76
	v_fma_mixlo_f16 v79, v24, v75, 0 op_sel:[0,1,0] op_sel_hi:[0,1,0]
	v_or_b32_e32 v75, v77, v78
	v_fma_mixlo_f16 v80, v24, v76, 0 op_sel_hi:[0,1,0]
	v_fma_mixlo_f16 v76, v24, v75, 0 op_sel_hi:[0,1,0]
	v_fma_mixlo_f16 v75, v24, v77, 0 op_sel:[0,1,0] op_sel_hi:[0,1,0]
	v_or_b32_e32 v72, v71, v72
	v_fma_mixlo_f16 v77, v24, v71, 0 op_sel:[0,1,0] op_sel_hi:[0,1,0]
	v_or_b32_e32 v71, v73, v74
	v_fma_mixlo_f16 v78, v24, v72, 0 op_sel_hi:[0,1,0]
	v_fma_mixlo_f16 v72, v24, v71, 0 op_sel_hi:[0,1,0]
	;; [unrolled: 6-line block ×7, first 2 shown]
	v_fma_mixlo_f16 v51, v24, v53, 0 op_sel:[0,1,0] op_sel_hi:[0,1,0]
	v_or_b32_e32 v36, v35, v36
	v_fma_mixlo_f16 v53, v24, v35, 0 op_sel:[0,1,0] op_sel_hi:[0,1,0]
	v_or_b32_e32 v35, v37, v38
	v_fma_mixlo_f16 v38, v24, v35, 0 op_sel_hi:[0,1,0]
	v_or_b32_e32 v30, v29, v30
	v_fma_mixlo_f16 v35, v24, v29, 0 op_sel:[0,1,0] op_sel_hi:[0,1,0]
	v_or_b32_e32 v29, v31, v34
	v_fma_mixlo_f16 v54, v24, v30, 0 op_sel_hi:[0,1,0]
	v_fma_mixlo_f16 v34, v24, v29, 0 op_sel_hi:[0,1,0]
	v_or_b32_e32 v26, v25, v26
	v_fma_mixlo_f16 v30, v24, v25, 0 op_sel:[0,1,0] op_sel_hi:[0,1,0]
	v_or_b32_e32 v25, v27, v28
	ds_read_b64 v[28:29], v14
	v_fma_mixlo_f16 v10, v24, v2, 0 op_sel_hi:[0,1,0]
	v_or_b32_e32 v2, v81, v82
	v_fma_mixlo_f16 v26, v24, v26, 0 op_sel_hi:[0,1,0]
	v_fma_mixlo_f16 v8, v24, v2, 0 op_sel_hi:[0,1,0]
	v_fma_mixlo_f16 v2, v24, v81, 0 op_sel:[0,1,0] op_sel_hi:[0,1,0]
	v_fma_mixlo_f16 v81, v24, v31, 0 op_sel:[0,1,0] op_sel_hi:[0,1,0]
	v_fma_mixlo_f16 v31, v24, v25, 0 op_sel_hi:[0,1,0]
	v_or_b32_e32 v82, v83, v84
	v_fma_mixlo_f16 v25, v24, v83, 0 op_sel:[0,1,0] op_sel_hi:[0,1,0]
	s_waitcnt lgkmcnt(0)
	v_lshrrev_b32_e32 v83, 16, v28
	v_and_b32_e32 v28, 0xffff, v28
	v_and_b32_e32 v26, 0xffff, v26
	;;#ASMSTART
	v_cvt_f32_f16 v28, v28;
	;;#ASMEND
	;;#ASMSTART
	v_cvt_f32_f16 v83, v83;
	;;#ASMEND
	;;#ASMSTART
	v_cvt_f32_f16 v84, v26;
	;;#ASMEND
	v_and_b32_e32 v26, 0xffff, v30
	;;#ASMSTART
	v_cvt_f32_f16 v87, v26;
	;;#ASMEND
	v_lshrrev_b32_e32 v26, 16, v29
	v_fma_mixlo_f16 v27, v24, v27, 0 op_sel:[0,1,0] op_sel_hi:[0,1,0]
	v_and_b32_e32 v29, 0xffff, v29
	;;#ASMSTART
	v_cvt_f32_f16 v88, v29;
	;;#ASMEND
	;;#ASMSTART
	v_cvt_f32_f16 v89, v26;
	;;#ASMEND
	v_and_b32_e32 v26, 0xffff, v31
	;;#ASMSTART
	v_cvt_f32_f16 v90, v26;
	;;#ASMEND
	v_and_b32_e32 v26, 0xffff, v27
	;;#ASMSTART
	v_cvt_f32_f16 v91, v26;
	;;#ASMEND
	ds_read_b64 v[30:31], v14 offset:8
	v_and_b32_e32 v54, 0xffff, v54
	v_fma_mixlo_f16 v29, v24, v82, 0 op_sel_hi:[0,1,0]
	v_and_b32_e32 v35, 0xffff, v35
	v_and_b32_e32 v34, 0xffff, v34
	s_waitcnt lgkmcnt(0)
	v_and_b32_e32 v27, 0xffff, v30
	;;#ASMSTART
	v_cvt_f32_f16 v27, v27;
	;;#ASMEND
	v_lshrrev_b32_e32 v82, 16, v30
	;;#ASMSTART
	v_cvt_f32_f16 v30, v82;
	;;#ASMEND
	;;#ASMSTART
	v_cvt_f32_f16 v54, v54;
	;;#ASMEND
	;; [unrolled: 3-line block ×3, first 2 shown]
	v_fma_mixlo_f16 v36, v24, v36, 0 op_sel_hi:[0,1,0]
	v_mul_f32_e32 v27, v27, v54
	v_fmac_f32_e32 v27, v28, v84
	v_mul_f32_e32 v28, v30, v35
	v_and_b32_e32 v30, 0xffff, v31
	v_lshrrev_b32_e32 v35, 16, v31
	;;#ASMSTART
	v_cvt_f32_f16 v30, v30;
	;;#ASMEND
	;;#ASMSTART
	v_cvt_f32_f16 v31, v35;
	;;#ASMEND
	;; [unrolled: 3-line block ×3, first 2 shown]
	v_and_b32_e32 v34, 0xffff, v81
	;;#ASMSTART
	v_cvt_f32_f16 v81, v34;
	;;#ASMEND
	ds_read_b64 v[34:35], v14 offset:16
	v_mul_f32_e32 v31, v31, v81
	v_mul_f32_e32 v30, v30, v54
	v_fma_mixlo_f16 v37, v24, v37, 0 op_sel:[0,1,0] op_sel_hi:[0,1,0]
	v_fmac_f32_e32 v28, v83, v87
	s_waitcnt lgkmcnt(0)
	v_lshrrev_b32_e32 v81, 16, v34
	v_and_b32_e32 v34, 0xffff, v34
	;;#ASMSTART
	v_cvt_f32_f16 v54, v34;
	;;#ASMEND
	v_and_b32_e32 v34, 0xffff, v36
	;;#ASMSTART
	v_cvt_f32_f16 v81, v81;
	;;#ASMEND
	;;#ASMSTART
	v_cvt_f32_f16 v36, v34;
	;;#ASMEND
	v_and_b32_e32 v34, 0xffff, v53
	;;#ASMSTART
	v_cvt_f32_f16 v53, v34;
	;;#ASMEND
	v_lshrrev_b32_e32 v34, 16, v35
	v_and_b32_e32 v35, 0xffff, v35
	;;#ASMSTART
	v_cvt_f32_f16 v82, v35;
	;;#ASMEND
	;;#ASMSTART
	v_cvt_f32_f16 v83, v34;
	;;#ASMEND
	v_and_b32_e32 v34, 0xffff, v38
	;;#ASMSTART
	v_cvt_f32_f16 v38, v34;
	;;#ASMEND
	v_and_b32_e32 v34, 0xffff, v37
	;;#ASMSTART
	v_cvt_f32_f16 v37, v34;
	;;#ASMEND
	ds_read_b64 v[34:35], v14 offset:24
	v_or_b32_e32 v40, v39, v40
	v_fmac_f32_e32 v31, v89, v91
	v_fma_mixlo_f16 v40, v24, v40, 0 op_sel_hi:[0,1,0]
	v_fmac_f32_e32 v31, v83, v37
	s_waitcnt lgkmcnt(0)
	v_lshrrev_b32_e32 v37, 16, v34
	v_and_b32_e32 v34, 0xffff, v34
	v_fma_mixlo_f16 v39, v24, v39, 0 op_sel:[0,1,0] op_sel_hi:[0,1,0]
	v_fmac_f32_e32 v30, v88, v90
	v_fmac_f32_e32 v27, v54, v36
	;;#ASMSTART
	v_cvt_f32_f16 v36, v34;
	;;#ASMEND
	v_and_b32_e32 v34, 0xffff, v40
	v_or_b32_e32 v42, v41, v42
	v_fmac_f32_e32 v30, v82, v38
	;;#ASMSTART
	v_cvt_f32_f16 v37, v37;
	;;#ASMEND
	;;#ASMSTART
	v_cvt_f32_f16 v38, v34;
	;;#ASMEND
	v_and_b32_e32 v34, 0xffff, v39
	v_fma_mixlo_f16 v42, v24, v42, 0 op_sel_hi:[0,1,0]
	;;#ASMSTART
	v_cvt_f32_f16 v39, v34;
	;;#ASMEND
	v_lshrrev_b32_e32 v34, 16, v35
	v_fma_mixlo_f16 v41, v24, v41, 0 op_sel:[0,1,0] op_sel_hi:[0,1,0]
	v_fmac_f32_e32 v28, v81, v53
	v_and_b32_e32 v35, 0xffff, v35
	;;#ASMSTART
	v_cvt_f32_f16 v40, v35;
	;;#ASMEND
	;;#ASMSTART
	v_cvt_f32_f16 v53, v34;
	;;#ASMEND
	v_and_b32_e32 v34, 0xffff, v42
	;;#ASMSTART
	v_cvt_f32_f16 v42, v34;
	;;#ASMEND
	v_and_b32_e32 v34, 0xffff, v41
	;;#ASMSTART
	v_cvt_f32_f16 v41, v34;
	;;#ASMEND
	ds_read_b64 v[34:35], v14 offset:32
	v_or_b32_e32 v44, v43, v44
	v_fma_mixlo_f16 v44, v24, v44, 0 op_sel_hi:[0,1,0]
	v_fmac_f32_e32 v28, v37, v39
	v_fma_mixlo_f16 v43, v24, v43, 0 op_sel:[0,1,0] op_sel_hi:[0,1,0]
	s_waitcnt lgkmcnt(0)
	v_lshrrev_b32_e32 v37, 16, v34
	v_and_b32_e32 v34, 0xffff, v34
	v_fmac_f32_e32 v27, v36, v38
	;;#ASMSTART
	v_cvt_f32_f16 v36, v34;
	;;#ASMEND
	v_and_b32_e32 v34, 0xffff, v44
	v_or_b32_e32 v46, v45, v46
	;;#ASMSTART
	v_cvt_f32_f16 v37, v37;
	;;#ASMEND
	;;#ASMSTART
	v_cvt_f32_f16 v38, v34;
	;;#ASMEND
	v_and_b32_e32 v34, 0xffff, v43
	v_fma_mixlo_f16 v46, v24, v46, 0 op_sel_hi:[0,1,0]
	;;#ASMSTART
	v_cvt_f32_f16 v39, v34;
	;;#ASMEND
	v_lshrrev_b32_e32 v34, 16, v35
	v_fma_mixlo_f16 v45, v24, v45, 0 op_sel:[0,1,0] op_sel_hi:[0,1,0]
	v_fmac_f32_e32 v30, v40, v42
	v_fmac_f32_e32 v31, v53, v41
	v_and_b32_e32 v35, 0xffff, v35
	;;#ASMSTART
	v_cvt_f32_f16 v40, v35;
	;;#ASMEND
	;;#ASMSTART
	v_cvt_f32_f16 v41, v34;
	;;#ASMEND
	v_and_b32_e32 v34, 0xffff, v46
	;;#ASMSTART
	v_cvt_f32_f16 v42, v34;
	;;#ASMEND
	v_and_b32_e32 v34, 0xffff, v45
	;;#ASMSTART
	v_cvt_f32_f16 v43, v34;
	;;#ASMEND
	ds_read_b64 v[34:35], v14 offset:40
	v_or_b32_e32 v48, v47, v48
	v_fma_mixlo_f16 v48, v24, v48, 0 op_sel_hi:[0,1,0]
	v_fmac_f32_e32 v28, v37, v39
	v_fma_mixlo_f16 v47, v24, v47, 0 op_sel:[0,1,0] op_sel_hi:[0,1,0]
	s_waitcnt lgkmcnt(0)
	v_lshrrev_b32_e32 v37, 16, v34
	v_and_b32_e32 v34, 0xffff, v34
	v_fmac_f32_e32 v27, v36, v38
	;;#ASMSTART
	v_cvt_f32_f16 v36, v34;
	;;#ASMEND
	v_and_b32_e32 v34, 0xffff, v48
	v_or_b32_e32 v50, v49, v50
	;;#ASMSTART
	v_cvt_f32_f16 v37, v37;
	;;#ASMEND
	;;#ASMSTART
	v_cvt_f32_f16 v38, v34;
	;;#ASMEND
	v_and_b32_e32 v34, 0xffff, v47
	v_fma_mixlo_f16 v50, v24, v50, 0 op_sel_hi:[0,1,0]
	;;#ASMSTART
	v_cvt_f32_f16 v39, v34;
	;;#ASMEND
	v_lshrrev_b32_e32 v34, 16, v35
	v_fma_mixlo_f16 v49, v24, v49, 0 op_sel:[0,1,0] op_sel_hi:[0,1,0]
	v_fmac_f32_e32 v30, v40, v42
	v_fmac_f32_e32 v31, v41, v43
	v_and_b32_e32 v35, 0xffff, v35
	;;#ASMSTART
	v_cvt_f32_f16 v40, v35;
	;;#ASMEND
	;;#ASMSTART
	v_cvt_f32_f16 v41, v34;
	;;#ASMEND
	v_and_b32_e32 v34, 0xffff, v50
	;;#ASMSTART
	v_cvt_f32_f16 v42, v34;
	;;#ASMEND
	v_and_b32_e32 v34, 0xffff, v49
	;;#ASMSTART
	v_cvt_f32_f16 v43, v34;
	;;#ASMEND
	ds_read_b64 v[34:35], v14 offset:48
	v_fmac_f32_e32 v28, v37, v39
	v_fmac_f32_e32 v27, v36, v38
	v_fmac_f32_e32 v30, v40, v42
	v_fmac_f32_e32 v31, v41, v43
	s_waitcnt lgkmcnt(0)
	v_lshrrev_b32_e32 v37, 16, v34
	v_and_b32_e32 v34, 0xffff, v34
	;;#ASMSTART
	v_cvt_f32_f16 v36, v34;
	;;#ASMEND
	v_and_b32_e32 v34, 0xffff, v58
	;;#ASMSTART
	v_cvt_f32_f16 v37, v37;
	;;#ASMEND
	;;#ASMSTART
	v_cvt_f32_f16 v38, v34;
	;;#ASMEND
	v_and_b32_e32 v34, 0xffff, v57
	;;#ASMSTART
	v_cvt_f32_f16 v39, v34;
	;;#ASMEND
	v_lshrrev_b32_e32 v34, 16, v35
	v_and_b32_e32 v35, 0xffff, v35
	;;#ASMSTART
	v_cvt_f32_f16 v40, v35;
	;;#ASMEND
	;;#ASMSTART
	v_cvt_f32_f16 v41, v34;
	;;#ASMEND
	v_and_b32_e32 v34, 0xffff, v52
	;;#ASMSTART
	v_cvt_f32_f16 v42, v34;
	;;#ASMEND
	v_and_b32_e32 v34, 0xffff, v51
	;;#ASMSTART
	v_cvt_f32_f16 v43, v34;
	;;#ASMEND
	ds_read_b64 v[34:35], v14 offset:56
	v_fmac_f32_e32 v28, v37, v39
	v_fmac_f32_e32 v27, v36, v38
	v_fmac_f32_e32 v30, v40, v42
	v_fmac_f32_e32 v31, v41, v43
	s_waitcnt lgkmcnt(0)
	v_lshrrev_b32_e32 v37, 16, v34
	v_and_b32_e32 v34, 0xffff, v34
	;;#ASMSTART
	v_cvt_f32_f16 v36, v34;
	;;#ASMEND
	v_and_b32_e32 v34, 0xffff, v62
	;;#ASMSTART
	v_cvt_f32_f16 v37, v37;
	;;#ASMEND
	;;#ASMSTART
	v_cvt_f32_f16 v38, v34;
	;;#ASMEND
	v_and_b32_e32 v34, 0xffff, v61
	;;#ASMSTART
	v_cvt_f32_f16 v39, v34;
	;;#ASMEND
	v_lshrrev_b32_e32 v34, 16, v35
	;; [unrolled: 38-line block ×7, first 2 shown]
	v_and_b32_e32 v35, 0xffff, v35
	;;#ASMSTART
	v_cvt_f32_f16 v40, v35;
	;;#ASMEND
	;;#ASMSTART
	v_cvt_f32_f16 v41, v34;
	;;#ASMEND
	v_and_b32_e32 v34, 0xffff, v76
	;;#ASMSTART
	v_cvt_f32_f16 v42, v34;
	;;#ASMEND
	v_and_b32_e32 v34, 0xffff, v75
	;;#ASMSTART
	v_cvt_f32_f16 v43, v34;
	;;#ASMEND
	ds_read_b64 v[34:35], v14 offset:104
	v_fmac_f32_e32 v27, v36, v38
	v_and_b32_e32 v10, 0xffff, v10
	v_and_b32_e32 v9, 0xffff, v9
	v_fmac_f32_e32 v28, v37, v39
	s_waitcnt lgkmcnt(0)
	v_lshrrev_b32_e32 v36, 16, v34
	v_and_b32_e32 v34, 0xffff, v34
	;;#ASMSTART
	v_cvt_f32_f16 v34, v34;
	;;#ASMEND
	;;#ASMSTART
	v_cvt_f32_f16 v36, v36;
	;;#ASMEND
	;; [unrolled: 3-line block ×4, first 2 shown]
	v_lshrrev_b32_e32 v9, 16, v35
	v_and_b32_e32 v35, 0xffff, v35
	v_and_b32_e32 v8, 0xffff, v8
	;; [unrolled: 1-line block ×3, first 2 shown]
	;;#ASMSTART
	v_cvt_f32_f16 v35, v35;
	;;#ASMEND
	;;#ASMSTART
	v_cvt_f32_f16 v38, v9;
	;;#ASMEND
	;; [unrolled: 3-line block ×4, first 2 shown]
	ds_read_b64 v[8:9], v14 offset:112
	v_fmac_f32_e32 v31, v41, v43
	v_or_b32_e32 v26, v85, v86
	v_fmac_f32_e32 v27, v34, v10
	v_fmac_f32_e32 v31, v38, v2
	s_waitcnt lgkmcnt(0)
	v_lshrrev_b32_e32 v10, 16, v8
	v_and_b32_e32 v2, 0xffff, v8
	v_fma_mixlo_f16 v26, v24, v26, 0 op_sel_hi:[0,1,0]
	v_fmac_f32_e32 v28, v36, v37
	;;#ASMSTART
	v_cvt_f32_f16 v2, v2;
	;;#ASMEND
	;;#ASMSTART
	v_cvt_f32_f16 v8, v10;
	;;#ASMEND
	v_and_b32_e32 v10, 0xffff, v29
	v_and_b32_e32 v25, 0xffff, v25
	v_fmac_f32_e32 v30, v40, v42
	;;#ASMSTART
	v_cvt_f32_f16 v10, v10;
	;;#ASMEND
	;;#ASMSTART
	v_cvt_f32_f16 v25, v25;
	;;#ASMEND
	v_fma_mixlo_f16 v24, v24, v85, 0 op_sel:[0,1,0] op_sel_hi:[0,1,0]
	v_fmac_f32_e32 v27, v2, v10
	v_fmac_f32_e32 v28, v8, v25
	v_lshrrev_b32_e32 v8, 16, v9
	v_and_b32_e32 v2, 0xffff, v9
	v_and_b32_e32 v9, 0xffff, v26
	v_fmac_f32_e32 v30, v35, v39
	;;#ASMSTART
	v_cvt_f32_f16 v2, v2;
	;;#ASMEND
	;;#ASMSTART
	v_cvt_f32_f16 v8, v8;
	;;#ASMEND
	;; [unrolled: 3-line block ×3, first 2 shown]
	v_and_b32_e32 v10, 0xffff, v24
	v_fmac_f32_e32 v30, v2, v9
	v_and_b32_e32 v9, 64, v22
	;;#ASMSTART
	v_cvt_f32_f16 v10, v10;
	;;#ASMEND
	v_add_u32_e32 v9, 64, v9
	v_fmac_f32_e32 v31, v8, v10
	v_xor_b32_e32 v8, 1, v22
	v_add_f32_e32 v2, v27, v28
	v_cmp_lt_i32_e64 s[0:1], v8, v9
	v_add_f32_e32 v2, v2, v30
	v_add_f32_e32 v2, v31, v2
	v_cndmask_b32_e64 v8, v22, v8, s[0:1]
	v_lshlrev_b32_e32 v8, 2, v8
	ds_bpermute_b32 v8, v8, v2
	s_and_saveexec_b64 s[40:41], vcc
	s_cbranch_execz .LBB257_11
; %bb.379:                              ;   in Loop: Header=BB257_13 Depth=1
	v_add_u32_e32 v9, v18, v17
	v_cvt_f32_i32_e32 v9, v9
	s_waitcnt lgkmcnt(0)
	v_add_f32_e32 v2, v2, v8
	v_add_u32_e32 v10, v13, v17
	v_cmp_gt_i32_e64 s[0:1], s33, v10
	v_mul_f32_e32 v8, s49, v9
	v_cndmask_b32_e64 v8, 0, v8, s[2:3]
	v_fmac_f32_e32 v8, s37, v2
	v_cndmask_b32_e64 v2, 0, v8, s[0:1]
	ds_write_b32 v19, v2
	v_max_f32_e32 v2, v15, v15
	v_max_f32_e32 v2, v2, v8
	v_cndmask_b32_e64 v15, v15, v2, s[0:1]
	s_branch .LBB257_11
.LBB257_380:
	s_or_b64 exec, exec, s[38:39]
.LBB257_381:
	s_or_b64 exec, exec, s[18:19]
	v_mbcnt_hi_u32_b32 v2, -1, v11
	v_and_b32_e32 v10, 64, v2
	v_add_u32_e32 v11, 64, v10
	v_xor_b32_e32 v3, 32, v2
	v_cmp_lt_i32_e32 vcc, v3, v11
	v_xor_b32_e32 v6, 16, v2
	v_max_f32_e32 v5, v15, v15
	v_cndmask_b32_e32 v3, v2, v3, vcc
	v_lshlrev_b32_e32 v3, 2, v3
	ds_bpermute_b32 v4, v3, v15
	v_cmp_lt_i32_e32 vcc, v6, v11
	v_xor_b32_e32 v7, 8, v2
	s_waitcnt lgkmcnt(1)
	v_xor_b32_e32 v8, 4, v2
	v_xor_b32_e32 v13, 2, v2
	s_waitcnt lgkmcnt(0)
	v_max_f32_e32 v4, v4, v4
	v_max_f32_e32 v4, v5, v4
	v_cndmask_b32_e32 v5, v2, v6, vcc
	v_lshlrev_b32_e32 v5, 2, v5
	ds_bpermute_b32 v6, v5, v4
	v_cmp_lt_i32_e32 vcc, v7, v11
	s_waitcnt lgkmcnt(0)
	v_max_f32_e32 v6, v6, v6
	v_max_f32_e32 v4, v4, v6
	v_cndmask_b32_e32 v6, v2, v7, vcc
	v_lshlrev_b32_e32 v6, 2, v6
	ds_bpermute_b32 v7, v6, v4
	v_cmp_lt_i32_e32 vcc, v8, v11
	s_waitcnt lgkmcnt(0)
	v_max_f32_e32 v7, v7, v7
	v_max_f32_e32 v4, v4, v7
	v_cndmask_b32_e32 v7, v2, v8, vcc
	v_lshlrev_b32_e32 v7, 2, v7
	ds_bpermute_b32 v8, v7, v4
	v_cmp_lt_i32_e32 vcc, v13, v11
	s_waitcnt lgkmcnt(0)
	v_max_f32_e32 v8, v8, v8
	v_max_f32_e32 v9, v4, v8
	v_cndmask_b32_e32 v4, v2, v13, vcc
	v_lshlrev_b32_e32 v34, 2, v4
	ds_bpermute_b32 v13, v34, v9
	v_and_b32_e32 v4, 63, v0
	v_cmp_eq_u32_e32 vcc, 0, v4
	v_lshlrev_b32_e32 v8, 2, v32
	s_and_saveexec_b64 s[0:1], vcc
	s_cbranch_execz .LBB257_383
; %bb.382:
	s_waitcnt lgkmcnt(0)
	v_max_f32_e32 v13, v13, v13
	v_max_f32_e32 v9, v9, v9
	;; [unrolled: 1-line block ×3, first 2 shown]
	ds_write_b32 v8, v9 offset:240
.LBB257_383:
	s_or_b64 exec, exec, s[0:1]
	v_cmp_gt_u32_e64 s[0:1], 2, v4
	s_waitcnt lgkmcnt(0)
	v_mov_b32_e32 v13, 0xff7fffff
	v_lshlrev_b32_e32 v9, 2, v4
	s_barrier
	s_and_saveexec_b64 s[2:3], s[0:1]
; %bb.384:
	ds_read_b32 v13, v9 offset:240
; %bb.385:
	s_or_b64 exec, exec, s[2:3]
	v_xor_b32_e32 v14, 1, v2
	v_cmp_lt_i32_e64 s[2:3], v14, v11
	v_lshlrev_b32_e32 v10, 2, v10
	s_nop 0
	v_cndmask_b32_e64 v11, v2, v14, s[2:3]
	v_lshlrev_b32_e32 v35, 2, v11
	s_waitcnt lgkmcnt(0)
	ds_bpermute_b32 v11, v35, v13
	v_max_f32_e32 v13, v13, v13
	s_lshl_b32 s2, s48, 5
	s_min_i32 s23, s2, s33
	v_cmp_gt_i32_e64 s[2:3], s23, v0
	s_waitcnt lgkmcnt(0)
	v_max_f32_e32 v11, v11, v11
	v_max_f32_e32 v11, v13, v11
	ds_bpermute_b32 v11, v10, v11
	v_mov_b32_e32 v10, 0
	s_and_saveexec_b64 s[12:13], s[2:3]
	s_cbranch_execz .LBB257_389
; %bb.386:
	v_mov_b32_e32 v10, 0x100
	v_lshl_add_u32 v13, v0, 2, v10
	v_mov_b32_e32 v10, 0
	s_mov_b64 s[18:19], 0
	v_mov_b32_e32 v14, v0
.LBB257_387:                            ; =>This Inner Loop Header: Depth=1
	ds_read_b32 v15, v13
	v_add_u32_e32 v14, 0x80, v14
	v_cmp_le_i32_e64 s[8:9], s23, v14
	s_or_b64 s[18:19], s[8:9], s[18:19]
	s_waitcnt lgkmcnt(0)
	v_sub_f32_e32 v15, v15, v11
	v_mul_f32_e32 v15, 0x3fb8aa3b, v15
	v_exp_f32_e32 v15, v15
	ds_write_b32 v13, v15
	v_add_f32_e32 v10, v10, v15
	v_add_u32_e32 v13, 0x200, v13
	s_andn2_b64 exec, exec, s[18:19]
	s_cbranch_execnz .LBB257_387
; %bb.388:
	s_or_b64 exec, exec, s[18:19]
.LBB257_389:
	s_or_b64 exec, exec, s[12:13]
	ds_bpermute_b32 v3, v3, v10
	s_waitcnt lgkmcnt(0)
	v_add_f32_e32 v3, v10, v3
	ds_bpermute_b32 v5, v5, v3
	s_waitcnt lgkmcnt(0)
	v_add_f32_e32 v3, v3, v5
	;; [unrolled: 3-line block ×6, first 2 shown]
	s_and_saveexec_b64 s[8:9], vcc
; %bb.390:
	ds_write_b32 v8, v3 offset:248
; %bb.391:
	s_or_b64 exec, exec, s[8:9]
	s_waitcnt lgkmcnt(0)
	s_barrier
	s_and_saveexec_b64 s[8:9], s[0:1]
; %bb.392:
	ds_read_b32 v3, v9 offset:248
; %bb.393:
	s_or_b64 exec, exec, s[8:9]
	s_waitcnt lgkmcnt(0)
	ds_bpermute_b32 v5, v35, v3
	v_lshlrev_b32_e32 v2, 2, v2
	v_and_b32_e32 v2, 0x100, v2
	s_waitcnt lgkmcnt(0)
	v_add_f32_e32 v3, v3, v5
	ds_bpermute_b32 v2, v2, v3
	s_and_saveexec_b64 s[0:1], s[2:3]
	s_cbranch_execz .LBB257_406
; %bb.394:
	s_waitcnt lgkmcnt(0)
	v_add_f32_e32 v2, 0x358637bd, v2
	v_div_scale_f32 v3, s[2:3], v2, v2, 1.0
	v_rcp_f32_e32 v5, v3
	v_div_scale_f32 v6, vcc, 1.0, v2, 1.0
	s_movk_i32 s2, 0x7f
	v_fma_f32 v7, -v3, v5, 1.0
	v_fmac_f32_e32 v5, v7, v5
	v_mul_f32_e32 v7, v6, v5
	v_fma_f32 v8, -v3, v7, v6
	v_fmac_f32_e32 v7, v8, v5
	v_fma_f32 v3, -v3, v7, v6
	v_div_fmas_f32 v3, v3, v5, v7
	v_xad_u32 v5, v0, -1, s23
	v_div_fixup_f32 v2, v3, v2, 1.0
	v_cmp_lt_u32_e32 vcc, s2, v5
	s_mov_b64 s[8:9], -1
	v_mov_b32_e32 v3, v0
	s_and_saveexec_b64 s[2:3], vcc
	s_cbranch_execz .LBB257_403
; %bb.395:
	v_lshrrev_b32_e32 v5, 7, v5
	v_add_u32_e32 v7, -1, v5
	v_lshrrev_b32_e32 v6, 1, v7
	v_mov_b32_e32 v3, v2
	v_add_u32_e32 v6, 1, v6
	v_cmp_lt_u32_e32 vcc, 13, v7
	v_mov_b32_e32 v9, 0
	s_and_saveexec_b64 s[8:9], vcc
	s_cbranch_execz .LBB257_399
; %bb.396:
	v_mov_b32_e32 v8, 0x100
	v_and_b32_e32 v7, -8, v6
	v_lshl_add_u32 v8, v0, 2, v8
	s_mov_b32 s18, 0
	s_mov_b64 s[12:13], 0
.LBB257_397:                            ; =>This Inner Loop Header: Depth=1
	ds_read2st64_b32 v[10:11], v8 offset1:2
	ds_read2st64_b32 v[14:15], v8 offset0:4 offset1:6
	ds_read2st64_b32 v[16:17], v8 offset0:8 offset1:10
	;; [unrolled: 1-line block ×3, first 2 shown]
	v_add_u32_e32 v7, -8, v7
	s_waitcnt lgkmcnt(3)
	v_pk_mul_f32 v[10:11], v[2:3], v[10:11]
	s_waitcnt lgkmcnt(2)
	v_pk_mul_f32 v[14:15], v[2:3], v[14:15]
	ds_write2st64_b32 v8, v10, v11 offset1:2
	ds_write2st64_b32 v8, v14, v15 offset0:4 offset1:6
	ds_read2st64_b32 v[14:15], v8 offset0:16 offset1:18
	s_waitcnt lgkmcnt(4)
	v_pk_mul_f32 v[10:11], v[2:3], v[16:17]
	ds_write2st64_b32 v8, v10, v11 offset0:8 offset1:10
	s_waitcnt lgkmcnt(4)
	v_pk_mul_f32 v[10:11], v[2:3], v[18:19]
	ds_write2st64_b32 v8, v10, v11 offset0:12 offset1:14
	ds_read2st64_b32 v[10:11], v8 offset0:20 offset1:22
	s_waitcnt lgkmcnt(3)
	v_pk_mul_f32 v[14:15], v[2:3], v[14:15]
	ds_read2st64_b32 v[16:17], v8 offset0:24 offset1:26
	ds_write2st64_b32 v8, v14, v15 offset0:16 offset1:18
	ds_read2st64_b32 v[14:15], v8 offset0:28 offset1:30
	s_waitcnt lgkmcnt(3)
	v_pk_mul_f32 v[10:11], v[2:3], v[10:11]
	ds_write2st64_b32 v8, v10, v11 offset0:20 offset1:22
	s_waitcnt lgkmcnt(3)
	v_pk_mul_f32 v[10:11], v[2:3], v[16:17]
	ds_write2st64_b32 v8, v10, v11 offset0:24 offset1:26
	s_waitcnt lgkmcnt(2)
	v_pk_mul_f32 v[10:11], v[2:3], v[14:15]
	s_add_i32 s18, s18, 16
	v_cmp_eq_u32_e32 vcc, 0, v7
	ds_write2st64_b32 v8, v10, v11 offset0:28 offset1:30
	v_add_u32_e32 v8, 0x2000, v8
	s_or_b64 s[12:13], vcc, s[12:13]
	v_mov_b32_e32 v9, s18
	s_andn2_b64 exec, exec, s[12:13]
	s_cbranch_execnz .LBB257_397
; %bb.398:
	s_or_b64 exec, exec, s[12:13]
.LBB257_399:
	s_or_b64 exec, exec, s[8:9]
	v_and_b32_e32 v6, 7, v6
	v_cmp_ne_u32_e32 vcc, 0, v6
	s_and_saveexec_b64 s[8:9], vcc
	s_cbranch_execz .LBB257_402
; %bb.400:
	v_lshlrev_b32_e32 v7, 9, v9
	v_lshlrev_b32_e32 v8, 2, v0
	s_movk_i32 s12, 0x100
	v_add3_u32 v7, v7, v8, s12
	s_mov_b64 s[12:13], 0
.LBB257_401:                            ; =>This Inner Loop Header: Depth=1
	ds_read2st64_b32 v[8:9], v7 offset1:2
	v_add_u32_e32 v6, -1, v6
	v_cmp_eq_u32_e32 vcc, 0, v6
	s_or_b64 s[12:13], vcc, s[12:13]
	s_waitcnt lgkmcnt(0)
	v_pk_mul_f32 v[8:9], v[2:3], v[8:9]
	ds_write2st64_b32 v7, v8, v9 offset1:2
	v_add_u32_e32 v7, 0x400, v7
	s_andn2_b64 exec, exec, s[12:13]
	s_cbranch_execnz .LBB257_401
.LBB257_402:
	s_or_b64 exec, exec, s[8:9]
	v_add_u32_e32 v5, 1, v5
	v_and_b32_e32 v6, 0x3fffffe, v5
	v_cmp_ne_u32_e32 vcc, v5, v6
	v_lshl_add_u32 v3, v6, 7, v0
	s_orn2_b64 s[8:9], vcc, exec
.LBB257_403:
	s_or_b64 exec, exec, s[2:3]
	s_and_b64 exec, exec, s[8:9]
	s_cbranch_execz .LBB257_406
; %bb.404:
	v_mov_b32_e32 v5, 0x100
	v_lshl_add_u32 v5, v3, 2, v5
	s_mov_b64 s[2:3], 0
.LBB257_405:                            ; =>This Inner Loop Header: Depth=1
	ds_read_b32 v6, v5
	v_add_u32_e32 v3, 0x80, v3
	v_cmp_le_i32_e32 vcc, s23, v3
	s_or_b64 s[2:3], vcc, s[2:3]
	s_waitcnt lgkmcnt(0)
	v_mul_f32_e32 v6, v2, v6
	ds_write_b32 v5, v6
	v_add_u32_e32 v5, 0x200, v5
	s_andn2_b64 exec, exec, s[2:3]
	s_cbranch_execnz .LBB257_405
.LBB257_406:
	s_or_b64 exec, exec, s[0:1]
	v_lshrrev_b32_e32 v36, 2, v4
	s_waitcnt lgkmcnt(0)
	s_barrier
	s_and_saveexec_b64 s[0:1], s[6:7]
	s_xor_b64 s[0:1], exec, s[0:1]
; %bb.407:
	v_lshrrev_b32_e32 v36, 2, v4
                                        ; implicit-def: $vgpr33
                                        ; implicit-def: $vgpr32
                                        ; implicit-def: $vgpr1
                                        ; implicit-def: $vgpr12
; %bb.408:
	s_or_saveexec_b64 s[6:7], s[0:1]
	v_mov_b32_e32 v3, 0
	v_and_b32_e32 v37, 3, v0
	v_mov_b32_e32 v2, 0
	v_mov_b32_e32 v5, 0
	;; [unrolled: 1-line block ×7, first 2 shown]
	s_xor_b64 exec, exec, s[6:7]
	s_cbranch_execz .LBB257_816
; %bb.409:
	s_sub_i32 s37, s16, s21
	s_ashr_i32 s0, s20, 31
	s_add_u32 s8, s34, s20
	s_addc_u32 s9, s35, s0
	s_abs_i32 s35, s22
	v_and_b32_e32 v38, 24, v1
	v_cvt_f32_u32_e32 v1, s35
	v_or_b32_e32 v2, 0x70, v36
	s_movk_i32 s0, 0x78
	v_cmp_gt_u32_e32 vcc, s0, v2
	v_rcp_iflag_f32_e32 v1, v1
	s_sub_i32 s0, 0, s35
	v_lshl_or_b32 v14, v2, 5, v38
	s_add_i32 s34, s48, -1
	v_mul_f32_e32 v1, 0x4f7ffffe, v1
	v_cvt_u32_f32_e32 v1, v1
	s_mov_b32 s12, -1
	v_mov_b32_e32 v13, 0
	v_and_b32_e32 v12, 60, v12
	v_mul_lo_u32 v2, s0, v1
	v_mul_hi_u32 v2, v1, v2
	s_lshl_b64 s[0:1], s[30:31], 2
	v_add_u32_e32 v39, v1, v2
	s_add_u32 s0, s28, s0
	v_lshlrev_b32_e32 v1, 5, v37
	s_addc_u32 s1, s29, s1
	v_lshl_or_b32 v1, v32, 7, v1
	s_mov_b32 s38, s17
	s_mov_b32 s13, 0xffffff
	v_lshl_or_b32 v10, v36, 5, v38
	v_mov_b32_e32 v11, v13
	v_mov_b32_e32 v15, v13
	s_mov_b32 s39, s33
	v_lshl_add_u64 v[16:17], s[0:1], 0, v[12:13]
	v_add_u32_e32 v40, 0x100, v1
	s_mov_b64 s[16:17], 0
	s_movk_i32 s40, 0x80
	s_movk_i32 s41, 0x7f
	s_mov_b32 s42, 0x8000
	v_mov_b32_e32 v41, 0x2000
	v_mov_b32_e32 v8, 0
	;; [unrolled: 1-line block ×9, first 2 shown]
	s_branch .LBB257_413
.LBB257_410:                            ;   in Loop: Header=BB257_413 Depth=1
	s_or_b64 exec, exec, s[2:3]
	;;#ASMSTART
	v_pk_mul_f16 v1, v48, v1;

	;;#ASMEND
	;;#ASMSTART
	v_pk_mul_f16 v12, v47, v20;

	;;#ASMEND
	;; [unrolled: 4-line block ×4, first 2 shown]
	s_nop 0
	;;#ASMSTART
	v_pk_add_f16 v1, v1, v12;

	;;#ASMEND
	s_nop 0
	;;#ASMSTART
	v_pk_add_f16 v1, v1, v18;

	;;#ASMEND
	s_nop 0
	;;#ASMSTART
	v_pk_add_f16 v1, v1, v19;

	;;#ASMEND
	s_nop 0
	v_lshrrev_b32_e32 v12, 16, v1
	v_and_b32_e32 v1, 0xffff, v1
	;;#ASMSTART
	v_cvt_f32_f16 v1, v1;
	;;#ASMEND
	;;#ASMSTART
	v_cvt_f32_f16 v12, v12;
	;;#ASMEND
	s_nop 0
	v_add_f32_e32 v1, v1, v12
	v_add_f32_e32 v3, v3, v1
.LBB257_411:                            ;   in Loop: Header=BB257_413 Depth=1
	s_or_b64 exec, exec, s[20:21]
	v_add_f32_e32 v1, v30, v31
	v_add_f32_e32 v5, v5, v1
	;; [unrolled: 1-line block ×14, first 2 shown]
.LBB257_412:                            ;   in Loop: Header=BB257_413 Depth=1
	s_or_b64 exec, exec, s[18:19]
	v_add_u32_e32 v32, 2, v32
	v_cmp_le_i32_e64 s[0:1], s48, v32
	v_lshl_add_u64 v[16:17], v[16:17], 0, 8
	v_add_u32_e32 v33, 64, v33
	s_or_b64 s[16:17], s[0:1], s[16:17]
	v_add_u32_e32 v40, 0x100, v40
	s_andn2_b64 exec, exec, s[16:17]
	s_cbranch_execz .LBB257_815
.LBB257_413:                            ; =>This Inner Loop Header: Depth=1
	v_mul_hi_u32 v1, v33, s46
	v_mul_lo_u32 v12, v1, s25
	v_sub_u32_e32 v12, v33, v12
	v_add_u32_e32 v18, 1, v1
	v_cmp_le_u32_e64 s[0:1], s25, v12
	s_nop 1
	v_cndmask_b32_e64 v1, v1, v18, s[0:1]
	v_subrev_u32_e32 v18, s25, v12
	v_cndmask_b32_e64 v12, v12, v18, s[0:1]
	v_add_u32_e32 v18, 1, v1
	v_cmp_le_u32_e64 s[0:1], s25, v12
	s_nop 1
	v_cndmask_b32_e64 v1, v1, v18, s[0:1]
	v_xor_b32_e32 v1, s47, v1
	v_subrev_u32_e32 v1, s47, v1
	v_add_u32_e32 v12, s36, v1
	v_sub_u32_e32 v19, 0, v12
	v_ashrrev_i32_e32 v18, 31, v12
	v_max_i32_e32 v12, v12, v19
	v_mul_hi_u32 v19, v12, v39
	v_mul_lo_u32 v19, v19, s35
	v_sub_u32_e32 v12, v12, v19
	v_subrev_u32_e32 v19, s35, v12
	v_cmp_le_u32_e64 s[0:1], s35, v12
	v_cmp_lt_i32_e64 s[2:3], s37, v1
	s_nop 0
	v_cndmask_b32_e64 v12, v12, v19, s[0:1]
	v_subrev_u32_e32 v19, s35, v12
	v_cmp_le_u32_e64 s[0:1], s35, v12
	s_nop 1
	v_cndmask_b32_e64 v12, v12, v19, s[0:1]
	v_xor_b32_e32 v12, v12, v18
	v_sub_u32_e32 v12, v12, v18
	v_cmp_eq_u32_e64 s[0:1], 0, v12
	s_or_b64 s[0:1], s[0:1], s[2:3]
	s_and_saveexec_b64 s[18:19], s[0:1]
	s_cbranch_execz .LBB257_412
; %bb.414:                              ;   in Loop: Header=BB257_413 Depth=1
	global_load_dword v1, v[16:17], off
	ds_read2_b64 v[18:21], v40 offset1:1
	ds_read2_b64 v[22:25], v40 offset0:2 offset1:3
	v_mov_b64_e32 v[26:27], s[8:9]
	s_waitcnt lgkmcnt(1)
	;;#ASMSTART
	v_cvt_f16_f32 v43, v18;

	;;#ASMEND
	;;#ASMSTART
	v_cvt_f16_f32 v44, v19;

	;;#ASMEND
	;; [unrolled: 4-line block ×4, first 2 shown]
	s_waitcnt lgkmcnt(0)
	;;#ASMSTART
	v_cvt_f16_f32 v49, v22;

	;;#ASMEND
	;;#ASMSTART
	v_cvt_f16_f32 v50, v23;

	;;#ASMEND
	;; [unrolled: 4-line block ×4, first 2 shown]
	v_mov_b32_e32 v23, 0
	s_waitcnt vmcnt(0)
	v_mad_i64_i32 v[18:19], s[0:1], v1, s38, v[26:27]
	v_lshl_add_u64 v[20:21], v[18:19], 0, v[10:11]
	global_load_dwordx2 v[24:25], v[20:21], off
	v_mov_b32_e32 v1, 0
	global_load_dword v22, v1, s[14:15]
	s_waitcnt vmcnt(1)
	v_cmp_ne_u16_sdwa s[0:1], v24, v13 src0_sel:BYTE_0 src1_sel:DWORD
	s_and_saveexec_b64 s[2:3], s[0:1]
	s_cbranch_execz .LBB257_420
; %bb.415:                              ;   in Loop: Header=BB257_413 Depth=1
	v_cmp_ne_u16_sdwa s[0:1], v24, s40 src0_sel:BYTE_0 src1_sel:DWORD
	v_mov_b32_e32 v23, 0x8000
	s_and_saveexec_b64 s[20:21], s[0:1]
	s_cbranch_execz .LBB257_419
; %bb.416:                              ;   in Loop: Header=BB257_413 Depth=1
	v_and_b32_e32 v12, 0x7f, v24
	v_cmp_ne_u32_e64 s[0:1], s41, v12
	v_mov_b32_e32 v23, 0x7c01
	s_and_saveexec_b64 s[22:23], s[0:1]
	s_cbranch_execz .LBB257_418
; %bb.417:                              ;   in Loop: Header=BB257_413 Depth=1
	v_and_b32_e32 v23, 7, v24
	v_ffbh_u32_e32 v26, v23
	v_min_u32_e32 v29, 32, v26
	v_subrev_u32_e32 v26, 28, v29
	v_lshlrev_b64 v[26:27], v26, v[24:25]
	v_lshrrev_b32_e32 v28, 3, v12
	v_sub_u32_e32 v27, 29, v29
	v_cmp_gt_u32_e64 s[0:1], 8, v12
	v_and_b32_e32 v26, 7, v26
	s_nop 0
	v_cndmask_b32_e64 v12, v28, v27, s[0:1]
	v_lshl_add_u32 v12, v12, 10, v41
	v_lshlrev_b32_e32 v27, 8, v24
	v_and_b32_e32 v12, 0xfc00, v12
	v_cndmask_b32_e64 v23, v23, v26, s[0:1]
	v_and_or_b32 v12, v27, s42, v12
	v_lshl_or_b32 v23, v23, 7, v12
.LBB257_418:                            ;   in Loop: Header=BB257_413 Depth=1
	s_or_b64 exec, exec, s[22:23]
.LBB257_419:                            ;   in Loop: Header=BB257_413 Depth=1
	s_or_b64 exec, exec, s[20:21]
.LBB257_420:                            ;   in Loop: Header=BB257_413 Depth=1
	s_or_b64 exec, exec, s[2:3]
	v_lshrrev_b16_e32 v12, 8, v24
	v_cmp_ne_u16_e64 s[0:1], 0, v12
	s_and_saveexec_b64 s[2:3], s[0:1]
	s_cbranch_execz .LBB257_426
; %bb.421:                              ;   in Loop: Header=BB257_413 Depth=1
	v_cmp_ne_u16_e64 s[0:1], s40, v12
	v_bfrev_b32_e32 v1, 1
	s_and_saveexec_b64 s[20:21], s[0:1]
	s_cbranch_execz .LBB257_425
; %bb.422:                              ;   in Loop: Header=BB257_413 Depth=1
	v_and_b32_e32 v26, 0x7f, v12
	v_cmp_ne_u32_e64 s[0:1], s41, v26
	v_mov_b32_e32 v1, 0x7c010000
	s_and_saveexec_b64 s[22:23], s[0:1]
	s_cbranch_execz .LBB257_424
; %bb.423:                              ;   in Loop: Header=BB257_413 Depth=1
	v_and_b32_e32 v1, 7, v12
	v_ffbh_u32_e32 v28, v1
	v_min_u32_e32 v30, 32, v28
	v_subrev_u32_e32 v28, 28, v30
	v_lshlrev_b64 v[28:29], v28, v[12:13]
	v_lshrrev_b32_e32 v27, 3, v26
	v_sub_u32_e32 v29, 29, v30
	v_cmp_gt_u32_e64 s[0:1], 8, v26
	v_lshlrev_b32_e32 v12, 8, v12
	s_nop 0
	v_cndmask_b32_e64 v26, v27, v29, s[0:1]
	v_lshl_add_u32 v26, v26, 10, v41
	v_and_b32_e32 v27, 7, v28
	v_and_or_b32 v12, v12, s42, v26
	v_cndmask_b32_e64 v1, v1, v27, s[0:1]
	v_lshlrev_b32_e32 v12, 16, v12
	v_lshl_or_b32 v1, v1, 23, v12
.LBB257_424:                            ;   in Loop: Header=BB257_413 Depth=1
	s_or_b64 exec, exec, s[22:23]
.LBB257_425:                            ;   in Loop: Header=BB257_413 Depth=1
	s_or_b64 exec, exec, s[20:21]
.LBB257_426:                            ;   in Loop: Header=BB257_413 Depth=1
	s_or_b64 exec, exec, s[2:3]
	v_lshrrev_b32_e32 v12, 16, v24
	v_cmp_ne_u16_sdwa s[0:1], v12, v13 src0_sel:BYTE_0 src1_sel:DWORD
	v_mov_b32_e32 v27, 0
	v_mov_b32_e32 v26, 0
	s_and_saveexec_b64 s[2:3], s[0:1]
	s_cbranch_execz .LBB257_432
; %bb.427:                              ;   in Loop: Header=BB257_413 Depth=1
	v_cmp_ne_u16_sdwa s[0:1], v12, s40 src0_sel:BYTE_0 src1_sel:DWORD
	v_mov_b32_e32 v26, 0x8000
	s_and_saveexec_b64 s[20:21], s[0:1]
	s_cbranch_execz .LBB257_431
; %bb.428:                              ;   in Loop: Header=BB257_413 Depth=1
	v_bfe_u32 v28, v24, 16, 7
	v_cmp_ne_u32_e64 s[0:1], s41, v28
	v_mov_b32_e32 v26, 0x7c01
	s_and_saveexec_b64 s[22:23], s[0:1]
	s_cbranch_execz .LBB257_430
; %bb.429:                              ;   in Loop: Header=BB257_413 Depth=1
	v_and_b32_e32 v26, 7, v12
	v_ffbh_u32_e32 v30, v26
	v_min_u32_e32 v42, 32, v30
	v_subrev_u32_e32 v30, 28, v42
	v_lshlrev_b64 v[30:31], v30, v[12:13]
	v_lshrrev_b32_e32 v29, 3, v28
	v_sub_u32_e32 v31, 29, v42
	v_cmp_gt_u32_e64 s[0:1], 8, v28
	v_lshlrev_b32_e32 v12, 8, v12
	s_nop 0
	v_cndmask_b32_e64 v28, v29, v31, s[0:1]
	v_lshl_add_u32 v28, v28, 10, v41
	v_and_b32_e32 v29, 7, v30
	v_and_b32_e32 v28, 0xfc00, v28
	v_cndmask_b32_e64 v26, v26, v29, s[0:1]
	v_and_or_b32 v12, v12, s42, v28
	v_lshl_or_b32 v26, v26, 7, v12
.LBB257_430:                            ;   in Loop: Header=BB257_413 Depth=1
	s_or_b64 exec, exec, s[22:23]
.LBB257_431:                            ;   in Loop: Header=BB257_413 Depth=1
	s_or_b64 exec, exec, s[20:21]
.LBB257_432:                            ;   in Loop: Header=BB257_413 Depth=1
	s_or_b64 exec, exec, s[2:3]
	v_cmp_lt_u32_e64 s[0:1], s13, v24
	s_and_saveexec_b64 s[2:3], s[0:1]
	s_cbranch_execz .LBB257_438
; %bb.433:                              ;   in Loop: Header=BB257_413 Depth=1
	v_lshrrev_b32_e32 v12, 24, v24
	v_cmp_ne_u32_e64 s[0:1], s40, v12
	v_bfrev_b32_e32 v27, 1
	s_and_saveexec_b64 s[20:21], s[0:1]
	s_cbranch_execz .LBB257_437
; %bb.434:                              ;   in Loop: Header=BB257_413 Depth=1
	v_and_b32_e32 v28, 0x7f, v12
	v_cmp_ne_u32_e64 s[0:1], s41, v28
	v_mov_b32_e32 v27, 0x7c010000
	s_and_saveexec_b64 s[22:23], s[0:1]
	s_cbranch_execz .LBB257_436
; %bb.435:                              ;   in Loop: Header=BB257_413 Depth=1
	v_and_b32_e32 v27, 7, v12
	v_ffbh_u32_e32 v30, v27
	v_min_u32_e32 v42, 32, v30
	v_subrev_u32_e32 v30, 28, v42
	v_lshlrev_b64 v[30:31], v30, v[12:13]
	v_lshrrev_b32_e32 v29, 3, v28
	v_sub_u32_e32 v31, 29, v42
	v_cmp_gt_u32_e64 s[0:1], 8, v28
	v_lshlrev_b32_e32 v12, 8, v12
	s_nop 0
	v_cndmask_b32_e64 v28, v29, v31, s[0:1]
	v_lshl_add_u32 v28, v28, 10, v41
	v_and_b32_e32 v29, 7, v30
	v_and_or_b32 v12, v12, s42, v28
	v_cndmask_b32_e64 v27, v27, v29, s[0:1]
	v_lshlrev_b32_e32 v12, 16, v12
	v_lshl_or_b32 v27, v27, 23, v12
.LBB257_436:                            ;   in Loop: Header=BB257_413 Depth=1
	s_or_b64 exec, exec, s[22:23]
.LBB257_437:                            ;   in Loop: Header=BB257_413 Depth=1
	s_or_b64 exec, exec, s[20:21]
.LBB257_438:                            ;   in Loop: Header=BB257_413 Depth=1
	s_or_b64 exec, exec, s[2:3]
	v_mov_b32_e32 v12, v25
	v_cmp_ne_u16_sdwa s[0:1], v25, v13 src0_sel:BYTE_0 src1_sel:DWORD
	v_mov_b32_e32 v28, 0
	v_mov_b32_e32 v29, 0
	s_and_saveexec_b64 s[2:3], s[0:1]
	s_cbranch_execz .LBB257_444
; %bb.439:                              ;   in Loop: Header=BB257_413 Depth=1
	v_cmp_ne_u16_sdwa s[0:1], v25, s40 src0_sel:BYTE_0 src1_sel:DWORD
	v_mov_b32_e32 v29, 0x8000
	s_and_saveexec_b64 s[20:21], s[0:1]
	s_cbranch_execz .LBB257_443
; %bb.440:                              ;   in Loop: Header=BB257_413 Depth=1
	v_and_b32_e32 v30, 0x7f, v25
	v_cmp_ne_u32_e64 s[0:1], s41, v30
	v_mov_b32_e32 v29, 0x7c01
	s_and_saveexec_b64 s[22:23], s[0:1]
	s_cbranch_execz .LBB257_442
; %bb.441:                              ;   in Loop: Header=BB257_413 Depth=1
	v_and_b32_e32 v29, 7, v25
	v_ffbh_u32_e32 v42, v29
	v_min_u32_e32 v42, 32, v42
	v_lshrrev_b32_e32 v31, 3, v30
	v_subrev_u32_e32 v47, 28, v42
	v_sub_u32_e32 v42, 29, v42
	v_cmp_gt_u32_e64 s[0:1], 8, v30
	v_lshlrev_b64 v[54:55], v47, v[12:13]
	s_nop 0
	v_cndmask_b32_e64 v30, v31, v42, s[0:1]
	v_lshl_add_u32 v30, v30, 10, v41
	v_lshlrev_b32_e32 v31, 8, v25
	v_and_b32_e32 v42, 7, v54
	v_and_b32_e32 v30, 0xfc00, v30
	v_cndmask_b32_e64 v29, v29, v42, s[0:1]
	v_and_or_b32 v30, v31, s42, v30
	v_lshl_or_b32 v29, v29, 7, v30
.LBB257_442:                            ;   in Loop: Header=BB257_413 Depth=1
	s_or_b64 exec, exec, s[22:23]
.LBB257_443:                            ;   in Loop: Header=BB257_413 Depth=1
	s_or_b64 exec, exec, s[20:21]
.LBB257_444:                            ;   in Loop: Header=BB257_413 Depth=1
	s_or_b64 exec, exec, s[2:3]
	v_lshrrev_b16_e32 v12, 8, v12
	v_cmp_ne_u16_e64 s[0:1], 0, v12
	v_mov_b32_e32 v30, 0
	s_and_saveexec_b64 s[2:3], s[0:1]
	s_cbranch_execz .LBB257_450
; %bb.445:                              ;   in Loop: Header=BB257_413 Depth=1
	v_cmp_ne_u16_e64 s[0:1], s40, v12
	v_bfrev_b32_e32 v30, 1
	s_and_saveexec_b64 s[20:21], s[0:1]
	s_cbranch_execz .LBB257_449
; %bb.446:                              ;   in Loop: Header=BB257_413 Depth=1
	v_and_b32_e32 v31, 0x7f, v12
	v_cmp_ne_u32_e64 s[0:1], s41, v31
	v_mov_b32_e32 v30, 0x7c010000
	s_and_saveexec_b64 s[22:23], s[0:1]
	s_cbranch_execz .LBB257_448
; %bb.447:                              ;   in Loop: Header=BB257_413 Depth=1
	v_and_b32_e32 v30, 7, v12
	v_ffbh_u32_e32 v47, v30
	v_min_u32_e32 v47, 32, v47
	v_lshrrev_b32_e32 v42, 3, v31
	v_subrev_u32_e32 v48, 28, v47
	v_sub_u32_e32 v47, 29, v47
	v_cmp_gt_u32_e64 s[0:1], 8, v31
	v_lshlrev_b64 v[54:55], v48, v[12:13]
	v_lshlrev_b32_e32 v12, 8, v12
	v_cndmask_b32_e64 v31, v42, v47, s[0:1]
	v_lshl_add_u32 v31, v31, 10, v41
	v_and_b32_e32 v42, 7, v54
	v_and_or_b32 v12, v12, s42, v31
	v_cndmask_b32_e64 v30, v30, v42, s[0:1]
	v_lshlrev_b32_e32 v12, 16, v12
	v_lshl_or_b32 v30, v30, 23, v12
.LBB257_448:                            ;   in Loop: Header=BB257_413 Depth=1
	s_or_b64 exec, exec, s[22:23]
.LBB257_449:                            ;   in Loop: Header=BB257_413 Depth=1
	s_or_b64 exec, exec, s[20:21]
.LBB257_450:                            ;   in Loop: Header=BB257_413 Depth=1
	s_or_b64 exec, exec, s[2:3]
	v_lshrrev_b32_e32 v12, 16, v25
	v_cmp_ne_u16_sdwa s[0:1], v12, v13 src0_sel:BYTE_0 src1_sel:DWORD
	s_and_saveexec_b64 s[2:3], s[0:1]
	s_cbranch_execz .LBB257_456
; %bb.451:                              ;   in Loop: Header=BB257_413 Depth=1
	v_cmp_ne_u16_sdwa s[0:1], v12, s40 src0_sel:BYTE_0 src1_sel:DWORD
	v_mov_b32_e32 v28, 0x8000
	s_and_saveexec_b64 s[20:21], s[0:1]
	s_cbranch_execz .LBB257_455
; %bb.452:                              ;   in Loop: Header=BB257_413 Depth=1
	v_bfe_u32 v31, v25, 16, 7
	v_cmp_ne_u32_e64 s[0:1], s41, v31
	v_mov_b32_e32 v28, 0x7c01
	s_and_saveexec_b64 s[22:23], s[0:1]
	s_cbranch_execz .LBB257_454
; %bb.453:                              ;   in Loop: Header=BB257_413 Depth=1
	v_and_b32_e32 v28, 7, v12
	v_ffbh_u32_e32 v47, v28
	v_min_u32_e32 v47, 32, v47
	v_lshrrev_b32_e32 v42, 3, v31
	v_subrev_u32_e32 v48, 28, v47
	v_sub_u32_e32 v47, 29, v47
	v_cmp_gt_u32_e64 s[0:1], 8, v31
	v_lshlrev_b64 v[54:55], v48, v[12:13]
	v_lshlrev_b32_e32 v12, 8, v12
	v_cndmask_b32_e64 v31, v42, v47, s[0:1]
	v_lshl_add_u32 v31, v31, 10, v41
	v_and_b32_e32 v42, 7, v54
	v_and_b32_e32 v31, 0xfc00, v31
	v_cndmask_b32_e64 v28, v28, v42, s[0:1]
	v_and_or_b32 v12, v12, s42, v31
	v_lshl_or_b32 v28, v28, 7, v12
.LBB257_454:                            ;   in Loop: Header=BB257_413 Depth=1
	s_or_b64 exec, exec, s[22:23]
.LBB257_455:                            ;   in Loop: Header=BB257_413 Depth=1
	s_or_b64 exec, exec, s[20:21]
.LBB257_456:                            ;   in Loop: Header=BB257_413 Depth=1
	s_or_b64 exec, exec, s[2:3]
	v_cmp_lt_u64_e64 s[0:1], s[12:13], v[24:25]
	v_mov_b32_e32 v31, 0
	s_and_saveexec_b64 s[2:3], s[0:1]
	s_cbranch_execz .LBB257_462
; %bb.457:                              ;   in Loop: Header=BB257_413 Depth=1
	v_lshrrev_b32_e32 v12, 24, v25
	v_cmp_ne_u32_e64 s[0:1], s40, v12
	v_bfrev_b32_e32 v31, 1
	s_and_saveexec_b64 s[20:21], s[0:1]
	s_cbranch_execz .LBB257_461
; %bb.458:                              ;   in Loop: Header=BB257_413 Depth=1
	v_and_b32_e32 v24, 0x7f, v12
	v_cmp_ne_u32_e64 s[0:1], s41, v24
	v_mov_b32_e32 v31, 0x7c010000
	s_and_saveexec_b64 s[22:23], s[0:1]
	s_cbranch_execz .LBB257_460
; %bb.459:                              ;   in Loop: Header=BB257_413 Depth=1
	v_and_b32_e32 v25, 7, v12
	v_ffbh_u32_e32 v42, v25
	v_min_u32_e32 v42, 32, v42
	v_lshrrev_b32_e32 v31, 3, v24
	v_subrev_u32_e32 v47, 28, v42
	v_sub_u32_e32 v42, 29, v42
	v_cmp_gt_u32_e64 s[0:1], 8, v24
	v_lshlrev_b64 v[54:55], v47, v[12:13]
	v_lshlrev_b32_e32 v12, 8, v12
	v_cndmask_b32_e64 v24, v31, v42, s[0:1]
	v_lshl_add_u32 v24, v24, 10, v41
	v_and_b32_e32 v31, 7, v54
	v_and_or_b32 v12, v12, s42, v24
	v_cndmask_b32_e64 v25, v25, v31, s[0:1]
	v_lshlrev_b32_e32 v12, 16, v12
	v_lshl_or_b32 v31, v25, 23, v12
.LBB257_460:                            ;   in Loop: Header=BB257_413 Depth=1
	s_or_b64 exec, exec, s[22:23]
.LBB257_461:                            ;   in Loop: Header=BB257_413 Depth=1
	s_or_b64 exec, exec, s[20:21]
.LBB257_462:                            ;   in Loop: Header=BB257_413 Depth=1
	s_or_b64 exec, exec, s[2:3]
	v_cvt_f32_f16_sdwa v25, v1 dst_sel:DWORD dst_unused:UNUSED_PAD src0_sel:WORD_1
	v_cvt_f32_f16_sdwa v24, v27 dst_sel:DWORD dst_unused:UNUSED_PAD src0_sel:WORD_1
	v_or_b32_e32 v1, v1, v23
	v_or_b32_e32 v12, v27, v26
	v_cvt_f32_f16_e32 v26, v12
	v_cvt_f32_f16_e32 v27, v1
	s_waitcnt vmcnt(0)
	v_pk_mul_f32 v[24:25], v[22:23], v[24:25] op_sel_hi:[0,1]
	v_cvt_pk_f16_f32 v1, v24, v25
	v_and_b32_e32 v23, 0xffff0000, v1
	v_pk_mul_f32 v[26:27], v[22:23], v[26:27] op_sel_hi:[0,1]
	v_lshlrev_b32_e32 v24, 16, v1
	v_cvt_pk_f16_f32 v1, v26, v27
	v_or_b32_e32 v12, v30, v29
	v_or_b32_e32 v27, v31, v28
	v_cvt_f32_f16_e32 v28, v27
	v_cvt_f32_f16_e32 v29, v12
	v_cvt_f32_f16_sdwa v55, v30 dst_sel:DWORD dst_unused:UNUSED_PAD src0_sel:WORD_1
	v_cvt_f32_f16_sdwa v54, v31 dst_sel:DWORD dst_unused:UNUSED_PAD src0_sel:WORD_1
	v_lshrrev_b32_e32 v25, 16, v1
	v_pk_mul_f32 v[28:29], v[22:23], v[28:29] op_sel_hi:[0,1]
	v_cvt_pk_f16_f32 v30, v28, v29
	v_pk_mul_f32 v[28:29], v[22:23], v[54:55] op_sel_hi:[0,1]
	v_cvt_pk_f16_f32 v22, v28, v29
	v_and_b32_e32 v26, 0xffff, v1
	v_and_b32_e32 v27, 0xffff0000, v22
	v_lshlrev_b32_e32 v22, 16, v22
	v_lshrrev_b32_e32 v29, 16, v30
	v_and_b32_e32 v28, 0xffff, v30
	v_add_u32_e32 v42, v38, v33
	v_cmp_eq_u32_e64 s[0:1], s34, v32
	v_or_b32_e32 v1, v23, v25
	v_or_b32_e32 v12, v24, v26
	;; [unrolled: 1-line block ×4, first 2 shown]
	s_and_saveexec_b64 s[20:21], s[0:1]
	s_cbranch_execz .LBB257_464
; %bb.463:                              ;   in Loop: Header=BB257_413 Depth=1
	v_add_u32_e32 v30, 2, v42
	v_cmp_gt_i32_e64 s[2:3], s39, v42
	v_or_b32_e32 v1, 1, v42
	v_or_b32_e32 v12, 3, v42
	v_cndmask_b32_e64 v25, 0, v25, s[2:3]
	v_cmp_gt_i32_e64 s[2:3], s33, v30
	s_nop 1
	v_cndmask_b32_e64 v26, 0, v26, s[2:3]
	v_cmp_gt_i32_e64 s[2:3], s39, v1
	s_nop 1
	v_cndmask_b32_e64 v1, 0, v23, s[2:3]
	v_cmp_gt_i32_e64 s[2:3], s33, v12
	v_or_b32_e32 v23, 4, v42
	v_or_b32_e32 v1, v1, v25
	v_cndmask_b32_e64 v12, 0, v24, s[2:3]
	v_or_b32_e32 v24, 6, v42
	v_cmp_gt_i32_e64 s[2:3], s39, v23
	v_or_b32_e32 v25, 5, v42
	v_or_b32_e32 v12, v12, v26
	v_cndmask_b32_e64 v23, 0, v29, s[2:3]
	v_cmp_gt_i32_e64 s[2:3], s33, v24
	v_or_b32_e32 v26, 7, v42
	s_nop 0
	v_cndmask_b32_e64 v24, 0, v28, s[2:3]
	v_cmp_gt_i32_e64 s[2:3], s39, v25
	s_nop 1
	v_cndmask_b32_e64 v25, 0, v27, s[2:3]
	v_cmp_gt_i32_e64 s[2:3], s33, v26
	v_or_b32_e32 v31, v25, v23
	s_nop 0
	v_cndmask_b32_e64 v22, 0, v22, s[2:3]
	v_or_b32_e32 v30, v22, v24
.LBB257_464:                            ;   in Loop: Header=BB257_413 Depth=1
	s_or_b64 exec, exec, s[20:21]
	v_and_b32_e32 v22, 0xffff, v43
	v_lshl_or_b32 v48, v44, 16, v22
	v_and_b32_e32 v22, 0xffff, v45
	v_lshl_or_b32 v47, v46, 16, v22
	;; [unrolled: 2-line block ×3, first 2 shown]
	v_and_b32_e32 v22, 0xffff, v51
	;;#ASMSTART
	v_pk_mul_f16 v1, v48, v1;

	;;#ASMEND
	v_lshl_or_b32 v45, v52, 16, v22
	;;#ASMSTART
	v_pk_mul_f16 v12, v47, v12;

	;;#ASMEND
	;;#ASMSTART
	v_pk_mul_f16 v22, v46, v31;

	;;#ASMEND
	;; [unrolled: 4-line block ×3, first 2 shown]
	s_nop 0
	;;#ASMSTART
	v_pk_add_f16 v1, v1, v12;

	;;#ASMEND
	s_nop 0
	;;#ASMSTART
	v_pk_add_f16 v1, v1, v22;

	;;#ASMEND
	;; [unrolled: 5-line block ×3, first 2 shown]
	v_mov_b32_e32 v23, 0
	v_lshrrev_b32_e32 v12, 16, v1
	v_and_b32_e32 v1, 0xffff, v1
	;;#ASMSTART
	v_cvt_f32_f16 v43, v1;
	;;#ASMEND
	;;#ASMSTART
	v_cvt_f32_f16 v44, v12;
	;;#ASMEND
	global_load_dwordx2 v[24:25], v[20:21], off offset:512
	v_mov_b32_e32 v1, 0
	global_load_dword v22, v1, s[14:15]
	s_waitcnt vmcnt(1)
	v_cmp_ne_u16_sdwa s[2:3], v24, v13 src0_sel:BYTE_0 src1_sel:DWORD
	s_and_saveexec_b64 s[20:21], s[2:3]
	s_cbranch_execz .LBB257_470
; %bb.465:                              ;   in Loop: Header=BB257_413 Depth=1
	v_cmp_ne_u16_sdwa s[2:3], v24, s40 src0_sel:BYTE_0 src1_sel:DWORD
	v_mov_b32_e32 v23, 0x8000
	s_and_saveexec_b64 s[22:23], s[2:3]
	s_cbranch_execz .LBB257_469
; %bb.466:                              ;   in Loop: Header=BB257_413 Depth=1
	v_and_b32_e32 v12, 0x7f, v24
	v_cmp_ne_u32_e64 s[2:3], s41, v12
	v_mov_b32_e32 v23, 0x7c01
	s_and_saveexec_b64 s[28:29], s[2:3]
	s_cbranch_execz .LBB257_468
; %bb.467:                              ;   in Loop: Header=BB257_413 Depth=1
	v_and_b32_e32 v23, 7, v24
	v_ffbh_u32_e32 v26, v23
	v_min_u32_e32 v29, 32, v26
	v_subrev_u32_e32 v26, 28, v29
	v_lshlrev_b64 v[26:27], v26, v[24:25]
	v_lshrrev_b32_e32 v28, 3, v12
	v_sub_u32_e32 v27, 29, v29
	v_cmp_gt_u32_e64 s[2:3], 8, v12
	v_and_b32_e32 v26, 7, v26
	s_nop 0
	v_cndmask_b32_e64 v12, v28, v27, s[2:3]
	v_lshl_add_u32 v12, v12, 10, v41
	v_lshlrev_b32_e32 v27, 8, v24
	v_and_b32_e32 v12, 0xfc00, v12
	v_cndmask_b32_e64 v23, v23, v26, s[2:3]
	v_and_or_b32 v12, v27, s42, v12
	v_lshl_or_b32 v23, v23, 7, v12
.LBB257_468:                            ;   in Loop: Header=BB257_413 Depth=1
	s_or_b64 exec, exec, s[28:29]
.LBB257_469:                            ;   in Loop: Header=BB257_413 Depth=1
	s_or_b64 exec, exec, s[22:23]
.LBB257_470:                            ;   in Loop: Header=BB257_413 Depth=1
	s_or_b64 exec, exec, s[20:21]
	v_lshrrev_b16_e32 v12, 8, v24
	v_cmp_ne_u16_e64 s[2:3], 0, v12
	s_and_saveexec_b64 s[20:21], s[2:3]
	s_cbranch_execz .LBB257_476
; %bb.471:                              ;   in Loop: Header=BB257_413 Depth=1
	v_cmp_ne_u16_e64 s[2:3], s40, v12
	v_bfrev_b32_e32 v1, 1
	s_and_saveexec_b64 s[22:23], s[2:3]
	s_cbranch_execz .LBB257_475
; %bb.472:                              ;   in Loop: Header=BB257_413 Depth=1
	v_and_b32_e32 v26, 0x7f, v12
	v_cmp_ne_u32_e64 s[2:3], s41, v26
	v_mov_b32_e32 v1, 0x7c010000
	s_and_saveexec_b64 s[28:29], s[2:3]
	s_cbranch_execz .LBB257_474
; %bb.473:                              ;   in Loop: Header=BB257_413 Depth=1
	v_and_b32_e32 v1, 7, v12
	v_ffbh_u32_e32 v28, v1
	v_min_u32_e32 v30, 32, v28
	v_subrev_u32_e32 v28, 28, v30
	v_lshlrev_b64 v[28:29], v28, v[12:13]
	v_lshrrev_b32_e32 v27, 3, v26
	v_sub_u32_e32 v29, 29, v30
	v_cmp_gt_u32_e64 s[2:3], 8, v26
	v_lshlrev_b32_e32 v12, 8, v12
	s_nop 0
	v_cndmask_b32_e64 v26, v27, v29, s[2:3]
	v_lshl_add_u32 v26, v26, 10, v41
	v_and_b32_e32 v27, 7, v28
	v_and_or_b32 v12, v12, s42, v26
	v_cndmask_b32_e64 v1, v1, v27, s[2:3]
	v_lshlrev_b32_e32 v12, 16, v12
	v_lshl_or_b32 v1, v1, 23, v12
.LBB257_474:                            ;   in Loop: Header=BB257_413 Depth=1
	s_or_b64 exec, exec, s[28:29]
.LBB257_475:                            ;   in Loop: Header=BB257_413 Depth=1
	s_or_b64 exec, exec, s[22:23]
.LBB257_476:                            ;   in Loop: Header=BB257_413 Depth=1
	s_or_b64 exec, exec, s[20:21]
	v_lshrrev_b32_e32 v12, 16, v24
	v_cmp_ne_u16_sdwa s[2:3], v12, v13 src0_sel:BYTE_0 src1_sel:DWORD
	v_mov_b32_e32 v27, 0
	v_mov_b32_e32 v26, 0
	s_and_saveexec_b64 s[20:21], s[2:3]
	s_cbranch_execz .LBB257_482
; %bb.477:                              ;   in Loop: Header=BB257_413 Depth=1
	v_cmp_ne_u16_sdwa s[2:3], v12, s40 src0_sel:BYTE_0 src1_sel:DWORD
	v_mov_b32_e32 v26, 0x8000
	s_and_saveexec_b64 s[22:23], s[2:3]
	s_cbranch_execz .LBB257_481
; %bb.478:                              ;   in Loop: Header=BB257_413 Depth=1
	v_bfe_u32 v28, v24, 16, 7
	v_cmp_ne_u32_e64 s[2:3], s41, v28
	v_mov_b32_e32 v26, 0x7c01
	s_and_saveexec_b64 s[28:29], s[2:3]
	s_cbranch_execz .LBB257_480
; %bb.479:                              ;   in Loop: Header=BB257_413 Depth=1
	v_and_b32_e32 v26, 7, v12
	v_ffbh_u32_e32 v30, v26
	v_min_u32_e32 v49, 32, v30
	v_subrev_u32_e32 v30, 28, v49
	v_lshlrev_b64 v[30:31], v30, v[12:13]
	v_lshrrev_b32_e32 v29, 3, v28
	v_sub_u32_e32 v31, 29, v49
	v_cmp_gt_u32_e64 s[2:3], 8, v28
	v_lshlrev_b32_e32 v12, 8, v12
	s_nop 0
	v_cndmask_b32_e64 v28, v29, v31, s[2:3]
	v_lshl_add_u32 v28, v28, 10, v41
	v_and_b32_e32 v29, 7, v30
	v_and_b32_e32 v28, 0xfc00, v28
	v_cndmask_b32_e64 v26, v26, v29, s[2:3]
	v_and_or_b32 v12, v12, s42, v28
	v_lshl_or_b32 v26, v26, 7, v12
.LBB257_480:                            ;   in Loop: Header=BB257_413 Depth=1
	s_or_b64 exec, exec, s[28:29]
.LBB257_481:                            ;   in Loop: Header=BB257_413 Depth=1
	s_or_b64 exec, exec, s[22:23]
.LBB257_482:                            ;   in Loop: Header=BB257_413 Depth=1
	s_or_b64 exec, exec, s[20:21]
	v_cmp_lt_u32_e64 s[2:3], s13, v24
	s_and_saveexec_b64 s[20:21], s[2:3]
	s_cbranch_execz .LBB257_488
; %bb.483:                              ;   in Loop: Header=BB257_413 Depth=1
	v_lshrrev_b32_e32 v12, 24, v24
	v_cmp_ne_u32_e64 s[2:3], s40, v12
	v_bfrev_b32_e32 v27, 1
	s_and_saveexec_b64 s[22:23], s[2:3]
	s_cbranch_execz .LBB257_487
; %bb.484:                              ;   in Loop: Header=BB257_413 Depth=1
	v_and_b32_e32 v28, 0x7f, v12
	v_cmp_ne_u32_e64 s[2:3], s41, v28
	v_mov_b32_e32 v27, 0x7c010000
	s_and_saveexec_b64 s[28:29], s[2:3]
	s_cbranch_execz .LBB257_486
; %bb.485:                              ;   in Loop: Header=BB257_413 Depth=1
	v_and_b32_e32 v27, 7, v12
	v_ffbh_u32_e32 v30, v27
	v_min_u32_e32 v49, 32, v30
	v_subrev_u32_e32 v30, 28, v49
	v_lshlrev_b64 v[30:31], v30, v[12:13]
	v_lshrrev_b32_e32 v29, 3, v28
	v_sub_u32_e32 v31, 29, v49
	v_cmp_gt_u32_e64 s[2:3], 8, v28
	v_lshlrev_b32_e32 v12, 8, v12
	s_nop 0
	v_cndmask_b32_e64 v28, v29, v31, s[2:3]
	v_lshl_add_u32 v28, v28, 10, v41
	v_and_b32_e32 v29, 7, v30
	v_and_or_b32 v12, v12, s42, v28
	v_cndmask_b32_e64 v27, v27, v29, s[2:3]
	v_lshlrev_b32_e32 v12, 16, v12
	v_lshl_or_b32 v27, v27, 23, v12
.LBB257_486:                            ;   in Loop: Header=BB257_413 Depth=1
	s_or_b64 exec, exec, s[28:29]
.LBB257_487:                            ;   in Loop: Header=BB257_413 Depth=1
	s_or_b64 exec, exec, s[22:23]
.LBB257_488:                            ;   in Loop: Header=BB257_413 Depth=1
	s_or_b64 exec, exec, s[20:21]
	v_mov_b32_e32 v12, v25
	v_cmp_ne_u16_sdwa s[2:3], v25, v13 src0_sel:BYTE_0 src1_sel:DWORD
	v_mov_b32_e32 v28, 0
	v_mov_b32_e32 v29, 0
	s_and_saveexec_b64 s[20:21], s[2:3]
	s_cbranch_execz .LBB257_494
; %bb.489:                              ;   in Loop: Header=BB257_413 Depth=1
	v_cmp_ne_u16_sdwa s[2:3], v25, s40 src0_sel:BYTE_0 src1_sel:DWORD
	v_mov_b32_e32 v29, 0x8000
	s_and_saveexec_b64 s[22:23], s[2:3]
	s_cbranch_execz .LBB257_493
; %bb.490:                              ;   in Loop: Header=BB257_413 Depth=1
	v_and_b32_e32 v30, 0x7f, v25
	v_cmp_ne_u32_e64 s[2:3], s41, v30
	v_mov_b32_e32 v29, 0x7c01
	s_and_saveexec_b64 s[28:29], s[2:3]
	s_cbranch_execz .LBB257_492
; %bb.491:                              ;   in Loop: Header=BB257_413 Depth=1
	v_and_b32_e32 v29, 7, v25
	v_ffbh_u32_e32 v49, v29
	v_min_u32_e32 v49, 32, v49
	v_lshrrev_b32_e32 v31, 3, v30
	v_subrev_u32_e32 v50, 28, v49
	v_sub_u32_e32 v49, 29, v49
	v_cmp_gt_u32_e64 s[2:3], 8, v30
	v_lshlrev_b64 v[50:51], v50, v[12:13]
	s_nop 0
	v_cndmask_b32_e64 v30, v31, v49, s[2:3]
	v_lshl_add_u32 v30, v30, 10, v41
	v_lshlrev_b32_e32 v31, 8, v25
	v_and_b32_e32 v49, 7, v50
	v_and_b32_e32 v30, 0xfc00, v30
	v_cndmask_b32_e64 v29, v29, v49, s[2:3]
	v_and_or_b32 v30, v31, s42, v30
	v_lshl_or_b32 v29, v29, 7, v30
.LBB257_492:                            ;   in Loop: Header=BB257_413 Depth=1
	s_or_b64 exec, exec, s[28:29]
.LBB257_493:                            ;   in Loop: Header=BB257_413 Depth=1
	s_or_b64 exec, exec, s[22:23]
.LBB257_494:                            ;   in Loop: Header=BB257_413 Depth=1
	s_or_b64 exec, exec, s[20:21]
	v_lshrrev_b16_e32 v12, 8, v12
	v_cmp_ne_u16_e64 s[2:3], 0, v12
	v_mov_b32_e32 v30, 0
	s_and_saveexec_b64 s[20:21], s[2:3]
	s_cbranch_execz .LBB257_500
; %bb.495:                              ;   in Loop: Header=BB257_413 Depth=1
	v_cmp_ne_u16_e64 s[2:3], s40, v12
	v_bfrev_b32_e32 v30, 1
	s_and_saveexec_b64 s[22:23], s[2:3]
	s_cbranch_execz .LBB257_499
; %bb.496:                              ;   in Loop: Header=BB257_413 Depth=1
	v_and_b32_e32 v31, 0x7f, v12
	v_cmp_ne_u32_e64 s[2:3], s41, v31
	v_mov_b32_e32 v30, 0x7c010000
	s_and_saveexec_b64 s[28:29], s[2:3]
	s_cbranch_execz .LBB257_498
; %bb.497:                              ;   in Loop: Header=BB257_413 Depth=1
	v_and_b32_e32 v30, 7, v12
	v_ffbh_u32_e32 v50, v30
	v_min_u32_e32 v52, 32, v50
	v_subrev_u32_e32 v50, 28, v52
	v_lshlrev_b64 v[50:51], v50, v[12:13]
	v_lshrrev_b32_e32 v49, 3, v31
	v_sub_u32_e32 v51, 29, v52
	v_cmp_gt_u32_e64 s[2:3], 8, v31
	v_lshlrev_b32_e32 v12, 8, v12
	s_nop 0
	v_cndmask_b32_e64 v31, v49, v51, s[2:3]
	v_lshl_add_u32 v31, v31, 10, v41
	v_and_b32_e32 v49, 7, v50
	v_and_or_b32 v12, v12, s42, v31
	v_cndmask_b32_e64 v30, v30, v49, s[2:3]
	v_lshlrev_b32_e32 v12, 16, v12
	v_lshl_or_b32 v30, v30, 23, v12
.LBB257_498:                            ;   in Loop: Header=BB257_413 Depth=1
	s_or_b64 exec, exec, s[28:29]
.LBB257_499:                            ;   in Loop: Header=BB257_413 Depth=1
	s_or_b64 exec, exec, s[22:23]
.LBB257_500:                            ;   in Loop: Header=BB257_413 Depth=1
	s_or_b64 exec, exec, s[20:21]
	v_lshrrev_b32_e32 v12, 16, v25
	v_cmp_ne_u16_sdwa s[2:3], v12, v13 src0_sel:BYTE_0 src1_sel:DWORD
	s_and_saveexec_b64 s[20:21], s[2:3]
	s_cbranch_execz .LBB257_506
; %bb.501:                              ;   in Loop: Header=BB257_413 Depth=1
	v_cmp_ne_u16_sdwa s[2:3], v12, s40 src0_sel:BYTE_0 src1_sel:DWORD
	v_mov_b32_e32 v28, 0x8000
	s_and_saveexec_b64 s[22:23], s[2:3]
	s_cbranch_execz .LBB257_505
; %bb.502:                              ;   in Loop: Header=BB257_413 Depth=1
	v_bfe_u32 v31, v25, 16, 7
	v_cmp_ne_u32_e64 s[2:3], s41, v31
	v_mov_b32_e32 v28, 0x7c01
	s_and_saveexec_b64 s[28:29], s[2:3]
	s_cbranch_execz .LBB257_504
; %bb.503:                              ;   in Loop: Header=BB257_413 Depth=1
	v_and_b32_e32 v28, 7, v12
	v_ffbh_u32_e32 v50, v28
	v_min_u32_e32 v52, 32, v50
	v_subrev_u32_e32 v50, 28, v52
	v_lshlrev_b64 v[50:51], v50, v[12:13]
	v_lshrrev_b32_e32 v49, 3, v31
	v_sub_u32_e32 v51, 29, v52
	v_cmp_gt_u32_e64 s[2:3], 8, v31
	v_lshlrev_b32_e32 v12, 8, v12
	s_nop 0
	v_cndmask_b32_e64 v31, v49, v51, s[2:3]
	v_lshl_add_u32 v31, v31, 10, v41
	v_and_b32_e32 v49, 7, v50
	v_and_b32_e32 v31, 0xfc00, v31
	v_cndmask_b32_e64 v28, v28, v49, s[2:3]
	v_and_or_b32 v12, v12, s42, v31
	v_lshl_or_b32 v28, v28, 7, v12
.LBB257_504:                            ;   in Loop: Header=BB257_413 Depth=1
	s_or_b64 exec, exec, s[28:29]
.LBB257_505:                            ;   in Loop: Header=BB257_413 Depth=1
	s_or_b64 exec, exec, s[22:23]
.LBB257_506:                            ;   in Loop: Header=BB257_413 Depth=1
	s_or_b64 exec, exec, s[20:21]
	v_cmp_lt_u64_e64 s[2:3], s[12:13], v[24:25]
	v_mov_b32_e32 v24, 0
	s_and_saveexec_b64 s[20:21], s[2:3]
	s_cbranch_execz .LBB257_512
; %bb.507:                              ;   in Loop: Header=BB257_413 Depth=1
	v_lshrrev_b32_e32 v12, 24, v25
	v_cmp_ne_u32_e64 s[2:3], s40, v12
	v_bfrev_b32_e32 v24, 1
	s_and_saveexec_b64 s[22:23], s[2:3]
	s_cbranch_execz .LBB257_511
; %bb.508:                              ;   in Loop: Header=BB257_413 Depth=1
	v_and_b32_e32 v25, 0x7f, v12
	v_cmp_ne_u32_e64 s[2:3], s41, v25
	v_mov_b32_e32 v24, 0x7c010000
	s_and_saveexec_b64 s[28:29], s[2:3]
	s_cbranch_execz .LBB257_510
; %bb.509:                              ;   in Loop: Header=BB257_413 Depth=1
	v_and_b32_e32 v24, 7, v12
	v_ffbh_u32_e32 v49, v24
	v_min_u32_e32 v49, 32, v49
	v_lshrrev_b32_e32 v31, 3, v25
	v_subrev_u32_e32 v50, 28, v49
	v_sub_u32_e32 v49, 29, v49
	v_cmp_gt_u32_e64 s[2:3], 8, v25
	v_lshlrev_b64 v[50:51], v50, v[12:13]
	v_lshlrev_b32_e32 v12, 8, v12
	v_cndmask_b32_e64 v25, v31, v49, s[2:3]
	v_lshl_add_u32 v25, v25, 10, v41
	v_and_b32_e32 v31, 7, v50
	v_and_or_b32 v12, v12, s42, v25
	v_cndmask_b32_e64 v24, v24, v31, s[2:3]
	v_lshlrev_b32_e32 v12, 16, v12
	v_lshl_or_b32 v24, v24, 23, v12
.LBB257_510:                            ;   in Loop: Header=BB257_413 Depth=1
	s_or_b64 exec, exec, s[28:29]
.LBB257_511:                            ;   in Loop: Header=BB257_413 Depth=1
	s_or_b64 exec, exec, s[22:23]
.LBB257_512:                            ;   in Loop: Header=BB257_413 Depth=1
	s_or_b64 exec, exec, s[20:21]
	v_cvt_f32_f16_sdwa v51, v1 dst_sel:DWORD dst_unused:UNUSED_PAD src0_sel:WORD_1
	v_cvt_f32_f16_sdwa v50, v27 dst_sel:DWORD dst_unused:UNUSED_PAD src0_sel:WORD_1
	v_or_b32_e32 v1, v1, v23
	v_or_b32_e32 v12, v27, v26
	;; [unrolled: 1-line block ×3, first 2 shown]
	s_waitcnt vmcnt(0)
	v_pk_mul_f32 v[26:27], v[22:23], v[50:51] op_sel_hi:[0,1]
	v_cvt_f32_f16_e32 v50, v12
	v_cvt_f32_f16_e32 v51, v1
	v_cvt_pk_f16_f32 v1, v26, v27
	v_and_b32_e32 v23, 0xffff0000, v1
	v_lshlrev_b32_e32 v12, 16, v1
	v_pk_mul_f32 v[26:27], v[22:23], v[50:51] op_sel_hi:[0,1]
	v_cvt_pk_f16_f32 v1, v26, v27
	v_or_b32_e32 v27, v30, v29
	v_cvt_f32_f16_e32 v28, v28
	v_cvt_f32_f16_e32 v29, v27
	v_cvt_f32_f16_sdwa v31, v30 dst_sel:DWORD dst_unused:UNUSED_PAD src0_sel:WORD_1
	v_cvt_f32_f16_sdwa v30, v24 dst_sel:DWORD dst_unused:UNUSED_PAD src0_sel:WORD_1
	v_lshrrev_b32_e32 v25, 16, v1
	v_pk_mul_f32 v[28:29], v[22:23], v[28:29] op_sel_hi:[0,1]
	v_cvt_pk_f16_f32 v49, v28, v29
	v_pk_mul_f32 v[28:29], v[22:23], v[30:31] op_sel_hi:[0,1]
	v_cvt_pk_f16_f32 v22, v28, v29
	v_and_b32_e32 v26, 0xffff, v1
	v_and_b32_e32 v27, 0xffff0000, v22
	v_lshlrev_b32_e32 v22, 16, v22
	v_lshrrev_b32_e32 v29, 16, v49
	v_and_b32_e32 v28, 0xffff, v49
	v_or_b32_e32 v1, v23, v25
	v_or_b32_e32 v24, v12, v26
	;; [unrolled: 1-line block ×4, first 2 shown]
	s_and_saveexec_b64 s[20:21], s[0:1]
	s_cbranch_execz .LBB257_514
; %bb.513:                              ;   in Loop: Header=BB257_413 Depth=1
	v_add_u32_e32 v30, 2, v42
	v_cmp_gt_i32_e64 s[2:3], s39, v42
	v_or_b32_e32 v1, 1, v42
	v_or_b32_e32 v24, 3, v42
	v_cndmask_b32_e64 v25, 0, v25, s[2:3]
	v_cmp_gt_i32_e64 s[2:3], s33, v30
	s_nop 1
	v_cndmask_b32_e64 v26, 0, v26, s[2:3]
	v_cmp_gt_i32_e64 s[2:3], s39, v1
	s_nop 1
	v_cndmask_b32_e64 v1, 0, v23, s[2:3]
	v_cmp_gt_i32_e64 s[2:3], s33, v24
	v_or_b32_e32 v23, 6, v42
	v_or_b32_e32 v1, v1, v25
	v_cndmask_b32_e64 v12, 0, v12, s[2:3]
	v_or_b32_e32 v24, v12, v26
	v_or_b32_e32 v12, 4, v42
	v_cmp_gt_i32_e64 s[2:3], s39, v12
	v_or_b32_e32 v25, 5, v42
	v_or_b32_e32 v26, 7, v42
	v_cndmask_b32_e64 v12, 0, v29, s[2:3]
	v_cmp_gt_i32_e64 s[2:3], s33, v23
	s_nop 1
	v_cndmask_b32_e64 v23, 0, v28, s[2:3]
	v_cmp_gt_i32_e64 s[2:3], s39, v25
	s_nop 1
	v_cndmask_b32_e64 v25, 0, v27, s[2:3]
	v_cmp_gt_i32_e64 s[2:3], s33, v26
	v_or_b32_e32 v31, v25, v12
	s_nop 0
	v_cndmask_b32_e64 v22, 0, v22, s[2:3]
	v_or_b32_e32 v30, v22, v23
.LBB257_514:                            ;   in Loop: Header=BB257_413 Depth=1
	s_or_b64 exec, exec, s[20:21]
	;;#ASMSTART
	v_pk_mul_f16 v1, v48, v1;

	;;#ASMEND
	;;#ASMSTART
	v_pk_mul_f16 v12, v47, v24;

	;;#ASMEND
	;; [unrolled: 4-line block ×4, first 2 shown]
	s_nop 0
	;;#ASMSTART
	v_pk_add_f16 v1, v1, v12;

	;;#ASMEND
	s_nop 0
	;;#ASMSTART
	v_pk_add_f16 v1, v1, v22;

	;;#ASMEND
	;; [unrolled: 5-line block ×3, first 2 shown]
	v_mov_b32_e32 v23, 0
	v_lshrrev_b32_e32 v12, 16, v1
	v_and_b32_e32 v1, 0xffff, v1
	;;#ASMSTART
	v_cvt_f32_f16 v49, v1;
	;;#ASMEND
	;;#ASMSTART
	v_cvt_f32_f16 v50, v12;
	;;#ASMEND
	global_load_dwordx2 v[24:25], v[20:21], off offset:1024
	v_mov_b32_e32 v1, 0
	global_load_dword v22, v1, s[14:15]
	s_waitcnt vmcnt(1)
	v_cmp_ne_u16_sdwa s[2:3], v24, v13 src0_sel:BYTE_0 src1_sel:DWORD
	s_and_saveexec_b64 s[20:21], s[2:3]
	s_cbranch_execz .LBB257_520
; %bb.515:                              ;   in Loop: Header=BB257_413 Depth=1
	v_cmp_ne_u16_sdwa s[2:3], v24, s40 src0_sel:BYTE_0 src1_sel:DWORD
	v_mov_b32_e32 v23, 0x8000
	s_and_saveexec_b64 s[22:23], s[2:3]
	s_cbranch_execz .LBB257_519
; %bb.516:                              ;   in Loop: Header=BB257_413 Depth=1
	v_and_b32_e32 v12, 0x7f, v24
	v_cmp_ne_u32_e64 s[2:3], s41, v12
	v_mov_b32_e32 v23, 0x7c01
	s_and_saveexec_b64 s[28:29], s[2:3]
	s_cbranch_execz .LBB257_518
; %bb.517:                              ;   in Loop: Header=BB257_413 Depth=1
	v_and_b32_e32 v23, 7, v24
	v_ffbh_u32_e32 v26, v23
	v_min_u32_e32 v29, 32, v26
	v_subrev_u32_e32 v26, 28, v29
	v_lshlrev_b64 v[26:27], v26, v[24:25]
	v_lshrrev_b32_e32 v28, 3, v12
	v_sub_u32_e32 v27, 29, v29
	v_cmp_gt_u32_e64 s[2:3], 8, v12
	v_and_b32_e32 v26, 7, v26
	s_nop 0
	v_cndmask_b32_e64 v12, v28, v27, s[2:3]
	v_lshl_add_u32 v12, v12, 10, v41
	v_lshlrev_b32_e32 v27, 8, v24
	v_and_b32_e32 v12, 0xfc00, v12
	v_cndmask_b32_e64 v23, v23, v26, s[2:3]
	v_and_or_b32 v12, v27, s42, v12
	v_lshl_or_b32 v23, v23, 7, v12
.LBB257_518:                            ;   in Loop: Header=BB257_413 Depth=1
	s_or_b64 exec, exec, s[28:29]
.LBB257_519:                            ;   in Loop: Header=BB257_413 Depth=1
	s_or_b64 exec, exec, s[22:23]
.LBB257_520:                            ;   in Loop: Header=BB257_413 Depth=1
	s_or_b64 exec, exec, s[20:21]
	v_lshrrev_b16_e32 v12, 8, v24
	v_cmp_ne_u16_e64 s[2:3], 0, v12
	s_and_saveexec_b64 s[20:21], s[2:3]
	s_cbranch_execz .LBB257_526
; %bb.521:                              ;   in Loop: Header=BB257_413 Depth=1
	v_cmp_ne_u16_e64 s[2:3], s40, v12
	v_bfrev_b32_e32 v1, 1
	s_and_saveexec_b64 s[22:23], s[2:3]
	s_cbranch_execz .LBB257_525
; %bb.522:                              ;   in Loop: Header=BB257_413 Depth=1
	v_and_b32_e32 v26, 0x7f, v12
	v_cmp_ne_u32_e64 s[2:3], s41, v26
	v_mov_b32_e32 v1, 0x7c010000
	s_and_saveexec_b64 s[28:29], s[2:3]
	s_cbranch_execz .LBB257_524
; %bb.523:                              ;   in Loop: Header=BB257_413 Depth=1
	v_and_b32_e32 v1, 7, v12
	v_ffbh_u32_e32 v28, v1
	v_min_u32_e32 v30, 32, v28
	v_subrev_u32_e32 v28, 28, v30
	v_lshlrev_b64 v[28:29], v28, v[12:13]
	v_lshrrev_b32_e32 v27, 3, v26
	v_sub_u32_e32 v29, 29, v30
	v_cmp_gt_u32_e64 s[2:3], 8, v26
	v_lshlrev_b32_e32 v12, 8, v12
	s_nop 0
	v_cndmask_b32_e64 v26, v27, v29, s[2:3]
	v_lshl_add_u32 v26, v26, 10, v41
	v_and_b32_e32 v27, 7, v28
	v_and_or_b32 v12, v12, s42, v26
	v_cndmask_b32_e64 v1, v1, v27, s[2:3]
	v_lshlrev_b32_e32 v12, 16, v12
	v_lshl_or_b32 v1, v1, 23, v12
.LBB257_524:                            ;   in Loop: Header=BB257_413 Depth=1
	s_or_b64 exec, exec, s[28:29]
.LBB257_525:                            ;   in Loop: Header=BB257_413 Depth=1
	s_or_b64 exec, exec, s[22:23]
.LBB257_526:                            ;   in Loop: Header=BB257_413 Depth=1
	s_or_b64 exec, exec, s[20:21]
	v_lshrrev_b32_e32 v12, 16, v24
	v_cmp_ne_u16_sdwa s[2:3], v12, v13 src0_sel:BYTE_0 src1_sel:DWORD
	v_mov_b32_e32 v27, 0
	v_mov_b32_e32 v26, 0
	s_and_saveexec_b64 s[20:21], s[2:3]
	s_cbranch_execz .LBB257_532
; %bb.527:                              ;   in Loop: Header=BB257_413 Depth=1
	v_cmp_ne_u16_sdwa s[2:3], v12, s40 src0_sel:BYTE_0 src1_sel:DWORD
	v_mov_b32_e32 v26, 0x8000
	s_and_saveexec_b64 s[22:23], s[2:3]
	s_cbranch_execz .LBB257_531
; %bb.528:                              ;   in Loop: Header=BB257_413 Depth=1
	v_bfe_u32 v28, v24, 16, 7
	v_cmp_ne_u32_e64 s[2:3], s41, v28
	v_mov_b32_e32 v26, 0x7c01
	s_and_saveexec_b64 s[28:29], s[2:3]
	s_cbranch_execz .LBB257_530
; %bb.529:                              ;   in Loop: Header=BB257_413 Depth=1
	v_and_b32_e32 v26, 7, v12
	v_ffbh_u32_e32 v30, v26
	v_min_u32_e32 v51, 32, v30
	v_subrev_u32_e32 v30, 28, v51
	v_lshlrev_b64 v[30:31], v30, v[12:13]
	v_lshrrev_b32_e32 v29, 3, v28
	v_sub_u32_e32 v31, 29, v51
	v_cmp_gt_u32_e64 s[2:3], 8, v28
	v_lshlrev_b32_e32 v12, 8, v12
	s_nop 0
	v_cndmask_b32_e64 v28, v29, v31, s[2:3]
	v_lshl_add_u32 v28, v28, 10, v41
	v_and_b32_e32 v29, 7, v30
	v_and_b32_e32 v28, 0xfc00, v28
	v_cndmask_b32_e64 v26, v26, v29, s[2:3]
	v_and_or_b32 v12, v12, s42, v28
	v_lshl_or_b32 v26, v26, 7, v12
.LBB257_530:                            ;   in Loop: Header=BB257_413 Depth=1
	s_or_b64 exec, exec, s[28:29]
.LBB257_531:                            ;   in Loop: Header=BB257_413 Depth=1
	s_or_b64 exec, exec, s[22:23]
.LBB257_532:                            ;   in Loop: Header=BB257_413 Depth=1
	s_or_b64 exec, exec, s[20:21]
	v_cmp_lt_u32_e64 s[2:3], s13, v24
	s_and_saveexec_b64 s[20:21], s[2:3]
	s_cbranch_execz .LBB257_538
; %bb.533:                              ;   in Loop: Header=BB257_413 Depth=1
	v_lshrrev_b32_e32 v12, 24, v24
	v_cmp_ne_u32_e64 s[2:3], s40, v12
	v_bfrev_b32_e32 v27, 1
	s_and_saveexec_b64 s[22:23], s[2:3]
	s_cbranch_execz .LBB257_537
; %bb.534:                              ;   in Loop: Header=BB257_413 Depth=1
	v_and_b32_e32 v28, 0x7f, v12
	v_cmp_ne_u32_e64 s[2:3], s41, v28
	v_mov_b32_e32 v27, 0x7c010000
	s_and_saveexec_b64 s[28:29], s[2:3]
	s_cbranch_execz .LBB257_536
; %bb.535:                              ;   in Loop: Header=BB257_413 Depth=1
	v_and_b32_e32 v27, 7, v12
	v_ffbh_u32_e32 v30, v27
	v_min_u32_e32 v51, 32, v30
	v_subrev_u32_e32 v30, 28, v51
	v_lshlrev_b64 v[30:31], v30, v[12:13]
	v_lshrrev_b32_e32 v29, 3, v28
	v_sub_u32_e32 v31, 29, v51
	v_cmp_gt_u32_e64 s[2:3], 8, v28
	v_lshlrev_b32_e32 v12, 8, v12
	s_nop 0
	v_cndmask_b32_e64 v28, v29, v31, s[2:3]
	v_lshl_add_u32 v28, v28, 10, v41
	v_and_b32_e32 v29, 7, v30
	v_and_or_b32 v12, v12, s42, v28
	v_cndmask_b32_e64 v27, v27, v29, s[2:3]
	v_lshlrev_b32_e32 v12, 16, v12
	v_lshl_or_b32 v27, v27, 23, v12
.LBB257_536:                            ;   in Loop: Header=BB257_413 Depth=1
	s_or_b64 exec, exec, s[28:29]
.LBB257_537:                            ;   in Loop: Header=BB257_413 Depth=1
	s_or_b64 exec, exec, s[22:23]
.LBB257_538:                            ;   in Loop: Header=BB257_413 Depth=1
	s_or_b64 exec, exec, s[20:21]
	v_mov_b32_e32 v12, v25
	v_cmp_ne_u16_sdwa s[2:3], v25, v13 src0_sel:BYTE_0 src1_sel:DWORD
	v_mov_b32_e32 v28, 0
	v_mov_b32_e32 v29, 0
	s_and_saveexec_b64 s[20:21], s[2:3]
	s_cbranch_execz .LBB257_544
; %bb.539:                              ;   in Loop: Header=BB257_413 Depth=1
	v_cmp_ne_u16_sdwa s[2:3], v25, s40 src0_sel:BYTE_0 src1_sel:DWORD
	v_mov_b32_e32 v29, 0x8000
	s_and_saveexec_b64 s[22:23], s[2:3]
	s_cbranch_execz .LBB257_543
; %bb.540:                              ;   in Loop: Header=BB257_413 Depth=1
	v_and_b32_e32 v30, 0x7f, v25
	v_cmp_ne_u32_e64 s[2:3], s41, v30
	v_mov_b32_e32 v29, 0x7c01
	s_and_saveexec_b64 s[28:29], s[2:3]
	s_cbranch_execz .LBB257_542
; %bb.541:                              ;   in Loop: Header=BB257_413 Depth=1
	v_and_b32_e32 v29, 7, v25
	v_ffbh_u32_e32 v51, v29
	v_min_u32_e32 v51, 32, v51
	v_lshrrev_b32_e32 v31, 3, v30
	v_subrev_u32_e32 v52, 28, v51
	v_sub_u32_e32 v51, 29, v51
	v_cmp_gt_u32_e64 s[2:3], 8, v30
	v_lshlrev_b64 v[52:53], v52, v[12:13]
	s_nop 0
	v_cndmask_b32_e64 v30, v31, v51, s[2:3]
	v_lshl_add_u32 v30, v30, 10, v41
	v_lshlrev_b32_e32 v31, 8, v25
	v_and_b32_e32 v51, 7, v52
	v_and_b32_e32 v30, 0xfc00, v30
	v_cndmask_b32_e64 v29, v29, v51, s[2:3]
	v_and_or_b32 v30, v31, s42, v30
	v_lshl_or_b32 v29, v29, 7, v30
.LBB257_542:                            ;   in Loop: Header=BB257_413 Depth=1
	s_or_b64 exec, exec, s[28:29]
.LBB257_543:                            ;   in Loop: Header=BB257_413 Depth=1
	s_or_b64 exec, exec, s[22:23]
.LBB257_544:                            ;   in Loop: Header=BB257_413 Depth=1
	s_or_b64 exec, exec, s[20:21]
	v_lshrrev_b16_e32 v12, 8, v12
	v_cmp_ne_u16_e64 s[2:3], 0, v12
	v_mov_b32_e32 v30, 0
	s_and_saveexec_b64 s[20:21], s[2:3]
	s_cbranch_execz .LBB257_550
; %bb.545:                              ;   in Loop: Header=BB257_413 Depth=1
	v_cmp_ne_u16_e64 s[2:3], s40, v12
	v_bfrev_b32_e32 v30, 1
	s_and_saveexec_b64 s[22:23], s[2:3]
	s_cbranch_execz .LBB257_549
; %bb.546:                              ;   in Loop: Header=BB257_413 Depth=1
	v_and_b32_e32 v31, 0x7f, v12
	v_cmp_ne_u32_e64 s[2:3], s41, v31
	v_mov_b32_e32 v30, 0x7c010000
	s_and_saveexec_b64 s[28:29], s[2:3]
	s_cbranch_execz .LBB257_548
; %bb.547:                              ;   in Loop: Header=BB257_413 Depth=1
	v_and_b32_e32 v30, 7, v12
	v_ffbh_u32_e32 v52, v30
	v_min_u32_e32 v54, 32, v52
	v_subrev_u32_e32 v52, 28, v54
	v_lshlrev_b64 v[52:53], v52, v[12:13]
	v_lshrrev_b32_e32 v51, 3, v31
	v_sub_u32_e32 v53, 29, v54
	v_cmp_gt_u32_e64 s[2:3], 8, v31
	v_lshlrev_b32_e32 v12, 8, v12
	s_nop 0
	v_cndmask_b32_e64 v31, v51, v53, s[2:3]
	v_lshl_add_u32 v31, v31, 10, v41
	v_and_b32_e32 v51, 7, v52
	v_and_or_b32 v12, v12, s42, v31
	v_cndmask_b32_e64 v30, v30, v51, s[2:3]
	v_lshlrev_b32_e32 v12, 16, v12
	v_lshl_or_b32 v30, v30, 23, v12
.LBB257_548:                            ;   in Loop: Header=BB257_413 Depth=1
	s_or_b64 exec, exec, s[28:29]
.LBB257_549:                            ;   in Loop: Header=BB257_413 Depth=1
	s_or_b64 exec, exec, s[22:23]
.LBB257_550:                            ;   in Loop: Header=BB257_413 Depth=1
	s_or_b64 exec, exec, s[20:21]
	v_lshrrev_b32_e32 v12, 16, v25
	v_cmp_ne_u16_sdwa s[2:3], v12, v13 src0_sel:BYTE_0 src1_sel:DWORD
	s_and_saveexec_b64 s[20:21], s[2:3]
	s_cbranch_execz .LBB257_556
; %bb.551:                              ;   in Loop: Header=BB257_413 Depth=1
	v_cmp_ne_u16_sdwa s[2:3], v12, s40 src0_sel:BYTE_0 src1_sel:DWORD
	v_mov_b32_e32 v28, 0x8000
	s_and_saveexec_b64 s[22:23], s[2:3]
	s_cbranch_execz .LBB257_555
; %bb.552:                              ;   in Loop: Header=BB257_413 Depth=1
	v_bfe_u32 v31, v25, 16, 7
	v_cmp_ne_u32_e64 s[2:3], s41, v31
	v_mov_b32_e32 v28, 0x7c01
	s_and_saveexec_b64 s[28:29], s[2:3]
	s_cbranch_execz .LBB257_554
; %bb.553:                              ;   in Loop: Header=BB257_413 Depth=1
	v_and_b32_e32 v28, 7, v12
	v_ffbh_u32_e32 v52, v28
	v_min_u32_e32 v54, 32, v52
	v_subrev_u32_e32 v52, 28, v54
	v_lshlrev_b64 v[52:53], v52, v[12:13]
	v_lshrrev_b32_e32 v51, 3, v31
	v_sub_u32_e32 v53, 29, v54
	v_cmp_gt_u32_e64 s[2:3], 8, v31
	v_lshlrev_b32_e32 v12, 8, v12
	s_nop 0
	v_cndmask_b32_e64 v31, v51, v53, s[2:3]
	v_lshl_add_u32 v31, v31, 10, v41
	v_and_b32_e32 v51, 7, v52
	v_and_b32_e32 v31, 0xfc00, v31
	v_cndmask_b32_e64 v28, v28, v51, s[2:3]
	v_and_or_b32 v12, v12, s42, v31
	v_lshl_or_b32 v28, v28, 7, v12
.LBB257_554:                            ;   in Loop: Header=BB257_413 Depth=1
	s_or_b64 exec, exec, s[28:29]
.LBB257_555:                            ;   in Loop: Header=BB257_413 Depth=1
	s_or_b64 exec, exec, s[22:23]
.LBB257_556:                            ;   in Loop: Header=BB257_413 Depth=1
	s_or_b64 exec, exec, s[20:21]
	v_cmp_lt_u64_e64 s[2:3], s[12:13], v[24:25]
	v_mov_b32_e32 v24, 0
	s_and_saveexec_b64 s[20:21], s[2:3]
	s_cbranch_execz .LBB257_562
; %bb.557:                              ;   in Loop: Header=BB257_413 Depth=1
	v_lshrrev_b32_e32 v12, 24, v25
	v_cmp_ne_u32_e64 s[2:3], s40, v12
	v_bfrev_b32_e32 v24, 1
	s_and_saveexec_b64 s[22:23], s[2:3]
	s_cbranch_execz .LBB257_561
; %bb.558:                              ;   in Loop: Header=BB257_413 Depth=1
	v_and_b32_e32 v25, 0x7f, v12
	v_cmp_ne_u32_e64 s[2:3], s41, v25
	v_mov_b32_e32 v24, 0x7c010000
	s_and_saveexec_b64 s[28:29], s[2:3]
	s_cbranch_execz .LBB257_560
; %bb.559:                              ;   in Loop: Header=BB257_413 Depth=1
	v_and_b32_e32 v24, 7, v12
	v_ffbh_u32_e32 v51, v24
	v_min_u32_e32 v51, 32, v51
	v_lshrrev_b32_e32 v31, 3, v25
	v_subrev_u32_e32 v52, 28, v51
	v_sub_u32_e32 v51, 29, v51
	v_cmp_gt_u32_e64 s[2:3], 8, v25
	v_lshlrev_b64 v[52:53], v52, v[12:13]
	v_lshlrev_b32_e32 v12, 8, v12
	v_cndmask_b32_e64 v25, v31, v51, s[2:3]
	v_lshl_add_u32 v25, v25, 10, v41
	v_and_b32_e32 v31, 7, v52
	v_and_or_b32 v12, v12, s42, v25
	v_cndmask_b32_e64 v24, v24, v31, s[2:3]
	v_lshlrev_b32_e32 v12, 16, v12
	v_lshl_or_b32 v24, v24, 23, v12
.LBB257_560:                            ;   in Loop: Header=BB257_413 Depth=1
	s_or_b64 exec, exec, s[28:29]
.LBB257_561:                            ;   in Loop: Header=BB257_413 Depth=1
	s_or_b64 exec, exec, s[22:23]
.LBB257_562:                            ;   in Loop: Header=BB257_413 Depth=1
	s_or_b64 exec, exec, s[20:21]
	v_cvt_f32_f16_sdwa v53, v1 dst_sel:DWORD dst_unused:UNUSED_PAD src0_sel:WORD_1
	v_cvt_f32_f16_sdwa v52, v27 dst_sel:DWORD dst_unused:UNUSED_PAD src0_sel:WORD_1
	v_or_b32_e32 v1, v1, v23
	v_or_b32_e32 v12, v27, v26
	v_or_b32_e32 v28, v24, v28
	s_waitcnt vmcnt(0)
	v_pk_mul_f32 v[26:27], v[22:23], v[52:53] op_sel_hi:[0,1]
	v_cvt_f32_f16_e32 v52, v12
	v_cvt_f32_f16_e32 v53, v1
	v_cvt_pk_f16_f32 v1, v26, v27
	v_and_b32_e32 v23, 0xffff0000, v1
	v_lshlrev_b32_e32 v12, 16, v1
	v_pk_mul_f32 v[26:27], v[22:23], v[52:53] op_sel_hi:[0,1]
	v_cvt_pk_f16_f32 v1, v26, v27
	v_or_b32_e32 v27, v30, v29
	v_cvt_f32_f16_e32 v28, v28
	v_cvt_f32_f16_e32 v29, v27
	v_cvt_f32_f16_sdwa v31, v30 dst_sel:DWORD dst_unused:UNUSED_PAD src0_sel:WORD_1
	v_cvt_f32_f16_sdwa v30, v24 dst_sel:DWORD dst_unused:UNUSED_PAD src0_sel:WORD_1
	v_lshrrev_b32_e32 v25, 16, v1
	v_pk_mul_f32 v[28:29], v[22:23], v[28:29] op_sel_hi:[0,1]
	v_cvt_pk_f16_f32 v51, v28, v29
	v_pk_mul_f32 v[28:29], v[22:23], v[30:31] op_sel_hi:[0,1]
	v_cvt_pk_f16_f32 v22, v28, v29
	v_and_b32_e32 v26, 0xffff, v1
	v_and_b32_e32 v27, 0xffff0000, v22
	v_lshlrev_b32_e32 v22, 16, v22
	v_lshrrev_b32_e32 v29, 16, v51
	v_and_b32_e32 v28, 0xffff, v51
	v_or_b32_e32 v1, v23, v25
	v_or_b32_e32 v24, v12, v26
	;; [unrolled: 1-line block ×4, first 2 shown]
	s_and_saveexec_b64 s[20:21], s[0:1]
	s_cbranch_execz .LBB257_564
; %bb.563:                              ;   in Loop: Header=BB257_413 Depth=1
	v_add_u32_e32 v30, 2, v42
	v_cmp_gt_i32_e64 s[2:3], s39, v42
	v_or_b32_e32 v1, 1, v42
	v_or_b32_e32 v24, 3, v42
	v_cndmask_b32_e64 v25, 0, v25, s[2:3]
	v_cmp_gt_i32_e64 s[2:3], s33, v30
	s_nop 1
	v_cndmask_b32_e64 v26, 0, v26, s[2:3]
	v_cmp_gt_i32_e64 s[2:3], s39, v1
	s_nop 1
	v_cndmask_b32_e64 v1, 0, v23, s[2:3]
	v_cmp_gt_i32_e64 s[2:3], s33, v24
	v_or_b32_e32 v23, 6, v42
	v_or_b32_e32 v1, v1, v25
	v_cndmask_b32_e64 v12, 0, v12, s[2:3]
	v_or_b32_e32 v24, v12, v26
	v_or_b32_e32 v12, 4, v42
	v_cmp_gt_i32_e64 s[2:3], s39, v12
	v_or_b32_e32 v25, 5, v42
	v_or_b32_e32 v26, 7, v42
	v_cndmask_b32_e64 v12, 0, v29, s[2:3]
	v_cmp_gt_i32_e64 s[2:3], s33, v23
	s_nop 1
	v_cndmask_b32_e64 v23, 0, v28, s[2:3]
	v_cmp_gt_i32_e64 s[2:3], s39, v25
	s_nop 1
	v_cndmask_b32_e64 v25, 0, v27, s[2:3]
	v_cmp_gt_i32_e64 s[2:3], s33, v26
	v_or_b32_e32 v31, v25, v12
	s_nop 0
	v_cndmask_b32_e64 v22, 0, v22, s[2:3]
	v_or_b32_e32 v30, v22, v23
.LBB257_564:                            ;   in Loop: Header=BB257_413 Depth=1
	s_or_b64 exec, exec, s[20:21]
	;;#ASMSTART
	v_pk_mul_f16 v1, v48, v1;

	;;#ASMEND
	;;#ASMSTART
	v_pk_mul_f16 v12, v47, v24;

	;;#ASMEND
	;; [unrolled: 4-line block ×4, first 2 shown]
	s_nop 0
	;;#ASMSTART
	v_pk_add_f16 v1, v1, v12;

	;;#ASMEND
	s_nop 0
	;;#ASMSTART
	v_pk_add_f16 v1, v1, v22;

	;;#ASMEND
	;; [unrolled: 5-line block ×3, first 2 shown]
	v_mov_b32_e32 v23, 0
	v_lshrrev_b32_e32 v12, 16, v1
	v_and_b32_e32 v1, 0xffff, v1
	;;#ASMSTART
	v_cvt_f32_f16 v51, v1;
	;;#ASMEND
	;;#ASMSTART
	v_cvt_f32_f16 v52, v12;
	;;#ASMEND
	global_load_dwordx2 v[24:25], v[20:21], off offset:1536
	v_mov_b32_e32 v1, 0
	global_load_dword v22, v1, s[14:15]
	s_waitcnt vmcnt(1)
	v_cmp_ne_u16_sdwa s[2:3], v24, v13 src0_sel:BYTE_0 src1_sel:DWORD
	s_and_saveexec_b64 s[20:21], s[2:3]
	s_cbranch_execz .LBB257_570
; %bb.565:                              ;   in Loop: Header=BB257_413 Depth=1
	v_cmp_ne_u16_sdwa s[2:3], v24, s40 src0_sel:BYTE_0 src1_sel:DWORD
	v_mov_b32_e32 v23, 0x8000
	s_and_saveexec_b64 s[22:23], s[2:3]
	s_cbranch_execz .LBB257_569
; %bb.566:                              ;   in Loop: Header=BB257_413 Depth=1
	v_and_b32_e32 v12, 0x7f, v24
	v_cmp_ne_u32_e64 s[2:3], s41, v12
	v_mov_b32_e32 v23, 0x7c01
	s_and_saveexec_b64 s[28:29], s[2:3]
	s_cbranch_execz .LBB257_568
; %bb.567:                              ;   in Loop: Header=BB257_413 Depth=1
	v_and_b32_e32 v23, 7, v24
	v_ffbh_u32_e32 v26, v23
	v_min_u32_e32 v29, 32, v26
	v_subrev_u32_e32 v26, 28, v29
	v_lshlrev_b64 v[26:27], v26, v[24:25]
	v_lshrrev_b32_e32 v28, 3, v12
	v_sub_u32_e32 v27, 29, v29
	v_cmp_gt_u32_e64 s[2:3], 8, v12
	v_and_b32_e32 v26, 7, v26
	s_nop 0
	v_cndmask_b32_e64 v12, v28, v27, s[2:3]
	v_lshl_add_u32 v12, v12, 10, v41
	v_lshlrev_b32_e32 v27, 8, v24
	v_and_b32_e32 v12, 0xfc00, v12
	v_cndmask_b32_e64 v23, v23, v26, s[2:3]
	v_and_or_b32 v12, v27, s42, v12
	v_lshl_or_b32 v23, v23, 7, v12
.LBB257_568:                            ;   in Loop: Header=BB257_413 Depth=1
	s_or_b64 exec, exec, s[28:29]
.LBB257_569:                            ;   in Loop: Header=BB257_413 Depth=1
	s_or_b64 exec, exec, s[22:23]
.LBB257_570:                            ;   in Loop: Header=BB257_413 Depth=1
	s_or_b64 exec, exec, s[20:21]
	v_lshrrev_b16_e32 v12, 8, v24
	v_cmp_ne_u16_e64 s[2:3], 0, v12
	s_and_saveexec_b64 s[20:21], s[2:3]
	s_cbranch_execz .LBB257_576
; %bb.571:                              ;   in Loop: Header=BB257_413 Depth=1
	v_cmp_ne_u16_e64 s[2:3], s40, v12
	v_bfrev_b32_e32 v1, 1
	s_and_saveexec_b64 s[22:23], s[2:3]
	s_cbranch_execz .LBB257_575
; %bb.572:                              ;   in Loop: Header=BB257_413 Depth=1
	v_and_b32_e32 v26, 0x7f, v12
	v_cmp_ne_u32_e64 s[2:3], s41, v26
	v_mov_b32_e32 v1, 0x7c010000
	s_and_saveexec_b64 s[28:29], s[2:3]
	s_cbranch_execz .LBB257_574
; %bb.573:                              ;   in Loop: Header=BB257_413 Depth=1
	v_and_b32_e32 v1, 7, v12
	v_ffbh_u32_e32 v28, v1
	v_min_u32_e32 v30, 32, v28
	v_subrev_u32_e32 v28, 28, v30
	v_lshlrev_b64 v[28:29], v28, v[12:13]
	v_lshrrev_b32_e32 v27, 3, v26
	v_sub_u32_e32 v29, 29, v30
	v_cmp_gt_u32_e64 s[2:3], 8, v26
	v_lshlrev_b32_e32 v12, 8, v12
	s_nop 0
	v_cndmask_b32_e64 v26, v27, v29, s[2:3]
	v_lshl_add_u32 v26, v26, 10, v41
	v_and_b32_e32 v27, 7, v28
	v_and_or_b32 v12, v12, s42, v26
	v_cndmask_b32_e64 v1, v1, v27, s[2:3]
	v_lshlrev_b32_e32 v12, 16, v12
	v_lshl_or_b32 v1, v1, 23, v12
.LBB257_574:                            ;   in Loop: Header=BB257_413 Depth=1
	s_or_b64 exec, exec, s[28:29]
.LBB257_575:                            ;   in Loop: Header=BB257_413 Depth=1
	s_or_b64 exec, exec, s[22:23]
.LBB257_576:                            ;   in Loop: Header=BB257_413 Depth=1
	s_or_b64 exec, exec, s[20:21]
	v_lshrrev_b32_e32 v12, 16, v24
	v_cmp_ne_u16_sdwa s[2:3], v12, v13 src0_sel:BYTE_0 src1_sel:DWORD
	v_mov_b32_e32 v27, 0
	v_mov_b32_e32 v26, 0
	s_and_saveexec_b64 s[20:21], s[2:3]
	s_cbranch_execz .LBB257_582
; %bb.577:                              ;   in Loop: Header=BB257_413 Depth=1
	v_cmp_ne_u16_sdwa s[2:3], v12, s40 src0_sel:BYTE_0 src1_sel:DWORD
	v_mov_b32_e32 v26, 0x8000
	s_and_saveexec_b64 s[22:23], s[2:3]
	s_cbranch_execz .LBB257_581
; %bb.578:                              ;   in Loop: Header=BB257_413 Depth=1
	v_bfe_u32 v28, v24, 16, 7
	v_cmp_ne_u32_e64 s[2:3], s41, v28
	v_mov_b32_e32 v26, 0x7c01
	s_and_saveexec_b64 s[28:29], s[2:3]
	s_cbranch_execz .LBB257_580
; %bb.579:                              ;   in Loop: Header=BB257_413 Depth=1
	v_and_b32_e32 v26, 7, v12
	v_ffbh_u32_e32 v30, v26
	v_min_u32_e32 v53, 32, v30
	v_subrev_u32_e32 v30, 28, v53
	v_lshlrev_b64 v[30:31], v30, v[12:13]
	v_lshrrev_b32_e32 v29, 3, v28
	v_sub_u32_e32 v31, 29, v53
	v_cmp_gt_u32_e64 s[2:3], 8, v28
	v_lshlrev_b32_e32 v12, 8, v12
	s_nop 0
	v_cndmask_b32_e64 v28, v29, v31, s[2:3]
	v_lshl_add_u32 v28, v28, 10, v41
	v_and_b32_e32 v29, 7, v30
	v_and_b32_e32 v28, 0xfc00, v28
	v_cndmask_b32_e64 v26, v26, v29, s[2:3]
	v_and_or_b32 v12, v12, s42, v28
	v_lshl_or_b32 v26, v26, 7, v12
.LBB257_580:                            ;   in Loop: Header=BB257_413 Depth=1
	s_or_b64 exec, exec, s[28:29]
.LBB257_581:                            ;   in Loop: Header=BB257_413 Depth=1
	s_or_b64 exec, exec, s[22:23]
.LBB257_582:                            ;   in Loop: Header=BB257_413 Depth=1
	s_or_b64 exec, exec, s[20:21]
	v_cmp_lt_u32_e64 s[2:3], s13, v24
	s_and_saveexec_b64 s[20:21], s[2:3]
	s_cbranch_execz .LBB257_588
; %bb.583:                              ;   in Loop: Header=BB257_413 Depth=1
	v_lshrrev_b32_e32 v12, 24, v24
	v_cmp_ne_u32_e64 s[2:3], s40, v12
	v_bfrev_b32_e32 v27, 1
	s_and_saveexec_b64 s[22:23], s[2:3]
	s_cbranch_execz .LBB257_587
; %bb.584:                              ;   in Loop: Header=BB257_413 Depth=1
	v_and_b32_e32 v28, 0x7f, v12
	v_cmp_ne_u32_e64 s[2:3], s41, v28
	v_mov_b32_e32 v27, 0x7c010000
	s_and_saveexec_b64 s[28:29], s[2:3]
	s_cbranch_execz .LBB257_586
; %bb.585:                              ;   in Loop: Header=BB257_413 Depth=1
	v_and_b32_e32 v27, 7, v12
	v_ffbh_u32_e32 v30, v27
	v_min_u32_e32 v53, 32, v30
	v_subrev_u32_e32 v30, 28, v53
	v_lshlrev_b64 v[30:31], v30, v[12:13]
	v_lshrrev_b32_e32 v29, 3, v28
	v_sub_u32_e32 v31, 29, v53
	v_cmp_gt_u32_e64 s[2:3], 8, v28
	v_lshlrev_b32_e32 v12, 8, v12
	s_nop 0
	v_cndmask_b32_e64 v28, v29, v31, s[2:3]
	v_lshl_add_u32 v28, v28, 10, v41
	v_and_b32_e32 v29, 7, v30
	v_and_or_b32 v12, v12, s42, v28
	v_cndmask_b32_e64 v27, v27, v29, s[2:3]
	v_lshlrev_b32_e32 v12, 16, v12
	v_lshl_or_b32 v27, v27, 23, v12
.LBB257_586:                            ;   in Loop: Header=BB257_413 Depth=1
	s_or_b64 exec, exec, s[28:29]
.LBB257_587:                            ;   in Loop: Header=BB257_413 Depth=1
	s_or_b64 exec, exec, s[22:23]
.LBB257_588:                            ;   in Loop: Header=BB257_413 Depth=1
	s_or_b64 exec, exec, s[20:21]
	v_mov_b32_e32 v12, v25
	v_cmp_ne_u16_sdwa s[2:3], v25, v13 src0_sel:BYTE_0 src1_sel:DWORD
	v_mov_b32_e32 v28, 0
	v_mov_b32_e32 v29, 0
	s_and_saveexec_b64 s[20:21], s[2:3]
	s_cbranch_execz .LBB257_594
; %bb.589:                              ;   in Loop: Header=BB257_413 Depth=1
	v_cmp_ne_u16_sdwa s[2:3], v25, s40 src0_sel:BYTE_0 src1_sel:DWORD
	v_mov_b32_e32 v29, 0x8000
	s_and_saveexec_b64 s[22:23], s[2:3]
	s_cbranch_execz .LBB257_593
; %bb.590:                              ;   in Loop: Header=BB257_413 Depth=1
	v_and_b32_e32 v30, 0x7f, v25
	v_cmp_ne_u32_e64 s[2:3], s41, v30
	v_mov_b32_e32 v29, 0x7c01
	s_and_saveexec_b64 s[28:29], s[2:3]
	s_cbranch_execz .LBB257_592
; %bb.591:                              ;   in Loop: Header=BB257_413 Depth=1
	v_and_b32_e32 v29, 7, v25
	v_ffbh_u32_e32 v53, v29
	v_min_u32_e32 v53, 32, v53
	v_lshrrev_b32_e32 v31, 3, v30
	v_subrev_u32_e32 v54, 28, v53
	v_sub_u32_e32 v53, 29, v53
	v_cmp_gt_u32_e64 s[2:3], 8, v30
	v_lshlrev_b64 v[54:55], v54, v[12:13]
	s_nop 0
	v_cndmask_b32_e64 v30, v31, v53, s[2:3]
	v_lshl_add_u32 v30, v30, 10, v41
	v_lshlrev_b32_e32 v31, 8, v25
	v_and_b32_e32 v53, 7, v54
	v_and_b32_e32 v30, 0xfc00, v30
	v_cndmask_b32_e64 v29, v29, v53, s[2:3]
	v_and_or_b32 v30, v31, s42, v30
	v_lshl_or_b32 v29, v29, 7, v30
.LBB257_592:                            ;   in Loop: Header=BB257_413 Depth=1
	s_or_b64 exec, exec, s[28:29]
.LBB257_593:                            ;   in Loop: Header=BB257_413 Depth=1
	s_or_b64 exec, exec, s[22:23]
.LBB257_594:                            ;   in Loop: Header=BB257_413 Depth=1
	s_or_b64 exec, exec, s[20:21]
	v_lshrrev_b16_e32 v12, 8, v12
	v_cmp_ne_u16_e64 s[2:3], 0, v12
	v_mov_b32_e32 v30, 0
	s_and_saveexec_b64 s[20:21], s[2:3]
	s_cbranch_execz .LBB257_600
; %bb.595:                              ;   in Loop: Header=BB257_413 Depth=1
	v_cmp_ne_u16_e64 s[2:3], s40, v12
	v_bfrev_b32_e32 v30, 1
	s_and_saveexec_b64 s[22:23], s[2:3]
	s_cbranch_execz .LBB257_599
; %bb.596:                              ;   in Loop: Header=BB257_413 Depth=1
	v_and_b32_e32 v31, 0x7f, v12
	v_cmp_ne_u32_e64 s[2:3], s41, v31
	v_mov_b32_e32 v30, 0x7c010000
	s_and_saveexec_b64 s[28:29], s[2:3]
	s_cbranch_execz .LBB257_598
; %bb.597:                              ;   in Loop: Header=BB257_413 Depth=1
	v_and_b32_e32 v30, 7, v12
	v_ffbh_u32_e32 v54, v30
	v_min_u32_e32 v56, 32, v54
	v_subrev_u32_e32 v54, 28, v56
	v_lshlrev_b64 v[54:55], v54, v[12:13]
	v_lshrrev_b32_e32 v53, 3, v31
	v_sub_u32_e32 v55, 29, v56
	v_cmp_gt_u32_e64 s[2:3], 8, v31
	v_lshlrev_b32_e32 v12, 8, v12
	s_nop 0
	v_cndmask_b32_e64 v31, v53, v55, s[2:3]
	v_lshl_add_u32 v31, v31, 10, v41
	v_and_b32_e32 v53, 7, v54
	v_and_or_b32 v12, v12, s42, v31
	v_cndmask_b32_e64 v30, v30, v53, s[2:3]
	v_lshlrev_b32_e32 v12, 16, v12
	v_lshl_or_b32 v30, v30, 23, v12
.LBB257_598:                            ;   in Loop: Header=BB257_413 Depth=1
	s_or_b64 exec, exec, s[28:29]
.LBB257_599:                            ;   in Loop: Header=BB257_413 Depth=1
	s_or_b64 exec, exec, s[22:23]
.LBB257_600:                            ;   in Loop: Header=BB257_413 Depth=1
	s_or_b64 exec, exec, s[20:21]
	v_lshrrev_b32_e32 v12, 16, v25
	v_cmp_ne_u16_sdwa s[2:3], v12, v13 src0_sel:BYTE_0 src1_sel:DWORD
	s_and_saveexec_b64 s[20:21], s[2:3]
	s_cbranch_execz .LBB257_606
; %bb.601:                              ;   in Loop: Header=BB257_413 Depth=1
	v_cmp_ne_u16_sdwa s[2:3], v12, s40 src0_sel:BYTE_0 src1_sel:DWORD
	v_mov_b32_e32 v28, 0x8000
	s_and_saveexec_b64 s[22:23], s[2:3]
	s_cbranch_execz .LBB257_605
; %bb.602:                              ;   in Loop: Header=BB257_413 Depth=1
	v_bfe_u32 v31, v25, 16, 7
	v_cmp_ne_u32_e64 s[2:3], s41, v31
	v_mov_b32_e32 v28, 0x7c01
	s_and_saveexec_b64 s[28:29], s[2:3]
	s_cbranch_execz .LBB257_604
; %bb.603:                              ;   in Loop: Header=BB257_413 Depth=1
	v_and_b32_e32 v28, 7, v12
	v_ffbh_u32_e32 v54, v28
	v_min_u32_e32 v56, 32, v54
	v_subrev_u32_e32 v54, 28, v56
	v_lshlrev_b64 v[54:55], v54, v[12:13]
	v_lshrrev_b32_e32 v53, 3, v31
	v_sub_u32_e32 v55, 29, v56
	v_cmp_gt_u32_e64 s[2:3], 8, v31
	v_lshlrev_b32_e32 v12, 8, v12
	s_nop 0
	v_cndmask_b32_e64 v31, v53, v55, s[2:3]
	v_lshl_add_u32 v31, v31, 10, v41
	v_and_b32_e32 v53, 7, v54
	v_and_b32_e32 v31, 0xfc00, v31
	v_cndmask_b32_e64 v28, v28, v53, s[2:3]
	v_and_or_b32 v12, v12, s42, v31
	v_lshl_or_b32 v28, v28, 7, v12
.LBB257_604:                            ;   in Loop: Header=BB257_413 Depth=1
	s_or_b64 exec, exec, s[28:29]
.LBB257_605:                            ;   in Loop: Header=BB257_413 Depth=1
	s_or_b64 exec, exec, s[22:23]
.LBB257_606:                            ;   in Loop: Header=BB257_413 Depth=1
	s_or_b64 exec, exec, s[20:21]
	v_cmp_lt_u64_e64 s[2:3], s[12:13], v[24:25]
	v_mov_b32_e32 v24, 0
	s_and_saveexec_b64 s[20:21], s[2:3]
	s_cbranch_execz .LBB257_612
; %bb.607:                              ;   in Loop: Header=BB257_413 Depth=1
	v_lshrrev_b32_e32 v12, 24, v25
	v_cmp_ne_u32_e64 s[2:3], s40, v12
	v_bfrev_b32_e32 v24, 1
	s_and_saveexec_b64 s[22:23], s[2:3]
	s_cbranch_execz .LBB257_611
; %bb.608:                              ;   in Loop: Header=BB257_413 Depth=1
	v_and_b32_e32 v25, 0x7f, v12
	v_cmp_ne_u32_e64 s[2:3], s41, v25
	v_mov_b32_e32 v24, 0x7c010000
	s_and_saveexec_b64 s[28:29], s[2:3]
	s_cbranch_execz .LBB257_610
; %bb.609:                              ;   in Loop: Header=BB257_413 Depth=1
	v_and_b32_e32 v24, 7, v12
	v_ffbh_u32_e32 v53, v24
	v_min_u32_e32 v53, 32, v53
	v_lshrrev_b32_e32 v31, 3, v25
	v_subrev_u32_e32 v54, 28, v53
	v_sub_u32_e32 v53, 29, v53
	v_cmp_gt_u32_e64 s[2:3], 8, v25
	v_lshlrev_b64 v[54:55], v54, v[12:13]
	v_lshlrev_b32_e32 v12, 8, v12
	v_cndmask_b32_e64 v25, v31, v53, s[2:3]
	v_lshl_add_u32 v25, v25, 10, v41
	v_and_b32_e32 v31, 7, v54
	v_and_or_b32 v12, v12, s42, v25
	v_cndmask_b32_e64 v24, v24, v31, s[2:3]
	v_lshlrev_b32_e32 v12, 16, v12
	v_lshl_or_b32 v24, v24, 23, v12
.LBB257_610:                            ;   in Loop: Header=BB257_413 Depth=1
	s_or_b64 exec, exec, s[28:29]
.LBB257_611:                            ;   in Loop: Header=BB257_413 Depth=1
	s_or_b64 exec, exec, s[22:23]
.LBB257_612:                            ;   in Loop: Header=BB257_413 Depth=1
	s_or_b64 exec, exec, s[20:21]
	v_cvt_f32_f16_sdwa v55, v1 dst_sel:DWORD dst_unused:UNUSED_PAD src0_sel:WORD_1
	v_cvt_f32_f16_sdwa v54, v27 dst_sel:DWORD dst_unused:UNUSED_PAD src0_sel:WORD_1
	v_or_b32_e32 v1, v1, v23
	v_or_b32_e32 v12, v27, v26
	;; [unrolled: 1-line block ×3, first 2 shown]
	s_waitcnt vmcnt(0)
	v_pk_mul_f32 v[26:27], v[22:23], v[54:55] op_sel_hi:[0,1]
	v_cvt_f32_f16_e32 v54, v12
	v_cvt_f32_f16_e32 v55, v1
	v_cvt_pk_f16_f32 v1, v26, v27
	v_and_b32_e32 v23, 0xffff0000, v1
	v_lshlrev_b32_e32 v12, 16, v1
	v_pk_mul_f32 v[26:27], v[22:23], v[54:55] op_sel_hi:[0,1]
	v_cvt_pk_f16_f32 v1, v26, v27
	v_or_b32_e32 v27, v30, v29
	v_cvt_f32_f16_e32 v28, v28
	v_cvt_f32_f16_e32 v29, v27
	v_cvt_f32_f16_sdwa v31, v30 dst_sel:DWORD dst_unused:UNUSED_PAD src0_sel:WORD_1
	v_cvt_f32_f16_sdwa v30, v24 dst_sel:DWORD dst_unused:UNUSED_PAD src0_sel:WORD_1
	v_lshrrev_b32_e32 v25, 16, v1
	v_pk_mul_f32 v[28:29], v[22:23], v[28:29] op_sel_hi:[0,1]
	v_cvt_pk_f16_f32 v53, v28, v29
	v_pk_mul_f32 v[28:29], v[22:23], v[30:31] op_sel_hi:[0,1]
	v_cvt_pk_f16_f32 v22, v28, v29
	v_and_b32_e32 v26, 0xffff, v1
	v_and_b32_e32 v27, 0xffff0000, v22
	v_lshlrev_b32_e32 v22, 16, v22
	v_lshrrev_b32_e32 v29, 16, v53
	v_and_b32_e32 v28, 0xffff, v53
	v_or_b32_e32 v1, v23, v25
	v_or_b32_e32 v24, v12, v26
	;; [unrolled: 1-line block ×4, first 2 shown]
	s_and_saveexec_b64 s[20:21], s[0:1]
	s_cbranch_execz .LBB257_614
; %bb.613:                              ;   in Loop: Header=BB257_413 Depth=1
	v_add_u32_e32 v30, 2, v42
	v_cmp_gt_i32_e64 s[2:3], s39, v42
	v_or_b32_e32 v1, 1, v42
	v_or_b32_e32 v24, 3, v42
	v_cndmask_b32_e64 v25, 0, v25, s[2:3]
	v_cmp_gt_i32_e64 s[2:3], s33, v30
	s_nop 1
	v_cndmask_b32_e64 v26, 0, v26, s[2:3]
	v_cmp_gt_i32_e64 s[2:3], s39, v1
	s_nop 1
	v_cndmask_b32_e64 v1, 0, v23, s[2:3]
	v_cmp_gt_i32_e64 s[2:3], s33, v24
	v_or_b32_e32 v23, 6, v42
	v_or_b32_e32 v1, v1, v25
	v_cndmask_b32_e64 v12, 0, v12, s[2:3]
	v_or_b32_e32 v24, v12, v26
	v_or_b32_e32 v12, 4, v42
	v_cmp_gt_i32_e64 s[2:3], s39, v12
	v_or_b32_e32 v25, 5, v42
	v_or_b32_e32 v26, 7, v42
	v_cndmask_b32_e64 v12, 0, v29, s[2:3]
	v_cmp_gt_i32_e64 s[2:3], s33, v23
	s_nop 1
	v_cndmask_b32_e64 v23, 0, v28, s[2:3]
	v_cmp_gt_i32_e64 s[2:3], s39, v25
	s_nop 1
	v_cndmask_b32_e64 v25, 0, v27, s[2:3]
	v_cmp_gt_i32_e64 s[2:3], s33, v26
	v_or_b32_e32 v31, v25, v12
	s_nop 0
	v_cndmask_b32_e64 v22, 0, v22, s[2:3]
	v_or_b32_e32 v30, v22, v23
.LBB257_614:                            ;   in Loop: Header=BB257_413 Depth=1
	s_or_b64 exec, exec, s[20:21]
	;;#ASMSTART
	v_pk_mul_f16 v1, v48, v1;

	;;#ASMEND
	;;#ASMSTART
	v_pk_mul_f16 v12, v47, v24;

	;;#ASMEND
	;; [unrolled: 4-line block ×4, first 2 shown]
	s_nop 0
	;;#ASMSTART
	v_pk_add_f16 v1, v1, v12;

	;;#ASMEND
	s_nop 0
	;;#ASMSTART
	v_pk_add_f16 v1, v1, v22;

	;;#ASMEND
	;; [unrolled: 5-line block ×3, first 2 shown]
	v_mov_b32_e32 v23, 0
	v_lshrrev_b32_e32 v12, 16, v1
	v_and_b32_e32 v1, 0xffff, v1
	;;#ASMSTART
	v_cvt_f32_f16 v53, v1;
	;;#ASMEND
	;;#ASMSTART
	v_cvt_f32_f16 v54, v12;
	;;#ASMEND
	global_load_dwordx2 v[24:25], v[20:21], off offset:2048
	v_mov_b32_e32 v1, 0
	global_load_dword v22, v1, s[14:15]
	s_waitcnt vmcnt(1)
	v_cmp_ne_u16_sdwa s[2:3], v24, v13 src0_sel:BYTE_0 src1_sel:DWORD
	s_and_saveexec_b64 s[20:21], s[2:3]
	s_cbranch_execz .LBB257_620
; %bb.615:                              ;   in Loop: Header=BB257_413 Depth=1
	v_cmp_ne_u16_sdwa s[2:3], v24, s40 src0_sel:BYTE_0 src1_sel:DWORD
	v_mov_b32_e32 v23, 0x8000
	s_and_saveexec_b64 s[22:23], s[2:3]
	s_cbranch_execz .LBB257_619
; %bb.616:                              ;   in Loop: Header=BB257_413 Depth=1
	v_and_b32_e32 v12, 0x7f, v24
	v_cmp_ne_u32_e64 s[2:3], s41, v12
	v_mov_b32_e32 v23, 0x7c01
	s_and_saveexec_b64 s[28:29], s[2:3]
	s_cbranch_execz .LBB257_618
; %bb.617:                              ;   in Loop: Header=BB257_413 Depth=1
	v_and_b32_e32 v23, 7, v24
	v_ffbh_u32_e32 v26, v23
	v_min_u32_e32 v29, 32, v26
	v_subrev_u32_e32 v26, 28, v29
	v_lshlrev_b64 v[26:27], v26, v[24:25]
	v_lshrrev_b32_e32 v28, 3, v12
	v_sub_u32_e32 v27, 29, v29
	v_cmp_gt_u32_e64 s[2:3], 8, v12
	v_and_b32_e32 v26, 7, v26
	s_nop 0
	v_cndmask_b32_e64 v12, v28, v27, s[2:3]
	v_lshl_add_u32 v12, v12, 10, v41
	v_lshlrev_b32_e32 v27, 8, v24
	v_and_b32_e32 v12, 0xfc00, v12
	v_cndmask_b32_e64 v23, v23, v26, s[2:3]
	v_and_or_b32 v12, v27, s42, v12
	v_lshl_or_b32 v23, v23, 7, v12
.LBB257_618:                            ;   in Loop: Header=BB257_413 Depth=1
	s_or_b64 exec, exec, s[28:29]
.LBB257_619:                            ;   in Loop: Header=BB257_413 Depth=1
	s_or_b64 exec, exec, s[22:23]
.LBB257_620:                            ;   in Loop: Header=BB257_413 Depth=1
	s_or_b64 exec, exec, s[20:21]
	v_lshrrev_b16_e32 v12, 8, v24
	v_cmp_ne_u16_e64 s[2:3], 0, v12
	s_and_saveexec_b64 s[20:21], s[2:3]
	s_cbranch_execz .LBB257_626
; %bb.621:                              ;   in Loop: Header=BB257_413 Depth=1
	v_cmp_ne_u16_e64 s[2:3], s40, v12
	v_bfrev_b32_e32 v1, 1
	s_and_saveexec_b64 s[22:23], s[2:3]
	s_cbranch_execz .LBB257_625
; %bb.622:                              ;   in Loop: Header=BB257_413 Depth=1
	v_and_b32_e32 v26, 0x7f, v12
	v_cmp_ne_u32_e64 s[2:3], s41, v26
	v_mov_b32_e32 v1, 0x7c010000
	s_and_saveexec_b64 s[28:29], s[2:3]
	s_cbranch_execz .LBB257_624
; %bb.623:                              ;   in Loop: Header=BB257_413 Depth=1
	v_and_b32_e32 v1, 7, v12
	v_ffbh_u32_e32 v28, v1
	v_min_u32_e32 v30, 32, v28
	v_subrev_u32_e32 v28, 28, v30
	v_lshlrev_b64 v[28:29], v28, v[12:13]
	v_lshrrev_b32_e32 v27, 3, v26
	v_sub_u32_e32 v29, 29, v30
	v_cmp_gt_u32_e64 s[2:3], 8, v26
	v_lshlrev_b32_e32 v12, 8, v12
	s_nop 0
	v_cndmask_b32_e64 v26, v27, v29, s[2:3]
	v_lshl_add_u32 v26, v26, 10, v41
	v_and_b32_e32 v27, 7, v28
	v_and_or_b32 v12, v12, s42, v26
	v_cndmask_b32_e64 v1, v1, v27, s[2:3]
	v_lshlrev_b32_e32 v12, 16, v12
	v_lshl_or_b32 v1, v1, 23, v12
.LBB257_624:                            ;   in Loop: Header=BB257_413 Depth=1
	s_or_b64 exec, exec, s[28:29]
.LBB257_625:                            ;   in Loop: Header=BB257_413 Depth=1
	s_or_b64 exec, exec, s[22:23]
.LBB257_626:                            ;   in Loop: Header=BB257_413 Depth=1
	s_or_b64 exec, exec, s[20:21]
	v_lshrrev_b32_e32 v12, 16, v24
	v_cmp_ne_u16_sdwa s[2:3], v12, v13 src0_sel:BYTE_0 src1_sel:DWORD
	v_mov_b32_e32 v27, 0
	v_mov_b32_e32 v26, 0
	s_and_saveexec_b64 s[20:21], s[2:3]
	s_cbranch_execz .LBB257_632
; %bb.627:                              ;   in Loop: Header=BB257_413 Depth=1
	v_cmp_ne_u16_sdwa s[2:3], v12, s40 src0_sel:BYTE_0 src1_sel:DWORD
	v_mov_b32_e32 v26, 0x8000
	s_and_saveexec_b64 s[22:23], s[2:3]
	s_cbranch_execz .LBB257_631
; %bb.628:                              ;   in Loop: Header=BB257_413 Depth=1
	v_bfe_u32 v28, v24, 16, 7
	v_cmp_ne_u32_e64 s[2:3], s41, v28
	v_mov_b32_e32 v26, 0x7c01
	s_and_saveexec_b64 s[28:29], s[2:3]
	s_cbranch_execz .LBB257_630
; %bb.629:                              ;   in Loop: Header=BB257_413 Depth=1
	v_and_b32_e32 v26, 7, v12
	v_ffbh_u32_e32 v30, v26
	v_min_u32_e32 v55, 32, v30
	v_subrev_u32_e32 v30, 28, v55
	v_lshlrev_b64 v[30:31], v30, v[12:13]
	v_lshrrev_b32_e32 v29, 3, v28
	v_sub_u32_e32 v31, 29, v55
	v_cmp_gt_u32_e64 s[2:3], 8, v28
	v_lshlrev_b32_e32 v12, 8, v12
	s_nop 0
	v_cndmask_b32_e64 v28, v29, v31, s[2:3]
	v_lshl_add_u32 v28, v28, 10, v41
	v_and_b32_e32 v29, 7, v30
	v_and_b32_e32 v28, 0xfc00, v28
	v_cndmask_b32_e64 v26, v26, v29, s[2:3]
	v_and_or_b32 v12, v12, s42, v28
	v_lshl_or_b32 v26, v26, 7, v12
.LBB257_630:                            ;   in Loop: Header=BB257_413 Depth=1
	s_or_b64 exec, exec, s[28:29]
.LBB257_631:                            ;   in Loop: Header=BB257_413 Depth=1
	s_or_b64 exec, exec, s[22:23]
.LBB257_632:                            ;   in Loop: Header=BB257_413 Depth=1
	s_or_b64 exec, exec, s[20:21]
	v_cmp_lt_u32_e64 s[2:3], s13, v24
	s_and_saveexec_b64 s[20:21], s[2:3]
	s_cbranch_execz .LBB257_638
; %bb.633:                              ;   in Loop: Header=BB257_413 Depth=1
	v_lshrrev_b32_e32 v12, 24, v24
	v_cmp_ne_u32_e64 s[2:3], s40, v12
	v_bfrev_b32_e32 v27, 1
	s_and_saveexec_b64 s[22:23], s[2:3]
	s_cbranch_execz .LBB257_637
; %bb.634:                              ;   in Loop: Header=BB257_413 Depth=1
	v_and_b32_e32 v28, 0x7f, v12
	v_cmp_ne_u32_e64 s[2:3], s41, v28
	v_mov_b32_e32 v27, 0x7c010000
	s_and_saveexec_b64 s[28:29], s[2:3]
	s_cbranch_execz .LBB257_636
; %bb.635:                              ;   in Loop: Header=BB257_413 Depth=1
	v_and_b32_e32 v27, 7, v12
	v_ffbh_u32_e32 v30, v27
	v_min_u32_e32 v55, 32, v30
	v_subrev_u32_e32 v30, 28, v55
	v_lshlrev_b64 v[30:31], v30, v[12:13]
	v_lshrrev_b32_e32 v29, 3, v28
	v_sub_u32_e32 v31, 29, v55
	v_cmp_gt_u32_e64 s[2:3], 8, v28
	v_lshlrev_b32_e32 v12, 8, v12
	s_nop 0
	v_cndmask_b32_e64 v28, v29, v31, s[2:3]
	v_lshl_add_u32 v28, v28, 10, v41
	v_and_b32_e32 v29, 7, v30
	v_and_or_b32 v12, v12, s42, v28
	v_cndmask_b32_e64 v27, v27, v29, s[2:3]
	v_lshlrev_b32_e32 v12, 16, v12
	v_lshl_or_b32 v27, v27, 23, v12
.LBB257_636:                            ;   in Loop: Header=BB257_413 Depth=1
	s_or_b64 exec, exec, s[28:29]
.LBB257_637:                            ;   in Loop: Header=BB257_413 Depth=1
	s_or_b64 exec, exec, s[22:23]
.LBB257_638:                            ;   in Loop: Header=BB257_413 Depth=1
	s_or_b64 exec, exec, s[20:21]
	v_mov_b32_e32 v12, v25
	v_cmp_ne_u16_sdwa s[2:3], v25, v13 src0_sel:BYTE_0 src1_sel:DWORD
	v_mov_b32_e32 v28, 0
	v_mov_b32_e32 v29, 0
	s_and_saveexec_b64 s[20:21], s[2:3]
	s_cbranch_execz .LBB257_644
; %bb.639:                              ;   in Loop: Header=BB257_413 Depth=1
	v_cmp_ne_u16_sdwa s[2:3], v25, s40 src0_sel:BYTE_0 src1_sel:DWORD
	v_mov_b32_e32 v29, 0x8000
	s_and_saveexec_b64 s[22:23], s[2:3]
	s_cbranch_execz .LBB257_643
; %bb.640:                              ;   in Loop: Header=BB257_413 Depth=1
	v_and_b32_e32 v30, 0x7f, v25
	v_cmp_ne_u32_e64 s[2:3], s41, v30
	v_mov_b32_e32 v29, 0x7c01
	s_and_saveexec_b64 s[28:29], s[2:3]
	s_cbranch_execz .LBB257_642
; %bb.641:                              ;   in Loop: Header=BB257_413 Depth=1
	v_and_b32_e32 v29, 7, v25
	v_ffbh_u32_e32 v55, v29
	v_min_u32_e32 v55, 32, v55
	v_lshrrev_b32_e32 v31, 3, v30
	v_subrev_u32_e32 v56, 28, v55
	v_sub_u32_e32 v55, 29, v55
	v_cmp_gt_u32_e64 s[2:3], 8, v30
	v_lshlrev_b64 v[56:57], v56, v[12:13]
	s_nop 0
	v_cndmask_b32_e64 v30, v31, v55, s[2:3]
	v_lshl_add_u32 v30, v30, 10, v41
	v_lshlrev_b32_e32 v31, 8, v25
	v_and_b32_e32 v55, 7, v56
	v_and_b32_e32 v30, 0xfc00, v30
	v_cndmask_b32_e64 v29, v29, v55, s[2:3]
	v_and_or_b32 v30, v31, s42, v30
	v_lshl_or_b32 v29, v29, 7, v30
.LBB257_642:                            ;   in Loop: Header=BB257_413 Depth=1
	s_or_b64 exec, exec, s[28:29]
.LBB257_643:                            ;   in Loop: Header=BB257_413 Depth=1
	s_or_b64 exec, exec, s[22:23]
.LBB257_644:                            ;   in Loop: Header=BB257_413 Depth=1
	s_or_b64 exec, exec, s[20:21]
	v_lshrrev_b16_e32 v12, 8, v12
	v_cmp_ne_u16_e64 s[2:3], 0, v12
	v_mov_b32_e32 v30, 0
	s_and_saveexec_b64 s[20:21], s[2:3]
	s_cbranch_execz .LBB257_650
; %bb.645:                              ;   in Loop: Header=BB257_413 Depth=1
	v_cmp_ne_u16_e64 s[2:3], s40, v12
	v_bfrev_b32_e32 v30, 1
	s_and_saveexec_b64 s[22:23], s[2:3]
	s_cbranch_execz .LBB257_649
; %bb.646:                              ;   in Loop: Header=BB257_413 Depth=1
	v_and_b32_e32 v31, 0x7f, v12
	v_cmp_ne_u32_e64 s[2:3], s41, v31
	v_mov_b32_e32 v30, 0x7c010000
	s_and_saveexec_b64 s[28:29], s[2:3]
	s_cbranch_execz .LBB257_648
; %bb.647:                              ;   in Loop: Header=BB257_413 Depth=1
	v_and_b32_e32 v30, 7, v12
	v_ffbh_u32_e32 v56, v30
	v_min_u32_e32 v58, 32, v56
	v_subrev_u32_e32 v56, 28, v58
	v_lshlrev_b64 v[56:57], v56, v[12:13]
	v_lshrrev_b32_e32 v55, 3, v31
	v_sub_u32_e32 v57, 29, v58
	v_cmp_gt_u32_e64 s[2:3], 8, v31
	v_lshlrev_b32_e32 v12, 8, v12
	s_nop 0
	v_cndmask_b32_e64 v31, v55, v57, s[2:3]
	v_lshl_add_u32 v31, v31, 10, v41
	v_and_b32_e32 v55, 7, v56
	v_and_or_b32 v12, v12, s42, v31
	v_cndmask_b32_e64 v30, v30, v55, s[2:3]
	v_lshlrev_b32_e32 v12, 16, v12
	v_lshl_or_b32 v30, v30, 23, v12
.LBB257_648:                            ;   in Loop: Header=BB257_413 Depth=1
	s_or_b64 exec, exec, s[28:29]
.LBB257_649:                            ;   in Loop: Header=BB257_413 Depth=1
	s_or_b64 exec, exec, s[22:23]
.LBB257_650:                            ;   in Loop: Header=BB257_413 Depth=1
	s_or_b64 exec, exec, s[20:21]
	v_lshrrev_b32_e32 v12, 16, v25
	v_cmp_ne_u16_sdwa s[2:3], v12, v13 src0_sel:BYTE_0 src1_sel:DWORD
	s_and_saveexec_b64 s[20:21], s[2:3]
	s_cbranch_execz .LBB257_656
; %bb.651:                              ;   in Loop: Header=BB257_413 Depth=1
	v_cmp_ne_u16_sdwa s[2:3], v12, s40 src0_sel:BYTE_0 src1_sel:DWORD
	v_mov_b32_e32 v28, 0x8000
	s_and_saveexec_b64 s[22:23], s[2:3]
	s_cbranch_execz .LBB257_655
; %bb.652:                              ;   in Loop: Header=BB257_413 Depth=1
	v_bfe_u32 v31, v25, 16, 7
	v_cmp_ne_u32_e64 s[2:3], s41, v31
	v_mov_b32_e32 v28, 0x7c01
	s_and_saveexec_b64 s[28:29], s[2:3]
	s_cbranch_execz .LBB257_654
; %bb.653:                              ;   in Loop: Header=BB257_413 Depth=1
	v_and_b32_e32 v28, 7, v12
	v_ffbh_u32_e32 v56, v28
	v_min_u32_e32 v58, 32, v56
	v_subrev_u32_e32 v56, 28, v58
	v_lshlrev_b64 v[56:57], v56, v[12:13]
	v_lshrrev_b32_e32 v55, 3, v31
	v_sub_u32_e32 v57, 29, v58
	v_cmp_gt_u32_e64 s[2:3], 8, v31
	v_lshlrev_b32_e32 v12, 8, v12
	s_nop 0
	v_cndmask_b32_e64 v31, v55, v57, s[2:3]
	v_lshl_add_u32 v31, v31, 10, v41
	v_and_b32_e32 v55, 7, v56
	v_and_b32_e32 v31, 0xfc00, v31
	v_cndmask_b32_e64 v28, v28, v55, s[2:3]
	v_and_or_b32 v12, v12, s42, v31
	v_lshl_or_b32 v28, v28, 7, v12
.LBB257_654:                            ;   in Loop: Header=BB257_413 Depth=1
	s_or_b64 exec, exec, s[28:29]
.LBB257_655:                            ;   in Loop: Header=BB257_413 Depth=1
	s_or_b64 exec, exec, s[22:23]
.LBB257_656:                            ;   in Loop: Header=BB257_413 Depth=1
	s_or_b64 exec, exec, s[20:21]
	v_cmp_lt_u64_e64 s[2:3], s[12:13], v[24:25]
	v_mov_b32_e32 v24, 0
	s_and_saveexec_b64 s[20:21], s[2:3]
	s_cbranch_execz .LBB257_662
; %bb.657:                              ;   in Loop: Header=BB257_413 Depth=1
	v_lshrrev_b32_e32 v12, 24, v25
	v_cmp_ne_u32_e64 s[2:3], s40, v12
	v_bfrev_b32_e32 v24, 1
	s_and_saveexec_b64 s[22:23], s[2:3]
	s_cbranch_execz .LBB257_661
; %bb.658:                              ;   in Loop: Header=BB257_413 Depth=1
	v_and_b32_e32 v25, 0x7f, v12
	v_cmp_ne_u32_e64 s[2:3], s41, v25
	v_mov_b32_e32 v24, 0x7c010000
	s_and_saveexec_b64 s[28:29], s[2:3]
	s_cbranch_execz .LBB257_660
; %bb.659:                              ;   in Loop: Header=BB257_413 Depth=1
	v_and_b32_e32 v24, 7, v12
	v_ffbh_u32_e32 v55, v24
	v_min_u32_e32 v55, 32, v55
	v_lshrrev_b32_e32 v31, 3, v25
	v_subrev_u32_e32 v56, 28, v55
	v_sub_u32_e32 v55, 29, v55
	v_cmp_gt_u32_e64 s[2:3], 8, v25
	v_lshlrev_b64 v[56:57], v56, v[12:13]
	v_lshlrev_b32_e32 v12, 8, v12
	v_cndmask_b32_e64 v25, v31, v55, s[2:3]
	v_lshl_add_u32 v25, v25, 10, v41
	v_and_b32_e32 v31, 7, v56
	v_and_or_b32 v12, v12, s42, v25
	v_cndmask_b32_e64 v24, v24, v31, s[2:3]
	v_lshlrev_b32_e32 v12, 16, v12
	v_lshl_or_b32 v24, v24, 23, v12
.LBB257_660:                            ;   in Loop: Header=BB257_413 Depth=1
	s_or_b64 exec, exec, s[28:29]
.LBB257_661:                            ;   in Loop: Header=BB257_413 Depth=1
	s_or_b64 exec, exec, s[22:23]
.LBB257_662:                            ;   in Loop: Header=BB257_413 Depth=1
	s_or_b64 exec, exec, s[20:21]
	v_cvt_f32_f16_sdwa v57, v1 dst_sel:DWORD dst_unused:UNUSED_PAD src0_sel:WORD_1
	v_cvt_f32_f16_sdwa v56, v27 dst_sel:DWORD dst_unused:UNUSED_PAD src0_sel:WORD_1
	v_or_b32_e32 v1, v1, v23
	v_or_b32_e32 v12, v27, v26
	;; [unrolled: 1-line block ×3, first 2 shown]
	s_waitcnt vmcnt(0)
	v_pk_mul_f32 v[26:27], v[22:23], v[56:57] op_sel_hi:[0,1]
	v_cvt_f32_f16_e32 v56, v12
	v_cvt_f32_f16_e32 v57, v1
	v_cvt_pk_f16_f32 v1, v26, v27
	v_and_b32_e32 v23, 0xffff0000, v1
	v_lshlrev_b32_e32 v12, 16, v1
	v_pk_mul_f32 v[26:27], v[22:23], v[56:57] op_sel_hi:[0,1]
	v_cvt_pk_f16_f32 v1, v26, v27
	v_or_b32_e32 v27, v30, v29
	v_cvt_f32_f16_e32 v28, v28
	v_cvt_f32_f16_e32 v29, v27
	v_cvt_f32_f16_sdwa v31, v30 dst_sel:DWORD dst_unused:UNUSED_PAD src0_sel:WORD_1
	v_cvt_f32_f16_sdwa v30, v24 dst_sel:DWORD dst_unused:UNUSED_PAD src0_sel:WORD_1
	v_lshrrev_b32_e32 v25, 16, v1
	v_pk_mul_f32 v[28:29], v[22:23], v[28:29] op_sel_hi:[0,1]
	v_cvt_pk_f16_f32 v55, v28, v29
	v_pk_mul_f32 v[28:29], v[22:23], v[30:31] op_sel_hi:[0,1]
	v_cvt_pk_f16_f32 v22, v28, v29
	v_and_b32_e32 v26, 0xffff, v1
	v_and_b32_e32 v27, 0xffff0000, v22
	v_lshlrev_b32_e32 v22, 16, v22
	v_lshrrev_b32_e32 v29, 16, v55
	v_and_b32_e32 v28, 0xffff, v55
	v_or_b32_e32 v1, v23, v25
	v_or_b32_e32 v24, v12, v26
	;; [unrolled: 1-line block ×4, first 2 shown]
	s_and_saveexec_b64 s[20:21], s[0:1]
	s_cbranch_execz .LBB257_664
; %bb.663:                              ;   in Loop: Header=BB257_413 Depth=1
	v_add_u32_e32 v30, 2, v42
	v_cmp_gt_i32_e64 s[2:3], s39, v42
	v_or_b32_e32 v1, 1, v42
	v_or_b32_e32 v24, 3, v42
	v_cndmask_b32_e64 v25, 0, v25, s[2:3]
	v_cmp_gt_i32_e64 s[2:3], s33, v30
	s_nop 1
	v_cndmask_b32_e64 v26, 0, v26, s[2:3]
	v_cmp_gt_i32_e64 s[2:3], s39, v1
	s_nop 1
	v_cndmask_b32_e64 v1, 0, v23, s[2:3]
	v_cmp_gt_i32_e64 s[2:3], s33, v24
	v_or_b32_e32 v23, 6, v42
	v_or_b32_e32 v1, v1, v25
	v_cndmask_b32_e64 v12, 0, v12, s[2:3]
	v_or_b32_e32 v24, v12, v26
	v_or_b32_e32 v12, 4, v42
	v_cmp_gt_i32_e64 s[2:3], s39, v12
	v_or_b32_e32 v25, 5, v42
	v_or_b32_e32 v26, 7, v42
	v_cndmask_b32_e64 v12, 0, v29, s[2:3]
	v_cmp_gt_i32_e64 s[2:3], s33, v23
	s_nop 1
	v_cndmask_b32_e64 v23, 0, v28, s[2:3]
	v_cmp_gt_i32_e64 s[2:3], s39, v25
	s_nop 1
	v_cndmask_b32_e64 v25, 0, v27, s[2:3]
	v_cmp_gt_i32_e64 s[2:3], s33, v26
	v_or_b32_e32 v31, v25, v12
	s_nop 0
	v_cndmask_b32_e64 v22, 0, v22, s[2:3]
	v_or_b32_e32 v30, v22, v23
.LBB257_664:                            ;   in Loop: Header=BB257_413 Depth=1
	s_or_b64 exec, exec, s[20:21]
	;;#ASMSTART
	v_pk_mul_f16 v1, v48, v1;

	;;#ASMEND
	;;#ASMSTART
	v_pk_mul_f16 v12, v47, v24;

	;;#ASMEND
	;; [unrolled: 4-line block ×4, first 2 shown]
	s_nop 0
	;;#ASMSTART
	v_pk_add_f16 v1, v1, v12;

	;;#ASMEND
	s_nop 0
	;;#ASMSTART
	v_pk_add_f16 v1, v1, v22;

	;;#ASMEND
	;; [unrolled: 5-line block ×3, first 2 shown]
	v_mov_b32_e32 v23, 0
	v_lshrrev_b32_e32 v12, 16, v1
	v_and_b32_e32 v1, 0xffff, v1
	;;#ASMSTART
	v_cvt_f32_f16 v55, v1;
	;;#ASMEND
	;;#ASMSTART
	v_cvt_f32_f16 v56, v12;
	;;#ASMEND
	global_load_dwordx2 v[24:25], v[20:21], off offset:2560
	v_mov_b32_e32 v1, 0
	global_load_dword v22, v1, s[14:15]
	s_waitcnt vmcnt(1)
	v_cmp_ne_u16_sdwa s[2:3], v24, v13 src0_sel:BYTE_0 src1_sel:DWORD
	s_and_saveexec_b64 s[20:21], s[2:3]
	s_cbranch_execz .LBB257_670
; %bb.665:                              ;   in Loop: Header=BB257_413 Depth=1
	v_cmp_ne_u16_sdwa s[2:3], v24, s40 src0_sel:BYTE_0 src1_sel:DWORD
	v_mov_b32_e32 v23, 0x8000
	s_and_saveexec_b64 s[22:23], s[2:3]
	s_cbranch_execz .LBB257_669
; %bb.666:                              ;   in Loop: Header=BB257_413 Depth=1
	v_and_b32_e32 v12, 0x7f, v24
	v_cmp_ne_u32_e64 s[2:3], s41, v12
	v_mov_b32_e32 v23, 0x7c01
	s_and_saveexec_b64 s[28:29], s[2:3]
	s_cbranch_execz .LBB257_668
; %bb.667:                              ;   in Loop: Header=BB257_413 Depth=1
	v_and_b32_e32 v23, 7, v24
	v_ffbh_u32_e32 v26, v23
	v_min_u32_e32 v29, 32, v26
	v_subrev_u32_e32 v26, 28, v29
	v_lshlrev_b64 v[26:27], v26, v[24:25]
	v_lshrrev_b32_e32 v28, 3, v12
	v_sub_u32_e32 v27, 29, v29
	v_cmp_gt_u32_e64 s[2:3], 8, v12
	v_and_b32_e32 v26, 7, v26
	s_nop 0
	v_cndmask_b32_e64 v12, v28, v27, s[2:3]
	v_lshl_add_u32 v12, v12, 10, v41
	v_lshlrev_b32_e32 v27, 8, v24
	v_and_b32_e32 v12, 0xfc00, v12
	v_cndmask_b32_e64 v23, v23, v26, s[2:3]
	v_and_or_b32 v12, v27, s42, v12
	v_lshl_or_b32 v23, v23, 7, v12
.LBB257_668:                            ;   in Loop: Header=BB257_413 Depth=1
	s_or_b64 exec, exec, s[28:29]
.LBB257_669:                            ;   in Loop: Header=BB257_413 Depth=1
	s_or_b64 exec, exec, s[22:23]
.LBB257_670:                            ;   in Loop: Header=BB257_413 Depth=1
	s_or_b64 exec, exec, s[20:21]
	v_lshrrev_b16_e32 v12, 8, v24
	v_cmp_ne_u16_e64 s[2:3], 0, v12
	s_and_saveexec_b64 s[20:21], s[2:3]
	s_cbranch_execz .LBB257_676
; %bb.671:                              ;   in Loop: Header=BB257_413 Depth=1
	v_cmp_ne_u16_e64 s[2:3], s40, v12
	v_bfrev_b32_e32 v1, 1
	s_and_saveexec_b64 s[22:23], s[2:3]
	s_cbranch_execz .LBB257_675
; %bb.672:                              ;   in Loop: Header=BB257_413 Depth=1
	v_and_b32_e32 v26, 0x7f, v12
	v_cmp_ne_u32_e64 s[2:3], s41, v26
	v_mov_b32_e32 v1, 0x7c010000
	s_and_saveexec_b64 s[28:29], s[2:3]
	s_cbranch_execz .LBB257_674
; %bb.673:                              ;   in Loop: Header=BB257_413 Depth=1
	v_and_b32_e32 v1, 7, v12
	v_ffbh_u32_e32 v28, v1
	v_min_u32_e32 v30, 32, v28
	v_subrev_u32_e32 v28, 28, v30
	v_lshlrev_b64 v[28:29], v28, v[12:13]
	v_lshrrev_b32_e32 v27, 3, v26
	v_sub_u32_e32 v29, 29, v30
	v_cmp_gt_u32_e64 s[2:3], 8, v26
	v_lshlrev_b32_e32 v12, 8, v12
	s_nop 0
	v_cndmask_b32_e64 v26, v27, v29, s[2:3]
	v_lshl_add_u32 v26, v26, 10, v41
	v_and_b32_e32 v27, 7, v28
	v_and_or_b32 v12, v12, s42, v26
	v_cndmask_b32_e64 v1, v1, v27, s[2:3]
	v_lshlrev_b32_e32 v12, 16, v12
	v_lshl_or_b32 v1, v1, 23, v12
.LBB257_674:                            ;   in Loop: Header=BB257_413 Depth=1
	s_or_b64 exec, exec, s[28:29]
.LBB257_675:                            ;   in Loop: Header=BB257_413 Depth=1
	s_or_b64 exec, exec, s[22:23]
.LBB257_676:                            ;   in Loop: Header=BB257_413 Depth=1
	s_or_b64 exec, exec, s[20:21]
	v_lshrrev_b32_e32 v12, 16, v24
	v_cmp_ne_u16_sdwa s[2:3], v12, v13 src0_sel:BYTE_0 src1_sel:DWORD
	v_mov_b32_e32 v27, 0
	v_mov_b32_e32 v26, 0
	s_and_saveexec_b64 s[20:21], s[2:3]
	s_cbranch_execz .LBB257_682
; %bb.677:                              ;   in Loop: Header=BB257_413 Depth=1
	v_cmp_ne_u16_sdwa s[2:3], v12, s40 src0_sel:BYTE_0 src1_sel:DWORD
	v_mov_b32_e32 v26, 0x8000
	s_and_saveexec_b64 s[22:23], s[2:3]
	s_cbranch_execz .LBB257_681
; %bb.678:                              ;   in Loop: Header=BB257_413 Depth=1
	v_bfe_u32 v28, v24, 16, 7
	v_cmp_ne_u32_e64 s[2:3], s41, v28
	v_mov_b32_e32 v26, 0x7c01
	s_and_saveexec_b64 s[28:29], s[2:3]
	s_cbranch_execz .LBB257_680
; %bb.679:                              ;   in Loop: Header=BB257_413 Depth=1
	v_and_b32_e32 v26, 7, v12
	v_ffbh_u32_e32 v30, v26
	v_min_u32_e32 v57, 32, v30
	v_subrev_u32_e32 v30, 28, v57
	v_lshlrev_b64 v[30:31], v30, v[12:13]
	v_lshrrev_b32_e32 v29, 3, v28
	v_sub_u32_e32 v31, 29, v57
	v_cmp_gt_u32_e64 s[2:3], 8, v28
	v_lshlrev_b32_e32 v12, 8, v12
	s_nop 0
	v_cndmask_b32_e64 v28, v29, v31, s[2:3]
	v_lshl_add_u32 v28, v28, 10, v41
	v_and_b32_e32 v29, 7, v30
	v_and_b32_e32 v28, 0xfc00, v28
	v_cndmask_b32_e64 v26, v26, v29, s[2:3]
	v_and_or_b32 v12, v12, s42, v28
	v_lshl_or_b32 v26, v26, 7, v12
.LBB257_680:                            ;   in Loop: Header=BB257_413 Depth=1
	s_or_b64 exec, exec, s[28:29]
.LBB257_681:                            ;   in Loop: Header=BB257_413 Depth=1
	s_or_b64 exec, exec, s[22:23]
.LBB257_682:                            ;   in Loop: Header=BB257_413 Depth=1
	s_or_b64 exec, exec, s[20:21]
	v_cmp_lt_u32_e64 s[2:3], s13, v24
	s_and_saveexec_b64 s[20:21], s[2:3]
	s_cbranch_execz .LBB257_688
; %bb.683:                              ;   in Loop: Header=BB257_413 Depth=1
	v_lshrrev_b32_e32 v12, 24, v24
	v_cmp_ne_u32_e64 s[2:3], s40, v12
	v_bfrev_b32_e32 v27, 1
	s_and_saveexec_b64 s[22:23], s[2:3]
	s_cbranch_execz .LBB257_687
; %bb.684:                              ;   in Loop: Header=BB257_413 Depth=1
	v_and_b32_e32 v28, 0x7f, v12
	v_cmp_ne_u32_e64 s[2:3], s41, v28
	v_mov_b32_e32 v27, 0x7c010000
	s_and_saveexec_b64 s[28:29], s[2:3]
	s_cbranch_execz .LBB257_686
; %bb.685:                              ;   in Loop: Header=BB257_413 Depth=1
	v_and_b32_e32 v27, 7, v12
	v_ffbh_u32_e32 v30, v27
	v_min_u32_e32 v57, 32, v30
	v_subrev_u32_e32 v30, 28, v57
	v_lshlrev_b64 v[30:31], v30, v[12:13]
	v_lshrrev_b32_e32 v29, 3, v28
	v_sub_u32_e32 v31, 29, v57
	v_cmp_gt_u32_e64 s[2:3], 8, v28
	v_lshlrev_b32_e32 v12, 8, v12
	s_nop 0
	v_cndmask_b32_e64 v28, v29, v31, s[2:3]
	v_lshl_add_u32 v28, v28, 10, v41
	v_and_b32_e32 v29, 7, v30
	v_and_or_b32 v12, v12, s42, v28
	v_cndmask_b32_e64 v27, v27, v29, s[2:3]
	v_lshlrev_b32_e32 v12, 16, v12
	v_lshl_or_b32 v27, v27, 23, v12
.LBB257_686:                            ;   in Loop: Header=BB257_413 Depth=1
	s_or_b64 exec, exec, s[28:29]
.LBB257_687:                            ;   in Loop: Header=BB257_413 Depth=1
	s_or_b64 exec, exec, s[22:23]
.LBB257_688:                            ;   in Loop: Header=BB257_413 Depth=1
	s_or_b64 exec, exec, s[20:21]
	v_mov_b32_e32 v12, v25
	v_cmp_ne_u16_sdwa s[2:3], v25, v13 src0_sel:BYTE_0 src1_sel:DWORD
	v_mov_b32_e32 v28, 0
	v_mov_b32_e32 v29, 0
	s_and_saveexec_b64 s[20:21], s[2:3]
	s_cbranch_execz .LBB257_694
; %bb.689:                              ;   in Loop: Header=BB257_413 Depth=1
	v_cmp_ne_u16_sdwa s[2:3], v25, s40 src0_sel:BYTE_0 src1_sel:DWORD
	v_mov_b32_e32 v29, 0x8000
	s_and_saveexec_b64 s[22:23], s[2:3]
	s_cbranch_execz .LBB257_693
; %bb.690:                              ;   in Loop: Header=BB257_413 Depth=1
	v_and_b32_e32 v30, 0x7f, v25
	v_cmp_ne_u32_e64 s[2:3], s41, v30
	v_mov_b32_e32 v29, 0x7c01
	s_and_saveexec_b64 s[28:29], s[2:3]
	s_cbranch_execz .LBB257_692
; %bb.691:                              ;   in Loop: Header=BB257_413 Depth=1
	v_and_b32_e32 v29, 7, v25
	v_ffbh_u32_e32 v57, v29
	v_min_u32_e32 v57, 32, v57
	v_lshrrev_b32_e32 v31, 3, v30
	v_subrev_u32_e32 v58, 28, v57
	v_sub_u32_e32 v57, 29, v57
	v_cmp_gt_u32_e64 s[2:3], 8, v30
	v_lshlrev_b64 v[58:59], v58, v[12:13]
	s_nop 0
	v_cndmask_b32_e64 v30, v31, v57, s[2:3]
	v_lshl_add_u32 v30, v30, 10, v41
	v_lshlrev_b32_e32 v31, 8, v25
	v_and_b32_e32 v57, 7, v58
	v_and_b32_e32 v30, 0xfc00, v30
	v_cndmask_b32_e64 v29, v29, v57, s[2:3]
	v_and_or_b32 v30, v31, s42, v30
	v_lshl_or_b32 v29, v29, 7, v30
.LBB257_692:                            ;   in Loop: Header=BB257_413 Depth=1
	s_or_b64 exec, exec, s[28:29]
.LBB257_693:                            ;   in Loop: Header=BB257_413 Depth=1
	s_or_b64 exec, exec, s[22:23]
.LBB257_694:                            ;   in Loop: Header=BB257_413 Depth=1
	s_or_b64 exec, exec, s[20:21]
	v_lshrrev_b16_e32 v12, 8, v12
	v_cmp_ne_u16_e64 s[2:3], 0, v12
	v_mov_b32_e32 v30, 0
	s_and_saveexec_b64 s[20:21], s[2:3]
	s_cbranch_execz .LBB257_700
; %bb.695:                              ;   in Loop: Header=BB257_413 Depth=1
	v_cmp_ne_u16_e64 s[2:3], s40, v12
	v_bfrev_b32_e32 v30, 1
	s_and_saveexec_b64 s[22:23], s[2:3]
	s_cbranch_execz .LBB257_699
; %bb.696:                              ;   in Loop: Header=BB257_413 Depth=1
	v_and_b32_e32 v31, 0x7f, v12
	v_cmp_ne_u32_e64 s[2:3], s41, v31
	v_mov_b32_e32 v30, 0x7c010000
	s_and_saveexec_b64 s[28:29], s[2:3]
	s_cbranch_execz .LBB257_698
; %bb.697:                              ;   in Loop: Header=BB257_413 Depth=1
	v_and_b32_e32 v30, 7, v12
	v_ffbh_u32_e32 v58, v30
	v_min_u32_e32 v60, 32, v58
	v_subrev_u32_e32 v58, 28, v60
	v_lshlrev_b64 v[58:59], v58, v[12:13]
	v_lshrrev_b32_e32 v57, 3, v31
	v_sub_u32_e32 v59, 29, v60
	v_cmp_gt_u32_e64 s[2:3], 8, v31
	v_lshlrev_b32_e32 v12, 8, v12
	s_nop 0
	v_cndmask_b32_e64 v31, v57, v59, s[2:3]
	v_lshl_add_u32 v31, v31, 10, v41
	v_and_b32_e32 v57, 7, v58
	v_and_or_b32 v12, v12, s42, v31
	v_cndmask_b32_e64 v30, v30, v57, s[2:3]
	v_lshlrev_b32_e32 v12, 16, v12
	v_lshl_or_b32 v30, v30, 23, v12
.LBB257_698:                            ;   in Loop: Header=BB257_413 Depth=1
	s_or_b64 exec, exec, s[28:29]
.LBB257_699:                            ;   in Loop: Header=BB257_413 Depth=1
	s_or_b64 exec, exec, s[22:23]
.LBB257_700:                            ;   in Loop: Header=BB257_413 Depth=1
	s_or_b64 exec, exec, s[20:21]
	v_lshrrev_b32_e32 v12, 16, v25
	v_cmp_ne_u16_sdwa s[2:3], v12, v13 src0_sel:BYTE_0 src1_sel:DWORD
	s_and_saveexec_b64 s[20:21], s[2:3]
	s_cbranch_execz .LBB257_706
; %bb.701:                              ;   in Loop: Header=BB257_413 Depth=1
	v_cmp_ne_u16_sdwa s[2:3], v12, s40 src0_sel:BYTE_0 src1_sel:DWORD
	v_mov_b32_e32 v28, 0x8000
	s_and_saveexec_b64 s[22:23], s[2:3]
	s_cbranch_execz .LBB257_705
; %bb.702:                              ;   in Loop: Header=BB257_413 Depth=1
	v_bfe_u32 v31, v25, 16, 7
	v_cmp_ne_u32_e64 s[2:3], s41, v31
	v_mov_b32_e32 v28, 0x7c01
	s_and_saveexec_b64 s[28:29], s[2:3]
	s_cbranch_execz .LBB257_704
; %bb.703:                              ;   in Loop: Header=BB257_413 Depth=1
	v_and_b32_e32 v28, 7, v12
	v_ffbh_u32_e32 v58, v28
	v_min_u32_e32 v60, 32, v58
	v_subrev_u32_e32 v58, 28, v60
	v_lshlrev_b64 v[58:59], v58, v[12:13]
	v_lshrrev_b32_e32 v57, 3, v31
	v_sub_u32_e32 v59, 29, v60
	v_cmp_gt_u32_e64 s[2:3], 8, v31
	v_lshlrev_b32_e32 v12, 8, v12
	s_nop 0
	v_cndmask_b32_e64 v31, v57, v59, s[2:3]
	v_lshl_add_u32 v31, v31, 10, v41
	v_and_b32_e32 v57, 7, v58
	v_and_b32_e32 v31, 0xfc00, v31
	v_cndmask_b32_e64 v28, v28, v57, s[2:3]
	v_and_or_b32 v12, v12, s42, v31
	v_lshl_or_b32 v28, v28, 7, v12
.LBB257_704:                            ;   in Loop: Header=BB257_413 Depth=1
	s_or_b64 exec, exec, s[28:29]
.LBB257_705:                            ;   in Loop: Header=BB257_413 Depth=1
	s_or_b64 exec, exec, s[22:23]
.LBB257_706:                            ;   in Loop: Header=BB257_413 Depth=1
	s_or_b64 exec, exec, s[20:21]
	v_cmp_lt_u64_e64 s[2:3], s[12:13], v[24:25]
	v_mov_b32_e32 v24, 0
	s_and_saveexec_b64 s[20:21], s[2:3]
	s_cbranch_execz .LBB257_712
; %bb.707:                              ;   in Loop: Header=BB257_413 Depth=1
	v_lshrrev_b32_e32 v12, 24, v25
	v_cmp_ne_u32_e64 s[2:3], s40, v12
	v_bfrev_b32_e32 v24, 1
	s_and_saveexec_b64 s[22:23], s[2:3]
	s_cbranch_execz .LBB257_711
; %bb.708:                              ;   in Loop: Header=BB257_413 Depth=1
	v_and_b32_e32 v25, 0x7f, v12
	v_cmp_ne_u32_e64 s[2:3], s41, v25
	v_mov_b32_e32 v24, 0x7c010000
	s_and_saveexec_b64 s[28:29], s[2:3]
	s_cbranch_execz .LBB257_710
; %bb.709:                              ;   in Loop: Header=BB257_413 Depth=1
	v_and_b32_e32 v24, 7, v12
	v_ffbh_u32_e32 v57, v24
	v_min_u32_e32 v57, 32, v57
	v_lshrrev_b32_e32 v31, 3, v25
	v_subrev_u32_e32 v58, 28, v57
	v_sub_u32_e32 v57, 29, v57
	v_cmp_gt_u32_e64 s[2:3], 8, v25
	v_lshlrev_b64 v[58:59], v58, v[12:13]
	v_lshlrev_b32_e32 v12, 8, v12
	v_cndmask_b32_e64 v25, v31, v57, s[2:3]
	v_lshl_add_u32 v25, v25, 10, v41
	v_and_b32_e32 v31, 7, v58
	v_and_or_b32 v12, v12, s42, v25
	v_cndmask_b32_e64 v24, v24, v31, s[2:3]
	v_lshlrev_b32_e32 v12, 16, v12
	v_lshl_or_b32 v24, v24, 23, v12
.LBB257_710:                            ;   in Loop: Header=BB257_413 Depth=1
	s_or_b64 exec, exec, s[28:29]
.LBB257_711:                            ;   in Loop: Header=BB257_413 Depth=1
	s_or_b64 exec, exec, s[22:23]
.LBB257_712:                            ;   in Loop: Header=BB257_413 Depth=1
	s_or_b64 exec, exec, s[20:21]
	v_cvt_f32_f16_sdwa v59, v1 dst_sel:DWORD dst_unused:UNUSED_PAD src0_sel:WORD_1
	v_cvt_f32_f16_sdwa v58, v27 dst_sel:DWORD dst_unused:UNUSED_PAD src0_sel:WORD_1
	v_or_b32_e32 v1, v1, v23
	v_or_b32_e32 v12, v27, v26
	;; [unrolled: 1-line block ×3, first 2 shown]
	s_waitcnt vmcnt(0)
	v_pk_mul_f32 v[26:27], v[22:23], v[58:59] op_sel_hi:[0,1]
	v_cvt_f32_f16_e32 v58, v12
	v_cvt_f32_f16_e32 v59, v1
	v_cvt_pk_f16_f32 v1, v26, v27
	v_and_b32_e32 v23, 0xffff0000, v1
	v_lshlrev_b32_e32 v12, 16, v1
	v_pk_mul_f32 v[26:27], v[22:23], v[58:59] op_sel_hi:[0,1]
	v_cvt_pk_f16_f32 v1, v26, v27
	v_or_b32_e32 v27, v30, v29
	v_cvt_f32_f16_e32 v28, v28
	v_cvt_f32_f16_e32 v29, v27
	v_cvt_f32_f16_sdwa v31, v30 dst_sel:DWORD dst_unused:UNUSED_PAD src0_sel:WORD_1
	v_cvt_f32_f16_sdwa v30, v24 dst_sel:DWORD dst_unused:UNUSED_PAD src0_sel:WORD_1
	v_lshrrev_b32_e32 v25, 16, v1
	v_pk_mul_f32 v[28:29], v[22:23], v[28:29] op_sel_hi:[0,1]
	v_cvt_pk_f16_f32 v57, v28, v29
	v_pk_mul_f32 v[28:29], v[22:23], v[30:31] op_sel_hi:[0,1]
	v_cvt_pk_f16_f32 v22, v28, v29
	v_and_b32_e32 v26, 0xffff, v1
	v_and_b32_e32 v27, 0xffff0000, v22
	v_lshlrev_b32_e32 v22, 16, v22
	v_lshrrev_b32_e32 v29, 16, v57
	v_and_b32_e32 v28, 0xffff, v57
	v_or_b32_e32 v1, v23, v25
	v_or_b32_e32 v24, v12, v26
	;; [unrolled: 1-line block ×4, first 2 shown]
	s_and_saveexec_b64 s[20:21], s[0:1]
	s_cbranch_execz .LBB257_714
; %bb.713:                              ;   in Loop: Header=BB257_413 Depth=1
	v_add_u32_e32 v30, 2, v42
	v_cmp_gt_i32_e64 s[2:3], s39, v42
	v_or_b32_e32 v1, 1, v42
	v_or_b32_e32 v24, 3, v42
	v_cndmask_b32_e64 v25, 0, v25, s[2:3]
	v_cmp_gt_i32_e64 s[2:3], s33, v30
	s_nop 1
	v_cndmask_b32_e64 v26, 0, v26, s[2:3]
	v_cmp_gt_i32_e64 s[2:3], s39, v1
	s_nop 1
	v_cndmask_b32_e64 v1, 0, v23, s[2:3]
	v_cmp_gt_i32_e64 s[2:3], s33, v24
	v_or_b32_e32 v23, 6, v42
	v_or_b32_e32 v1, v1, v25
	v_cndmask_b32_e64 v12, 0, v12, s[2:3]
	v_or_b32_e32 v24, v12, v26
	v_or_b32_e32 v12, 4, v42
	v_cmp_gt_i32_e64 s[2:3], s39, v12
	v_or_b32_e32 v25, 5, v42
	v_or_b32_e32 v26, 7, v42
	v_cndmask_b32_e64 v12, 0, v29, s[2:3]
	v_cmp_gt_i32_e64 s[2:3], s33, v23
	s_nop 1
	v_cndmask_b32_e64 v23, 0, v28, s[2:3]
	v_cmp_gt_i32_e64 s[2:3], s39, v25
	s_nop 1
	v_cndmask_b32_e64 v25, 0, v27, s[2:3]
	v_cmp_gt_i32_e64 s[2:3], s33, v26
	v_or_b32_e32 v31, v25, v12
	s_nop 0
	v_cndmask_b32_e64 v22, 0, v22, s[2:3]
	v_or_b32_e32 v30, v22, v23
.LBB257_714:                            ;   in Loop: Header=BB257_413 Depth=1
	s_or_b64 exec, exec, s[20:21]
	;;#ASMSTART
	v_pk_mul_f16 v1, v48, v1;

	;;#ASMEND
	;;#ASMSTART
	v_pk_mul_f16 v12, v47, v24;

	;;#ASMEND
	;; [unrolled: 4-line block ×4, first 2 shown]
	s_nop 0
	;;#ASMSTART
	v_pk_add_f16 v1, v1, v12;

	;;#ASMEND
	s_nop 0
	;;#ASMSTART
	v_pk_add_f16 v1, v1, v22;

	;;#ASMEND
	;; [unrolled: 5-line block ×3, first 2 shown]
	s_nop 0
	v_lshrrev_b32_e32 v12, 16, v1
	v_and_b32_e32 v1, 0xffff, v1
	;;#ASMSTART
	v_cvt_f32_f16 v30, v1;
	;;#ASMEND
	;;#ASMSTART
	v_cvt_f32_f16 v31, v12;
	;;#ASMEND
	global_load_dwordx2 v[22:23], v[20:21], off offset:3072
	v_mov_b32_e32 v1, 0
	global_load_dword v20, v1, s[14:15]
	v_mov_b32_e32 v21, 0
	s_waitcnt vmcnt(1)
	v_cmp_ne_u16_sdwa s[2:3], v22, v13 src0_sel:BYTE_0 src1_sel:DWORD
	s_and_saveexec_b64 s[20:21], s[2:3]
	s_cbranch_execz .LBB257_720
; %bb.715:                              ;   in Loop: Header=BB257_413 Depth=1
	v_cmp_ne_u16_sdwa s[2:3], v22, s40 src0_sel:BYTE_0 src1_sel:DWORD
	v_mov_b32_e32 v21, 0x8000
	s_and_saveexec_b64 s[22:23], s[2:3]
	s_cbranch_execz .LBB257_719
; %bb.716:                              ;   in Loop: Header=BB257_413 Depth=1
	v_and_b32_e32 v12, 0x7f, v22
	v_cmp_ne_u32_e64 s[2:3], s41, v12
	v_mov_b32_e32 v21, 0x7c01
	s_and_saveexec_b64 s[28:29], s[2:3]
	s_cbranch_execz .LBB257_718
; %bb.717:                              ;   in Loop: Header=BB257_413 Depth=1
	v_and_b32_e32 v21, 7, v22
	v_ffbh_u32_e32 v24, v21
	v_min_u32_e32 v27, 32, v24
	v_subrev_u32_e32 v24, 28, v27
	v_lshlrev_b64 v[24:25], v24, v[22:23]
	v_lshrrev_b32_e32 v26, 3, v12
	v_sub_u32_e32 v25, 29, v27
	v_cmp_gt_u32_e64 s[2:3], 8, v12
	v_and_b32_e32 v24, 7, v24
	s_nop 0
	v_cndmask_b32_e64 v12, v26, v25, s[2:3]
	v_lshl_add_u32 v12, v12, 10, v41
	v_lshlrev_b32_e32 v25, 8, v22
	v_and_b32_e32 v12, 0xfc00, v12
	v_cndmask_b32_e64 v21, v21, v24, s[2:3]
	v_and_or_b32 v12, v25, s42, v12
	v_lshl_or_b32 v21, v21, 7, v12
.LBB257_718:                            ;   in Loop: Header=BB257_413 Depth=1
	s_or_b64 exec, exec, s[28:29]
.LBB257_719:                            ;   in Loop: Header=BB257_413 Depth=1
	s_or_b64 exec, exec, s[22:23]
.LBB257_720:                            ;   in Loop: Header=BB257_413 Depth=1
	s_or_b64 exec, exec, s[20:21]
	v_lshrrev_b16_e32 v12, 8, v22
	v_cmp_ne_u16_e64 s[2:3], 0, v12
	s_and_saveexec_b64 s[20:21], s[2:3]
	s_cbranch_execz .LBB257_726
; %bb.721:                              ;   in Loop: Header=BB257_413 Depth=1
	v_cmp_ne_u16_e64 s[2:3], s40, v12
	v_bfrev_b32_e32 v1, 1
	s_and_saveexec_b64 s[22:23], s[2:3]
	s_cbranch_execz .LBB257_725
; %bb.722:                              ;   in Loop: Header=BB257_413 Depth=1
	v_and_b32_e32 v24, 0x7f, v12
	v_cmp_ne_u32_e64 s[2:3], s41, v24
	v_mov_b32_e32 v1, 0x7c010000
	s_and_saveexec_b64 s[28:29], s[2:3]
	s_cbranch_execz .LBB257_724
; %bb.723:                              ;   in Loop: Header=BB257_413 Depth=1
	v_and_b32_e32 v1, 7, v12
	v_ffbh_u32_e32 v26, v1
	v_min_u32_e32 v28, 32, v26
	v_subrev_u32_e32 v26, 28, v28
	v_lshlrev_b64 v[26:27], v26, v[12:13]
	v_lshrrev_b32_e32 v25, 3, v24
	v_sub_u32_e32 v27, 29, v28
	v_cmp_gt_u32_e64 s[2:3], 8, v24
	v_lshlrev_b32_e32 v12, 8, v12
	s_nop 0
	v_cndmask_b32_e64 v24, v25, v27, s[2:3]
	v_lshl_add_u32 v24, v24, 10, v41
	v_and_b32_e32 v25, 7, v26
	v_and_or_b32 v12, v12, s42, v24
	v_cndmask_b32_e64 v1, v1, v25, s[2:3]
	v_lshlrev_b32_e32 v12, 16, v12
	v_lshl_or_b32 v1, v1, 23, v12
.LBB257_724:                            ;   in Loop: Header=BB257_413 Depth=1
	s_or_b64 exec, exec, s[28:29]
.LBB257_725:                            ;   in Loop: Header=BB257_413 Depth=1
	s_or_b64 exec, exec, s[22:23]
.LBB257_726:                            ;   in Loop: Header=BB257_413 Depth=1
	s_or_b64 exec, exec, s[20:21]
	v_lshrrev_b32_e32 v12, 16, v22
	v_cmp_ne_u16_sdwa s[2:3], v12, v13 src0_sel:BYTE_0 src1_sel:DWORD
	v_mov_b32_e32 v25, 0
	v_mov_b32_e32 v24, 0
	s_and_saveexec_b64 s[20:21], s[2:3]
	s_cbranch_execz .LBB257_732
; %bb.727:                              ;   in Loop: Header=BB257_413 Depth=1
	v_cmp_ne_u16_sdwa s[2:3], v12, s40 src0_sel:BYTE_0 src1_sel:DWORD
	v_mov_b32_e32 v24, 0x8000
	s_and_saveexec_b64 s[22:23], s[2:3]
	s_cbranch_execz .LBB257_731
; %bb.728:                              ;   in Loop: Header=BB257_413 Depth=1
	v_bfe_u32 v26, v22, 16, 7
	v_cmp_ne_u32_e64 s[2:3], s41, v26
	v_mov_b32_e32 v24, 0x7c01
	s_and_saveexec_b64 s[28:29], s[2:3]
	s_cbranch_execz .LBB257_730
; %bb.729:                              ;   in Loop: Header=BB257_413 Depth=1
	v_and_b32_e32 v24, 7, v12
	v_ffbh_u32_e32 v28, v24
	v_min_u32_e32 v57, 32, v28
	v_subrev_u32_e32 v28, 28, v57
	v_lshlrev_b64 v[28:29], v28, v[12:13]
	v_lshrrev_b32_e32 v27, 3, v26
	v_sub_u32_e32 v29, 29, v57
	v_cmp_gt_u32_e64 s[2:3], 8, v26
	v_lshlrev_b32_e32 v12, 8, v12
	s_nop 0
	v_cndmask_b32_e64 v26, v27, v29, s[2:3]
	v_lshl_add_u32 v26, v26, 10, v41
	v_and_b32_e32 v27, 7, v28
	v_and_b32_e32 v26, 0xfc00, v26
	v_cndmask_b32_e64 v24, v24, v27, s[2:3]
	v_and_or_b32 v12, v12, s42, v26
	v_lshl_or_b32 v24, v24, 7, v12
.LBB257_730:                            ;   in Loop: Header=BB257_413 Depth=1
	s_or_b64 exec, exec, s[28:29]
.LBB257_731:                            ;   in Loop: Header=BB257_413 Depth=1
	s_or_b64 exec, exec, s[22:23]
.LBB257_732:                            ;   in Loop: Header=BB257_413 Depth=1
	s_or_b64 exec, exec, s[20:21]
	v_cmp_lt_u32_e64 s[2:3], s13, v22
	s_and_saveexec_b64 s[20:21], s[2:3]
	s_cbranch_execz .LBB257_738
; %bb.733:                              ;   in Loop: Header=BB257_413 Depth=1
	v_lshrrev_b32_e32 v12, 24, v22
	v_cmp_ne_u32_e64 s[2:3], s40, v12
	v_bfrev_b32_e32 v25, 1
	s_and_saveexec_b64 s[22:23], s[2:3]
	s_cbranch_execz .LBB257_737
; %bb.734:                              ;   in Loop: Header=BB257_413 Depth=1
	v_and_b32_e32 v26, 0x7f, v12
	v_cmp_ne_u32_e64 s[2:3], s41, v26
	v_mov_b32_e32 v25, 0x7c010000
	s_and_saveexec_b64 s[28:29], s[2:3]
	s_cbranch_execz .LBB257_736
; %bb.735:                              ;   in Loop: Header=BB257_413 Depth=1
	v_and_b32_e32 v25, 7, v12
	v_ffbh_u32_e32 v28, v25
	v_min_u32_e32 v57, 32, v28
	v_subrev_u32_e32 v28, 28, v57
	v_lshlrev_b64 v[28:29], v28, v[12:13]
	v_lshrrev_b32_e32 v27, 3, v26
	v_sub_u32_e32 v29, 29, v57
	v_cmp_gt_u32_e64 s[2:3], 8, v26
	v_lshlrev_b32_e32 v12, 8, v12
	s_nop 0
	v_cndmask_b32_e64 v26, v27, v29, s[2:3]
	v_lshl_add_u32 v26, v26, 10, v41
	v_and_b32_e32 v27, 7, v28
	v_and_or_b32 v12, v12, s42, v26
	v_cndmask_b32_e64 v25, v25, v27, s[2:3]
	v_lshlrev_b32_e32 v12, 16, v12
	v_lshl_or_b32 v25, v25, 23, v12
.LBB257_736:                            ;   in Loop: Header=BB257_413 Depth=1
	s_or_b64 exec, exec, s[28:29]
.LBB257_737:                            ;   in Loop: Header=BB257_413 Depth=1
	s_or_b64 exec, exec, s[22:23]
.LBB257_738:                            ;   in Loop: Header=BB257_413 Depth=1
	s_or_b64 exec, exec, s[20:21]
	v_mov_b32_e32 v12, v23
	v_cmp_ne_u16_sdwa s[2:3], v23, v13 src0_sel:BYTE_0 src1_sel:DWORD
	v_mov_b32_e32 v26, 0
	v_mov_b32_e32 v27, 0
	s_and_saveexec_b64 s[20:21], s[2:3]
	s_cbranch_execz .LBB257_744
; %bb.739:                              ;   in Loop: Header=BB257_413 Depth=1
	v_cmp_ne_u16_sdwa s[2:3], v23, s40 src0_sel:BYTE_0 src1_sel:DWORD
	v_mov_b32_e32 v27, 0x8000
	s_and_saveexec_b64 s[22:23], s[2:3]
	s_cbranch_execz .LBB257_743
; %bb.740:                              ;   in Loop: Header=BB257_413 Depth=1
	v_and_b32_e32 v28, 0x7f, v23
	v_cmp_ne_u32_e64 s[2:3], s41, v28
	v_mov_b32_e32 v27, 0x7c01
	s_and_saveexec_b64 s[28:29], s[2:3]
	s_cbranch_execz .LBB257_742
; %bb.741:                              ;   in Loop: Header=BB257_413 Depth=1
	v_and_b32_e32 v27, 7, v23
	v_ffbh_u32_e32 v57, v27
	v_min_u32_e32 v57, 32, v57
	v_lshrrev_b32_e32 v29, 3, v28
	v_subrev_u32_e32 v58, 28, v57
	v_sub_u32_e32 v57, 29, v57
	v_cmp_gt_u32_e64 s[2:3], 8, v28
	v_lshlrev_b64 v[58:59], v58, v[12:13]
	s_nop 0
	v_cndmask_b32_e64 v28, v29, v57, s[2:3]
	v_lshl_add_u32 v28, v28, 10, v41
	v_lshlrev_b32_e32 v29, 8, v23
	v_and_b32_e32 v57, 7, v58
	v_and_b32_e32 v28, 0xfc00, v28
	v_cndmask_b32_e64 v27, v27, v57, s[2:3]
	v_and_or_b32 v28, v29, s42, v28
	v_lshl_or_b32 v27, v27, 7, v28
.LBB257_742:                            ;   in Loop: Header=BB257_413 Depth=1
	s_or_b64 exec, exec, s[28:29]
.LBB257_743:                            ;   in Loop: Header=BB257_413 Depth=1
	s_or_b64 exec, exec, s[22:23]
.LBB257_744:                            ;   in Loop: Header=BB257_413 Depth=1
	s_or_b64 exec, exec, s[20:21]
	v_lshrrev_b16_e32 v12, 8, v12
	v_cmp_ne_u16_e64 s[2:3], 0, v12
	v_mov_b32_e32 v28, 0
	s_and_saveexec_b64 s[20:21], s[2:3]
	s_cbranch_execz .LBB257_750
; %bb.745:                              ;   in Loop: Header=BB257_413 Depth=1
	v_cmp_ne_u16_e64 s[2:3], s40, v12
	v_bfrev_b32_e32 v28, 1
	s_and_saveexec_b64 s[22:23], s[2:3]
	s_cbranch_execz .LBB257_749
; %bb.746:                              ;   in Loop: Header=BB257_413 Depth=1
	v_and_b32_e32 v29, 0x7f, v12
	v_cmp_ne_u32_e64 s[2:3], s41, v29
	v_mov_b32_e32 v28, 0x7c010000
	s_and_saveexec_b64 s[28:29], s[2:3]
	s_cbranch_execz .LBB257_748
; %bb.747:                              ;   in Loop: Header=BB257_413 Depth=1
	v_and_b32_e32 v28, 7, v12
	v_ffbh_u32_e32 v58, v28
	v_min_u32_e32 v60, 32, v58
	v_subrev_u32_e32 v58, 28, v60
	v_lshlrev_b64 v[58:59], v58, v[12:13]
	v_lshrrev_b32_e32 v57, 3, v29
	v_sub_u32_e32 v59, 29, v60
	v_cmp_gt_u32_e64 s[2:3], 8, v29
	v_lshlrev_b32_e32 v12, 8, v12
	s_nop 0
	v_cndmask_b32_e64 v29, v57, v59, s[2:3]
	v_lshl_add_u32 v29, v29, 10, v41
	v_and_b32_e32 v57, 7, v58
	v_and_or_b32 v12, v12, s42, v29
	v_cndmask_b32_e64 v28, v28, v57, s[2:3]
	v_lshlrev_b32_e32 v12, 16, v12
	v_lshl_or_b32 v28, v28, 23, v12
.LBB257_748:                            ;   in Loop: Header=BB257_413 Depth=1
	s_or_b64 exec, exec, s[28:29]
.LBB257_749:                            ;   in Loop: Header=BB257_413 Depth=1
	s_or_b64 exec, exec, s[22:23]
.LBB257_750:                            ;   in Loop: Header=BB257_413 Depth=1
	s_or_b64 exec, exec, s[20:21]
	v_lshrrev_b32_e32 v12, 16, v23
	v_cmp_ne_u16_sdwa s[2:3], v12, v13 src0_sel:BYTE_0 src1_sel:DWORD
	s_and_saveexec_b64 s[20:21], s[2:3]
	s_cbranch_execz .LBB257_756
; %bb.751:                              ;   in Loop: Header=BB257_413 Depth=1
	v_cmp_ne_u16_sdwa s[2:3], v12, s40 src0_sel:BYTE_0 src1_sel:DWORD
	v_mov_b32_e32 v26, 0x8000
	s_and_saveexec_b64 s[22:23], s[2:3]
	s_cbranch_execz .LBB257_755
; %bb.752:                              ;   in Loop: Header=BB257_413 Depth=1
	v_bfe_u32 v29, v23, 16, 7
	v_cmp_ne_u32_e64 s[2:3], s41, v29
	v_mov_b32_e32 v26, 0x7c01
	s_and_saveexec_b64 s[28:29], s[2:3]
	s_cbranch_execz .LBB257_754
; %bb.753:                              ;   in Loop: Header=BB257_413 Depth=1
	v_and_b32_e32 v26, 7, v12
	v_ffbh_u32_e32 v58, v26
	v_min_u32_e32 v60, 32, v58
	v_subrev_u32_e32 v58, 28, v60
	v_lshlrev_b64 v[58:59], v58, v[12:13]
	v_lshrrev_b32_e32 v57, 3, v29
	v_sub_u32_e32 v59, 29, v60
	v_cmp_gt_u32_e64 s[2:3], 8, v29
	v_lshlrev_b32_e32 v12, 8, v12
	s_nop 0
	v_cndmask_b32_e64 v29, v57, v59, s[2:3]
	v_lshl_add_u32 v29, v29, 10, v41
	v_and_b32_e32 v57, 7, v58
	v_and_b32_e32 v29, 0xfc00, v29
	v_cndmask_b32_e64 v26, v26, v57, s[2:3]
	v_and_or_b32 v12, v12, s42, v29
	v_lshl_or_b32 v26, v26, 7, v12
.LBB257_754:                            ;   in Loop: Header=BB257_413 Depth=1
	s_or_b64 exec, exec, s[28:29]
.LBB257_755:                            ;   in Loop: Header=BB257_413 Depth=1
	s_or_b64 exec, exec, s[22:23]
.LBB257_756:                            ;   in Loop: Header=BB257_413 Depth=1
	s_or_b64 exec, exec, s[20:21]
	v_cmp_lt_u64_e64 s[2:3], s[12:13], v[22:23]
	v_mov_b32_e32 v22, 0
	s_and_saveexec_b64 s[20:21], s[2:3]
	s_cbranch_execz .LBB257_762
; %bb.757:                              ;   in Loop: Header=BB257_413 Depth=1
	v_lshrrev_b32_e32 v12, 24, v23
	v_cmp_ne_u32_e64 s[2:3], s40, v12
	v_bfrev_b32_e32 v22, 1
	s_and_saveexec_b64 s[22:23], s[2:3]
	s_cbranch_execz .LBB257_761
; %bb.758:                              ;   in Loop: Header=BB257_413 Depth=1
	v_and_b32_e32 v23, 0x7f, v12
	v_cmp_ne_u32_e64 s[2:3], s41, v23
	v_mov_b32_e32 v22, 0x7c010000
	s_and_saveexec_b64 s[28:29], s[2:3]
	s_cbranch_execz .LBB257_760
; %bb.759:                              ;   in Loop: Header=BB257_413 Depth=1
	v_and_b32_e32 v22, 7, v12
	v_ffbh_u32_e32 v57, v22
	v_min_u32_e32 v57, 32, v57
	v_lshrrev_b32_e32 v29, 3, v23
	v_subrev_u32_e32 v58, 28, v57
	v_sub_u32_e32 v57, 29, v57
	v_cmp_gt_u32_e64 s[2:3], 8, v23
	v_lshlrev_b64 v[58:59], v58, v[12:13]
	v_lshlrev_b32_e32 v12, 8, v12
	v_cndmask_b32_e64 v23, v29, v57, s[2:3]
	v_lshl_add_u32 v23, v23, 10, v41
	v_and_b32_e32 v29, 7, v58
	v_and_or_b32 v12, v12, s42, v23
	v_cndmask_b32_e64 v22, v22, v29, s[2:3]
	v_lshlrev_b32_e32 v12, 16, v12
	v_lshl_or_b32 v22, v22, 23, v12
.LBB257_760:                            ;   in Loop: Header=BB257_413 Depth=1
	s_or_b64 exec, exec, s[28:29]
.LBB257_761:                            ;   in Loop: Header=BB257_413 Depth=1
	s_or_b64 exec, exec, s[22:23]
.LBB257_762:                            ;   in Loop: Header=BB257_413 Depth=1
	s_or_b64 exec, exec, s[20:21]
	v_cvt_f32_f16_sdwa v59, v1 dst_sel:DWORD dst_unused:UNUSED_PAD src0_sel:WORD_1
	v_cvt_f32_f16_sdwa v58, v25 dst_sel:DWORD dst_unused:UNUSED_PAD src0_sel:WORD_1
	v_or_b32_e32 v1, v1, v21
	v_or_b32_e32 v12, v25, v24
	;; [unrolled: 1-line block ×3, first 2 shown]
	s_waitcnt vmcnt(0)
	v_pk_mul_f32 v[24:25], v[20:21], v[58:59] op_sel_hi:[0,1]
	v_cvt_f32_f16_e32 v58, v12
	v_cvt_f32_f16_e32 v59, v1
	v_cvt_pk_f16_f32 v1, v24, v25
	v_and_b32_e32 v21, 0xffff0000, v1
	v_lshlrev_b32_e32 v12, 16, v1
	v_pk_mul_f32 v[24:25], v[20:21], v[58:59] op_sel_hi:[0,1]
	v_cvt_pk_f16_f32 v1, v24, v25
	v_or_b32_e32 v25, v28, v27
	v_cvt_f32_f16_e32 v26, v26
	v_cvt_f32_f16_e32 v27, v25
	v_cvt_f32_f16_sdwa v29, v28 dst_sel:DWORD dst_unused:UNUSED_PAD src0_sel:WORD_1
	v_cvt_f32_f16_sdwa v28, v22 dst_sel:DWORD dst_unused:UNUSED_PAD src0_sel:WORD_1
	v_lshrrev_b32_e32 v23, 16, v1
	v_pk_mul_f32 v[26:27], v[20:21], v[26:27] op_sel_hi:[0,1]
	v_cvt_pk_f16_f32 v57, v26, v27
	v_pk_mul_f32 v[26:27], v[20:21], v[28:29] op_sel_hi:[0,1]
	v_cvt_pk_f16_f32 v20, v26, v27
	v_and_b32_e32 v24, 0xffff, v1
	v_and_b32_e32 v25, 0xffff0000, v20
	v_lshlrev_b32_e32 v20, 16, v20
	v_lshrrev_b32_e32 v27, 16, v57
	v_and_b32_e32 v26, 0xffff, v57
	v_or_b32_e32 v1, v21, v23
	v_or_b32_e32 v22, v12, v24
	;; [unrolled: 1-line block ×4, first 2 shown]
	s_and_saveexec_b64 s[20:21], s[0:1]
	s_cbranch_execz .LBB257_764
; %bb.763:                              ;   in Loop: Header=BB257_413 Depth=1
	v_add_u32_e32 v28, 2, v42
	v_cmp_gt_i32_e64 s[2:3], s39, v42
	v_or_b32_e32 v1, 1, v42
	v_or_b32_e32 v22, 3, v42
	v_cndmask_b32_e64 v23, 0, v23, s[2:3]
	v_cmp_gt_i32_e64 s[2:3], s33, v28
	s_nop 1
	v_cndmask_b32_e64 v24, 0, v24, s[2:3]
	v_cmp_gt_i32_e64 s[2:3], s39, v1
	s_nop 1
	v_cndmask_b32_e64 v1, 0, v21, s[2:3]
	v_cmp_gt_i32_e64 s[2:3], s33, v22
	v_or_b32_e32 v21, 6, v42
	v_or_b32_e32 v1, v1, v23
	v_cndmask_b32_e64 v12, 0, v12, s[2:3]
	v_or_b32_e32 v22, v12, v24
	v_or_b32_e32 v12, 4, v42
	v_cmp_gt_i32_e64 s[2:3], s39, v12
	v_or_b32_e32 v23, 5, v42
	v_or_b32_e32 v24, 7, v42
	v_cndmask_b32_e64 v12, 0, v27, s[2:3]
	v_cmp_gt_i32_e64 s[2:3], s33, v21
	s_nop 1
	v_cndmask_b32_e64 v21, 0, v26, s[2:3]
	v_cmp_gt_i32_e64 s[2:3], s39, v23
	s_nop 1
	v_cndmask_b32_e64 v23, 0, v25, s[2:3]
	v_cmp_gt_i32_e64 s[2:3], s33, v24
	v_or_b32_e32 v29, v23, v12
	s_nop 0
	v_cndmask_b32_e64 v20, 0, v20, s[2:3]
	v_or_b32_e32 v28, v20, v21
.LBB257_764:                            ;   in Loop: Header=BB257_413 Depth=1
	s_or_b64 exec, exec, s[20:21]
	;;#ASMSTART
	v_pk_mul_f16 v1, v48, v1;

	;;#ASMEND
	;;#ASMSTART
	v_pk_mul_f16 v12, v47, v22;

	;;#ASMEND
	;; [unrolled: 4-line block ×4, first 2 shown]
	s_nop 0
	;;#ASMSTART
	v_pk_add_f16 v1, v1, v12;

	;;#ASMEND
	s_nop 0
	;;#ASMSTART
	v_pk_add_f16 v1, v1, v20;

	;;#ASMEND
	;; [unrolled: 5-line block ×3, first 2 shown]
	s_nop 0
	v_lshrrev_b32_e32 v12, 16, v1
	v_and_b32_e32 v1, 0xffff, v1
	;;#ASMSTART
	v_cvt_f32_f16 v28, v1;
	;;#ASMEND
	;;#ASMSTART
	v_cvt_f32_f16 v29, v12;
	;;#ASMEND
	s_and_saveexec_b64 s[20:21], vcc
	s_cbranch_execz .LBB257_411
; %bb.765:                              ;   in Loop: Header=BB257_413 Depth=1
	v_lshl_add_u64 v[18:19], v[18:19], 0, v[14:15]
	global_load_dwordx2 v[20:21], v[18:19], off
	v_mov_b32_e32 v1, 0
	global_load_dword v18, v1, s[14:15]
	v_mov_b32_e32 v19, 0
	s_waitcnt vmcnt(1)
	v_cmp_ne_u16_sdwa s[2:3], v20, v13 src0_sel:BYTE_0 src1_sel:DWORD
	s_and_saveexec_b64 s[22:23], s[2:3]
	s_cbranch_execz .LBB257_771
; %bb.766:                              ;   in Loop: Header=BB257_413 Depth=1
	v_cmp_ne_u16_sdwa s[2:3], v20, s40 src0_sel:BYTE_0 src1_sel:DWORD
	v_mov_b32_e32 v19, 0x8000
	s_and_saveexec_b64 s[28:29], s[2:3]
	s_cbranch_execz .LBB257_770
; %bb.767:                              ;   in Loop: Header=BB257_413 Depth=1
	v_and_b32_e32 v12, 0x7f, v20
	v_cmp_ne_u32_e64 s[2:3], s41, v12
	v_mov_b32_e32 v19, 0x7c01
	s_and_saveexec_b64 s[30:31], s[2:3]
	s_cbranch_execz .LBB257_769
; %bb.768:                              ;   in Loop: Header=BB257_413 Depth=1
	v_and_b32_e32 v19, 7, v20
	v_ffbh_u32_e32 v22, v19
	v_min_u32_e32 v25, 32, v22
	v_subrev_u32_e32 v22, 28, v25
	v_lshlrev_b64 v[22:23], v22, v[20:21]
	v_lshrrev_b32_e32 v24, 3, v12
	v_sub_u32_e32 v23, 29, v25
	v_cmp_gt_u32_e64 s[2:3], 8, v12
	v_and_b32_e32 v22, 7, v22
	s_nop 0
	v_cndmask_b32_e64 v12, v24, v23, s[2:3]
	v_lshl_add_u32 v12, v12, 10, v41
	v_lshlrev_b32_e32 v23, 8, v20
	v_and_b32_e32 v12, 0xfc00, v12
	v_cndmask_b32_e64 v19, v19, v22, s[2:3]
	v_and_or_b32 v12, v23, s42, v12
	v_lshl_or_b32 v19, v19, 7, v12
.LBB257_769:                            ;   in Loop: Header=BB257_413 Depth=1
	s_or_b64 exec, exec, s[30:31]
.LBB257_770:                            ;   in Loop: Header=BB257_413 Depth=1
	s_or_b64 exec, exec, s[28:29]
.LBB257_771:                            ;   in Loop: Header=BB257_413 Depth=1
	s_or_b64 exec, exec, s[22:23]
	v_lshrrev_b16_e32 v12, 8, v20
	v_cmp_ne_u16_e64 s[2:3], 0, v12
	s_and_saveexec_b64 s[22:23], s[2:3]
	s_cbranch_execz .LBB257_777
; %bb.772:                              ;   in Loop: Header=BB257_413 Depth=1
	v_cmp_ne_u16_e64 s[2:3], s40, v12
	v_bfrev_b32_e32 v1, 1
	s_and_saveexec_b64 s[28:29], s[2:3]
	s_cbranch_execz .LBB257_776
; %bb.773:                              ;   in Loop: Header=BB257_413 Depth=1
	v_and_b32_e32 v22, 0x7f, v12
	v_cmp_ne_u32_e64 s[2:3], s41, v22
	v_mov_b32_e32 v1, 0x7c010000
	s_and_saveexec_b64 s[30:31], s[2:3]
	s_cbranch_execz .LBB257_775
; %bb.774:                              ;   in Loop: Header=BB257_413 Depth=1
	v_and_b32_e32 v1, 7, v12
	v_ffbh_u32_e32 v24, v1
	v_min_u32_e32 v26, 32, v24
	v_subrev_u32_e32 v24, 28, v26
	v_lshlrev_b64 v[24:25], v24, v[12:13]
	v_lshrrev_b32_e32 v23, 3, v22
	v_sub_u32_e32 v25, 29, v26
	v_cmp_gt_u32_e64 s[2:3], 8, v22
	v_lshlrev_b32_e32 v12, 8, v12
	s_nop 0
	v_cndmask_b32_e64 v22, v23, v25, s[2:3]
	v_lshl_add_u32 v22, v22, 10, v41
	v_and_b32_e32 v23, 7, v24
	v_and_or_b32 v12, v12, s42, v22
	v_cndmask_b32_e64 v1, v1, v23, s[2:3]
	v_lshlrev_b32_e32 v12, 16, v12
	v_lshl_or_b32 v1, v1, 23, v12
.LBB257_775:                            ;   in Loop: Header=BB257_413 Depth=1
	s_or_b64 exec, exec, s[30:31]
.LBB257_776:                            ;   in Loop: Header=BB257_413 Depth=1
	s_or_b64 exec, exec, s[28:29]
.LBB257_777:                            ;   in Loop: Header=BB257_413 Depth=1
	s_or_b64 exec, exec, s[22:23]
	v_lshrrev_b32_e32 v12, 16, v20
	v_cmp_ne_u16_sdwa s[2:3], v12, v13 src0_sel:BYTE_0 src1_sel:DWORD
	v_mov_b32_e32 v23, 0
	v_mov_b32_e32 v22, 0
	s_and_saveexec_b64 s[22:23], s[2:3]
	s_cbranch_execz .LBB257_783
; %bb.778:                              ;   in Loop: Header=BB257_413 Depth=1
	v_cmp_ne_u16_sdwa s[2:3], v12, s40 src0_sel:BYTE_0 src1_sel:DWORD
	v_mov_b32_e32 v22, 0x8000
	s_and_saveexec_b64 s[28:29], s[2:3]
	s_cbranch_execz .LBB257_782
; %bb.779:                              ;   in Loop: Header=BB257_413 Depth=1
	v_bfe_u32 v24, v20, 16, 7
	v_cmp_ne_u32_e64 s[2:3], s41, v24
	v_mov_b32_e32 v22, 0x7c01
	s_and_saveexec_b64 s[30:31], s[2:3]
	s_cbranch_execz .LBB257_781
; %bb.780:                              ;   in Loop: Header=BB257_413 Depth=1
	v_and_b32_e32 v22, 7, v12
	v_ffbh_u32_e32 v26, v22
	v_min_u32_e32 v57, 32, v26
	v_subrev_u32_e32 v26, 28, v57
	v_lshlrev_b64 v[26:27], v26, v[12:13]
	v_lshrrev_b32_e32 v25, 3, v24
	v_sub_u32_e32 v27, 29, v57
	v_cmp_gt_u32_e64 s[2:3], 8, v24
	v_lshlrev_b32_e32 v12, 8, v12
	s_nop 0
	v_cndmask_b32_e64 v24, v25, v27, s[2:3]
	v_lshl_add_u32 v24, v24, 10, v41
	v_and_b32_e32 v25, 7, v26
	v_and_b32_e32 v24, 0xfc00, v24
	v_cndmask_b32_e64 v22, v22, v25, s[2:3]
	v_and_or_b32 v12, v12, s42, v24
	v_lshl_or_b32 v22, v22, 7, v12
.LBB257_781:                            ;   in Loop: Header=BB257_413 Depth=1
	s_or_b64 exec, exec, s[30:31]
.LBB257_782:                            ;   in Loop: Header=BB257_413 Depth=1
	s_or_b64 exec, exec, s[28:29]
.LBB257_783:                            ;   in Loop: Header=BB257_413 Depth=1
	s_or_b64 exec, exec, s[22:23]
	v_cmp_lt_u32_e64 s[2:3], s13, v20
	s_and_saveexec_b64 s[22:23], s[2:3]
	s_cbranch_execz .LBB257_789
; %bb.784:                              ;   in Loop: Header=BB257_413 Depth=1
	v_lshrrev_b32_e32 v12, 24, v20
	v_cmp_ne_u32_e64 s[2:3], s40, v12
	v_bfrev_b32_e32 v23, 1
	s_and_saveexec_b64 s[28:29], s[2:3]
	s_cbranch_execz .LBB257_788
; %bb.785:                              ;   in Loop: Header=BB257_413 Depth=1
	v_and_b32_e32 v24, 0x7f, v12
	v_cmp_ne_u32_e64 s[2:3], s41, v24
	v_mov_b32_e32 v23, 0x7c010000
	s_and_saveexec_b64 s[30:31], s[2:3]
	s_cbranch_execz .LBB257_787
; %bb.786:                              ;   in Loop: Header=BB257_413 Depth=1
	v_and_b32_e32 v23, 7, v12
	v_ffbh_u32_e32 v26, v23
	v_min_u32_e32 v57, 32, v26
	v_subrev_u32_e32 v26, 28, v57
	v_lshlrev_b64 v[26:27], v26, v[12:13]
	v_lshrrev_b32_e32 v25, 3, v24
	v_sub_u32_e32 v27, 29, v57
	v_cmp_gt_u32_e64 s[2:3], 8, v24
	v_lshlrev_b32_e32 v12, 8, v12
	s_nop 0
	v_cndmask_b32_e64 v24, v25, v27, s[2:3]
	v_lshl_add_u32 v24, v24, 10, v41
	v_and_b32_e32 v25, 7, v26
	v_and_or_b32 v12, v12, s42, v24
	v_cndmask_b32_e64 v23, v23, v25, s[2:3]
	v_lshlrev_b32_e32 v12, 16, v12
	v_lshl_or_b32 v23, v23, 23, v12
.LBB257_787:                            ;   in Loop: Header=BB257_413 Depth=1
	s_or_b64 exec, exec, s[30:31]
.LBB257_788:                            ;   in Loop: Header=BB257_413 Depth=1
	s_or_b64 exec, exec, s[28:29]
.LBB257_789:                            ;   in Loop: Header=BB257_413 Depth=1
	s_or_b64 exec, exec, s[22:23]
	v_mov_b32_e32 v12, v21
	v_cmp_ne_u16_sdwa s[2:3], v21, v13 src0_sel:BYTE_0 src1_sel:DWORD
	v_mov_b32_e32 v24, 0
	v_mov_b32_e32 v25, 0
	s_and_saveexec_b64 s[22:23], s[2:3]
	s_cbranch_execz .LBB257_795
; %bb.790:                              ;   in Loop: Header=BB257_413 Depth=1
	v_cmp_ne_u16_sdwa s[2:3], v21, s40 src0_sel:BYTE_0 src1_sel:DWORD
	v_mov_b32_e32 v25, 0x8000
	s_and_saveexec_b64 s[28:29], s[2:3]
	s_cbranch_execz .LBB257_794
; %bb.791:                              ;   in Loop: Header=BB257_413 Depth=1
	v_and_b32_e32 v26, 0x7f, v21
	v_cmp_ne_u32_e64 s[2:3], s41, v26
	v_mov_b32_e32 v25, 0x7c01
	s_and_saveexec_b64 s[30:31], s[2:3]
	s_cbranch_execz .LBB257_793
; %bb.792:                              ;   in Loop: Header=BB257_413 Depth=1
	v_and_b32_e32 v25, 7, v21
	v_ffbh_u32_e32 v57, v25
	v_min_u32_e32 v57, 32, v57
	v_lshrrev_b32_e32 v27, 3, v26
	v_subrev_u32_e32 v58, 28, v57
	v_sub_u32_e32 v57, 29, v57
	v_cmp_gt_u32_e64 s[2:3], 8, v26
	v_lshlrev_b64 v[58:59], v58, v[12:13]
	s_nop 0
	v_cndmask_b32_e64 v26, v27, v57, s[2:3]
	v_lshl_add_u32 v26, v26, 10, v41
	v_lshlrev_b32_e32 v27, 8, v21
	v_and_b32_e32 v57, 7, v58
	v_and_b32_e32 v26, 0xfc00, v26
	v_cndmask_b32_e64 v25, v25, v57, s[2:3]
	v_and_or_b32 v26, v27, s42, v26
	v_lshl_or_b32 v25, v25, 7, v26
.LBB257_793:                            ;   in Loop: Header=BB257_413 Depth=1
	s_or_b64 exec, exec, s[30:31]
.LBB257_794:                            ;   in Loop: Header=BB257_413 Depth=1
	s_or_b64 exec, exec, s[28:29]
.LBB257_795:                            ;   in Loop: Header=BB257_413 Depth=1
	s_or_b64 exec, exec, s[22:23]
	v_lshrrev_b16_e32 v12, 8, v12
	v_cmp_ne_u16_e64 s[2:3], 0, v12
	v_mov_b32_e32 v26, 0
	s_and_saveexec_b64 s[22:23], s[2:3]
	s_cbranch_execz .LBB257_801
; %bb.796:                              ;   in Loop: Header=BB257_413 Depth=1
	v_cmp_ne_u16_e64 s[2:3], s40, v12
	v_bfrev_b32_e32 v26, 1
	s_and_saveexec_b64 s[28:29], s[2:3]
	s_cbranch_execz .LBB257_800
; %bb.797:                              ;   in Loop: Header=BB257_413 Depth=1
	v_and_b32_e32 v27, 0x7f, v12
	v_cmp_ne_u32_e64 s[2:3], s41, v27
	v_mov_b32_e32 v26, 0x7c010000
	s_and_saveexec_b64 s[30:31], s[2:3]
	s_cbranch_execz .LBB257_799
; %bb.798:                              ;   in Loop: Header=BB257_413 Depth=1
	v_and_b32_e32 v26, 7, v12
	v_ffbh_u32_e32 v58, v26
	v_min_u32_e32 v60, 32, v58
	v_subrev_u32_e32 v58, 28, v60
	v_lshlrev_b64 v[58:59], v58, v[12:13]
	v_lshrrev_b32_e32 v57, 3, v27
	v_sub_u32_e32 v59, 29, v60
	v_cmp_gt_u32_e64 s[2:3], 8, v27
	v_lshlrev_b32_e32 v12, 8, v12
	s_nop 0
	v_cndmask_b32_e64 v27, v57, v59, s[2:3]
	v_lshl_add_u32 v27, v27, 10, v41
	v_and_b32_e32 v57, 7, v58
	v_and_or_b32 v12, v12, s42, v27
	v_cndmask_b32_e64 v26, v26, v57, s[2:3]
	v_lshlrev_b32_e32 v12, 16, v12
	v_lshl_or_b32 v26, v26, 23, v12
.LBB257_799:                            ;   in Loop: Header=BB257_413 Depth=1
	s_or_b64 exec, exec, s[30:31]
.LBB257_800:                            ;   in Loop: Header=BB257_413 Depth=1
	s_or_b64 exec, exec, s[28:29]
.LBB257_801:                            ;   in Loop: Header=BB257_413 Depth=1
	s_or_b64 exec, exec, s[22:23]
	v_lshrrev_b32_e32 v12, 16, v21
	v_cmp_ne_u16_sdwa s[2:3], v12, v13 src0_sel:BYTE_0 src1_sel:DWORD
	s_and_saveexec_b64 s[22:23], s[2:3]
	s_cbranch_execz .LBB257_807
; %bb.802:                              ;   in Loop: Header=BB257_413 Depth=1
	v_cmp_ne_u16_sdwa s[2:3], v12, s40 src0_sel:BYTE_0 src1_sel:DWORD
	v_mov_b32_e32 v24, 0x8000
	s_and_saveexec_b64 s[28:29], s[2:3]
	s_cbranch_execz .LBB257_806
; %bb.803:                              ;   in Loop: Header=BB257_413 Depth=1
	v_bfe_u32 v27, v21, 16, 7
	v_cmp_ne_u32_e64 s[2:3], s41, v27
	v_mov_b32_e32 v24, 0x7c01
	s_and_saveexec_b64 s[30:31], s[2:3]
	s_cbranch_execz .LBB257_805
; %bb.804:                              ;   in Loop: Header=BB257_413 Depth=1
	v_and_b32_e32 v24, 7, v12
	v_ffbh_u32_e32 v58, v24
	v_min_u32_e32 v60, 32, v58
	v_subrev_u32_e32 v58, 28, v60
	v_lshlrev_b64 v[58:59], v58, v[12:13]
	v_lshrrev_b32_e32 v57, 3, v27
	v_sub_u32_e32 v59, 29, v60
	v_cmp_gt_u32_e64 s[2:3], 8, v27
	v_lshlrev_b32_e32 v12, 8, v12
	s_nop 0
	v_cndmask_b32_e64 v27, v57, v59, s[2:3]
	v_lshl_add_u32 v27, v27, 10, v41
	v_and_b32_e32 v57, 7, v58
	v_and_b32_e32 v27, 0xfc00, v27
	v_cndmask_b32_e64 v24, v24, v57, s[2:3]
	v_and_or_b32 v12, v12, s42, v27
	v_lshl_or_b32 v24, v24, 7, v12
.LBB257_805:                            ;   in Loop: Header=BB257_413 Depth=1
	s_or_b64 exec, exec, s[30:31]
.LBB257_806:                            ;   in Loop: Header=BB257_413 Depth=1
	s_or_b64 exec, exec, s[28:29]
.LBB257_807:                            ;   in Loop: Header=BB257_413 Depth=1
	s_or_b64 exec, exec, s[22:23]
	v_cmp_lt_u64_e64 s[2:3], s[12:13], v[20:21]
	v_mov_b32_e32 v20, 0
	s_and_saveexec_b64 s[22:23], s[2:3]
	s_cbranch_execz .LBB257_813
; %bb.808:                              ;   in Loop: Header=BB257_413 Depth=1
	v_lshrrev_b32_e32 v12, 24, v21
	v_cmp_ne_u32_e64 s[2:3], s40, v12
	v_bfrev_b32_e32 v20, 1
	s_and_saveexec_b64 s[28:29], s[2:3]
	s_cbranch_execz .LBB257_812
; %bb.809:                              ;   in Loop: Header=BB257_413 Depth=1
	v_and_b32_e32 v21, 0x7f, v12
	v_cmp_ne_u32_e64 s[2:3], s41, v21
	v_mov_b32_e32 v20, 0x7c010000
	s_and_saveexec_b64 s[30:31], s[2:3]
	s_cbranch_execz .LBB257_811
; %bb.810:                              ;   in Loop: Header=BB257_413 Depth=1
	v_and_b32_e32 v20, 7, v12
	v_ffbh_u32_e32 v57, v20
	v_min_u32_e32 v57, 32, v57
	v_lshrrev_b32_e32 v27, 3, v21
	v_subrev_u32_e32 v58, 28, v57
	v_sub_u32_e32 v57, 29, v57
	v_cmp_gt_u32_e64 s[2:3], 8, v21
	v_lshlrev_b64 v[58:59], v58, v[12:13]
	v_lshlrev_b32_e32 v12, 8, v12
	v_cndmask_b32_e64 v21, v27, v57, s[2:3]
	v_lshl_add_u32 v21, v21, 10, v41
	v_and_b32_e32 v27, 7, v58
	v_and_or_b32 v12, v12, s42, v21
	v_cndmask_b32_e64 v20, v20, v27, s[2:3]
	v_lshlrev_b32_e32 v12, 16, v12
	v_lshl_or_b32 v20, v20, 23, v12
.LBB257_811:                            ;   in Loop: Header=BB257_413 Depth=1
	s_or_b64 exec, exec, s[30:31]
.LBB257_812:                            ;   in Loop: Header=BB257_413 Depth=1
	s_or_b64 exec, exec, s[28:29]
.LBB257_813:                            ;   in Loop: Header=BB257_413 Depth=1
	s_or_b64 exec, exec, s[22:23]
	v_cvt_f32_f16_sdwa v59, v1 dst_sel:DWORD dst_unused:UNUSED_PAD src0_sel:WORD_1
	v_cvt_f32_f16_sdwa v58, v23 dst_sel:DWORD dst_unused:UNUSED_PAD src0_sel:WORD_1
	v_or_b32_e32 v1, v1, v19
	v_or_b32_e32 v12, v23, v22
	v_or_b32_e32 v24, v20, v24
	s_waitcnt vmcnt(0)
	v_pk_mul_f32 v[22:23], v[18:19], v[58:59] op_sel_hi:[0,1]
	v_cvt_f32_f16_e32 v58, v12
	v_cvt_f32_f16_e32 v59, v1
	v_cvt_pk_f16_f32 v1, v22, v23
	v_and_b32_e32 v19, 0xffff0000, v1
	v_lshlrev_b32_e32 v12, 16, v1
	v_pk_mul_f32 v[22:23], v[18:19], v[58:59] op_sel_hi:[0,1]
	v_cvt_pk_f16_f32 v1, v22, v23
	v_or_b32_e32 v23, v26, v25
	v_cvt_f32_f16_e32 v24, v24
	v_cvt_f32_f16_e32 v25, v23
	v_cvt_f32_f16_sdwa v27, v26 dst_sel:DWORD dst_unused:UNUSED_PAD src0_sel:WORD_1
	v_cvt_f32_f16_sdwa v26, v20 dst_sel:DWORD dst_unused:UNUSED_PAD src0_sel:WORD_1
	v_lshrrev_b32_e32 v21, 16, v1
	v_pk_mul_f32 v[24:25], v[18:19], v[24:25] op_sel_hi:[0,1]
	v_cvt_pk_f16_f32 v57, v24, v25
	v_pk_mul_f32 v[24:25], v[18:19], v[26:27] op_sel_hi:[0,1]
	v_cvt_pk_f16_f32 v18, v24, v25
	v_and_b32_e32 v22, 0xffff, v1
	v_and_b32_e32 v23, 0xffff0000, v18
	v_lshlrev_b32_e32 v18, 16, v18
	v_lshrrev_b32_e32 v25, 16, v57
	v_and_b32_e32 v24, 0xffff, v57
	v_or_b32_e32 v1, v19, v21
	v_or_b32_e32 v20, v12, v22
	;; [unrolled: 1-line block ×4, first 2 shown]
	s_and_saveexec_b64 s[2:3], s[0:1]
	s_cbranch_execz .LBB257_410
; %bb.814:                              ;   in Loop: Header=BB257_413 Depth=1
	v_add_u32_e32 v26, 2, v42
	v_cmp_gt_i32_e64 s[0:1], s39, v42
	v_or_b32_e32 v1, 1, v42
	v_or_b32_e32 v20, 3, v42
	v_cndmask_b32_e64 v21, 0, v21, s[0:1]
	v_cmp_gt_i32_e64 s[0:1], s33, v26
	s_nop 1
	v_cndmask_b32_e64 v22, 0, v22, s[0:1]
	v_cmp_gt_i32_e64 s[0:1], s39, v1
	s_nop 1
	v_cndmask_b32_e64 v1, 0, v19, s[0:1]
	v_cmp_gt_i32_e64 s[0:1], s33, v20
	v_or_b32_e32 v19, 6, v42
	v_or_b32_e32 v1, v1, v21
	v_cndmask_b32_e64 v12, 0, v12, s[0:1]
	v_or_b32_e32 v20, v12, v22
	v_or_b32_e32 v12, 4, v42
	v_cmp_gt_i32_e64 s[0:1], s39, v12
	v_or_b32_e32 v21, 5, v42
	v_or_b32_e32 v22, 7, v42
	v_cndmask_b32_e64 v12, 0, v25, s[0:1]
	v_cmp_gt_i32_e64 s[0:1], s33, v19
	s_nop 1
	v_cndmask_b32_e64 v19, 0, v24, s[0:1]
	v_cmp_gt_i32_e64 s[0:1], s39, v21
	s_nop 1
	v_cndmask_b32_e64 v21, 0, v23, s[0:1]
	v_cmp_gt_i32_e64 s[0:1], s33, v22
	v_or_b32_e32 v27, v21, v12
	s_nop 0
	v_cndmask_b32_e64 v18, 0, v18, s[0:1]
	v_or_b32_e32 v26, v18, v19
	s_branch .LBB257_410
.LBB257_815:
	s_or_b64 exec, exec, s[16:17]
.LBB257_816:
	s_or_b64 exec, exec, s[6:7]
	ds_bpermute_b32 v12, v34, v6
	ds_bpermute_b32 v13, v34, v7
	;; [unrolled: 1-line block ×6, first 2 shown]
	s_waitcnt lgkmcnt(4)
	v_pk_add_f32 v[6:7], v[6:7], v[12:13]
	ds_bpermute_b32 v12, v34, v4
	ds_bpermute_b32 v13, v34, v5
	s_waitcnt lgkmcnt(4)
	v_pk_add_f32 v[8:9], v[8:9], v[10:11]
	s_waitcnt lgkmcnt(2)
	v_pk_add_f32 v[2:3], v[2:3], v[16:17]
	ds_bpermute_b32 v10, v35, v8
	ds_bpermute_b32 v11, v35, v9
	s_waitcnt lgkmcnt(2)
	v_pk_add_f32 v[4:5], v[4:5], v[12:13]
	ds_bpermute_b32 v14, v35, v6
	ds_bpermute_b32 v15, v35, v7
	ds_bpermute_b32 v12, v35, v4
	ds_bpermute_b32 v13, v35, v5
	ds_bpermute_b32 v16, v35, v2
	ds_bpermute_b32 v17, v35, v3
	v_and_b32_e32 v1, 0x3c0, v0
	s_waitcnt lgkmcnt(6)
	v_pk_add_f32 v[8:9], v[8:9], v[10:11]
	s_waitcnt lgkmcnt(4)
	v_pk_add_f32 v[6:7], v[6:7], v[14:15]
	;; [unrolled: 2-line block ×4, first 2 shown]
	v_cmp_eq_u32_e64 s[0:1], 64, v1
	v_cmp_eq_u32_e32 vcc, 0, v37
	s_barrier
	s_and_saveexec_b64 s[2:3], s[0:1]
	s_cbranch_execz .LBB257_821
; %bb.817:
	s_and_saveexec_b64 s[0:1], vcc
	s_cbranch_execz .LBB257_819
; %bb.818:
	v_mov_b32_e32 v1, 0x100
	v_lshl_add_u32 v1, v36, 2, v1
	ds_write2_b32 v1, v8, v9 offset1:16
	ds_write2_b32 v1, v6, v7 offset0:32 offset1:48
	ds_write2_b32 v1, v4, v5 offset0:64 offset1:80
	ds_write_b32 v1, v2 offset:384
.LBB257_819:
	s_or_b64 exec, exec, s[0:1]
	v_or_b32_e32 v1, 0x70, v36
	s_movk_i32 s0, 0x78
	v_cmp_gt_u32_e64 s[0:1], s0, v1
	s_and_b64 s[0:1], vcc, s[0:1]
	s_and_b64 exec, exec, s[0:1]
; %bb.820:
	v_mov_b32_e32 v1, 0x100
	v_lshl_add_u32 v1, v36, 2, v1
	ds_write_b32 v1, v3 offset:448
.LBB257_821:
	s_or_b64 exec, exec, s[2:3]
	v_cmp_gt_u32_e64 s[0:1], 64, v0
	v_lshrrev_b32_e32 v0, 2, v0
	s_waitcnt lgkmcnt(0)
	s_barrier
	s_and_saveexec_b64 s[6:7], s[0:1]
	s_cbranch_execz .LBB257_839
; %bb.822:
	s_and_saveexec_b64 s[2:3], vcc
	s_cbranch_execz .LBB257_824
; %bb.823:
	v_mov_b32_e32 v1, 0x100
	v_lshl_add_u32 v1, v0, 2, v1
	ds_read_b32 v1, v1
	s_waitcnt lgkmcnt(0)
	v_add_f32_e32 v8, v8, v1
.LBB257_824:
	s_or_b64 exec, exec, s[2:3]
	v_or_b32_e32 v1, 16, v0
	s_movk_i32 s8, 0x78
	v_cmp_gt_u32_e64 s[2:3], s8, v1
	s_and_b64 s[12:13], vcc, s[2:3]
	s_and_saveexec_b64 s[2:3], s[12:13]
	s_cbranch_execz .LBB257_826
; %bb.825:
	v_mov_b32_e32 v1, 0x100
	v_lshl_add_u32 v1, v0, 2, v1
	ds_read_b32 v1, v1 offset:64
	s_waitcnt lgkmcnt(0)
	v_add_f32_e32 v9, v9, v1
.LBB257_826:
	s_or_b64 exec, exec, s[2:3]
	v_or_b32_e32 v1, 32, v0
	v_cmp_gt_u32_e64 s[2:3], s8, v1
	s_and_b64 s[8:9], vcc, s[2:3]
	s_and_saveexec_b64 s[2:3], s[8:9]
	s_cbranch_execz .LBB257_828
; %bb.827:
	v_mov_b32_e32 v1, 0x100
	v_lshl_add_u32 v1, v0, 2, v1
	ds_read_b32 v1, v1 offset:128
	s_waitcnt lgkmcnt(0)
	v_add_f32_e32 v6, v6, v1
.LBB257_828:
	s_or_b64 exec, exec, s[2:3]
	v_or_b32_e32 v1, 48, v0
	s_movk_i32 s8, 0x78
	v_cmp_gt_u32_e64 s[2:3], s8, v1
	s_and_b64 s[12:13], vcc, s[2:3]
	s_and_saveexec_b64 s[2:3], s[12:13]
	s_cbranch_execz .LBB257_830
; %bb.829:
	v_mov_b32_e32 v1, 0x100
	v_lshl_add_u32 v1, v0, 2, v1
	ds_read_b32 v1, v1 offset:192
	s_waitcnt lgkmcnt(0)
	v_add_f32_e32 v7, v7, v1
.LBB257_830:
	s_or_b64 exec, exec, s[2:3]
	v_or_b32_e32 v1, 64, v0
	v_cmp_gt_u32_e64 s[2:3], s8, v1
	s_and_b64 s[8:9], vcc, s[2:3]
	s_and_saveexec_b64 s[2:3], s[8:9]
	s_cbranch_execz .LBB257_832
; %bb.831:
	v_mov_b32_e32 v1, 0x100
	v_lshl_add_u32 v1, v0, 2, v1
	ds_read_b32 v1, v1 offset:256
	s_waitcnt lgkmcnt(0)
	v_add_f32_e32 v4, v4, v1
.LBB257_832:
	;; [unrolled: 27-line block ×3, first 2 shown]
	s_or_b64 exec, exec, s[2:3]
	v_or_b32_e32 v1, 0x70, v0
	s_movk_i32 s2, 0x78
	v_cmp_gt_u32_e64 s[2:3], s2, v1
	s_and_b64 s[8:9], vcc, s[2:3]
	s_and_saveexec_b64 s[2:3], s[8:9]
	s_cbranch_execz .LBB257_838
; %bb.837:
	v_mov_b32_e32 v1, 0x100
	v_lshl_add_u32 v1, v0, 2, v1
	ds_read_b32 v1, v1 offset:448
	s_waitcnt lgkmcnt(0)
	v_add_f32_e32 v3, v3, v1
.LBB257_838:
	s_or_b64 exec, exec, s[2:3]
.LBB257_839:
	s_or_b64 exec, exec, s[6:7]
	s_barrier
	s_and_saveexec_b64 s[2:3], s[0:1]
	s_cbranch_execz .LBB257_856
; %bb.840:
	s_mul_i32 s0, s10, s11
	s_mul_i32 s0, s0, s5
	s_mulk_i32 s0, 0x78
	s_ashr_i32 s1, s0, 31
	s_lshl_b64 s[0:1], s[0:1], 1
	s_add_u32 s2, s26, s0
	s_mul_i32 s0, s11, s24
	s_addc_u32 s3, s27, s1
	s_ashr_i32 s1, s0, 31
	s_lshl_b64 s[0:1], s[0:1], 1
	s_add_u32 s2, s2, s0
	s_mul_i32 s0, s4, 0x78
	s_addc_u32 s3, s3, s1
	s_ashr_i32 s1, s0, 31
	s_lshl_b64 s[0:1], s[0:1], 1
	s_add_u32 s2, s2, s0
	s_movk_i32 s5, 0x78
	s_addc_u32 s3, s3, s1
	v_lshlrev_b32_e32 v1, 1, v0
	s_and_saveexec_b64 s[0:1], vcc
	s_cbranch_execz .LBB257_842
; %bb.841:
	;;#ASMSTART
	v_cvt_f16_f32 v8, v8;

	;;#ASMEND
	global_store_short v1, v8, s[2:3]
.LBB257_842:
	s_or_b64 exec, exec, s[0:1]
	v_or_b32_e32 v8, 16, v0
	v_cmp_gt_u32_e64 s[0:1], s5, v8
	s_and_b64 s[4:5], vcc, s[0:1]
	s_and_saveexec_b64 s[0:1], s[4:5]
	s_cbranch_execz .LBB257_844
; %bb.843:
	;;#ASMSTART
	v_cvt_f16_f32 v8, v9;

	;;#ASMEND
	global_store_short v1, v8, s[2:3] offset:32
.LBB257_844:
	s_or_b64 exec, exec, s[0:1]
	v_or_b32_e32 v8, 32, v0
	s_movk_i32 s4, 0x78
	v_cmp_gt_u32_e64 s[0:1], s4, v8
	s_and_b64 s[6:7], vcc, s[0:1]
	s_and_saveexec_b64 s[0:1], s[6:7]
	s_cbranch_execz .LBB257_846
; %bb.845:
	;;#ASMSTART
	v_cvt_f16_f32 v6, v6;

	;;#ASMEND
	global_store_short v1, v6, s[2:3] offset:64
.LBB257_846:
	s_or_b64 exec, exec, s[0:1]
	v_or_b32_e32 v6, 48, v0
	v_cmp_gt_u32_e64 s[0:1], s4, v6
	s_and_b64 s[4:5], vcc, s[0:1]
	s_and_saveexec_b64 s[0:1], s[4:5]
	s_cbranch_execz .LBB257_848
; %bb.847:
	;;#ASMSTART
	v_cvt_f16_f32 v6, v7;

	;;#ASMEND
	global_store_short v1, v6, s[2:3] offset:96
.LBB257_848:
	s_or_b64 exec, exec, s[0:1]
	v_or_b32_e32 v6, 64, v0
	s_movk_i32 s4, 0x78
	v_cmp_gt_u32_e64 s[0:1], s4, v6
	s_and_b64 s[6:7], vcc, s[0:1]
	s_and_saveexec_b64 s[0:1], s[6:7]
	s_cbranch_execz .LBB257_850
; %bb.849:
	;;#ASMSTART
	v_cvt_f16_f32 v4, v4;

	;;#ASMEND
	global_store_short v1, v4, s[2:3] offset:128
.LBB257_850:
	;; [unrolled: 27-line block ×3, first 2 shown]
	s_or_b64 exec, exec, s[0:1]
	v_or_b32_e32 v0, 0x70, v0
	v_cmp_gt_u32_e64 s[0:1], s4, v0
	s_and_b64 s[0:1], vcc, s[0:1]
	s_and_b64 exec, exec, s[0:1]
	s_cbranch_execz .LBB257_856
; %bb.855:
	;;#ASMSTART
	v_cvt_f16_f32 v0, v3;

	;;#ASMEND
	global_store_short v1, v0, s[2:3] offset:224
.LBB257_856:
	s_endpgm
	.section	.rodata,"a",@progbits
	.p2align	6, 0x0
	.amdhsa_kernel _ZN4vllm25paged_attention_v1_kernelIthLi120ELi32ELi128ELNS_18Fp8KVCacheDataTypeE1ELb1EEEvPT_PKS2_PKT0_S8_ifPKiSA_iPKfiiiSC_SC_iiiii
		.amdhsa_group_segment_fixed_size 256
		.amdhsa_private_segment_fixed_size 0
		.amdhsa_kernarg_size 384
		.amdhsa_user_sgpr_count 2
		.amdhsa_user_sgpr_dispatch_ptr 0
		.amdhsa_user_sgpr_queue_ptr 0
		.amdhsa_user_sgpr_kernarg_segment_ptr 1
		.amdhsa_user_sgpr_dispatch_id 0
		.amdhsa_user_sgpr_kernarg_preload_length 0
		.amdhsa_user_sgpr_kernarg_preload_offset 0
		.amdhsa_user_sgpr_private_segment_size 0
		.amdhsa_uses_dynamic_stack 0
		.amdhsa_enable_private_segment 0
		.amdhsa_system_sgpr_workgroup_id_x 1
		.amdhsa_system_sgpr_workgroup_id_y 1
		.amdhsa_system_sgpr_workgroup_id_z 1
		.amdhsa_system_sgpr_workgroup_info 0
		.amdhsa_system_vgpr_workitem_id 0
		.amdhsa_next_free_vgpr 92
		.amdhsa_next_free_sgpr 56
		.amdhsa_accum_offset 92
		.amdhsa_reserve_vcc 1
		.amdhsa_float_round_mode_32 0
		.amdhsa_float_round_mode_16_64 0
		.amdhsa_float_denorm_mode_32 3
		.amdhsa_float_denorm_mode_16_64 3
		.amdhsa_dx10_clamp 1
		.amdhsa_ieee_mode 1
		.amdhsa_fp16_overflow 0
		.amdhsa_tg_split 0
		.amdhsa_exception_fp_ieee_invalid_op 0
		.amdhsa_exception_fp_denorm_src 0
		.amdhsa_exception_fp_ieee_div_zero 0
		.amdhsa_exception_fp_ieee_overflow 0
		.amdhsa_exception_fp_ieee_underflow 0
		.amdhsa_exception_fp_ieee_inexact 0
		.amdhsa_exception_int_div_zero 0
	.end_amdhsa_kernel
	.section	.text._ZN4vllm25paged_attention_v1_kernelIthLi120ELi32ELi128ELNS_18Fp8KVCacheDataTypeE1ELb1EEEvPT_PKS2_PKT0_S8_ifPKiSA_iPKfiiiSC_SC_iiiii,"axG",@progbits,_ZN4vllm25paged_attention_v1_kernelIthLi120ELi32ELi128ELNS_18Fp8KVCacheDataTypeE1ELb1EEEvPT_PKS2_PKT0_S8_ifPKiSA_iPKfiiiSC_SC_iiiii,comdat
.Lfunc_end257:
	.size	_ZN4vllm25paged_attention_v1_kernelIthLi120ELi32ELi128ELNS_18Fp8KVCacheDataTypeE1ELb1EEEvPT_PKS2_PKT0_S8_ifPKiSA_iPKfiiiSC_SC_iiiii, .Lfunc_end257-_ZN4vllm25paged_attention_v1_kernelIthLi120ELi32ELi128ELNS_18Fp8KVCacheDataTypeE1ELb1EEEvPT_PKS2_PKT0_S8_ifPKiSA_iPKfiiiSC_SC_iiiii
                                        ; -- End function
	.set _ZN4vllm25paged_attention_v1_kernelIthLi120ELi32ELi128ELNS_18Fp8KVCacheDataTypeE1ELb1EEEvPT_PKS2_PKT0_S8_ifPKiSA_iPKfiiiSC_SC_iiiii.num_vgpr, 92
	.set _ZN4vllm25paged_attention_v1_kernelIthLi120ELi32ELi128ELNS_18Fp8KVCacheDataTypeE1ELb1EEEvPT_PKS2_PKT0_S8_ifPKiSA_iPKfiiiSC_SC_iiiii.num_agpr, 0
	.set _ZN4vllm25paged_attention_v1_kernelIthLi120ELi32ELi128ELNS_18Fp8KVCacheDataTypeE1ELb1EEEvPT_PKS2_PKT0_S8_ifPKiSA_iPKfiiiSC_SC_iiiii.numbered_sgpr, 56
	.set _ZN4vllm25paged_attention_v1_kernelIthLi120ELi32ELi128ELNS_18Fp8KVCacheDataTypeE1ELb1EEEvPT_PKS2_PKT0_S8_ifPKiSA_iPKfiiiSC_SC_iiiii.num_named_barrier, 0
	.set _ZN4vllm25paged_attention_v1_kernelIthLi120ELi32ELi128ELNS_18Fp8KVCacheDataTypeE1ELb1EEEvPT_PKS2_PKT0_S8_ifPKiSA_iPKfiiiSC_SC_iiiii.private_seg_size, 0
	.set _ZN4vllm25paged_attention_v1_kernelIthLi120ELi32ELi128ELNS_18Fp8KVCacheDataTypeE1ELb1EEEvPT_PKS2_PKT0_S8_ifPKiSA_iPKfiiiSC_SC_iiiii.uses_vcc, 1
	.set _ZN4vllm25paged_attention_v1_kernelIthLi120ELi32ELi128ELNS_18Fp8KVCacheDataTypeE1ELb1EEEvPT_PKS2_PKT0_S8_ifPKiSA_iPKfiiiSC_SC_iiiii.uses_flat_scratch, 0
	.set _ZN4vllm25paged_attention_v1_kernelIthLi120ELi32ELi128ELNS_18Fp8KVCacheDataTypeE1ELb1EEEvPT_PKS2_PKT0_S8_ifPKiSA_iPKfiiiSC_SC_iiiii.has_dyn_sized_stack, 0
	.set _ZN4vllm25paged_attention_v1_kernelIthLi120ELi32ELi128ELNS_18Fp8KVCacheDataTypeE1ELb1EEEvPT_PKS2_PKT0_S8_ifPKiSA_iPKfiiiSC_SC_iiiii.has_recursion, 0
	.set _ZN4vllm25paged_attention_v1_kernelIthLi120ELi32ELi128ELNS_18Fp8KVCacheDataTypeE1ELb1EEEvPT_PKS2_PKT0_S8_ifPKiSA_iPKfiiiSC_SC_iiiii.has_indirect_call, 0
	.section	.AMDGPU.csdata,"",@progbits
; Kernel info:
; codeLenInByte = 36948
; TotalNumSgprs: 62
; NumVgprs: 92
; NumAgprs: 0
; TotalNumVgprs: 92
; ScratchSize: 0
; MemoryBound: 0
; FloatMode: 240
; IeeeMode: 1
; LDSByteSize: 256 bytes/workgroup (compile time only)
; SGPRBlocks: 7
; VGPRBlocks: 11
; NumSGPRsForWavesPerEU: 62
; NumVGPRsForWavesPerEU: 92
; AccumOffset: 92
; Occupancy: 5
; WaveLimiterHint : 1
; COMPUTE_PGM_RSRC2:SCRATCH_EN: 0
; COMPUTE_PGM_RSRC2:USER_SGPR: 2
; COMPUTE_PGM_RSRC2:TRAP_HANDLER: 0
; COMPUTE_PGM_RSRC2:TGID_X_EN: 1
; COMPUTE_PGM_RSRC2:TGID_Y_EN: 1
; COMPUTE_PGM_RSRC2:TGID_Z_EN: 1
; COMPUTE_PGM_RSRC2:TIDIG_COMP_CNT: 0
; COMPUTE_PGM_RSRC3_GFX90A:ACCUM_OFFSET: 22
; COMPUTE_PGM_RSRC3_GFX90A:TG_SPLIT: 0
	.section	.text._ZN4vllm25paged_attention_v1_kernelIthLi128ELi32ELi128ELNS_18Fp8KVCacheDataTypeE1ELb1EEEvPT_PKS2_PKT0_S8_ifPKiSA_iPKfiiiSC_SC_iiiii,"axG",@progbits,_ZN4vllm25paged_attention_v1_kernelIthLi128ELi32ELi128ELNS_18Fp8KVCacheDataTypeE1ELb1EEEvPT_PKS2_PKT0_S8_ifPKiSA_iPKfiiiSC_SC_iiiii,comdat
	.protected	_ZN4vllm25paged_attention_v1_kernelIthLi128ELi32ELi128ELNS_18Fp8KVCacheDataTypeE1ELb1EEEvPT_PKS2_PKT0_S8_ifPKiSA_iPKfiiiSC_SC_iiiii ; -- Begin function _ZN4vllm25paged_attention_v1_kernelIthLi128ELi32ELi128ELNS_18Fp8KVCacheDataTypeE1ELb1EEEvPT_PKS2_PKT0_S8_ifPKiSA_iPKfiiiSC_SC_iiiii
	.globl	_ZN4vllm25paged_attention_v1_kernelIthLi128ELi32ELi128ELNS_18Fp8KVCacheDataTypeE1ELb1EEEvPT_PKS2_PKT0_S8_ifPKiSA_iPKfiiiSC_SC_iiiii
	.p2align	8
	.type	_ZN4vllm25paged_attention_v1_kernelIthLi128ELi32ELi128ELNS_18Fp8KVCacheDataTypeE1ELb1EEEvPT_PKS2_PKT0_S8_ifPKiSA_iPKfiiiSC_SC_iiiii,@function
_ZN4vllm25paged_attention_v1_kernelIthLi128ELi32ELi128ELNS_18Fp8KVCacheDataTypeE1ELb1EEEvPT_PKS2_PKT0_S8_ifPKiSA_iPKfiiiSC_SC_iiiii: ; @_ZN4vllm25paged_attention_v1_kernelIthLi128ELi32ELi128ELNS_18Fp8KVCacheDataTypeE1ELb1EEEvPT_PKS2_PKT0_S8_ifPKiSA_iPKfiiiSC_SC_iiiii
; %bb.0:
	s_load_dword s5, s[0:1], 0x80
	s_load_dwordx2 s[6:7], s[0:1], 0x30
	s_load_dwordx2 s[36:37], s[0:1], 0x20
	s_mov_b32 s10, s3
	s_ashr_i32 s11, s3, 31
	s_lshl_b64 s[8:9], s[10:11], 2
	s_waitcnt lgkmcnt(0)
	s_add_u32 s6, s6, s8
	s_addc_u32 s7, s7, s9
	s_abs_i32 s3, s36
	v_cvt_f32_u32_e32 v1, s3
	s_sub_i32 s11, 0, s3
	s_abs_i32 s9, s5
	s_xor_b32 s8, s5, s36
	v_rcp_iflag_f32_e32 v1, v1
	s_ashr_i32 s8, s8, 31
	s_mov_b32 s48, 0
	v_mul_f32_e32 v1, 0x4f7ffffe, v1
	v_cvt_u32_f32_e32 v1, v1
	s_nop 0
	v_readfirstlane_b32 s12, v1
	s_mul_i32 s11, s11, s12
	s_mul_hi_u32 s11, s12, s11
	s_add_i32 s12, s12, s11
	s_mul_hi_u32 s11, s9, s12
	s_mul_i32 s12, s11, s3
	s_sub_i32 s9, s9, s12
	s_add_i32 s12, s11, 1
	s_sub_i32 s13, s9, s3
	s_cmp_ge_u32 s9, s3
	s_cselect_b32 s11, s12, s11
	s_cselect_b32 s9, s13, s9
	s_add_i32 s12, s11, 1
	s_cmp_ge_u32 s9, s3
	s_cselect_b32 s3, s12, s11
	s_xor_b32 s3, s3, s8
	s_sub_i32 s14, s3, s8
	s_abs_i32 s11, s14
	v_cvt_f32_u32_e32 v1, s11
	s_load_dwordx2 s[8:9], s[0:1], 0x40
	s_sub_i32 s3, 0, s11
	s_abs_i32 s12, s2
	v_rcp_iflag_f32_e32 v1, v1
	s_nop 0
	v_mul_f32_e32 v1, 0x4f7ffffe, v1
	v_cvt_u32_f32_e32 v1, v1
	s_nop 0
	v_readfirstlane_b32 s13, v1
	s_mul_i32 s3, s3, s13
	s_mul_hi_u32 s3, s13, s3
	s_add_i32 s13, s13, s3
	s_waitcnt lgkmcnt(0)
	s_cmp_eq_u64 s[8:9], 0
	s_mul_hi_u32 s13, s12, s13
	s_cbranch_scc1 .LBB258_2
; %bb.1:
	s_ashr_i32 s3, s2, 31
	s_lshl_b64 s[16:17], s[2:3], 2
	s_add_u32 s8, s8, s16
	s_addc_u32 s9, s9, s17
	s_load_dword s48, s[8:9], 0x0
.LBB258_2:
	s_load_dword s33, s[6:7], 0x0
	s_load_dwordx4 s[16:19], s[0:1], 0x48
	s_ashr_i32 s3, s2, 31
	s_ashr_i32 s9, s14, 31
	v_and_b32_e32 v4, 1, v0
	s_lshl_b32 s24, s2, 7
	v_cmp_gt_u32_e32 vcc, 32, v0
	v_lshlrev_b32_e32 v1, 3, v0
	s_and_saveexec_b64 s[6:7], vcc
	s_cbranch_execz .LBB258_4
; %bb.3:
	s_load_dwordx2 s[14:15], s[0:1], 0x8
	s_waitcnt lgkmcnt(0)
	s_mul_i32 s20, s16, s10
	s_ashr_i32 s21, s20, 31
	s_lshl_b64 s[20:21], s[20:21], 1
	v_lshlrev_b32_e32 v5, 2, v0
	s_add_u32 s8, s14, s20
	s_addc_u32 s16, s15, s21
	s_ashr_i32 s25, s24, 31
	s_lshl_b64 s[14:15], s[24:25], 1
	s_add_u32 s14, s8, s14
	s_addc_u32 s15, s16, s15
	global_load_dwordx2 v[2:3], v1, s[14:15]
	v_and_b32_e32 v5, 0xff8, v5
	v_lshl_add_u32 v5, v4, 7, v5
	s_waitcnt vmcnt(0)
	ds_write_b64 v5, v[2:3]
.LBB258_4:
	s_or_b64 exec, exec, s[6:7]
	s_mul_i32 s6, s13, s11
	s_sub_i32 s6, s12, s6
	s_xor_b32 s3, s3, s9
	s_add_i32 s7, s13, 1
	s_sub_i32 s9, s6, s11
	s_load_dwordx4 s[20:23], s[0:1], 0x68
	s_load_dword s8, s[0:1], 0x78
	s_cmp_ge_u32 s6, s11
	s_cselect_b32 s7, s7, s13
	s_cselect_b32 s6, s9, s6
	s_add_i32 s9, s7, 1
	s_cmp_ge_u32 s6, s11
	s_cselect_b32 s6, s9, s7
	s_waitcnt lgkmcnt(0)
	s_abs_i32 s25, s23
	v_cvt_f32_u32_e32 v2, s25
	s_xor_b32 s6, s6, s3
	s_sub_i32 s3, s6, s3
	s_sub_i32 s6, 0, s25
	v_rcp_iflag_f32_e32 v2, v2
	s_add_i32 s11, s33, -1
	s_abs_i32 s9, s11
	v_mul_f32_e32 v2, 0x4f7ffffe, v2
	v_cvt_u32_f32_e32 v2, v2
	s_barrier
	v_readfirstlane_b32 s46, v2
	s_mul_i32 s6, s6, s46
	s_mul_hi_u32 s6, s46, s6
	s_add_i32 s46, s46, s6
	s_cmp_lt_i32 s8, 0
	s_mul_hi_u32 s16, s9, s46
	s_cbranch_scc0 .LBB258_6
; %bb.5:
	s_mul_i32 s6, s20, s36
	s_add_i32 s6, s3, s6
	s_mul_i32 s6, s6, s8
	s_sub_i32 s36, 1, s6
	s_mov_b64 s[6:7], 0
	s_branch .LBB258_7
.LBB258_6:
	s_mov_b64 s[6:7], -1
                                        ; implicit-def: $sgpr36
.LBB258_7:
	s_load_dwordx2 s[28:29], s[0:1], 0x28
	s_ashr_i32 s19, s11, 31
	s_andn2_b64 vcc, exec, s[6:7]
	s_ashr_i32 s23, s23, 31
	s_cbranch_vccnz .LBB258_9
; %bb.8:
	s_mul_i32 s6, s5, s20
	s_add_i32 s2, s6, s2
	s_mul_i32 s2, s2, s8
	s_add_i32 s36, s2, 1
.LBB258_9:
	s_load_dword s2, s[0:1], 0x38
	s_load_dwordx2 s[26:27], s[0:1], 0x0
	s_load_dwordx2 s[34:35], s[0:1], 0x18
	s_load_dword s11, s[0:1], 0x88
	s_load_dwordx4 s[12:15], s[0:1], 0x58
	s_mul_i32 s6, s16, s25
	s_waitcnt lgkmcnt(0)
	s_mul_i32 s30, s2, s10
	s_sub_i32 s6, s9, s6
	s_ashr_i32 s31, s30, 31
	s_xor_b32 s2, s19, s23
	s_add_i32 s7, s16, 1
	s_sub_i32 s8, s6, s25
	s_cmp_ge_u32 s6, s25
	s_cselect_b32 s7, s7, s16
	s_cselect_b32 s6, s8, s6
	s_add_i32 s8, s7, 1
	s_cmp_ge_u32 s6, s25
	s_cselect_b32 s6, s8, s7
	s_xor_b32 s6, s6, s2
	s_sub_i32 s16, s6, s2
	s_add_i32 s2, s33, 31
	s_ashr_i32 s6, s2, 31
	s_lshr_b32 s6, s6, 27
	s_add_i32 s2, s2, s6
	s_ashr_i32 s47, s2, 5
	v_lshrrev_b32_e32 v28, 6, v0
	v_cmp_gt_i32_e64 s[6:7], s47, v28
	v_mov_b32_e32 v15, 0xff7fffff
	s_mul_i32 s20, s3, s18
	v_lshrrev_b32_e32 v14, 4, v0
	v_lshlrev_b32_e32 v29, 5, v28
	v_mbcnt_lo_u32_b32 v11, -1, 0
	s_and_saveexec_b64 s[18:19], s[6:7]
	s_cbranch_execz .LBB258_405
; %bb.10:
	s_load_dwordx2 s[0:1], s[0:1], 0x10
	s_sub_i32 s49, s16, s21
	s_ashr_i32 s2, s20, 31
	v_bfe_u32 v12, v0, 1, 5
	v_mov_b32_e32 v3, 0
	s_waitcnt lgkmcnt(0)
	s_add_u32 s0, s0, s20
	s_addc_u32 s1, s1, s2
	s_abs_i32 s50, s22
	v_cvt_f32_u32_e32 v2, s50
	v_cmp_eq_u32_e32 vcc, 0, v4
	v_lshlrev_b32_e32 v13, 7, v4
	s_mov_b32 s51, s17
	v_rcp_iflag_f32_e32 v5, v2
	v_lshlrev_b32_e32 v2, 4, v12
	v_lshl_add_u64 v[6:7], s[0:1], 0, v[2:3]
	s_sub_i32 s0, 0, s50
	v_mul_f32_e32 v5, 0x4f7ffffe, v5
	v_cvt_u32_f32_e32 v5, v5
	v_lshlrev_b32_e32 v2, 2, v4
	v_cmp_neq_f32_e64 s[2:3], s48, 0
	v_lshlrev_b32_e32 v17, 5, v28
	v_mul_lo_u32 v4, s0, v5
	s_lshl_b64 s[0:1], s[30:31], 2
	v_mul_hi_u32 v4, v5, v4
	s_add_u32 s0, s28, s0
	v_add_u32_e32 v16, v5, v4
	v_lshl_add_u64 v[4:5], v[6:7], 0, v[2:3]
	v_and_b32_e32 v2, 60, v14
	s_addc_u32 s1, s29, s1
	v_lshl_add_u64 v[6:7], s[0:1], 0, v[2:3]
	v_subrev_u32_e32 v2, s33, v12
	v_add_u32_e32 v18, 1, v2
	v_lshlrev_b32_e32 v2, 2, v12
	v_lshl_or_b32 v2, v28, 7, v2
	v_add_u32_e32 v19, 0x110, v2
	v_mov_b32_e32 v20, 0xff7fffff
	s_mov_b64 s[38:39], 0
	s_movk_i32 s52, 0x80
	s_movk_i32 s53, 0x7f
	s_mov_b32 s54, 0x8000
	s_mov_b32 s55, 0xffffff
	v_mov_b32_e32 v21, 0x2000
	v_mbcnt_hi_u32_b32 v22, -1, v11
	v_mov_b32_e32 v15, 0xff7fffff
	v_mov_b32_e32 v23, v28
	s_branch .LBB258_13
.LBB258_11:                             ;   in Loop: Header=BB258_13 Depth=1
	s_or_b64 exec, exec, s[40:41]
.LBB258_12:                             ;   in Loop: Header=BB258_13 Depth=1
	s_or_b64 exec, exec, s[8:9]
	v_add_u32_e32 v23, 2, v23
	v_cmp_le_i32_e64 s[0:1], s47, v23
	v_lshl_add_u64 v[6:7], v[6:7], 0, 8
	v_add_u32_e32 v17, 64, v17
	s_or_b64 s[38:39], s[0:1], s[38:39]
	v_add_u32_e32 v19, 0x100, v19
	s_andn2_b64 exec, exec, s[38:39]
	s_cbranch_execz .LBB258_404
.LBB258_13:                             ; =>This Inner Loop Header: Depth=1
	v_mul_hi_u32 v2, v17, s46
	s_waitcnt lgkmcnt(0)
	v_mul_lo_u32 v8, v2, s25
	v_sub_u32_e32 v8, v17, v8
	v_add_u32_e32 v9, 1, v2
	v_cmp_le_u32_e64 s[0:1], s25, v8
	s_nop 1
	v_cndmask_b32_e64 v2, v2, v9, s[0:1]
	v_subrev_u32_e32 v9, s25, v8
	v_cndmask_b32_e64 v8, v8, v9, s[0:1]
	v_add_u32_e32 v9, 1, v2
	v_cmp_le_u32_e64 s[0:1], s25, v8
	s_nop 1
	v_cndmask_b32_e64 v2, v2, v9, s[0:1]
	v_xor_b32_e32 v2, s23, v2
	v_subrev_u32_e32 v2, s23, v2
	v_add_u32_e32 v8, s36, v2
	v_sub_u32_e32 v10, 0, v8
	v_ashrrev_i32_e32 v9, 31, v8
	v_max_i32_e32 v8, v8, v10
	v_mul_hi_u32 v10, v8, v16
	v_mul_lo_u32 v10, v10, s50
	v_sub_u32_e32 v8, v8, v10
	v_subrev_u32_e32 v10, s50, v8
	v_cmp_le_u32_e64 s[0:1], s50, v8
	v_cmp_ge_i32_e64 s[8:9], s49, v2
	s_nop 0
	v_cndmask_b32_e64 v8, v8, v10, s[0:1]
	v_subrev_u32_e32 v10, s50, v8
	v_cmp_le_u32_e64 s[0:1], s50, v8
	s_nop 1
	v_cndmask_b32_e64 v8, v8, v10, s[0:1]
	v_xor_b32_e32 v8, v8, v9
	v_sub_u32_e32 v8, v8, v9
	v_cmp_ne_u32_e64 s[0:1], 0, v8
	s_and_b64 s[0:1], s[0:1], s[8:9]
	s_and_saveexec_b64 s[8:9], s[0:1]
	s_xor_b64 s[0:1], exec, s[8:9]
	s_cbranch_execz .LBB258_17
; %bb.14:                               ;   in Loop: Header=BB258_13 Depth=1
	s_and_saveexec_b64 s[8:9], vcc
; %bb.15:                               ;   in Loop: Header=BB258_13 Depth=1
	ds_write_b32 v19, v20
; %bb.16:                               ;   in Loop: Header=BB258_13 Depth=1
	s_or_b64 exec, exec, s[8:9]
.LBB258_17:                             ;   in Loop: Header=BB258_13 Depth=1
	s_andn2_saveexec_b64 s[8:9], s[0:1]
	s_cbranch_execz .LBB258_12
; %bb.18:                               ;   in Loop: Header=BB258_13 Depth=1
	global_load_dword v2, v[6:7], off
	v_mov_b32_e32 v25, 0
	global_load_dword v24, v25, s[12:13]
	v_mov_b32_e32 v26, 0
	s_waitcnt vmcnt(1)
	v_mad_i64_i32 v[8:9], s[0:1], v2, s51, v[4:5]
	global_load_dword v10, v[8:9], off
	s_waitcnt vmcnt(0)
	v_cmp_ne_u16_sdwa s[0:1], v10, v3 src0_sel:BYTE_0 src1_sel:DWORD
	s_and_saveexec_b64 s[40:41], s[0:1]
	s_cbranch_execz .LBB258_24
; %bb.19:                               ;   in Loop: Header=BB258_13 Depth=1
	v_cmp_ne_u16_sdwa s[0:1], v10, s52 src0_sel:BYTE_0 src1_sel:DWORD
	v_mov_b32_e32 v26, 0x8000
	s_and_saveexec_b64 s[42:43], s[0:1]
	s_cbranch_execz .LBB258_23
; %bb.20:                               ;   in Loop: Header=BB258_13 Depth=1
	v_and_b32_e32 v2, 0x7f, v10
	v_cmp_ne_u32_e64 s[0:1], s53, v2
	v_mov_b32_e32 v26, 0x7c01
	s_and_saveexec_b64 s[44:45], s[0:1]
	s_cbranch_execz .LBB258_22
; %bb.21:                               ;   in Loop: Header=BB258_13 Depth=1
	v_and_b32_e32 v30, 7, v10
	v_ffbh_u32_e32 v26, v30
	v_min_u32_e32 v32, 32, v26
	v_subrev_u32_e32 v26, 28, v32
	v_lshlrev_b64 v[26:27], v26, v[10:11]
	v_lshrrev_b32_e32 v31, 3, v2
	v_sub_u32_e32 v27, 29, v32
	v_cmp_gt_u32_e64 s[0:1], 8, v2
	v_and_b32_e32 v26, 7, v26
	s_nop 0
	v_cndmask_b32_e64 v2, v31, v27, s[0:1]
	v_lshl_add_u32 v2, v2, 10, v21
	v_lshlrev_b32_e32 v27, 8, v10
	v_and_b32_e32 v2, 0xfc00, v2
	v_cndmask_b32_e64 v26, v30, v26, s[0:1]
	v_and_or_b32 v2, v27, s54, v2
	v_lshl_or_b32 v26, v26, 7, v2
.LBB258_22:                             ;   in Loop: Header=BB258_13 Depth=1
	s_or_b64 exec, exec, s[44:45]
.LBB258_23:                             ;   in Loop: Header=BB258_13 Depth=1
	s_or_b64 exec, exec, s[42:43]
.LBB258_24:                             ;   in Loop: Header=BB258_13 Depth=1
	s_or_b64 exec, exec, s[40:41]
	v_lshrrev_b16_e32 v2, 8, v10
	v_cmp_ne_u16_e64 s[0:1], 0, v2
	s_and_saveexec_b64 s[40:41], s[0:1]
	s_cbranch_execz .LBB258_30
; %bb.25:                               ;   in Loop: Header=BB258_13 Depth=1
	v_cmp_ne_u16_e64 s[0:1], s52, v2
	v_bfrev_b32_e32 v25, 1
	s_and_saveexec_b64 s[42:43], s[0:1]
	s_cbranch_execz .LBB258_29
; %bb.26:                               ;   in Loop: Header=BB258_13 Depth=1
	v_and_b32_e32 v27, 0x7f, v2
	v_cmp_ne_u32_e64 s[0:1], s53, v27
	v_mov_b32_e32 v25, 0x7c010000
	s_and_saveexec_b64 s[44:45], s[0:1]
	s_cbranch_execz .LBB258_28
; %bb.27:                               ;   in Loop: Header=BB258_13 Depth=1
	v_and_b32_e32 v25, 7, v2
	v_ffbh_u32_e32 v30, v25
	v_min_u32_e32 v33, 32, v30
	v_subrev_u32_e32 v30, 28, v33
	v_lshlrev_b64 v[30:31], v30, v[2:3]
	v_lshrrev_b32_e32 v32, 3, v27
	v_sub_u32_e32 v31, 29, v33
	v_cmp_gt_u32_e64 s[0:1], 8, v27
	v_lshlrev_b32_e32 v2, 8, v2
	v_and_b32_e32 v30, 7, v30
	v_cndmask_b32_e64 v27, v32, v31, s[0:1]
	v_lshl_add_u32 v27, v27, 10, v21
	v_and_or_b32 v2, v2, s54, v27
	v_cndmask_b32_e64 v25, v25, v30, s[0:1]
	v_lshlrev_b32_e32 v2, 16, v2
	v_lshl_or_b32 v25, v25, 23, v2
.LBB258_28:                             ;   in Loop: Header=BB258_13 Depth=1
	s_or_b64 exec, exec, s[44:45]
.LBB258_29:                             ;   in Loop: Header=BB258_13 Depth=1
	s_or_b64 exec, exec, s[42:43]
.LBB258_30:                             ;   in Loop: Header=BB258_13 Depth=1
	s_or_b64 exec, exec, s[40:41]
	v_lshrrev_b32_e32 v2, 16, v10
	v_cmp_ne_u16_sdwa s[0:1], v2, v3 src0_sel:BYTE_0 src1_sel:DWORD
	v_mov_b32_e32 v27, 0
	v_mov_b32_e32 v30, 0
	s_and_saveexec_b64 s[40:41], s[0:1]
	s_cbranch_execz .LBB258_36
; %bb.31:                               ;   in Loop: Header=BB258_13 Depth=1
	v_cmp_ne_u16_sdwa s[0:1], v2, s52 src0_sel:BYTE_0 src1_sel:DWORD
	v_mov_b32_e32 v30, 0x8000
	s_and_saveexec_b64 s[42:43], s[0:1]
	s_cbranch_execz .LBB258_35
; %bb.32:                               ;   in Loop: Header=BB258_13 Depth=1
	v_bfe_u32 v31, v10, 16, 7
	v_cmp_ne_u32_e64 s[0:1], s53, v31
	v_mov_b32_e32 v30, 0x7c01
	s_and_saveexec_b64 s[44:45], s[0:1]
	s_cbranch_execz .LBB258_34
; %bb.33:                               ;   in Loop: Header=BB258_13 Depth=1
	v_and_b32_e32 v30, 7, v2
	v_ffbh_u32_e32 v32, v30
	v_min_u32_e32 v35, 32, v32
	v_subrev_u32_e32 v32, 28, v35
	v_lshlrev_b64 v[32:33], v32, v[2:3]
	v_lshrrev_b32_e32 v34, 3, v31
	v_sub_u32_e32 v33, 29, v35
	v_cmp_gt_u32_e64 s[0:1], 8, v31
	v_lshlrev_b32_e32 v2, 8, v2
	v_and_b32_e32 v32, 7, v32
	v_cndmask_b32_e64 v31, v34, v33, s[0:1]
	v_lshl_add_u32 v31, v31, 10, v21
	v_and_b32_e32 v31, 0xfc00, v31
	v_cndmask_b32_e64 v30, v30, v32, s[0:1]
	v_and_or_b32 v2, v2, s54, v31
	v_lshl_or_b32 v30, v30, 7, v2
.LBB258_34:                             ;   in Loop: Header=BB258_13 Depth=1
	s_or_b64 exec, exec, s[44:45]
.LBB258_35:                             ;   in Loop: Header=BB258_13 Depth=1
	s_or_b64 exec, exec, s[42:43]
.LBB258_36:                             ;   in Loop: Header=BB258_13 Depth=1
	s_or_b64 exec, exec, s[40:41]
	v_cmp_lt_u32_e64 s[0:1], s55, v10
	s_and_saveexec_b64 s[40:41], s[0:1]
	s_cbranch_execz .LBB258_42
; %bb.37:                               ;   in Loop: Header=BB258_13 Depth=1
	v_lshrrev_b32_e32 v2, 24, v10
	v_cmp_ne_u32_e64 s[0:1], s52, v2
	v_bfrev_b32_e32 v27, 1
	s_and_saveexec_b64 s[42:43], s[0:1]
	s_cbranch_execz .LBB258_41
; %bb.38:                               ;   in Loop: Header=BB258_13 Depth=1
	v_and_b32_e32 v10, 0x7f, v2
	v_cmp_ne_u32_e64 s[0:1], s53, v10
	v_mov_b32_e32 v27, 0x7c010000
	s_and_saveexec_b64 s[44:45], s[0:1]
	s_cbranch_execz .LBB258_40
; %bb.39:                               ;   in Loop: Header=BB258_13 Depth=1
	v_and_b32_e32 v27, 7, v2
	v_ffbh_u32_e32 v32, v27
	v_min_u32_e32 v34, 32, v32
	v_subrev_u32_e32 v32, 28, v34
	v_lshlrev_b64 v[32:33], v32, v[2:3]
	v_lshrrev_b32_e32 v31, 3, v10
	v_sub_u32_e32 v33, 29, v34
	v_cmp_gt_u32_e64 s[0:1], 8, v10
	v_lshlrev_b32_e32 v2, 8, v2
	s_nop 0
	v_cndmask_b32_e64 v10, v31, v33, s[0:1]
	v_lshl_add_u32 v10, v10, 10, v21
	v_and_b32_e32 v31, 7, v32
	v_and_or_b32 v2, v2, s54, v10
	v_cndmask_b32_e64 v27, v27, v31, s[0:1]
	v_lshlrev_b32_e32 v2, 16, v2
	v_lshl_or_b32 v27, v27, 23, v2
.LBB258_40:                             ;   in Loop: Header=BB258_13 Depth=1
	s_or_b64 exec, exec, s[44:45]
.LBB258_41:                             ;   in Loop: Header=BB258_13 Depth=1
	s_or_b64 exec, exec, s[42:43]
.LBB258_42:                             ;   in Loop: Header=BB258_13 Depth=1
	s_or_b64 exec, exec, s[40:41]
	global_load_dword v10, v[8:9], off offset:8
	v_mov_b32_e32 v31, 0
	v_mov_b32_e32 v32, 0
	s_waitcnt vmcnt(0)
	v_cmp_ne_u16_sdwa s[0:1], v10, v3 src0_sel:BYTE_0 src1_sel:DWORD
	s_and_saveexec_b64 s[40:41], s[0:1]
	s_cbranch_execz .LBB258_48
; %bb.43:                               ;   in Loop: Header=BB258_13 Depth=1
	v_cmp_ne_u16_sdwa s[0:1], v10, s52 src0_sel:BYTE_0 src1_sel:DWORD
	v_mov_b32_e32 v32, 0x8000
	s_and_saveexec_b64 s[42:43], s[0:1]
	s_cbranch_execz .LBB258_47
; %bb.44:                               ;   in Loop: Header=BB258_13 Depth=1
	v_and_b32_e32 v2, 0x7f, v10
	v_cmp_ne_u32_e64 s[0:1], s53, v2
	v_mov_b32_e32 v32, 0x7c01
	s_and_saveexec_b64 s[44:45], s[0:1]
	s_cbranch_execz .LBB258_46
; %bb.45:                               ;   in Loop: Header=BB258_13 Depth=1
	v_and_b32_e32 v34, 7, v10
	v_ffbh_u32_e32 v32, v34
	v_min_u32_e32 v36, 32, v32
	v_subrev_u32_e32 v32, 28, v36
	v_lshlrev_b64 v[32:33], v32, v[10:11]
	v_lshrrev_b32_e32 v35, 3, v2
	v_sub_u32_e32 v33, 29, v36
	v_cmp_gt_u32_e64 s[0:1], 8, v2
	v_and_b32_e32 v32, 7, v32
	s_nop 0
	v_cndmask_b32_e64 v2, v35, v33, s[0:1]
	v_lshl_add_u32 v2, v2, 10, v21
	v_lshlrev_b32_e32 v33, 8, v10
	v_and_b32_e32 v2, 0xfc00, v2
	v_cndmask_b32_e64 v32, v34, v32, s[0:1]
	v_and_or_b32 v2, v33, s54, v2
	v_lshl_or_b32 v32, v32, 7, v2
.LBB258_46:                             ;   in Loop: Header=BB258_13 Depth=1
	s_or_b64 exec, exec, s[44:45]
.LBB258_47:                             ;   in Loop: Header=BB258_13 Depth=1
	s_or_b64 exec, exec, s[42:43]
.LBB258_48:                             ;   in Loop: Header=BB258_13 Depth=1
	s_or_b64 exec, exec, s[40:41]
	v_lshrrev_b16_e32 v2, 8, v10
	v_cmp_ne_u16_e64 s[0:1], 0, v2
	s_and_saveexec_b64 s[40:41], s[0:1]
	s_cbranch_execz .LBB258_54
; %bb.49:                               ;   in Loop: Header=BB258_13 Depth=1
	v_cmp_ne_u16_e64 s[0:1], s52, v2
	v_bfrev_b32_e32 v31, 1
	s_and_saveexec_b64 s[42:43], s[0:1]
	s_cbranch_execz .LBB258_53
; %bb.50:                               ;   in Loop: Header=BB258_13 Depth=1
	v_and_b32_e32 v33, 0x7f, v2
	v_cmp_ne_u32_e64 s[0:1], s53, v33
	v_mov_b32_e32 v31, 0x7c010000
	s_and_saveexec_b64 s[44:45], s[0:1]
	s_cbranch_execz .LBB258_52
; %bb.51:                               ;   in Loop: Header=BB258_13 Depth=1
	v_and_b32_e32 v31, 7, v2
	v_ffbh_u32_e32 v34, v31
	v_min_u32_e32 v37, 32, v34
	v_subrev_u32_e32 v34, 28, v37
	v_lshlrev_b64 v[34:35], v34, v[2:3]
	v_lshrrev_b32_e32 v36, 3, v33
	v_sub_u32_e32 v35, 29, v37
	v_cmp_gt_u32_e64 s[0:1], 8, v33
	v_lshlrev_b32_e32 v2, 8, v2
	v_and_b32_e32 v34, 7, v34
	v_cndmask_b32_e64 v33, v36, v35, s[0:1]
	v_lshl_add_u32 v33, v33, 10, v21
	v_and_or_b32 v2, v2, s54, v33
	v_cndmask_b32_e64 v31, v31, v34, s[0:1]
	v_lshlrev_b32_e32 v2, 16, v2
	v_lshl_or_b32 v31, v31, 23, v2
.LBB258_52:                             ;   in Loop: Header=BB258_13 Depth=1
	s_or_b64 exec, exec, s[44:45]
.LBB258_53:                             ;   in Loop: Header=BB258_13 Depth=1
	s_or_b64 exec, exec, s[42:43]
.LBB258_54:                             ;   in Loop: Header=BB258_13 Depth=1
	s_or_b64 exec, exec, s[40:41]
	v_lshrrev_b32_e32 v2, 16, v10
	v_cmp_ne_u16_sdwa s[0:1], v2, v3 src0_sel:BYTE_0 src1_sel:DWORD
	v_mov_b32_e32 v33, 0
	v_mov_b32_e32 v34, 0
	s_and_saveexec_b64 s[40:41], s[0:1]
	s_cbranch_execz .LBB258_60
; %bb.55:                               ;   in Loop: Header=BB258_13 Depth=1
	v_cmp_ne_u16_sdwa s[0:1], v2, s52 src0_sel:BYTE_0 src1_sel:DWORD
	v_mov_b32_e32 v34, 0x8000
	s_and_saveexec_b64 s[42:43], s[0:1]
	s_cbranch_execz .LBB258_59
; %bb.56:                               ;   in Loop: Header=BB258_13 Depth=1
	v_bfe_u32 v35, v10, 16, 7
	v_cmp_ne_u32_e64 s[0:1], s53, v35
	v_mov_b32_e32 v34, 0x7c01
	s_and_saveexec_b64 s[44:45], s[0:1]
	s_cbranch_execz .LBB258_58
; %bb.57:                               ;   in Loop: Header=BB258_13 Depth=1
	v_and_b32_e32 v34, 7, v2
	v_ffbh_u32_e32 v36, v34
	v_min_u32_e32 v39, 32, v36
	v_subrev_u32_e32 v36, 28, v39
	v_lshlrev_b64 v[36:37], v36, v[2:3]
	v_lshrrev_b32_e32 v38, 3, v35
	v_sub_u32_e32 v37, 29, v39
	v_cmp_gt_u32_e64 s[0:1], 8, v35
	v_lshlrev_b32_e32 v2, 8, v2
	v_and_b32_e32 v36, 7, v36
	v_cndmask_b32_e64 v35, v38, v37, s[0:1]
	v_lshl_add_u32 v35, v35, 10, v21
	v_and_b32_e32 v35, 0xfc00, v35
	v_cndmask_b32_e64 v34, v34, v36, s[0:1]
	v_and_or_b32 v2, v2, s54, v35
	v_lshl_or_b32 v34, v34, 7, v2
.LBB258_58:                             ;   in Loop: Header=BB258_13 Depth=1
	s_or_b64 exec, exec, s[44:45]
.LBB258_59:                             ;   in Loop: Header=BB258_13 Depth=1
	s_or_b64 exec, exec, s[42:43]
.LBB258_60:                             ;   in Loop: Header=BB258_13 Depth=1
	s_or_b64 exec, exec, s[40:41]
	v_cmp_lt_u32_e64 s[0:1], s55, v10
	s_and_saveexec_b64 s[40:41], s[0:1]
	s_cbranch_execz .LBB258_66
; %bb.61:                               ;   in Loop: Header=BB258_13 Depth=1
	v_lshrrev_b32_e32 v2, 24, v10
	v_cmp_ne_u32_e64 s[0:1], s52, v2
	v_bfrev_b32_e32 v33, 1
	s_and_saveexec_b64 s[42:43], s[0:1]
	s_cbranch_execz .LBB258_65
; %bb.62:                               ;   in Loop: Header=BB258_13 Depth=1
	v_and_b32_e32 v10, 0x7f, v2
	v_cmp_ne_u32_e64 s[0:1], s53, v10
	v_mov_b32_e32 v33, 0x7c010000
	s_and_saveexec_b64 s[44:45], s[0:1]
	s_cbranch_execz .LBB258_64
; %bb.63:                               ;   in Loop: Header=BB258_13 Depth=1
	v_and_b32_e32 v33, 7, v2
	v_ffbh_u32_e32 v36, v33
	v_min_u32_e32 v38, 32, v36
	v_subrev_u32_e32 v36, 28, v38
	v_lshlrev_b64 v[36:37], v36, v[2:3]
	v_lshrrev_b32_e32 v35, 3, v10
	v_sub_u32_e32 v37, 29, v38
	v_cmp_gt_u32_e64 s[0:1], 8, v10
	v_lshlrev_b32_e32 v2, 8, v2
	s_nop 0
	v_cndmask_b32_e64 v10, v35, v37, s[0:1]
	v_lshl_add_u32 v10, v10, 10, v21
	v_and_b32_e32 v35, 7, v36
	v_and_or_b32 v2, v2, s54, v10
	v_cndmask_b32_e64 v33, v33, v35, s[0:1]
	v_lshlrev_b32_e32 v2, 16, v2
	v_lshl_or_b32 v33, v33, 23, v2
.LBB258_64:                             ;   in Loop: Header=BB258_13 Depth=1
	s_or_b64 exec, exec, s[44:45]
.LBB258_65:                             ;   in Loop: Header=BB258_13 Depth=1
	s_or_b64 exec, exec, s[42:43]
.LBB258_66:                             ;   in Loop: Header=BB258_13 Depth=1
	s_or_b64 exec, exec, s[40:41]
	global_load_dword v10, v[8:9], off offset:512
	v_mov_b32_e32 v35, 0
	v_mov_b32_e32 v36, 0
	s_waitcnt vmcnt(0)
	v_cmp_ne_u16_sdwa s[0:1], v10, v3 src0_sel:BYTE_0 src1_sel:DWORD
	s_and_saveexec_b64 s[40:41], s[0:1]
	s_cbranch_execz .LBB258_72
; %bb.67:                               ;   in Loop: Header=BB258_13 Depth=1
	v_cmp_ne_u16_sdwa s[0:1], v10, s52 src0_sel:BYTE_0 src1_sel:DWORD
	v_mov_b32_e32 v36, 0x8000
	s_and_saveexec_b64 s[42:43], s[0:1]
	s_cbranch_execz .LBB258_71
; %bb.68:                               ;   in Loop: Header=BB258_13 Depth=1
	v_and_b32_e32 v2, 0x7f, v10
	v_cmp_ne_u32_e64 s[0:1], s53, v2
	v_mov_b32_e32 v36, 0x7c01
	s_and_saveexec_b64 s[44:45], s[0:1]
	s_cbranch_execz .LBB258_70
; %bb.69:                               ;   in Loop: Header=BB258_13 Depth=1
	v_and_b32_e32 v38, 7, v10
	v_ffbh_u32_e32 v36, v38
	v_min_u32_e32 v40, 32, v36
	v_subrev_u32_e32 v36, 28, v40
	v_lshlrev_b64 v[36:37], v36, v[10:11]
	v_lshrrev_b32_e32 v39, 3, v2
	v_sub_u32_e32 v37, 29, v40
	v_cmp_gt_u32_e64 s[0:1], 8, v2
	v_and_b32_e32 v36, 7, v36
	s_nop 0
	v_cndmask_b32_e64 v2, v39, v37, s[0:1]
	v_lshl_add_u32 v2, v2, 10, v21
	v_lshlrev_b32_e32 v37, 8, v10
	v_and_b32_e32 v2, 0xfc00, v2
	v_cndmask_b32_e64 v36, v38, v36, s[0:1]
	v_and_or_b32 v2, v37, s54, v2
	v_lshl_or_b32 v36, v36, 7, v2
.LBB258_70:                             ;   in Loop: Header=BB258_13 Depth=1
	s_or_b64 exec, exec, s[44:45]
.LBB258_71:                             ;   in Loop: Header=BB258_13 Depth=1
	s_or_b64 exec, exec, s[42:43]
.LBB258_72:                             ;   in Loop: Header=BB258_13 Depth=1
	s_or_b64 exec, exec, s[40:41]
	v_lshrrev_b16_e32 v2, 8, v10
	v_cmp_ne_u16_e64 s[0:1], 0, v2
	s_and_saveexec_b64 s[40:41], s[0:1]
	s_cbranch_execz .LBB258_78
; %bb.73:                               ;   in Loop: Header=BB258_13 Depth=1
	v_cmp_ne_u16_e64 s[0:1], s52, v2
	v_bfrev_b32_e32 v35, 1
	s_and_saveexec_b64 s[42:43], s[0:1]
	s_cbranch_execz .LBB258_77
; %bb.74:                               ;   in Loop: Header=BB258_13 Depth=1
	v_and_b32_e32 v37, 0x7f, v2
	v_cmp_ne_u32_e64 s[0:1], s53, v37
	v_mov_b32_e32 v35, 0x7c010000
	s_and_saveexec_b64 s[44:45], s[0:1]
	s_cbranch_execz .LBB258_76
; %bb.75:                               ;   in Loop: Header=BB258_13 Depth=1
	v_and_b32_e32 v35, 7, v2
	v_ffbh_u32_e32 v38, v35
	v_min_u32_e32 v41, 32, v38
	v_subrev_u32_e32 v38, 28, v41
	v_lshlrev_b64 v[38:39], v38, v[2:3]
	v_lshrrev_b32_e32 v40, 3, v37
	v_sub_u32_e32 v39, 29, v41
	v_cmp_gt_u32_e64 s[0:1], 8, v37
	v_lshlrev_b32_e32 v2, 8, v2
	v_and_b32_e32 v38, 7, v38
	v_cndmask_b32_e64 v37, v40, v39, s[0:1]
	v_lshl_add_u32 v37, v37, 10, v21
	v_and_or_b32 v2, v2, s54, v37
	v_cndmask_b32_e64 v35, v35, v38, s[0:1]
	v_lshlrev_b32_e32 v2, 16, v2
	v_lshl_or_b32 v35, v35, 23, v2
.LBB258_76:                             ;   in Loop: Header=BB258_13 Depth=1
	s_or_b64 exec, exec, s[44:45]
.LBB258_77:                             ;   in Loop: Header=BB258_13 Depth=1
	s_or_b64 exec, exec, s[42:43]
.LBB258_78:                             ;   in Loop: Header=BB258_13 Depth=1
	s_or_b64 exec, exec, s[40:41]
	v_lshrrev_b32_e32 v2, 16, v10
	v_cmp_ne_u16_sdwa s[0:1], v2, v3 src0_sel:BYTE_0 src1_sel:DWORD
	v_mov_b32_e32 v37, 0
	v_mov_b32_e32 v38, 0
	s_and_saveexec_b64 s[40:41], s[0:1]
	s_cbranch_execz .LBB258_84
; %bb.79:                               ;   in Loop: Header=BB258_13 Depth=1
	v_cmp_ne_u16_sdwa s[0:1], v2, s52 src0_sel:BYTE_0 src1_sel:DWORD
	v_mov_b32_e32 v38, 0x8000
	s_and_saveexec_b64 s[42:43], s[0:1]
	s_cbranch_execz .LBB258_83
; %bb.80:                               ;   in Loop: Header=BB258_13 Depth=1
	v_bfe_u32 v39, v10, 16, 7
	v_cmp_ne_u32_e64 s[0:1], s53, v39
	v_mov_b32_e32 v38, 0x7c01
	s_and_saveexec_b64 s[44:45], s[0:1]
	s_cbranch_execz .LBB258_82
; %bb.81:                               ;   in Loop: Header=BB258_13 Depth=1
	v_and_b32_e32 v38, 7, v2
	v_ffbh_u32_e32 v40, v38
	v_min_u32_e32 v43, 32, v40
	v_subrev_u32_e32 v40, 28, v43
	v_lshlrev_b64 v[40:41], v40, v[2:3]
	v_lshrrev_b32_e32 v42, 3, v39
	v_sub_u32_e32 v41, 29, v43
	v_cmp_gt_u32_e64 s[0:1], 8, v39
	v_lshlrev_b32_e32 v2, 8, v2
	v_and_b32_e32 v40, 7, v40
	v_cndmask_b32_e64 v39, v42, v41, s[0:1]
	v_lshl_add_u32 v39, v39, 10, v21
	v_and_b32_e32 v39, 0xfc00, v39
	v_cndmask_b32_e64 v38, v38, v40, s[0:1]
	v_and_or_b32 v2, v2, s54, v39
	v_lshl_or_b32 v38, v38, 7, v2
.LBB258_82:                             ;   in Loop: Header=BB258_13 Depth=1
	s_or_b64 exec, exec, s[44:45]
.LBB258_83:                             ;   in Loop: Header=BB258_13 Depth=1
	s_or_b64 exec, exec, s[42:43]
.LBB258_84:                             ;   in Loop: Header=BB258_13 Depth=1
	s_or_b64 exec, exec, s[40:41]
	v_cmp_lt_u32_e64 s[0:1], s55, v10
	s_and_saveexec_b64 s[40:41], s[0:1]
	s_cbranch_execz .LBB258_90
; %bb.85:                               ;   in Loop: Header=BB258_13 Depth=1
	v_lshrrev_b32_e32 v2, 24, v10
	v_cmp_ne_u32_e64 s[0:1], s52, v2
	v_bfrev_b32_e32 v37, 1
	s_and_saveexec_b64 s[42:43], s[0:1]
	s_cbranch_execz .LBB258_89
; %bb.86:                               ;   in Loop: Header=BB258_13 Depth=1
	v_and_b32_e32 v10, 0x7f, v2
	v_cmp_ne_u32_e64 s[0:1], s53, v10
	v_mov_b32_e32 v37, 0x7c010000
	s_and_saveexec_b64 s[44:45], s[0:1]
	s_cbranch_execz .LBB258_88
; %bb.87:                               ;   in Loop: Header=BB258_13 Depth=1
	v_and_b32_e32 v37, 7, v2
	v_ffbh_u32_e32 v40, v37
	v_min_u32_e32 v42, 32, v40
	v_subrev_u32_e32 v40, 28, v42
	v_lshlrev_b64 v[40:41], v40, v[2:3]
	v_lshrrev_b32_e32 v39, 3, v10
	v_sub_u32_e32 v41, 29, v42
	v_cmp_gt_u32_e64 s[0:1], 8, v10
	v_lshlrev_b32_e32 v2, 8, v2
	s_nop 0
	v_cndmask_b32_e64 v10, v39, v41, s[0:1]
	v_lshl_add_u32 v10, v10, 10, v21
	v_and_b32_e32 v39, 7, v40
	v_and_or_b32 v2, v2, s54, v10
	v_cndmask_b32_e64 v37, v37, v39, s[0:1]
	v_lshlrev_b32_e32 v2, 16, v2
	v_lshl_or_b32 v37, v37, 23, v2
.LBB258_88:                             ;   in Loop: Header=BB258_13 Depth=1
	s_or_b64 exec, exec, s[44:45]
.LBB258_89:                             ;   in Loop: Header=BB258_13 Depth=1
	s_or_b64 exec, exec, s[42:43]
.LBB258_90:                             ;   in Loop: Header=BB258_13 Depth=1
	s_or_b64 exec, exec, s[40:41]
	global_load_dword v10, v[8:9], off offset:520
	v_mov_b32_e32 v39, 0
	v_mov_b32_e32 v40, 0
	s_waitcnt vmcnt(0)
	v_cmp_ne_u16_sdwa s[0:1], v10, v3 src0_sel:BYTE_0 src1_sel:DWORD
	s_and_saveexec_b64 s[40:41], s[0:1]
	s_cbranch_execz .LBB258_96
; %bb.91:                               ;   in Loop: Header=BB258_13 Depth=1
	v_cmp_ne_u16_sdwa s[0:1], v10, s52 src0_sel:BYTE_0 src1_sel:DWORD
	v_mov_b32_e32 v40, 0x8000
	s_and_saveexec_b64 s[42:43], s[0:1]
	s_cbranch_execz .LBB258_95
; %bb.92:                               ;   in Loop: Header=BB258_13 Depth=1
	v_and_b32_e32 v2, 0x7f, v10
	v_cmp_ne_u32_e64 s[0:1], s53, v2
	v_mov_b32_e32 v40, 0x7c01
	s_and_saveexec_b64 s[44:45], s[0:1]
	s_cbranch_execz .LBB258_94
; %bb.93:                               ;   in Loop: Header=BB258_13 Depth=1
	v_and_b32_e32 v42, 7, v10
	v_ffbh_u32_e32 v40, v42
	v_min_u32_e32 v44, 32, v40
	v_subrev_u32_e32 v40, 28, v44
	v_lshlrev_b64 v[40:41], v40, v[10:11]
	v_lshrrev_b32_e32 v43, 3, v2
	v_sub_u32_e32 v41, 29, v44
	v_cmp_gt_u32_e64 s[0:1], 8, v2
	v_and_b32_e32 v40, 7, v40
	s_nop 0
	v_cndmask_b32_e64 v2, v43, v41, s[0:1]
	v_lshl_add_u32 v2, v2, 10, v21
	v_lshlrev_b32_e32 v41, 8, v10
	v_and_b32_e32 v2, 0xfc00, v2
	v_cndmask_b32_e64 v40, v42, v40, s[0:1]
	v_and_or_b32 v2, v41, s54, v2
	v_lshl_or_b32 v40, v40, 7, v2
.LBB258_94:                             ;   in Loop: Header=BB258_13 Depth=1
	s_or_b64 exec, exec, s[44:45]
.LBB258_95:                             ;   in Loop: Header=BB258_13 Depth=1
	s_or_b64 exec, exec, s[42:43]
.LBB258_96:                             ;   in Loop: Header=BB258_13 Depth=1
	s_or_b64 exec, exec, s[40:41]
	v_lshrrev_b16_e32 v2, 8, v10
	v_cmp_ne_u16_e64 s[0:1], 0, v2
	s_and_saveexec_b64 s[40:41], s[0:1]
	s_cbranch_execz .LBB258_102
; %bb.97:                               ;   in Loop: Header=BB258_13 Depth=1
	v_cmp_ne_u16_e64 s[0:1], s52, v2
	v_bfrev_b32_e32 v39, 1
	s_and_saveexec_b64 s[42:43], s[0:1]
	s_cbranch_execz .LBB258_101
; %bb.98:                               ;   in Loop: Header=BB258_13 Depth=1
	v_and_b32_e32 v41, 0x7f, v2
	v_cmp_ne_u32_e64 s[0:1], s53, v41
	v_mov_b32_e32 v39, 0x7c010000
	s_and_saveexec_b64 s[44:45], s[0:1]
	s_cbranch_execz .LBB258_100
; %bb.99:                               ;   in Loop: Header=BB258_13 Depth=1
	v_and_b32_e32 v39, 7, v2
	v_ffbh_u32_e32 v42, v39
	v_min_u32_e32 v45, 32, v42
	v_subrev_u32_e32 v42, 28, v45
	v_lshlrev_b64 v[42:43], v42, v[2:3]
	v_lshrrev_b32_e32 v44, 3, v41
	v_sub_u32_e32 v43, 29, v45
	v_cmp_gt_u32_e64 s[0:1], 8, v41
	v_lshlrev_b32_e32 v2, 8, v2
	v_and_b32_e32 v42, 7, v42
	v_cndmask_b32_e64 v41, v44, v43, s[0:1]
	v_lshl_add_u32 v41, v41, 10, v21
	v_and_or_b32 v2, v2, s54, v41
	v_cndmask_b32_e64 v39, v39, v42, s[0:1]
	v_lshlrev_b32_e32 v2, 16, v2
	v_lshl_or_b32 v39, v39, 23, v2
.LBB258_100:                            ;   in Loop: Header=BB258_13 Depth=1
	s_or_b64 exec, exec, s[44:45]
.LBB258_101:                            ;   in Loop: Header=BB258_13 Depth=1
	s_or_b64 exec, exec, s[42:43]
.LBB258_102:                            ;   in Loop: Header=BB258_13 Depth=1
	s_or_b64 exec, exec, s[40:41]
	v_lshrrev_b32_e32 v2, 16, v10
	v_cmp_ne_u16_sdwa s[0:1], v2, v3 src0_sel:BYTE_0 src1_sel:DWORD
	v_mov_b32_e32 v41, 0
	v_mov_b32_e32 v42, 0
	s_and_saveexec_b64 s[40:41], s[0:1]
	s_cbranch_execz .LBB258_108
; %bb.103:                              ;   in Loop: Header=BB258_13 Depth=1
	v_cmp_ne_u16_sdwa s[0:1], v2, s52 src0_sel:BYTE_0 src1_sel:DWORD
	v_mov_b32_e32 v42, 0x8000
	s_and_saveexec_b64 s[42:43], s[0:1]
	s_cbranch_execz .LBB258_107
; %bb.104:                              ;   in Loop: Header=BB258_13 Depth=1
	v_bfe_u32 v43, v10, 16, 7
	v_cmp_ne_u32_e64 s[0:1], s53, v43
	v_mov_b32_e32 v42, 0x7c01
	s_and_saveexec_b64 s[44:45], s[0:1]
	s_cbranch_execz .LBB258_106
; %bb.105:                              ;   in Loop: Header=BB258_13 Depth=1
	v_and_b32_e32 v42, 7, v2
	v_ffbh_u32_e32 v44, v42
	v_min_u32_e32 v47, 32, v44
	v_subrev_u32_e32 v44, 28, v47
	v_lshlrev_b64 v[44:45], v44, v[2:3]
	v_lshrrev_b32_e32 v46, 3, v43
	v_sub_u32_e32 v45, 29, v47
	v_cmp_gt_u32_e64 s[0:1], 8, v43
	v_lshlrev_b32_e32 v2, 8, v2
	v_and_b32_e32 v44, 7, v44
	v_cndmask_b32_e64 v43, v46, v45, s[0:1]
	v_lshl_add_u32 v43, v43, 10, v21
	v_and_b32_e32 v43, 0xfc00, v43
	v_cndmask_b32_e64 v42, v42, v44, s[0:1]
	v_and_or_b32 v2, v2, s54, v43
	v_lshl_or_b32 v42, v42, 7, v2
.LBB258_106:                            ;   in Loop: Header=BB258_13 Depth=1
	s_or_b64 exec, exec, s[44:45]
.LBB258_107:                            ;   in Loop: Header=BB258_13 Depth=1
	s_or_b64 exec, exec, s[42:43]
.LBB258_108:                            ;   in Loop: Header=BB258_13 Depth=1
	s_or_b64 exec, exec, s[40:41]
	v_cmp_lt_u32_e64 s[0:1], s55, v10
	s_and_saveexec_b64 s[40:41], s[0:1]
	s_cbranch_execz .LBB258_114
; %bb.109:                              ;   in Loop: Header=BB258_13 Depth=1
	v_lshrrev_b32_e32 v2, 24, v10
	v_cmp_ne_u32_e64 s[0:1], s52, v2
	v_bfrev_b32_e32 v41, 1
	s_and_saveexec_b64 s[42:43], s[0:1]
	s_cbranch_execz .LBB258_113
; %bb.110:                              ;   in Loop: Header=BB258_13 Depth=1
	v_and_b32_e32 v10, 0x7f, v2
	v_cmp_ne_u32_e64 s[0:1], s53, v10
	v_mov_b32_e32 v41, 0x7c010000
	s_and_saveexec_b64 s[44:45], s[0:1]
	s_cbranch_execz .LBB258_112
; %bb.111:                              ;   in Loop: Header=BB258_13 Depth=1
	v_and_b32_e32 v41, 7, v2
	v_ffbh_u32_e32 v44, v41
	v_min_u32_e32 v46, 32, v44
	v_subrev_u32_e32 v44, 28, v46
	v_lshlrev_b64 v[44:45], v44, v[2:3]
	v_lshrrev_b32_e32 v43, 3, v10
	v_sub_u32_e32 v45, 29, v46
	v_cmp_gt_u32_e64 s[0:1], 8, v10
	v_lshlrev_b32_e32 v2, 8, v2
	s_nop 0
	v_cndmask_b32_e64 v10, v43, v45, s[0:1]
	v_lshl_add_u32 v10, v10, 10, v21
	v_and_b32_e32 v43, 7, v44
	v_and_or_b32 v2, v2, s54, v10
	v_cndmask_b32_e64 v41, v41, v43, s[0:1]
	v_lshlrev_b32_e32 v2, 16, v2
	v_lshl_or_b32 v41, v41, 23, v2
.LBB258_112:                            ;   in Loop: Header=BB258_13 Depth=1
	s_or_b64 exec, exec, s[44:45]
.LBB258_113:                            ;   in Loop: Header=BB258_13 Depth=1
	s_or_b64 exec, exec, s[42:43]
.LBB258_114:                            ;   in Loop: Header=BB258_13 Depth=1
	s_or_b64 exec, exec, s[40:41]
	global_load_dword v10, v[8:9], off offset:1024
	v_mov_b32_e32 v43, 0
	v_mov_b32_e32 v44, 0
	s_waitcnt vmcnt(0)
	v_cmp_ne_u16_sdwa s[0:1], v10, v3 src0_sel:BYTE_0 src1_sel:DWORD
	s_and_saveexec_b64 s[40:41], s[0:1]
	s_cbranch_execz .LBB258_120
; %bb.115:                              ;   in Loop: Header=BB258_13 Depth=1
	v_cmp_ne_u16_sdwa s[0:1], v10, s52 src0_sel:BYTE_0 src1_sel:DWORD
	v_mov_b32_e32 v44, 0x8000
	s_and_saveexec_b64 s[42:43], s[0:1]
	s_cbranch_execz .LBB258_119
; %bb.116:                              ;   in Loop: Header=BB258_13 Depth=1
	v_and_b32_e32 v2, 0x7f, v10
	v_cmp_ne_u32_e64 s[0:1], s53, v2
	v_mov_b32_e32 v44, 0x7c01
	s_and_saveexec_b64 s[44:45], s[0:1]
	s_cbranch_execz .LBB258_118
; %bb.117:                              ;   in Loop: Header=BB258_13 Depth=1
	v_and_b32_e32 v46, 7, v10
	v_ffbh_u32_e32 v44, v46
	v_min_u32_e32 v48, 32, v44
	v_subrev_u32_e32 v44, 28, v48
	v_lshlrev_b64 v[44:45], v44, v[10:11]
	v_lshrrev_b32_e32 v47, 3, v2
	v_sub_u32_e32 v45, 29, v48
	v_cmp_gt_u32_e64 s[0:1], 8, v2
	v_and_b32_e32 v44, 7, v44
	s_nop 0
	v_cndmask_b32_e64 v2, v47, v45, s[0:1]
	v_lshl_add_u32 v2, v2, 10, v21
	v_lshlrev_b32_e32 v45, 8, v10
	v_and_b32_e32 v2, 0xfc00, v2
	v_cndmask_b32_e64 v44, v46, v44, s[0:1]
	v_and_or_b32 v2, v45, s54, v2
	v_lshl_or_b32 v44, v44, 7, v2
.LBB258_118:                            ;   in Loop: Header=BB258_13 Depth=1
	s_or_b64 exec, exec, s[44:45]
.LBB258_119:                            ;   in Loop: Header=BB258_13 Depth=1
	s_or_b64 exec, exec, s[42:43]
.LBB258_120:                            ;   in Loop: Header=BB258_13 Depth=1
	s_or_b64 exec, exec, s[40:41]
	v_lshrrev_b16_e32 v2, 8, v10
	v_cmp_ne_u16_e64 s[0:1], 0, v2
	s_and_saveexec_b64 s[40:41], s[0:1]
	s_cbranch_execz .LBB258_126
; %bb.121:                              ;   in Loop: Header=BB258_13 Depth=1
	v_cmp_ne_u16_e64 s[0:1], s52, v2
	v_bfrev_b32_e32 v43, 1
	s_and_saveexec_b64 s[42:43], s[0:1]
	s_cbranch_execz .LBB258_125
; %bb.122:                              ;   in Loop: Header=BB258_13 Depth=1
	v_and_b32_e32 v45, 0x7f, v2
	v_cmp_ne_u32_e64 s[0:1], s53, v45
	v_mov_b32_e32 v43, 0x7c010000
	s_and_saveexec_b64 s[44:45], s[0:1]
	s_cbranch_execz .LBB258_124
; %bb.123:                              ;   in Loop: Header=BB258_13 Depth=1
	v_and_b32_e32 v43, 7, v2
	v_ffbh_u32_e32 v46, v43
	v_min_u32_e32 v49, 32, v46
	v_subrev_u32_e32 v46, 28, v49
	v_lshlrev_b64 v[46:47], v46, v[2:3]
	v_lshrrev_b32_e32 v48, 3, v45
	v_sub_u32_e32 v47, 29, v49
	v_cmp_gt_u32_e64 s[0:1], 8, v45
	v_lshlrev_b32_e32 v2, 8, v2
	v_and_b32_e32 v46, 7, v46
	v_cndmask_b32_e64 v45, v48, v47, s[0:1]
	v_lshl_add_u32 v45, v45, 10, v21
	v_and_or_b32 v2, v2, s54, v45
	v_cndmask_b32_e64 v43, v43, v46, s[0:1]
	v_lshlrev_b32_e32 v2, 16, v2
	v_lshl_or_b32 v43, v43, 23, v2
.LBB258_124:                            ;   in Loop: Header=BB258_13 Depth=1
	s_or_b64 exec, exec, s[44:45]
.LBB258_125:                            ;   in Loop: Header=BB258_13 Depth=1
	s_or_b64 exec, exec, s[42:43]
.LBB258_126:                            ;   in Loop: Header=BB258_13 Depth=1
	s_or_b64 exec, exec, s[40:41]
	v_lshrrev_b32_e32 v2, 16, v10
	v_cmp_ne_u16_sdwa s[0:1], v2, v3 src0_sel:BYTE_0 src1_sel:DWORD
	v_mov_b32_e32 v45, 0
	v_mov_b32_e32 v46, 0
	s_and_saveexec_b64 s[40:41], s[0:1]
	s_cbranch_execz .LBB258_132
; %bb.127:                              ;   in Loop: Header=BB258_13 Depth=1
	v_cmp_ne_u16_sdwa s[0:1], v2, s52 src0_sel:BYTE_0 src1_sel:DWORD
	v_mov_b32_e32 v46, 0x8000
	s_and_saveexec_b64 s[42:43], s[0:1]
	s_cbranch_execz .LBB258_131
; %bb.128:                              ;   in Loop: Header=BB258_13 Depth=1
	v_bfe_u32 v47, v10, 16, 7
	v_cmp_ne_u32_e64 s[0:1], s53, v47
	v_mov_b32_e32 v46, 0x7c01
	s_and_saveexec_b64 s[44:45], s[0:1]
	s_cbranch_execz .LBB258_130
; %bb.129:                              ;   in Loop: Header=BB258_13 Depth=1
	v_and_b32_e32 v46, 7, v2
	v_ffbh_u32_e32 v48, v46
	v_min_u32_e32 v51, 32, v48
	v_subrev_u32_e32 v48, 28, v51
	v_lshlrev_b64 v[48:49], v48, v[2:3]
	v_lshrrev_b32_e32 v50, 3, v47
	v_sub_u32_e32 v49, 29, v51
	v_cmp_gt_u32_e64 s[0:1], 8, v47
	v_lshlrev_b32_e32 v2, 8, v2
	v_and_b32_e32 v48, 7, v48
	v_cndmask_b32_e64 v47, v50, v49, s[0:1]
	v_lshl_add_u32 v47, v47, 10, v21
	v_and_b32_e32 v47, 0xfc00, v47
	v_cndmask_b32_e64 v46, v46, v48, s[0:1]
	v_and_or_b32 v2, v2, s54, v47
	v_lshl_or_b32 v46, v46, 7, v2
.LBB258_130:                            ;   in Loop: Header=BB258_13 Depth=1
	s_or_b64 exec, exec, s[44:45]
.LBB258_131:                            ;   in Loop: Header=BB258_13 Depth=1
	s_or_b64 exec, exec, s[42:43]
.LBB258_132:                            ;   in Loop: Header=BB258_13 Depth=1
	s_or_b64 exec, exec, s[40:41]
	v_cmp_lt_u32_e64 s[0:1], s55, v10
	s_and_saveexec_b64 s[40:41], s[0:1]
	s_cbranch_execz .LBB258_138
; %bb.133:                              ;   in Loop: Header=BB258_13 Depth=1
	v_lshrrev_b32_e32 v2, 24, v10
	v_cmp_ne_u32_e64 s[0:1], s52, v2
	v_bfrev_b32_e32 v45, 1
	s_and_saveexec_b64 s[42:43], s[0:1]
	s_cbranch_execz .LBB258_137
; %bb.134:                              ;   in Loop: Header=BB258_13 Depth=1
	v_and_b32_e32 v10, 0x7f, v2
	v_cmp_ne_u32_e64 s[0:1], s53, v10
	v_mov_b32_e32 v45, 0x7c010000
	s_and_saveexec_b64 s[44:45], s[0:1]
	s_cbranch_execz .LBB258_136
; %bb.135:                              ;   in Loop: Header=BB258_13 Depth=1
	v_and_b32_e32 v45, 7, v2
	v_ffbh_u32_e32 v48, v45
	v_min_u32_e32 v50, 32, v48
	v_subrev_u32_e32 v48, 28, v50
	v_lshlrev_b64 v[48:49], v48, v[2:3]
	v_lshrrev_b32_e32 v47, 3, v10
	v_sub_u32_e32 v49, 29, v50
	v_cmp_gt_u32_e64 s[0:1], 8, v10
	v_lshlrev_b32_e32 v2, 8, v2
	s_nop 0
	v_cndmask_b32_e64 v10, v47, v49, s[0:1]
	v_lshl_add_u32 v10, v10, 10, v21
	v_and_b32_e32 v47, 7, v48
	v_and_or_b32 v2, v2, s54, v10
	v_cndmask_b32_e64 v45, v45, v47, s[0:1]
	v_lshlrev_b32_e32 v2, 16, v2
	v_lshl_or_b32 v45, v45, 23, v2
.LBB258_136:                            ;   in Loop: Header=BB258_13 Depth=1
	s_or_b64 exec, exec, s[44:45]
.LBB258_137:                            ;   in Loop: Header=BB258_13 Depth=1
	s_or_b64 exec, exec, s[42:43]
.LBB258_138:                            ;   in Loop: Header=BB258_13 Depth=1
	s_or_b64 exec, exec, s[40:41]
	global_load_dword v10, v[8:9], off offset:1032
	v_mov_b32_e32 v47, 0
	v_mov_b32_e32 v48, 0
	s_waitcnt vmcnt(0)
	v_cmp_ne_u16_sdwa s[0:1], v10, v3 src0_sel:BYTE_0 src1_sel:DWORD
	s_and_saveexec_b64 s[40:41], s[0:1]
	s_cbranch_execz .LBB258_144
; %bb.139:                              ;   in Loop: Header=BB258_13 Depth=1
	v_cmp_ne_u16_sdwa s[0:1], v10, s52 src0_sel:BYTE_0 src1_sel:DWORD
	v_mov_b32_e32 v48, 0x8000
	s_and_saveexec_b64 s[42:43], s[0:1]
	s_cbranch_execz .LBB258_143
; %bb.140:                              ;   in Loop: Header=BB258_13 Depth=1
	v_and_b32_e32 v2, 0x7f, v10
	v_cmp_ne_u32_e64 s[0:1], s53, v2
	v_mov_b32_e32 v48, 0x7c01
	s_and_saveexec_b64 s[44:45], s[0:1]
	s_cbranch_execz .LBB258_142
; %bb.141:                              ;   in Loop: Header=BB258_13 Depth=1
	v_and_b32_e32 v50, 7, v10
	v_ffbh_u32_e32 v48, v50
	v_min_u32_e32 v52, 32, v48
	v_subrev_u32_e32 v48, 28, v52
	v_lshlrev_b64 v[48:49], v48, v[10:11]
	v_lshrrev_b32_e32 v51, 3, v2
	v_sub_u32_e32 v49, 29, v52
	v_cmp_gt_u32_e64 s[0:1], 8, v2
	v_and_b32_e32 v48, 7, v48
	s_nop 0
	v_cndmask_b32_e64 v2, v51, v49, s[0:1]
	v_lshl_add_u32 v2, v2, 10, v21
	v_lshlrev_b32_e32 v49, 8, v10
	v_and_b32_e32 v2, 0xfc00, v2
	v_cndmask_b32_e64 v48, v50, v48, s[0:1]
	v_and_or_b32 v2, v49, s54, v2
	v_lshl_or_b32 v48, v48, 7, v2
.LBB258_142:                            ;   in Loop: Header=BB258_13 Depth=1
	s_or_b64 exec, exec, s[44:45]
.LBB258_143:                            ;   in Loop: Header=BB258_13 Depth=1
	s_or_b64 exec, exec, s[42:43]
.LBB258_144:                            ;   in Loop: Header=BB258_13 Depth=1
	s_or_b64 exec, exec, s[40:41]
	v_lshrrev_b16_e32 v2, 8, v10
	v_cmp_ne_u16_e64 s[0:1], 0, v2
	s_and_saveexec_b64 s[40:41], s[0:1]
	s_cbranch_execz .LBB258_150
; %bb.145:                              ;   in Loop: Header=BB258_13 Depth=1
	v_cmp_ne_u16_e64 s[0:1], s52, v2
	v_bfrev_b32_e32 v47, 1
	s_and_saveexec_b64 s[42:43], s[0:1]
	s_cbranch_execz .LBB258_149
; %bb.146:                              ;   in Loop: Header=BB258_13 Depth=1
	v_and_b32_e32 v49, 0x7f, v2
	v_cmp_ne_u32_e64 s[0:1], s53, v49
	v_mov_b32_e32 v47, 0x7c010000
	s_and_saveexec_b64 s[44:45], s[0:1]
	s_cbranch_execz .LBB258_148
; %bb.147:                              ;   in Loop: Header=BB258_13 Depth=1
	v_and_b32_e32 v47, 7, v2
	v_ffbh_u32_e32 v50, v47
	v_min_u32_e32 v53, 32, v50
	v_subrev_u32_e32 v50, 28, v53
	v_lshlrev_b64 v[50:51], v50, v[2:3]
	v_lshrrev_b32_e32 v52, 3, v49
	v_sub_u32_e32 v51, 29, v53
	v_cmp_gt_u32_e64 s[0:1], 8, v49
	v_lshlrev_b32_e32 v2, 8, v2
	v_and_b32_e32 v50, 7, v50
	v_cndmask_b32_e64 v49, v52, v51, s[0:1]
	v_lshl_add_u32 v49, v49, 10, v21
	v_and_or_b32 v2, v2, s54, v49
	v_cndmask_b32_e64 v47, v47, v50, s[0:1]
	v_lshlrev_b32_e32 v2, 16, v2
	v_lshl_or_b32 v47, v47, 23, v2
.LBB258_148:                            ;   in Loop: Header=BB258_13 Depth=1
	s_or_b64 exec, exec, s[44:45]
.LBB258_149:                            ;   in Loop: Header=BB258_13 Depth=1
	s_or_b64 exec, exec, s[42:43]
.LBB258_150:                            ;   in Loop: Header=BB258_13 Depth=1
	s_or_b64 exec, exec, s[40:41]
	v_lshrrev_b32_e32 v2, 16, v10
	v_cmp_ne_u16_sdwa s[0:1], v2, v3 src0_sel:BYTE_0 src1_sel:DWORD
	v_mov_b32_e32 v49, 0
	v_mov_b32_e32 v50, 0
	s_and_saveexec_b64 s[40:41], s[0:1]
	s_cbranch_execz .LBB258_156
; %bb.151:                              ;   in Loop: Header=BB258_13 Depth=1
	v_cmp_ne_u16_sdwa s[0:1], v2, s52 src0_sel:BYTE_0 src1_sel:DWORD
	v_mov_b32_e32 v50, 0x8000
	s_and_saveexec_b64 s[42:43], s[0:1]
	s_cbranch_execz .LBB258_155
; %bb.152:                              ;   in Loop: Header=BB258_13 Depth=1
	v_bfe_u32 v51, v10, 16, 7
	v_cmp_ne_u32_e64 s[0:1], s53, v51
	v_mov_b32_e32 v50, 0x7c01
	s_and_saveexec_b64 s[44:45], s[0:1]
	s_cbranch_execz .LBB258_154
; %bb.153:                              ;   in Loop: Header=BB258_13 Depth=1
	v_and_b32_e32 v50, 7, v2
	v_ffbh_u32_e32 v52, v50
	v_min_u32_e32 v55, 32, v52
	v_subrev_u32_e32 v52, 28, v55
	v_lshlrev_b64 v[52:53], v52, v[2:3]
	v_lshrrev_b32_e32 v54, 3, v51
	v_sub_u32_e32 v53, 29, v55
	v_cmp_gt_u32_e64 s[0:1], 8, v51
	v_lshlrev_b32_e32 v2, 8, v2
	v_and_b32_e32 v52, 7, v52
	v_cndmask_b32_e64 v51, v54, v53, s[0:1]
	v_lshl_add_u32 v51, v51, 10, v21
	v_and_b32_e32 v51, 0xfc00, v51
	v_cndmask_b32_e64 v50, v50, v52, s[0:1]
	v_and_or_b32 v2, v2, s54, v51
	v_lshl_or_b32 v50, v50, 7, v2
.LBB258_154:                            ;   in Loop: Header=BB258_13 Depth=1
	s_or_b64 exec, exec, s[44:45]
.LBB258_155:                            ;   in Loop: Header=BB258_13 Depth=1
	s_or_b64 exec, exec, s[42:43]
.LBB258_156:                            ;   in Loop: Header=BB258_13 Depth=1
	s_or_b64 exec, exec, s[40:41]
	v_cmp_lt_u32_e64 s[0:1], s55, v10
	s_and_saveexec_b64 s[40:41], s[0:1]
	s_cbranch_execz .LBB258_162
; %bb.157:                              ;   in Loop: Header=BB258_13 Depth=1
	v_lshrrev_b32_e32 v2, 24, v10
	v_cmp_ne_u32_e64 s[0:1], s52, v2
	v_bfrev_b32_e32 v49, 1
	s_and_saveexec_b64 s[42:43], s[0:1]
	s_cbranch_execz .LBB258_161
; %bb.158:                              ;   in Loop: Header=BB258_13 Depth=1
	v_and_b32_e32 v10, 0x7f, v2
	v_cmp_ne_u32_e64 s[0:1], s53, v10
	v_mov_b32_e32 v49, 0x7c010000
	s_and_saveexec_b64 s[44:45], s[0:1]
	s_cbranch_execz .LBB258_160
; %bb.159:                              ;   in Loop: Header=BB258_13 Depth=1
	v_and_b32_e32 v49, 7, v2
	v_ffbh_u32_e32 v52, v49
	v_min_u32_e32 v54, 32, v52
	v_subrev_u32_e32 v52, 28, v54
	v_lshlrev_b64 v[52:53], v52, v[2:3]
	v_lshrrev_b32_e32 v51, 3, v10
	v_sub_u32_e32 v53, 29, v54
	v_cmp_gt_u32_e64 s[0:1], 8, v10
	v_lshlrev_b32_e32 v2, 8, v2
	s_nop 0
	v_cndmask_b32_e64 v10, v51, v53, s[0:1]
	v_lshl_add_u32 v10, v10, 10, v21
	v_and_b32_e32 v51, 7, v52
	v_and_or_b32 v2, v2, s54, v10
	v_cndmask_b32_e64 v49, v49, v51, s[0:1]
	v_lshlrev_b32_e32 v2, 16, v2
	v_lshl_or_b32 v49, v49, 23, v2
.LBB258_160:                            ;   in Loop: Header=BB258_13 Depth=1
	s_or_b64 exec, exec, s[44:45]
.LBB258_161:                            ;   in Loop: Header=BB258_13 Depth=1
	s_or_b64 exec, exec, s[42:43]
.LBB258_162:                            ;   in Loop: Header=BB258_13 Depth=1
	s_or_b64 exec, exec, s[40:41]
	global_load_dword v10, v[8:9], off offset:1536
	v_mov_b32_e32 v51, 0
	v_mov_b32_e32 v52, 0
	s_waitcnt vmcnt(0)
	v_cmp_ne_u16_sdwa s[0:1], v10, v3 src0_sel:BYTE_0 src1_sel:DWORD
	s_and_saveexec_b64 s[40:41], s[0:1]
	s_cbranch_execz .LBB258_168
; %bb.163:                              ;   in Loop: Header=BB258_13 Depth=1
	v_cmp_ne_u16_sdwa s[0:1], v10, s52 src0_sel:BYTE_0 src1_sel:DWORD
	v_mov_b32_e32 v52, 0x8000
	s_and_saveexec_b64 s[42:43], s[0:1]
	s_cbranch_execz .LBB258_167
; %bb.164:                              ;   in Loop: Header=BB258_13 Depth=1
	v_and_b32_e32 v2, 0x7f, v10
	v_cmp_ne_u32_e64 s[0:1], s53, v2
	v_mov_b32_e32 v52, 0x7c01
	s_and_saveexec_b64 s[44:45], s[0:1]
	s_cbranch_execz .LBB258_166
; %bb.165:                              ;   in Loop: Header=BB258_13 Depth=1
	v_and_b32_e32 v54, 7, v10
	v_ffbh_u32_e32 v52, v54
	v_min_u32_e32 v56, 32, v52
	v_subrev_u32_e32 v52, 28, v56
	v_lshlrev_b64 v[52:53], v52, v[10:11]
	v_lshrrev_b32_e32 v55, 3, v2
	v_sub_u32_e32 v53, 29, v56
	v_cmp_gt_u32_e64 s[0:1], 8, v2
	v_and_b32_e32 v52, 7, v52
	s_nop 0
	v_cndmask_b32_e64 v2, v55, v53, s[0:1]
	v_lshl_add_u32 v2, v2, 10, v21
	v_lshlrev_b32_e32 v53, 8, v10
	v_and_b32_e32 v2, 0xfc00, v2
	v_cndmask_b32_e64 v52, v54, v52, s[0:1]
	v_and_or_b32 v2, v53, s54, v2
	v_lshl_or_b32 v52, v52, 7, v2
.LBB258_166:                            ;   in Loop: Header=BB258_13 Depth=1
	s_or_b64 exec, exec, s[44:45]
.LBB258_167:                            ;   in Loop: Header=BB258_13 Depth=1
	s_or_b64 exec, exec, s[42:43]
.LBB258_168:                            ;   in Loop: Header=BB258_13 Depth=1
	s_or_b64 exec, exec, s[40:41]
	v_lshrrev_b16_e32 v2, 8, v10
	v_cmp_ne_u16_e64 s[0:1], 0, v2
	s_and_saveexec_b64 s[40:41], s[0:1]
	s_cbranch_execz .LBB258_174
; %bb.169:                              ;   in Loop: Header=BB258_13 Depth=1
	v_cmp_ne_u16_e64 s[0:1], s52, v2
	v_bfrev_b32_e32 v51, 1
	s_and_saveexec_b64 s[42:43], s[0:1]
	s_cbranch_execz .LBB258_173
; %bb.170:                              ;   in Loop: Header=BB258_13 Depth=1
	v_and_b32_e32 v53, 0x7f, v2
	v_cmp_ne_u32_e64 s[0:1], s53, v53
	v_mov_b32_e32 v51, 0x7c010000
	s_and_saveexec_b64 s[44:45], s[0:1]
	s_cbranch_execz .LBB258_172
; %bb.171:                              ;   in Loop: Header=BB258_13 Depth=1
	v_and_b32_e32 v51, 7, v2
	v_ffbh_u32_e32 v54, v51
	v_min_u32_e32 v57, 32, v54
	v_subrev_u32_e32 v54, 28, v57
	v_lshlrev_b64 v[54:55], v54, v[2:3]
	v_lshrrev_b32_e32 v56, 3, v53
	v_sub_u32_e32 v55, 29, v57
	v_cmp_gt_u32_e64 s[0:1], 8, v53
	v_lshlrev_b32_e32 v2, 8, v2
	v_and_b32_e32 v54, 7, v54
	v_cndmask_b32_e64 v53, v56, v55, s[0:1]
	v_lshl_add_u32 v53, v53, 10, v21
	v_and_or_b32 v2, v2, s54, v53
	v_cndmask_b32_e64 v51, v51, v54, s[0:1]
	v_lshlrev_b32_e32 v2, 16, v2
	v_lshl_or_b32 v51, v51, 23, v2
.LBB258_172:                            ;   in Loop: Header=BB258_13 Depth=1
	s_or_b64 exec, exec, s[44:45]
.LBB258_173:                            ;   in Loop: Header=BB258_13 Depth=1
	s_or_b64 exec, exec, s[42:43]
.LBB258_174:                            ;   in Loop: Header=BB258_13 Depth=1
	s_or_b64 exec, exec, s[40:41]
	v_lshrrev_b32_e32 v2, 16, v10
	v_cmp_ne_u16_sdwa s[0:1], v2, v3 src0_sel:BYTE_0 src1_sel:DWORD
	v_mov_b32_e32 v53, 0
	v_mov_b32_e32 v54, 0
	s_and_saveexec_b64 s[40:41], s[0:1]
	s_cbranch_execz .LBB258_180
; %bb.175:                              ;   in Loop: Header=BB258_13 Depth=1
	v_cmp_ne_u16_sdwa s[0:1], v2, s52 src0_sel:BYTE_0 src1_sel:DWORD
	v_mov_b32_e32 v54, 0x8000
	s_and_saveexec_b64 s[42:43], s[0:1]
	s_cbranch_execz .LBB258_179
; %bb.176:                              ;   in Loop: Header=BB258_13 Depth=1
	v_bfe_u32 v55, v10, 16, 7
	v_cmp_ne_u32_e64 s[0:1], s53, v55
	v_mov_b32_e32 v54, 0x7c01
	s_and_saveexec_b64 s[44:45], s[0:1]
	s_cbranch_execz .LBB258_178
; %bb.177:                              ;   in Loop: Header=BB258_13 Depth=1
	v_and_b32_e32 v54, 7, v2
	v_ffbh_u32_e32 v56, v54
	v_min_u32_e32 v59, 32, v56
	v_subrev_u32_e32 v56, 28, v59
	v_lshlrev_b64 v[56:57], v56, v[2:3]
	v_lshrrev_b32_e32 v58, 3, v55
	v_sub_u32_e32 v57, 29, v59
	v_cmp_gt_u32_e64 s[0:1], 8, v55
	v_lshlrev_b32_e32 v2, 8, v2
	v_and_b32_e32 v56, 7, v56
	v_cndmask_b32_e64 v55, v58, v57, s[0:1]
	v_lshl_add_u32 v55, v55, 10, v21
	v_and_b32_e32 v55, 0xfc00, v55
	v_cndmask_b32_e64 v54, v54, v56, s[0:1]
	v_and_or_b32 v2, v2, s54, v55
	v_lshl_or_b32 v54, v54, 7, v2
.LBB258_178:                            ;   in Loop: Header=BB258_13 Depth=1
	s_or_b64 exec, exec, s[44:45]
.LBB258_179:                            ;   in Loop: Header=BB258_13 Depth=1
	s_or_b64 exec, exec, s[42:43]
.LBB258_180:                            ;   in Loop: Header=BB258_13 Depth=1
	s_or_b64 exec, exec, s[40:41]
	v_cmp_lt_u32_e64 s[0:1], s55, v10
	s_and_saveexec_b64 s[40:41], s[0:1]
	s_cbranch_execz .LBB258_186
; %bb.181:                              ;   in Loop: Header=BB258_13 Depth=1
	v_lshrrev_b32_e32 v2, 24, v10
	v_cmp_ne_u32_e64 s[0:1], s52, v2
	v_bfrev_b32_e32 v53, 1
	s_and_saveexec_b64 s[42:43], s[0:1]
	s_cbranch_execz .LBB258_185
; %bb.182:                              ;   in Loop: Header=BB258_13 Depth=1
	v_and_b32_e32 v10, 0x7f, v2
	v_cmp_ne_u32_e64 s[0:1], s53, v10
	v_mov_b32_e32 v53, 0x7c010000
	s_and_saveexec_b64 s[44:45], s[0:1]
	s_cbranch_execz .LBB258_184
; %bb.183:                              ;   in Loop: Header=BB258_13 Depth=1
	v_and_b32_e32 v53, 7, v2
	v_ffbh_u32_e32 v56, v53
	v_min_u32_e32 v58, 32, v56
	v_subrev_u32_e32 v56, 28, v58
	v_lshlrev_b64 v[56:57], v56, v[2:3]
	v_lshrrev_b32_e32 v55, 3, v10
	v_sub_u32_e32 v57, 29, v58
	v_cmp_gt_u32_e64 s[0:1], 8, v10
	v_lshlrev_b32_e32 v2, 8, v2
	s_nop 0
	v_cndmask_b32_e64 v10, v55, v57, s[0:1]
	v_lshl_add_u32 v10, v10, 10, v21
	v_and_b32_e32 v55, 7, v56
	v_and_or_b32 v2, v2, s54, v10
	v_cndmask_b32_e64 v53, v53, v55, s[0:1]
	v_lshlrev_b32_e32 v2, 16, v2
	v_lshl_or_b32 v53, v53, 23, v2
.LBB258_184:                            ;   in Loop: Header=BB258_13 Depth=1
	s_or_b64 exec, exec, s[44:45]
.LBB258_185:                            ;   in Loop: Header=BB258_13 Depth=1
	s_or_b64 exec, exec, s[42:43]
.LBB258_186:                            ;   in Loop: Header=BB258_13 Depth=1
	s_or_b64 exec, exec, s[40:41]
	global_load_dword v10, v[8:9], off offset:1544
	v_mov_b32_e32 v55, 0
	v_mov_b32_e32 v56, 0
	s_waitcnt vmcnt(0)
	v_cmp_ne_u16_sdwa s[0:1], v10, v3 src0_sel:BYTE_0 src1_sel:DWORD
	s_and_saveexec_b64 s[40:41], s[0:1]
	s_cbranch_execz .LBB258_192
; %bb.187:                              ;   in Loop: Header=BB258_13 Depth=1
	v_cmp_ne_u16_sdwa s[0:1], v10, s52 src0_sel:BYTE_0 src1_sel:DWORD
	v_mov_b32_e32 v56, 0x8000
	s_and_saveexec_b64 s[42:43], s[0:1]
	s_cbranch_execz .LBB258_191
; %bb.188:                              ;   in Loop: Header=BB258_13 Depth=1
	v_and_b32_e32 v2, 0x7f, v10
	v_cmp_ne_u32_e64 s[0:1], s53, v2
	v_mov_b32_e32 v56, 0x7c01
	s_and_saveexec_b64 s[44:45], s[0:1]
	s_cbranch_execz .LBB258_190
; %bb.189:                              ;   in Loop: Header=BB258_13 Depth=1
	v_and_b32_e32 v58, 7, v10
	v_ffbh_u32_e32 v56, v58
	v_min_u32_e32 v60, 32, v56
	v_subrev_u32_e32 v56, 28, v60
	v_lshlrev_b64 v[56:57], v56, v[10:11]
	v_lshrrev_b32_e32 v59, 3, v2
	v_sub_u32_e32 v57, 29, v60
	v_cmp_gt_u32_e64 s[0:1], 8, v2
	v_and_b32_e32 v56, 7, v56
	s_nop 0
	v_cndmask_b32_e64 v2, v59, v57, s[0:1]
	v_lshl_add_u32 v2, v2, 10, v21
	v_lshlrev_b32_e32 v57, 8, v10
	v_and_b32_e32 v2, 0xfc00, v2
	v_cndmask_b32_e64 v56, v58, v56, s[0:1]
	v_and_or_b32 v2, v57, s54, v2
	v_lshl_or_b32 v56, v56, 7, v2
.LBB258_190:                            ;   in Loop: Header=BB258_13 Depth=1
	s_or_b64 exec, exec, s[44:45]
.LBB258_191:                            ;   in Loop: Header=BB258_13 Depth=1
	s_or_b64 exec, exec, s[42:43]
.LBB258_192:                            ;   in Loop: Header=BB258_13 Depth=1
	s_or_b64 exec, exec, s[40:41]
	v_lshrrev_b16_e32 v2, 8, v10
	v_cmp_ne_u16_e64 s[0:1], 0, v2
	s_and_saveexec_b64 s[40:41], s[0:1]
	s_cbranch_execz .LBB258_198
; %bb.193:                              ;   in Loop: Header=BB258_13 Depth=1
	v_cmp_ne_u16_e64 s[0:1], s52, v2
	v_bfrev_b32_e32 v55, 1
	s_and_saveexec_b64 s[42:43], s[0:1]
	s_cbranch_execz .LBB258_197
; %bb.194:                              ;   in Loop: Header=BB258_13 Depth=1
	v_and_b32_e32 v57, 0x7f, v2
	v_cmp_ne_u32_e64 s[0:1], s53, v57
	v_mov_b32_e32 v55, 0x7c010000
	s_and_saveexec_b64 s[44:45], s[0:1]
	s_cbranch_execz .LBB258_196
; %bb.195:                              ;   in Loop: Header=BB258_13 Depth=1
	v_and_b32_e32 v55, 7, v2
	v_ffbh_u32_e32 v58, v55
	v_min_u32_e32 v61, 32, v58
	v_subrev_u32_e32 v58, 28, v61
	v_lshlrev_b64 v[58:59], v58, v[2:3]
	v_lshrrev_b32_e32 v60, 3, v57
	v_sub_u32_e32 v59, 29, v61
	v_cmp_gt_u32_e64 s[0:1], 8, v57
	v_lshlrev_b32_e32 v2, 8, v2
	v_and_b32_e32 v58, 7, v58
	v_cndmask_b32_e64 v57, v60, v59, s[0:1]
	v_lshl_add_u32 v57, v57, 10, v21
	v_and_or_b32 v2, v2, s54, v57
	v_cndmask_b32_e64 v55, v55, v58, s[0:1]
	v_lshlrev_b32_e32 v2, 16, v2
	v_lshl_or_b32 v55, v55, 23, v2
.LBB258_196:                            ;   in Loop: Header=BB258_13 Depth=1
	s_or_b64 exec, exec, s[44:45]
.LBB258_197:                            ;   in Loop: Header=BB258_13 Depth=1
	s_or_b64 exec, exec, s[42:43]
.LBB258_198:                            ;   in Loop: Header=BB258_13 Depth=1
	s_or_b64 exec, exec, s[40:41]
	v_lshrrev_b32_e32 v2, 16, v10
	v_cmp_ne_u16_sdwa s[0:1], v2, v3 src0_sel:BYTE_0 src1_sel:DWORD
	v_mov_b32_e32 v57, 0
	v_mov_b32_e32 v58, 0
	s_and_saveexec_b64 s[40:41], s[0:1]
	s_cbranch_execz .LBB258_204
; %bb.199:                              ;   in Loop: Header=BB258_13 Depth=1
	v_cmp_ne_u16_sdwa s[0:1], v2, s52 src0_sel:BYTE_0 src1_sel:DWORD
	v_mov_b32_e32 v58, 0x8000
	s_and_saveexec_b64 s[42:43], s[0:1]
	s_cbranch_execz .LBB258_203
; %bb.200:                              ;   in Loop: Header=BB258_13 Depth=1
	v_bfe_u32 v59, v10, 16, 7
	v_cmp_ne_u32_e64 s[0:1], s53, v59
	v_mov_b32_e32 v58, 0x7c01
	s_and_saveexec_b64 s[44:45], s[0:1]
	s_cbranch_execz .LBB258_202
; %bb.201:                              ;   in Loop: Header=BB258_13 Depth=1
	v_and_b32_e32 v58, 7, v2
	v_ffbh_u32_e32 v60, v58
	v_min_u32_e32 v63, 32, v60
	v_subrev_u32_e32 v60, 28, v63
	v_lshlrev_b64 v[60:61], v60, v[2:3]
	v_lshrrev_b32_e32 v62, 3, v59
	v_sub_u32_e32 v61, 29, v63
	v_cmp_gt_u32_e64 s[0:1], 8, v59
	v_lshlrev_b32_e32 v2, 8, v2
	v_and_b32_e32 v60, 7, v60
	v_cndmask_b32_e64 v59, v62, v61, s[0:1]
	v_lshl_add_u32 v59, v59, 10, v21
	v_and_b32_e32 v59, 0xfc00, v59
	v_cndmask_b32_e64 v58, v58, v60, s[0:1]
	v_and_or_b32 v2, v2, s54, v59
	v_lshl_or_b32 v58, v58, 7, v2
.LBB258_202:                            ;   in Loop: Header=BB258_13 Depth=1
	s_or_b64 exec, exec, s[44:45]
.LBB258_203:                            ;   in Loop: Header=BB258_13 Depth=1
	s_or_b64 exec, exec, s[42:43]
.LBB258_204:                            ;   in Loop: Header=BB258_13 Depth=1
	s_or_b64 exec, exec, s[40:41]
	v_cmp_lt_u32_e64 s[0:1], s55, v10
	s_and_saveexec_b64 s[40:41], s[0:1]
	s_cbranch_execz .LBB258_210
; %bb.205:                              ;   in Loop: Header=BB258_13 Depth=1
	v_lshrrev_b32_e32 v2, 24, v10
	v_cmp_ne_u32_e64 s[0:1], s52, v2
	v_bfrev_b32_e32 v57, 1
	s_and_saveexec_b64 s[42:43], s[0:1]
	s_cbranch_execz .LBB258_209
; %bb.206:                              ;   in Loop: Header=BB258_13 Depth=1
	v_and_b32_e32 v10, 0x7f, v2
	v_cmp_ne_u32_e64 s[0:1], s53, v10
	v_mov_b32_e32 v57, 0x7c010000
	s_and_saveexec_b64 s[44:45], s[0:1]
	s_cbranch_execz .LBB258_208
; %bb.207:                              ;   in Loop: Header=BB258_13 Depth=1
	v_and_b32_e32 v57, 7, v2
	v_ffbh_u32_e32 v60, v57
	v_min_u32_e32 v62, 32, v60
	v_subrev_u32_e32 v60, 28, v62
	v_lshlrev_b64 v[60:61], v60, v[2:3]
	v_lshrrev_b32_e32 v59, 3, v10
	v_sub_u32_e32 v61, 29, v62
	v_cmp_gt_u32_e64 s[0:1], 8, v10
	v_lshlrev_b32_e32 v2, 8, v2
	s_nop 0
	v_cndmask_b32_e64 v10, v59, v61, s[0:1]
	v_lshl_add_u32 v10, v10, 10, v21
	v_and_b32_e32 v59, 7, v60
	v_and_or_b32 v2, v2, s54, v10
	v_cndmask_b32_e64 v57, v57, v59, s[0:1]
	v_lshlrev_b32_e32 v2, 16, v2
	v_lshl_or_b32 v57, v57, 23, v2
.LBB258_208:                            ;   in Loop: Header=BB258_13 Depth=1
	s_or_b64 exec, exec, s[44:45]
.LBB258_209:                            ;   in Loop: Header=BB258_13 Depth=1
	s_or_b64 exec, exec, s[42:43]
.LBB258_210:                            ;   in Loop: Header=BB258_13 Depth=1
	s_or_b64 exec, exec, s[40:41]
	global_load_dword v10, v[8:9], off offset:2048
	v_mov_b32_e32 v59, 0
	v_mov_b32_e32 v60, 0
	s_waitcnt vmcnt(0)
	v_cmp_ne_u16_sdwa s[0:1], v10, v3 src0_sel:BYTE_0 src1_sel:DWORD
	s_and_saveexec_b64 s[40:41], s[0:1]
	s_cbranch_execz .LBB258_216
; %bb.211:                              ;   in Loop: Header=BB258_13 Depth=1
	v_cmp_ne_u16_sdwa s[0:1], v10, s52 src0_sel:BYTE_0 src1_sel:DWORD
	v_mov_b32_e32 v60, 0x8000
	s_and_saveexec_b64 s[42:43], s[0:1]
	s_cbranch_execz .LBB258_215
; %bb.212:                              ;   in Loop: Header=BB258_13 Depth=1
	v_and_b32_e32 v2, 0x7f, v10
	v_cmp_ne_u32_e64 s[0:1], s53, v2
	v_mov_b32_e32 v60, 0x7c01
	s_and_saveexec_b64 s[44:45], s[0:1]
	s_cbranch_execz .LBB258_214
; %bb.213:                              ;   in Loop: Header=BB258_13 Depth=1
	v_and_b32_e32 v62, 7, v10
	v_ffbh_u32_e32 v60, v62
	v_min_u32_e32 v64, 32, v60
	v_subrev_u32_e32 v60, 28, v64
	v_lshlrev_b64 v[60:61], v60, v[10:11]
	v_lshrrev_b32_e32 v63, 3, v2
	v_sub_u32_e32 v61, 29, v64
	v_cmp_gt_u32_e64 s[0:1], 8, v2
	v_and_b32_e32 v60, 7, v60
	s_nop 0
	v_cndmask_b32_e64 v2, v63, v61, s[0:1]
	v_lshl_add_u32 v2, v2, 10, v21
	v_lshlrev_b32_e32 v61, 8, v10
	v_and_b32_e32 v2, 0xfc00, v2
	v_cndmask_b32_e64 v60, v62, v60, s[0:1]
	v_and_or_b32 v2, v61, s54, v2
	v_lshl_or_b32 v60, v60, 7, v2
.LBB258_214:                            ;   in Loop: Header=BB258_13 Depth=1
	s_or_b64 exec, exec, s[44:45]
.LBB258_215:                            ;   in Loop: Header=BB258_13 Depth=1
	s_or_b64 exec, exec, s[42:43]
.LBB258_216:                            ;   in Loop: Header=BB258_13 Depth=1
	s_or_b64 exec, exec, s[40:41]
	v_lshrrev_b16_e32 v2, 8, v10
	v_cmp_ne_u16_e64 s[0:1], 0, v2
	s_and_saveexec_b64 s[40:41], s[0:1]
	s_cbranch_execz .LBB258_222
; %bb.217:                              ;   in Loop: Header=BB258_13 Depth=1
	v_cmp_ne_u16_e64 s[0:1], s52, v2
	v_bfrev_b32_e32 v59, 1
	s_and_saveexec_b64 s[42:43], s[0:1]
	s_cbranch_execz .LBB258_221
; %bb.218:                              ;   in Loop: Header=BB258_13 Depth=1
	v_and_b32_e32 v61, 0x7f, v2
	v_cmp_ne_u32_e64 s[0:1], s53, v61
	v_mov_b32_e32 v59, 0x7c010000
	s_and_saveexec_b64 s[44:45], s[0:1]
	s_cbranch_execz .LBB258_220
; %bb.219:                              ;   in Loop: Header=BB258_13 Depth=1
	v_and_b32_e32 v59, 7, v2
	v_ffbh_u32_e32 v62, v59
	v_min_u32_e32 v65, 32, v62
	v_subrev_u32_e32 v62, 28, v65
	v_lshlrev_b64 v[62:63], v62, v[2:3]
	v_lshrrev_b32_e32 v64, 3, v61
	v_sub_u32_e32 v63, 29, v65
	v_cmp_gt_u32_e64 s[0:1], 8, v61
	v_lshlrev_b32_e32 v2, 8, v2
	v_and_b32_e32 v62, 7, v62
	v_cndmask_b32_e64 v61, v64, v63, s[0:1]
	v_lshl_add_u32 v61, v61, 10, v21
	v_and_or_b32 v2, v2, s54, v61
	v_cndmask_b32_e64 v59, v59, v62, s[0:1]
	v_lshlrev_b32_e32 v2, 16, v2
	v_lshl_or_b32 v59, v59, 23, v2
.LBB258_220:                            ;   in Loop: Header=BB258_13 Depth=1
	s_or_b64 exec, exec, s[44:45]
.LBB258_221:                            ;   in Loop: Header=BB258_13 Depth=1
	s_or_b64 exec, exec, s[42:43]
.LBB258_222:                            ;   in Loop: Header=BB258_13 Depth=1
	s_or_b64 exec, exec, s[40:41]
	v_lshrrev_b32_e32 v2, 16, v10
	v_cmp_ne_u16_sdwa s[0:1], v2, v3 src0_sel:BYTE_0 src1_sel:DWORD
	v_mov_b32_e32 v61, 0
	v_mov_b32_e32 v62, 0
	s_and_saveexec_b64 s[40:41], s[0:1]
	s_cbranch_execz .LBB258_228
; %bb.223:                              ;   in Loop: Header=BB258_13 Depth=1
	v_cmp_ne_u16_sdwa s[0:1], v2, s52 src0_sel:BYTE_0 src1_sel:DWORD
	v_mov_b32_e32 v62, 0x8000
	s_and_saveexec_b64 s[42:43], s[0:1]
	s_cbranch_execz .LBB258_227
; %bb.224:                              ;   in Loop: Header=BB258_13 Depth=1
	v_bfe_u32 v63, v10, 16, 7
	v_cmp_ne_u32_e64 s[0:1], s53, v63
	v_mov_b32_e32 v62, 0x7c01
	s_and_saveexec_b64 s[44:45], s[0:1]
	s_cbranch_execz .LBB258_226
; %bb.225:                              ;   in Loop: Header=BB258_13 Depth=1
	v_and_b32_e32 v62, 7, v2
	v_ffbh_u32_e32 v64, v62
	v_min_u32_e32 v67, 32, v64
	v_subrev_u32_e32 v64, 28, v67
	v_lshlrev_b64 v[64:65], v64, v[2:3]
	v_lshrrev_b32_e32 v66, 3, v63
	v_sub_u32_e32 v65, 29, v67
	v_cmp_gt_u32_e64 s[0:1], 8, v63
	v_lshlrev_b32_e32 v2, 8, v2
	v_and_b32_e32 v64, 7, v64
	v_cndmask_b32_e64 v63, v66, v65, s[0:1]
	v_lshl_add_u32 v63, v63, 10, v21
	v_and_b32_e32 v63, 0xfc00, v63
	v_cndmask_b32_e64 v62, v62, v64, s[0:1]
	v_and_or_b32 v2, v2, s54, v63
	v_lshl_or_b32 v62, v62, 7, v2
.LBB258_226:                            ;   in Loop: Header=BB258_13 Depth=1
	s_or_b64 exec, exec, s[44:45]
.LBB258_227:                            ;   in Loop: Header=BB258_13 Depth=1
	s_or_b64 exec, exec, s[42:43]
.LBB258_228:                            ;   in Loop: Header=BB258_13 Depth=1
	s_or_b64 exec, exec, s[40:41]
	v_cmp_lt_u32_e64 s[0:1], s55, v10
	s_and_saveexec_b64 s[40:41], s[0:1]
	s_cbranch_execz .LBB258_234
; %bb.229:                              ;   in Loop: Header=BB258_13 Depth=1
	v_lshrrev_b32_e32 v2, 24, v10
	v_cmp_ne_u32_e64 s[0:1], s52, v2
	v_bfrev_b32_e32 v61, 1
	s_and_saveexec_b64 s[42:43], s[0:1]
	s_cbranch_execz .LBB258_233
; %bb.230:                              ;   in Loop: Header=BB258_13 Depth=1
	v_and_b32_e32 v10, 0x7f, v2
	v_cmp_ne_u32_e64 s[0:1], s53, v10
	v_mov_b32_e32 v61, 0x7c010000
	s_and_saveexec_b64 s[44:45], s[0:1]
	s_cbranch_execz .LBB258_232
; %bb.231:                              ;   in Loop: Header=BB258_13 Depth=1
	v_and_b32_e32 v61, 7, v2
	v_ffbh_u32_e32 v64, v61
	v_min_u32_e32 v66, 32, v64
	v_subrev_u32_e32 v64, 28, v66
	v_lshlrev_b64 v[64:65], v64, v[2:3]
	v_lshrrev_b32_e32 v63, 3, v10
	v_sub_u32_e32 v65, 29, v66
	v_cmp_gt_u32_e64 s[0:1], 8, v10
	v_lshlrev_b32_e32 v2, 8, v2
	s_nop 0
	v_cndmask_b32_e64 v10, v63, v65, s[0:1]
	v_lshl_add_u32 v10, v10, 10, v21
	v_and_b32_e32 v63, 7, v64
	v_and_or_b32 v2, v2, s54, v10
	v_cndmask_b32_e64 v61, v61, v63, s[0:1]
	v_lshlrev_b32_e32 v2, 16, v2
	v_lshl_or_b32 v61, v61, 23, v2
.LBB258_232:                            ;   in Loop: Header=BB258_13 Depth=1
	s_or_b64 exec, exec, s[44:45]
.LBB258_233:                            ;   in Loop: Header=BB258_13 Depth=1
	s_or_b64 exec, exec, s[42:43]
.LBB258_234:                            ;   in Loop: Header=BB258_13 Depth=1
	s_or_b64 exec, exec, s[40:41]
	global_load_dword v10, v[8:9], off offset:2056
	v_mov_b32_e32 v63, 0
	v_mov_b32_e32 v64, 0
	s_waitcnt vmcnt(0)
	v_cmp_ne_u16_sdwa s[0:1], v10, v3 src0_sel:BYTE_0 src1_sel:DWORD
	s_and_saveexec_b64 s[40:41], s[0:1]
	s_cbranch_execz .LBB258_240
; %bb.235:                              ;   in Loop: Header=BB258_13 Depth=1
	v_cmp_ne_u16_sdwa s[0:1], v10, s52 src0_sel:BYTE_0 src1_sel:DWORD
	v_mov_b32_e32 v64, 0x8000
	s_and_saveexec_b64 s[42:43], s[0:1]
	s_cbranch_execz .LBB258_239
; %bb.236:                              ;   in Loop: Header=BB258_13 Depth=1
	v_and_b32_e32 v2, 0x7f, v10
	v_cmp_ne_u32_e64 s[0:1], s53, v2
	v_mov_b32_e32 v64, 0x7c01
	s_and_saveexec_b64 s[44:45], s[0:1]
	s_cbranch_execz .LBB258_238
; %bb.237:                              ;   in Loop: Header=BB258_13 Depth=1
	v_and_b32_e32 v66, 7, v10
	v_ffbh_u32_e32 v64, v66
	v_min_u32_e32 v68, 32, v64
	v_subrev_u32_e32 v64, 28, v68
	v_lshlrev_b64 v[64:65], v64, v[10:11]
	v_lshrrev_b32_e32 v67, 3, v2
	v_sub_u32_e32 v65, 29, v68
	v_cmp_gt_u32_e64 s[0:1], 8, v2
	v_and_b32_e32 v64, 7, v64
	s_nop 0
	v_cndmask_b32_e64 v2, v67, v65, s[0:1]
	v_lshl_add_u32 v2, v2, 10, v21
	v_lshlrev_b32_e32 v65, 8, v10
	v_and_b32_e32 v2, 0xfc00, v2
	v_cndmask_b32_e64 v64, v66, v64, s[0:1]
	v_and_or_b32 v2, v65, s54, v2
	v_lshl_or_b32 v64, v64, 7, v2
.LBB258_238:                            ;   in Loop: Header=BB258_13 Depth=1
	s_or_b64 exec, exec, s[44:45]
.LBB258_239:                            ;   in Loop: Header=BB258_13 Depth=1
	s_or_b64 exec, exec, s[42:43]
.LBB258_240:                            ;   in Loop: Header=BB258_13 Depth=1
	s_or_b64 exec, exec, s[40:41]
	v_lshrrev_b16_e32 v2, 8, v10
	v_cmp_ne_u16_e64 s[0:1], 0, v2
	s_and_saveexec_b64 s[40:41], s[0:1]
	s_cbranch_execz .LBB258_246
; %bb.241:                              ;   in Loop: Header=BB258_13 Depth=1
	v_cmp_ne_u16_e64 s[0:1], s52, v2
	v_bfrev_b32_e32 v63, 1
	s_and_saveexec_b64 s[42:43], s[0:1]
	s_cbranch_execz .LBB258_245
; %bb.242:                              ;   in Loop: Header=BB258_13 Depth=1
	v_and_b32_e32 v65, 0x7f, v2
	v_cmp_ne_u32_e64 s[0:1], s53, v65
	v_mov_b32_e32 v63, 0x7c010000
	s_and_saveexec_b64 s[44:45], s[0:1]
	s_cbranch_execz .LBB258_244
; %bb.243:                              ;   in Loop: Header=BB258_13 Depth=1
	v_and_b32_e32 v63, 7, v2
	v_ffbh_u32_e32 v66, v63
	v_min_u32_e32 v69, 32, v66
	v_subrev_u32_e32 v66, 28, v69
	v_lshlrev_b64 v[66:67], v66, v[2:3]
	v_lshrrev_b32_e32 v68, 3, v65
	v_sub_u32_e32 v67, 29, v69
	v_cmp_gt_u32_e64 s[0:1], 8, v65
	v_lshlrev_b32_e32 v2, 8, v2
	v_and_b32_e32 v66, 7, v66
	v_cndmask_b32_e64 v65, v68, v67, s[0:1]
	v_lshl_add_u32 v65, v65, 10, v21
	v_and_or_b32 v2, v2, s54, v65
	v_cndmask_b32_e64 v63, v63, v66, s[0:1]
	v_lshlrev_b32_e32 v2, 16, v2
	v_lshl_or_b32 v63, v63, 23, v2
.LBB258_244:                            ;   in Loop: Header=BB258_13 Depth=1
	s_or_b64 exec, exec, s[44:45]
.LBB258_245:                            ;   in Loop: Header=BB258_13 Depth=1
	s_or_b64 exec, exec, s[42:43]
.LBB258_246:                            ;   in Loop: Header=BB258_13 Depth=1
	s_or_b64 exec, exec, s[40:41]
	v_lshrrev_b32_e32 v2, 16, v10
	v_cmp_ne_u16_sdwa s[0:1], v2, v3 src0_sel:BYTE_0 src1_sel:DWORD
	v_mov_b32_e32 v65, 0
	v_mov_b32_e32 v66, 0
	s_and_saveexec_b64 s[40:41], s[0:1]
	s_cbranch_execz .LBB258_252
; %bb.247:                              ;   in Loop: Header=BB258_13 Depth=1
	v_cmp_ne_u16_sdwa s[0:1], v2, s52 src0_sel:BYTE_0 src1_sel:DWORD
	v_mov_b32_e32 v66, 0x8000
	s_and_saveexec_b64 s[42:43], s[0:1]
	s_cbranch_execz .LBB258_251
; %bb.248:                              ;   in Loop: Header=BB258_13 Depth=1
	v_bfe_u32 v67, v10, 16, 7
	v_cmp_ne_u32_e64 s[0:1], s53, v67
	v_mov_b32_e32 v66, 0x7c01
	s_and_saveexec_b64 s[44:45], s[0:1]
	s_cbranch_execz .LBB258_250
; %bb.249:                              ;   in Loop: Header=BB258_13 Depth=1
	v_and_b32_e32 v66, 7, v2
	v_ffbh_u32_e32 v68, v66
	v_min_u32_e32 v71, 32, v68
	v_subrev_u32_e32 v68, 28, v71
	v_lshlrev_b64 v[68:69], v68, v[2:3]
	v_lshrrev_b32_e32 v70, 3, v67
	v_sub_u32_e32 v69, 29, v71
	v_cmp_gt_u32_e64 s[0:1], 8, v67
	v_lshlrev_b32_e32 v2, 8, v2
	v_and_b32_e32 v68, 7, v68
	v_cndmask_b32_e64 v67, v70, v69, s[0:1]
	v_lshl_add_u32 v67, v67, 10, v21
	v_and_b32_e32 v67, 0xfc00, v67
	v_cndmask_b32_e64 v66, v66, v68, s[0:1]
	v_and_or_b32 v2, v2, s54, v67
	v_lshl_or_b32 v66, v66, 7, v2
.LBB258_250:                            ;   in Loop: Header=BB258_13 Depth=1
	s_or_b64 exec, exec, s[44:45]
.LBB258_251:                            ;   in Loop: Header=BB258_13 Depth=1
	s_or_b64 exec, exec, s[42:43]
.LBB258_252:                            ;   in Loop: Header=BB258_13 Depth=1
	s_or_b64 exec, exec, s[40:41]
	v_cmp_lt_u32_e64 s[0:1], s55, v10
	s_and_saveexec_b64 s[40:41], s[0:1]
	s_cbranch_execz .LBB258_258
; %bb.253:                              ;   in Loop: Header=BB258_13 Depth=1
	v_lshrrev_b32_e32 v2, 24, v10
	v_cmp_ne_u32_e64 s[0:1], s52, v2
	v_bfrev_b32_e32 v65, 1
	s_and_saveexec_b64 s[42:43], s[0:1]
	s_cbranch_execz .LBB258_257
; %bb.254:                              ;   in Loop: Header=BB258_13 Depth=1
	v_and_b32_e32 v10, 0x7f, v2
	v_cmp_ne_u32_e64 s[0:1], s53, v10
	v_mov_b32_e32 v65, 0x7c010000
	s_and_saveexec_b64 s[44:45], s[0:1]
	s_cbranch_execz .LBB258_256
; %bb.255:                              ;   in Loop: Header=BB258_13 Depth=1
	v_and_b32_e32 v65, 7, v2
	v_ffbh_u32_e32 v68, v65
	v_min_u32_e32 v70, 32, v68
	v_subrev_u32_e32 v68, 28, v70
	v_lshlrev_b64 v[68:69], v68, v[2:3]
	v_lshrrev_b32_e32 v67, 3, v10
	v_sub_u32_e32 v69, 29, v70
	v_cmp_gt_u32_e64 s[0:1], 8, v10
	v_lshlrev_b32_e32 v2, 8, v2
	s_nop 0
	v_cndmask_b32_e64 v10, v67, v69, s[0:1]
	v_lshl_add_u32 v10, v10, 10, v21
	v_and_b32_e32 v67, 7, v68
	v_and_or_b32 v2, v2, s54, v10
	v_cndmask_b32_e64 v65, v65, v67, s[0:1]
	v_lshlrev_b32_e32 v2, 16, v2
	v_lshl_or_b32 v65, v65, 23, v2
.LBB258_256:                            ;   in Loop: Header=BB258_13 Depth=1
	s_or_b64 exec, exec, s[44:45]
.LBB258_257:                            ;   in Loop: Header=BB258_13 Depth=1
	s_or_b64 exec, exec, s[42:43]
.LBB258_258:                            ;   in Loop: Header=BB258_13 Depth=1
	s_or_b64 exec, exec, s[40:41]
	global_load_dword v10, v[8:9], off offset:2560
	v_mov_b32_e32 v67, 0
	v_mov_b32_e32 v68, 0
	s_waitcnt vmcnt(0)
	v_cmp_ne_u16_sdwa s[0:1], v10, v3 src0_sel:BYTE_0 src1_sel:DWORD
	s_and_saveexec_b64 s[40:41], s[0:1]
	s_cbranch_execz .LBB258_264
; %bb.259:                              ;   in Loop: Header=BB258_13 Depth=1
	v_cmp_ne_u16_sdwa s[0:1], v10, s52 src0_sel:BYTE_0 src1_sel:DWORD
	v_mov_b32_e32 v68, 0x8000
	s_and_saveexec_b64 s[42:43], s[0:1]
	s_cbranch_execz .LBB258_263
; %bb.260:                              ;   in Loop: Header=BB258_13 Depth=1
	v_and_b32_e32 v2, 0x7f, v10
	v_cmp_ne_u32_e64 s[0:1], s53, v2
	v_mov_b32_e32 v68, 0x7c01
	s_and_saveexec_b64 s[44:45], s[0:1]
	s_cbranch_execz .LBB258_262
; %bb.261:                              ;   in Loop: Header=BB258_13 Depth=1
	v_and_b32_e32 v70, 7, v10
	v_ffbh_u32_e32 v68, v70
	v_min_u32_e32 v72, 32, v68
	v_subrev_u32_e32 v68, 28, v72
	v_lshlrev_b64 v[68:69], v68, v[10:11]
	v_lshrrev_b32_e32 v71, 3, v2
	v_sub_u32_e32 v69, 29, v72
	v_cmp_gt_u32_e64 s[0:1], 8, v2
	v_and_b32_e32 v68, 7, v68
	s_nop 0
	v_cndmask_b32_e64 v2, v71, v69, s[0:1]
	v_lshl_add_u32 v2, v2, 10, v21
	v_lshlrev_b32_e32 v69, 8, v10
	v_and_b32_e32 v2, 0xfc00, v2
	v_cndmask_b32_e64 v68, v70, v68, s[0:1]
	v_and_or_b32 v2, v69, s54, v2
	v_lshl_or_b32 v68, v68, 7, v2
.LBB258_262:                            ;   in Loop: Header=BB258_13 Depth=1
	s_or_b64 exec, exec, s[44:45]
.LBB258_263:                            ;   in Loop: Header=BB258_13 Depth=1
	s_or_b64 exec, exec, s[42:43]
.LBB258_264:                            ;   in Loop: Header=BB258_13 Depth=1
	s_or_b64 exec, exec, s[40:41]
	v_lshrrev_b16_e32 v2, 8, v10
	v_cmp_ne_u16_e64 s[0:1], 0, v2
	s_and_saveexec_b64 s[40:41], s[0:1]
	s_cbranch_execz .LBB258_270
; %bb.265:                              ;   in Loop: Header=BB258_13 Depth=1
	v_cmp_ne_u16_e64 s[0:1], s52, v2
	v_bfrev_b32_e32 v67, 1
	s_and_saveexec_b64 s[42:43], s[0:1]
	s_cbranch_execz .LBB258_269
; %bb.266:                              ;   in Loop: Header=BB258_13 Depth=1
	v_and_b32_e32 v69, 0x7f, v2
	v_cmp_ne_u32_e64 s[0:1], s53, v69
	v_mov_b32_e32 v67, 0x7c010000
	s_and_saveexec_b64 s[44:45], s[0:1]
	s_cbranch_execz .LBB258_268
; %bb.267:                              ;   in Loop: Header=BB258_13 Depth=1
	v_and_b32_e32 v67, 7, v2
	v_ffbh_u32_e32 v70, v67
	v_min_u32_e32 v73, 32, v70
	v_subrev_u32_e32 v70, 28, v73
	v_lshlrev_b64 v[70:71], v70, v[2:3]
	v_lshrrev_b32_e32 v72, 3, v69
	v_sub_u32_e32 v71, 29, v73
	v_cmp_gt_u32_e64 s[0:1], 8, v69
	v_lshlrev_b32_e32 v2, 8, v2
	v_and_b32_e32 v70, 7, v70
	v_cndmask_b32_e64 v69, v72, v71, s[0:1]
	v_lshl_add_u32 v69, v69, 10, v21
	v_and_or_b32 v2, v2, s54, v69
	v_cndmask_b32_e64 v67, v67, v70, s[0:1]
	v_lshlrev_b32_e32 v2, 16, v2
	v_lshl_or_b32 v67, v67, 23, v2
.LBB258_268:                            ;   in Loop: Header=BB258_13 Depth=1
	s_or_b64 exec, exec, s[44:45]
.LBB258_269:                            ;   in Loop: Header=BB258_13 Depth=1
	s_or_b64 exec, exec, s[42:43]
.LBB258_270:                            ;   in Loop: Header=BB258_13 Depth=1
	s_or_b64 exec, exec, s[40:41]
	v_lshrrev_b32_e32 v2, 16, v10
	v_cmp_ne_u16_sdwa s[0:1], v2, v3 src0_sel:BYTE_0 src1_sel:DWORD
	v_mov_b32_e32 v69, 0
	v_mov_b32_e32 v70, 0
	s_and_saveexec_b64 s[40:41], s[0:1]
	s_cbranch_execz .LBB258_276
; %bb.271:                              ;   in Loop: Header=BB258_13 Depth=1
	v_cmp_ne_u16_sdwa s[0:1], v2, s52 src0_sel:BYTE_0 src1_sel:DWORD
	v_mov_b32_e32 v70, 0x8000
	s_and_saveexec_b64 s[42:43], s[0:1]
	s_cbranch_execz .LBB258_275
; %bb.272:                              ;   in Loop: Header=BB258_13 Depth=1
	v_bfe_u32 v71, v10, 16, 7
	v_cmp_ne_u32_e64 s[0:1], s53, v71
	v_mov_b32_e32 v70, 0x7c01
	s_and_saveexec_b64 s[44:45], s[0:1]
	s_cbranch_execz .LBB258_274
; %bb.273:                              ;   in Loop: Header=BB258_13 Depth=1
	v_and_b32_e32 v70, 7, v2
	v_ffbh_u32_e32 v72, v70
	v_min_u32_e32 v75, 32, v72
	v_subrev_u32_e32 v72, 28, v75
	v_lshlrev_b64 v[72:73], v72, v[2:3]
	v_lshrrev_b32_e32 v74, 3, v71
	v_sub_u32_e32 v73, 29, v75
	v_cmp_gt_u32_e64 s[0:1], 8, v71
	v_lshlrev_b32_e32 v2, 8, v2
	v_and_b32_e32 v72, 7, v72
	v_cndmask_b32_e64 v71, v74, v73, s[0:1]
	v_lshl_add_u32 v71, v71, 10, v21
	v_and_b32_e32 v71, 0xfc00, v71
	v_cndmask_b32_e64 v70, v70, v72, s[0:1]
	v_and_or_b32 v2, v2, s54, v71
	v_lshl_or_b32 v70, v70, 7, v2
.LBB258_274:                            ;   in Loop: Header=BB258_13 Depth=1
	s_or_b64 exec, exec, s[44:45]
.LBB258_275:                            ;   in Loop: Header=BB258_13 Depth=1
	s_or_b64 exec, exec, s[42:43]
.LBB258_276:                            ;   in Loop: Header=BB258_13 Depth=1
	s_or_b64 exec, exec, s[40:41]
	v_cmp_lt_u32_e64 s[0:1], s55, v10
	s_and_saveexec_b64 s[40:41], s[0:1]
	s_cbranch_execz .LBB258_282
; %bb.277:                              ;   in Loop: Header=BB258_13 Depth=1
	v_lshrrev_b32_e32 v2, 24, v10
	v_cmp_ne_u32_e64 s[0:1], s52, v2
	v_bfrev_b32_e32 v69, 1
	s_and_saveexec_b64 s[42:43], s[0:1]
	s_cbranch_execz .LBB258_281
; %bb.278:                              ;   in Loop: Header=BB258_13 Depth=1
	v_and_b32_e32 v10, 0x7f, v2
	v_cmp_ne_u32_e64 s[0:1], s53, v10
	v_mov_b32_e32 v69, 0x7c010000
	s_and_saveexec_b64 s[44:45], s[0:1]
	s_cbranch_execz .LBB258_280
; %bb.279:                              ;   in Loop: Header=BB258_13 Depth=1
	v_and_b32_e32 v69, 7, v2
	v_ffbh_u32_e32 v72, v69
	v_min_u32_e32 v74, 32, v72
	v_subrev_u32_e32 v72, 28, v74
	v_lshlrev_b64 v[72:73], v72, v[2:3]
	v_lshrrev_b32_e32 v71, 3, v10
	v_sub_u32_e32 v73, 29, v74
	v_cmp_gt_u32_e64 s[0:1], 8, v10
	v_lshlrev_b32_e32 v2, 8, v2
	s_nop 0
	v_cndmask_b32_e64 v10, v71, v73, s[0:1]
	v_lshl_add_u32 v10, v10, 10, v21
	v_and_b32_e32 v71, 7, v72
	v_and_or_b32 v2, v2, s54, v10
	v_cndmask_b32_e64 v69, v69, v71, s[0:1]
	v_lshlrev_b32_e32 v2, 16, v2
	v_lshl_or_b32 v69, v69, 23, v2
.LBB258_280:                            ;   in Loop: Header=BB258_13 Depth=1
	s_or_b64 exec, exec, s[44:45]
.LBB258_281:                            ;   in Loop: Header=BB258_13 Depth=1
	s_or_b64 exec, exec, s[42:43]
.LBB258_282:                            ;   in Loop: Header=BB258_13 Depth=1
	s_or_b64 exec, exec, s[40:41]
	global_load_dword v10, v[8:9], off offset:2568
	v_mov_b32_e32 v71, 0
	v_mov_b32_e32 v72, 0
	s_waitcnt vmcnt(0)
	v_cmp_ne_u16_sdwa s[0:1], v10, v3 src0_sel:BYTE_0 src1_sel:DWORD
	s_and_saveexec_b64 s[40:41], s[0:1]
	s_cbranch_execz .LBB258_288
; %bb.283:                              ;   in Loop: Header=BB258_13 Depth=1
	v_cmp_ne_u16_sdwa s[0:1], v10, s52 src0_sel:BYTE_0 src1_sel:DWORD
	v_mov_b32_e32 v72, 0x8000
	s_and_saveexec_b64 s[42:43], s[0:1]
	s_cbranch_execz .LBB258_287
; %bb.284:                              ;   in Loop: Header=BB258_13 Depth=1
	v_and_b32_e32 v2, 0x7f, v10
	v_cmp_ne_u32_e64 s[0:1], s53, v2
	v_mov_b32_e32 v72, 0x7c01
	s_and_saveexec_b64 s[44:45], s[0:1]
	s_cbranch_execz .LBB258_286
; %bb.285:                              ;   in Loop: Header=BB258_13 Depth=1
	v_and_b32_e32 v74, 7, v10
	v_ffbh_u32_e32 v72, v74
	v_min_u32_e32 v76, 32, v72
	v_subrev_u32_e32 v72, 28, v76
	v_lshlrev_b64 v[72:73], v72, v[10:11]
	v_lshrrev_b32_e32 v75, 3, v2
	v_sub_u32_e32 v73, 29, v76
	v_cmp_gt_u32_e64 s[0:1], 8, v2
	v_and_b32_e32 v72, 7, v72
	s_nop 0
	v_cndmask_b32_e64 v2, v75, v73, s[0:1]
	v_lshl_add_u32 v2, v2, 10, v21
	v_lshlrev_b32_e32 v73, 8, v10
	v_and_b32_e32 v2, 0xfc00, v2
	v_cndmask_b32_e64 v72, v74, v72, s[0:1]
	v_and_or_b32 v2, v73, s54, v2
	v_lshl_or_b32 v72, v72, 7, v2
.LBB258_286:                            ;   in Loop: Header=BB258_13 Depth=1
	s_or_b64 exec, exec, s[44:45]
.LBB258_287:                            ;   in Loop: Header=BB258_13 Depth=1
	s_or_b64 exec, exec, s[42:43]
.LBB258_288:                            ;   in Loop: Header=BB258_13 Depth=1
	s_or_b64 exec, exec, s[40:41]
	v_lshrrev_b16_e32 v2, 8, v10
	v_cmp_ne_u16_e64 s[0:1], 0, v2
	s_and_saveexec_b64 s[40:41], s[0:1]
	s_cbranch_execz .LBB258_294
; %bb.289:                              ;   in Loop: Header=BB258_13 Depth=1
	v_cmp_ne_u16_e64 s[0:1], s52, v2
	v_bfrev_b32_e32 v71, 1
	s_and_saveexec_b64 s[42:43], s[0:1]
	s_cbranch_execz .LBB258_293
; %bb.290:                              ;   in Loop: Header=BB258_13 Depth=1
	v_and_b32_e32 v73, 0x7f, v2
	v_cmp_ne_u32_e64 s[0:1], s53, v73
	v_mov_b32_e32 v71, 0x7c010000
	s_and_saveexec_b64 s[44:45], s[0:1]
	s_cbranch_execz .LBB258_292
; %bb.291:                              ;   in Loop: Header=BB258_13 Depth=1
	v_and_b32_e32 v71, 7, v2
	v_ffbh_u32_e32 v74, v71
	v_min_u32_e32 v77, 32, v74
	v_subrev_u32_e32 v74, 28, v77
	v_lshlrev_b64 v[74:75], v74, v[2:3]
	v_lshrrev_b32_e32 v76, 3, v73
	v_sub_u32_e32 v75, 29, v77
	v_cmp_gt_u32_e64 s[0:1], 8, v73
	v_lshlrev_b32_e32 v2, 8, v2
	v_and_b32_e32 v74, 7, v74
	v_cndmask_b32_e64 v73, v76, v75, s[0:1]
	v_lshl_add_u32 v73, v73, 10, v21
	v_and_or_b32 v2, v2, s54, v73
	v_cndmask_b32_e64 v71, v71, v74, s[0:1]
	v_lshlrev_b32_e32 v2, 16, v2
	v_lshl_or_b32 v71, v71, 23, v2
.LBB258_292:                            ;   in Loop: Header=BB258_13 Depth=1
	s_or_b64 exec, exec, s[44:45]
.LBB258_293:                            ;   in Loop: Header=BB258_13 Depth=1
	s_or_b64 exec, exec, s[42:43]
.LBB258_294:                            ;   in Loop: Header=BB258_13 Depth=1
	s_or_b64 exec, exec, s[40:41]
	v_lshrrev_b32_e32 v2, 16, v10
	v_cmp_ne_u16_sdwa s[0:1], v2, v3 src0_sel:BYTE_0 src1_sel:DWORD
	v_mov_b32_e32 v73, 0
	v_mov_b32_e32 v74, 0
	s_and_saveexec_b64 s[40:41], s[0:1]
	s_cbranch_execz .LBB258_300
; %bb.295:                              ;   in Loop: Header=BB258_13 Depth=1
	v_cmp_ne_u16_sdwa s[0:1], v2, s52 src0_sel:BYTE_0 src1_sel:DWORD
	v_mov_b32_e32 v74, 0x8000
	s_and_saveexec_b64 s[42:43], s[0:1]
	s_cbranch_execz .LBB258_299
; %bb.296:                              ;   in Loop: Header=BB258_13 Depth=1
	v_bfe_u32 v75, v10, 16, 7
	v_cmp_ne_u32_e64 s[0:1], s53, v75
	v_mov_b32_e32 v74, 0x7c01
	s_and_saveexec_b64 s[44:45], s[0:1]
	s_cbranch_execz .LBB258_298
; %bb.297:                              ;   in Loop: Header=BB258_13 Depth=1
	v_and_b32_e32 v74, 7, v2
	v_ffbh_u32_e32 v76, v74
	v_min_u32_e32 v79, 32, v76
	v_subrev_u32_e32 v76, 28, v79
	v_lshlrev_b64 v[76:77], v76, v[2:3]
	v_lshrrev_b32_e32 v78, 3, v75
	v_sub_u32_e32 v77, 29, v79
	v_cmp_gt_u32_e64 s[0:1], 8, v75
	v_lshlrev_b32_e32 v2, 8, v2
	v_and_b32_e32 v76, 7, v76
	v_cndmask_b32_e64 v75, v78, v77, s[0:1]
	v_lshl_add_u32 v75, v75, 10, v21
	v_and_b32_e32 v75, 0xfc00, v75
	v_cndmask_b32_e64 v74, v74, v76, s[0:1]
	v_and_or_b32 v2, v2, s54, v75
	v_lshl_or_b32 v74, v74, 7, v2
.LBB258_298:                            ;   in Loop: Header=BB258_13 Depth=1
	s_or_b64 exec, exec, s[44:45]
.LBB258_299:                            ;   in Loop: Header=BB258_13 Depth=1
	s_or_b64 exec, exec, s[42:43]
.LBB258_300:                            ;   in Loop: Header=BB258_13 Depth=1
	s_or_b64 exec, exec, s[40:41]
	v_cmp_lt_u32_e64 s[0:1], s55, v10
	s_and_saveexec_b64 s[40:41], s[0:1]
	s_cbranch_execz .LBB258_306
; %bb.301:                              ;   in Loop: Header=BB258_13 Depth=1
	v_lshrrev_b32_e32 v2, 24, v10
	v_cmp_ne_u32_e64 s[0:1], s52, v2
	v_bfrev_b32_e32 v73, 1
	s_and_saveexec_b64 s[42:43], s[0:1]
	s_cbranch_execz .LBB258_305
; %bb.302:                              ;   in Loop: Header=BB258_13 Depth=1
	v_and_b32_e32 v10, 0x7f, v2
	v_cmp_ne_u32_e64 s[0:1], s53, v10
	v_mov_b32_e32 v73, 0x7c010000
	s_and_saveexec_b64 s[44:45], s[0:1]
	s_cbranch_execz .LBB258_304
; %bb.303:                              ;   in Loop: Header=BB258_13 Depth=1
	v_and_b32_e32 v73, 7, v2
	v_ffbh_u32_e32 v76, v73
	v_min_u32_e32 v78, 32, v76
	v_subrev_u32_e32 v76, 28, v78
	v_lshlrev_b64 v[76:77], v76, v[2:3]
	v_lshrrev_b32_e32 v75, 3, v10
	v_sub_u32_e32 v77, 29, v78
	v_cmp_gt_u32_e64 s[0:1], 8, v10
	v_lshlrev_b32_e32 v2, 8, v2
	s_nop 0
	v_cndmask_b32_e64 v10, v75, v77, s[0:1]
	v_lshl_add_u32 v10, v10, 10, v21
	v_and_b32_e32 v75, 7, v76
	v_and_or_b32 v2, v2, s54, v10
	v_cndmask_b32_e64 v73, v73, v75, s[0:1]
	v_lshlrev_b32_e32 v2, 16, v2
	v_lshl_or_b32 v73, v73, 23, v2
.LBB258_304:                            ;   in Loop: Header=BB258_13 Depth=1
	s_or_b64 exec, exec, s[44:45]
.LBB258_305:                            ;   in Loop: Header=BB258_13 Depth=1
	s_or_b64 exec, exec, s[42:43]
.LBB258_306:                            ;   in Loop: Header=BB258_13 Depth=1
	s_or_b64 exec, exec, s[40:41]
	global_load_dword v10, v[8:9], off offset:3072
	v_mov_b32_e32 v75, 0
	v_mov_b32_e32 v76, 0
	s_waitcnt vmcnt(0)
	v_cmp_ne_u16_sdwa s[0:1], v10, v3 src0_sel:BYTE_0 src1_sel:DWORD
	s_and_saveexec_b64 s[40:41], s[0:1]
	s_cbranch_execz .LBB258_312
; %bb.307:                              ;   in Loop: Header=BB258_13 Depth=1
	v_cmp_ne_u16_sdwa s[0:1], v10, s52 src0_sel:BYTE_0 src1_sel:DWORD
	v_mov_b32_e32 v76, 0x8000
	s_and_saveexec_b64 s[42:43], s[0:1]
	s_cbranch_execz .LBB258_311
; %bb.308:                              ;   in Loop: Header=BB258_13 Depth=1
	v_and_b32_e32 v2, 0x7f, v10
	v_cmp_ne_u32_e64 s[0:1], s53, v2
	v_mov_b32_e32 v76, 0x7c01
	s_and_saveexec_b64 s[44:45], s[0:1]
	s_cbranch_execz .LBB258_310
; %bb.309:                              ;   in Loop: Header=BB258_13 Depth=1
	v_and_b32_e32 v78, 7, v10
	v_ffbh_u32_e32 v76, v78
	v_min_u32_e32 v80, 32, v76
	v_subrev_u32_e32 v76, 28, v80
	v_lshlrev_b64 v[76:77], v76, v[10:11]
	v_lshrrev_b32_e32 v79, 3, v2
	v_sub_u32_e32 v77, 29, v80
	v_cmp_gt_u32_e64 s[0:1], 8, v2
	v_and_b32_e32 v76, 7, v76
	s_nop 0
	v_cndmask_b32_e64 v2, v79, v77, s[0:1]
	v_lshl_add_u32 v2, v2, 10, v21
	v_lshlrev_b32_e32 v77, 8, v10
	v_and_b32_e32 v2, 0xfc00, v2
	v_cndmask_b32_e64 v76, v78, v76, s[0:1]
	v_and_or_b32 v2, v77, s54, v2
	v_lshl_or_b32 v76, v76, 7, v2
.LBB258_310:                            ;   in Loop: Header=BB258_13 Depth=1
	s_or_b64 exec, exec, s[44:45]
.LBB258_311:                            ;   in Loop: Header=BB258_13 Depth=1
	s_or_b64 exec, exec, s[42:43]
.LBB258_312:                            ;   in Loop: Header=BB258_13 Depth=1
	s_or_b64 exec, exec, s[40:41]
	v_lshrrev_b16_e32 v2, 8, v10
	v_cmp_ne_u16_e64 s[0:1], 0, v2
	s_and_saveexec_b64 s[40:41], s[0:1]
	s_cbranch_execz .LBB258_318
; %bb.313:                              ;   in Loop: Header=BB258_13 Depth=1
	v_cmp_ne_u16_e64 s[0:1], s52, v2
	v_bfrev_b32_e32 v75, 1
	s_and_saveexec_b64 s[42:43], s[0:1]
	s_cbranch_execz .LBB258_317
; %bb.314:                              ;   in Loop: Header=BB258_13 Depth=1
	v_and_b32_e32 v77, 0x7f, v2
	v_cmp_ne_u32_e64 s[0:1], s53, v77
	v_mov_b32_e32 v75, 0x7c010000
	s_and_saveexec_b64 s[44:45], s[0:1]
	s_cbranch_execz .LBB258_316
; %bb.315:                              ;   in Loop: Header=BB258_13 Depth=1
	v_and_b32_e32 v75, 7, v2
	v_ffbh_u32_e32 v78, v75
	v_min_u32_e32 v81, 32, v78
	v_subrev_u32_e32 v78, 28, v81
	v_lshlrev_b64 v[78:79], v78, v[2:3]
	v_lshrrev_b32_e32 v80, 3, v77
	v_sub_u32_e32 v79, 29, v81
	v_cmp_gt_u32_e64 s[0:1], 8, v77
	v_lshlrev_b32_e32 v2, 8, v2
	v_and_b32_e32 v78, 7, v78
	v_cndmask_b32_e64 v77, v80, v79, s[0:1]
	v_lshl_add_u32 v77, v77, 10, v21
	v_and_or_b32 v2, v2, s54, v77
	v_cndmask_b32_e64 v75, v75, v78, s[0:1]
	v_lshlrev_b32_e32 v2, 16, v2
	v_lshl_or_b32 v75, v75, 23, v2
.LBB258_316:                            ;   in Loop: Header=BB258_13 Depth=1
	s_or_b64 exec, exec, s[44:45]
.LBB258_317:                            ;   in Loop: Header=BB258_13 Depth=1
	s_or_b64 exec, exec, s[42:43]
.LBB258_318:                            ;   in Loop: Header=BB258_13 Depth=1
	s_or_b64 exec, exec, s[40:41]
	v_lshrrev_b32_e32 v2, 16, v10
	v_cmp_ne_u16_sdwa s[0:1], v2, v3 src0_sel:BYTE_0 src1_sel:DWORD
	v_mov_b32_e32 v77, 0
	v_mov_b32_e32 v78, 0
	s_and_saveexec_b64 s[40:41], s[0:1]
	s_cbranch_execz .LBB258_324
; %bb.319:                              ;   in Loop: Header=BB258_13 Depth=1
	v_cmp_ne_u16_sdwa s[0:1], v2, s52 src0_sel:BYTE_0 src1_sel:DWORD
	v_mov_b32_e32 v78, 0x8000
	s_and_saveexec_b64 s[42:43], s[0:1]
	s_cbranch_execz .LBB258_323
; %bb.320:                              ;   in Loop: Header=BB258_13 Depth=1
	v_bfe_u32 v79, v10, 16, 7
	v_cmp_ne_u32_e64 s[0:1], s53, v79
	v_mov_b32_e32 v78, 0x7c01
	s_and_saveexec_b64 s[44:45], s[0:1]
	s_cbranch_execz .LBB258_322
; %bb.321:                              ;   in Loop: Header=BB258_13 Depth=1
	v_and_b32_e32 v78, 7, v2
	v_ffbh_u32_e32 v80, v78
	v_min_u32_e32 v83, 32, v80
	v_subrev_u32_e32 v80, 28, v83
	v_lshlrev_b64 v[80:81], v80, v[2:3]
	v_lshrrev_b32_e32 v82, 3, v79
	v_sub_u32_e32 v81, 29, v83
	v_cmp_gt_u32_e64 s[0:1], 8, v79
	v_lshlrev_b32_e32 v2, 8, v2
	v_and_b32_e32 v80, 7, v80
	v_cndmask_b32_e64 v79, v82, v81, s[0:1]
	v_lshl_add_u32 v79, v79, 10, v21
	v_and_b32_e32 v79, 0xfc00, v79
	v_cndmask_b32_e64 v78, v78, v80, s[0:1]
	v_and_or_b32 v2, v2, s54, v79
	v_lshl_or_b32 v78, v78, 7, v2
.LBB258_322:                            ;   in Loop: Header=BB258_13 Depth=1
	s_or_b64 exec, exec, s[44:45]
.LBB258_323:                            ;   in Loop: Header=BB258_13 Depth=1
	s_or_b64 exec, exec, s[42:43]
.LBB258_324:                            ;   in Loop: Header=BB258_13 Depth=1
	s_or_b64 exec, exec, s[40:41]
	v_cmp_lt_u32_e64 s[0:1], s55, v10
	s_and_saveexec_b64 s[40:41], s[0:1]
	s_cbranch_execz .LBB258_330
; %bb.325:                              ;   in Loop: Header=BB258_13 Depth=1
	v_lshrrev_b32_e32 v2, 24, v10
	v_cmp_ne_u32_e64 s[0:1], s52, v2
	v_bfrev_b32_e32 v77, 1
	s_and_saveexec_b64 s[42:43], s[0:1]
	s_cbranch_execz .LBB258_329
; %bb.326:                              ;   in Loop: Header=BB258_13 Depth=1
	v_and_b32_e32 v10, 0x7f, v2
	v_cmp_ne_u32_e64 s[0:1], s53, v10
	v_mov_b32_e32 v77, 0x7c010000
	s_and_saveexec_b64 s[44:45], s[0:1]
	s_cbranch_execz .LBB258_328
; %bb.327:                              ;   in Loop: Header=BB258_13 Depth=1
	v_and_b32_e32 v77, 7, v2
	v_ffbh_u32_e32 v80, v77
	v_min_u32_e32 v82, 32, v80
	v_subrev_u32_e32 v80, 28, v82
	v_lshlrev_b64 v[80:81], v80, v[2:3]
	v_lshrrev_b32_e32 v79, 3, v10
	v_sub_u32_e32 v81, 29, v82
	v_cmp_gt_u32_e64 s[0:1], 8, v10
	v_lshlrev_b32_e32 v2, 8, v2
	s_nop 0
	v_cndmask_b32_e64 v10, v79, v81, s[0:1]
	v_lshl_add_u32 v10, v10, 10, v21
	v_and_b32_e32 v79, 7, v80
	v_and_or_b32 v2, v2, s54, v10
	v_cndmask_b32_e64 v77, v77, v79, s[0:1]
	v_lshlrev_b32_e32 v2, 16, v2
	v_lshl_or_b32 v77, v77, 23, v2
.LBB258_328:                            ;   in Loop: Header=BB258_13 Depth=1
	s_or_b64 exec, exec, s[44:45]
.LBB258_329:                            ;   in Loop: Header=BB258_13 Depth=1
	s_or_b64 exec, exec, s[42:43]
.LBB258_330:                            ;   in Loop: Header=BB258_13 Depth=1
	s_or_b64 exec, exec, s[40:41]
	global_load_dword v10, v[8:9], off offset:3080
	v_mov_b32_e32 v79, 0
	v_mov_b32_e32 v80, 0
	s_waitcnt vmcnt(0)
	v_cmp_ne_u16_sdwa s[0:1], v10, v3 src0_sel:BYTE_0 src1_sel:DWORD
	s_and_saveexec_b64 s[40:41], s[0:1]
	s_cbranch_execz .LBB258_336
; %bb.331:                              ;   in Loop: Header=BB258_13 Depth=1
	v_cmp_ne_u16_sdwa s[0:1], v10, s52 src0_sel:BYTE_0 src1_sel:DWORD
	v_mov_b32_e32 v80, 0x8000
	s_and_saveexec_b64 s[42:43], s[0:1]
	s_cbranch_execz .LBB258_335
; %bb.332:                              ;   in Loop: Header=BB258_13 Depth=1
	v_and_b32_e32 v2, 0x7f, v10
	v_cmp_ne_u32_e64 s[0:1], s53, v2
	v_mov_b32_e32 v80, 0x7c01
	s_and_saveexec_b64 s[44:45], s[0:1]
	s_cbranch_execz .LBB258_334
; %bb.333:                              ;   in Loop: Header=BB258_13 Depth=1
	v_and_b32_e32 v82, 7, v10
	v_ffbh_u32_e32 v80, v82
	v_min_u32_e32 v84, 32, v80
	v_subrev_u32_e32 v80, 28, v84
	v_lshlrev_b64 v[80:81], v80, v[10:11]
	v_lshrrev_b32_e32 v83, 3, v2
	v_sub_u32_e32 v81, 29, v84
	v_cmp_gt_u32_e64 s[0:1], 8, v2
	v_and_b32_e32 v80, 7, v80
	s_nop 0
	v_cndmask_b32_e64 v2, v83, v81, s[0:1]
	v_lshl_add_u32 v2, v2, 10, v21
	v_lshlrev_b32_e32 v81, 8, v10
	v_and_b32_e32 v2, 0xfc00, v2
	v_cndmask_b32_e64 v80, v82, v80, s[0:1]
	v_and_or_b32 v2, v81, s54, v2
	v_lshl_or_b32 v80, v80, 7, v2
.LBB258_334:                            ;   in Loop: Header=BB258_13 Depth=1
	s_or_b64 exec, exec, s[44:45]
.LBB258_335:                            ;   in Loop: Header=BB258_13 Depth=1
	s_or_b64 exec, exec, s[42:43]
.LBB258_336:                            ;   in Loop: Header=BB258_13 Depth=1
	s_or_b64 exec, exec, s[40:41]
	v_lshrrev_b16_e32 v2, 8, v10
	v_cmp_ne_u16_e64 s[0:1], 0, v2
	s_and_saveexec_b64 s[40:41], s[0:1]
	s_cbranch_execz .LBB258_342
; %bb.337:                              ;   in Loop: Header=BB258_13 Depth=1
	v_cmp_ne_u16_e64 s[0:1], s52, v2
	v_bfrev_b32_e32 v79, 1
	s_and_saveexec_b64 s[42:43], s[0:1]
	s_cbranch_execz .LBB258_341
; %bb.338:                              ;   in Loop: Header=BB258_13 Depth=1
	v_and_b32_e32 v81, 0x7f, v2
	v_cmp_ne_u32_e64 s[0:1], s53, v81
	v_mov_b32_e32 v79, 0x7c010000
	s_and_saveexec_b64 s[44:45], s[0:1]
	s_cbranch_execz .LBB258_340
; %bb.339:                              ;   in Loop: Header=BB258_13 Depth=1
	v_and_b32_e32 v79, 7, v2
	v_ffbh_u32_e32 v82, v79
	v_min_u32_e32 v85, 32, v82
	v_subrev_u32_e32 v82, 28, v85
	v_lshlrev_b64 v[82:83], v82, v[2:3]
	v_lshrrev_b32_e32 v84, 3, v81
	v_sub_u32_e32 v83, 29, v85
	v_cmp_gt_u32_e64 s[0:1], 8, v81
	v_lshlrev_b32_e32 v2, 8, v2
	v_and_b32_e32 v82, 7, v82
	v_cndmask_b32_e64 v81, v84, v83, s[0:1]
	v_lshl_add_u32 v81, v81, 10, v21
	v_and_or_b32 v2, v2, s54, v81
	v_cndmask_b32_e64 v79, v79, v82, s[0:1]
	v_lshlrev_b32_e32 v2, 16, v2
	v_lshl_or_b32 v79, v79, 23, v2
.LBB258_340:                            ;   in Loop: Header=BB258_13 Depth=1
	s_or_b64 exec, exec, s[44:45]
.LBB258_341:                            ;   in Loop: Header=BB258_13 Depth=1
	s_or_b64 exec, exec, s[42:43]
.LBB258_342:                            ;   in Loop: Header=BB258_13 Depth=1
	s_or_b64 exec, exec, s[40:41]
	v_lshrrev_b32_e32 v2, 16, v10
	v_cmp_ne_u16_sdwa s[0:1], v2, v3 src0_sel:BYTE_0 src1_sel:DWORD
	v_mov_b32_e32 v83, 0
	v_mov_b32_e32 v84, 0
	s_and_saveexec_b64 s[40:41], s[0:1]
	s_cbranch_execz .LBB258_348
; %bb.343:                              ;   in Loop: Header=BB258_13 Depth=1
	v_cmp_ne_u16_sdwa s[0:1], v2, s52 src0_sel:BYTE_0 src1_sel:DWORD
	v_mov_b32_e32 v84, 0x8000
	s_and_saveexec_b64 s[42:43], s[0:1]
	s_cbranch_execz .LBB258_347
; %bb.344:                              ;   in Loop: Header=BB258_13 Depth=1
	v_bfe_u32 v81, v10, 16, 7
	v_cmp_ne_u32_e64 s[0:1], s53, v81
	v_mov_b32_e32 v84, 0x7c01
	s_and_saveexec_b64 s[44:45], s[0:1]
	s_cbranch_execz .LBB258_346
; %bb.345:                              ;   in Loop: Header=BB258_13 Depth=1
	v_and_b32_e32 v82, 7, v2
	v_ffbh_u32_e32 v84, v82
	v_min_u32_e32 v87, 32, v84
	v_subrev_u32_e32 v84, 28, v87
	v_lshlrev_b64 v[84:85], v84, v[2:3]
	v_lshrrev_b32_e32 v86, 3, v81
	v_sub_u32_e32 v85, 29, v87
	v_cmp_gt_u32_e64 s[0:1], 8, v81
	v_lshlrev_b32_e32 v2, 8, v2
	v_and_b32_e32 v84, 7, v84
	v_cndmask_b32_e64 v81, v86, v85, s[0:1]
	v_lshl_add_u32 v81, v81, 10, v21
	v_and_b32_e32 v81, 0xfc00, v81
	v_cndmask_b32_e64 v82, v82, v84, s[0:1]
	v_and_or_b32 v2, v2, s54, v81
	v_lshl_or_b32 v84, v82, 7, v2
.LBB258_346:                            ;   in Loop: Header=BB258_13 Depth=1
	s_or_b64 exec, exec, s[44:45]
.LBB258_347:                            ;   in Loop: Header=BB258_13 Depth=1
	s_or_b64 exec, exec, s[42:43]
.LBB258_348:                            ;   in Loop: Header=BB258_13 Depth=1
	s_or_b64 exec, exec, s[40:41]
	v_cmp_lt_u32_e64 s[0:1], s55, v10
	s_and_saveexec_b64 s[40:41], s[0:1]
	s_cbranch_execz .LBB258_354
; %bb.349:                              ;   in Loop: Header=BB258_13 Depth=1
	v_lshrrev_b32_e32 v2, 24, v10
	v_cmp_ne_u32_e64 s[0:1], s52, v2
	v_bfrev_b32_e32 v83, 1
	s_and_saveexec_b64 s[42:43], s[0:1]
	s_cbranch_execz .LBB258_353
; %bb.350:                              ;   in Loop: Header=BB258_13 Depth=1
	v_and_b32_e32 v10, 0x7f, v2
	v_cmp_ne_u32_e64 s[0:1], s53, v10
	v_mov_b32_e32 v83, 0x7c010000
	s_and_saveexec_b64 s[44:45], s[0:1]
	s_cbranch_execz .LBB258_352
; %bb.351:                              ;   in Loop: Header=BB258_13 Depth=1
	v_and_b32_e32 v81, 7, v2
	v_ffbh_u32_e32 v82, v81
	v_min_u32_e32 v86, 32, v82
	v_subrev_u32_e32 v82, 28, v86
	v_lshlrev_b64 v[82:83], v82, v[2:3]
	v_lshrrev_b32_e32 v85, 3, v10
	v_sub_u32_e32 v83, 29, v86
	v_cmp_gt_u32_e64 s[0:1], 8, v10
	v_lshlrev_b32_e32 v2, 8, v2
	v_and_b32_e32 v82, 7, v82
	v_cndmask_b32_e64 v10, v85, v83, s[0:1]
	v_lshl_add_u32 v10, v10, 10, v21
	v_and_or_b32 v2, v2, s54, v10
	v_cndmask_b32_e64 v81, v81, v82, s[0:1]
	v_lshlrev_b32_e32 v2, 16, v2
	v_lshl_or_b32 v83, v81, 23, v2
.LBB258_352:                            ;   in Loop: Header=BB258_13 Depth=1
	s_or_b64 exec, exec, s[44:45]
.LBB258_353:                            ;   in Loop: Header=BB258_13 Depth=1
	s_or_b64 exec, exec, s[42:43]
.LBB258_354:                            ;   in Loop: Header=BB258_13 Depth=1
	s_or_b64 exec, exec, s[40:41]
	global_load_dword v10, v[8:9], off offset:3584
	v_mov_b32_e32 v81, 0
	v_mov_b32_e32 v82, 0
	s_waitcnt vmcnt(0)
	v_cmp_ne_u16_sdwa s[0:1], v10, v3 src0_sel:BYTE_0 src1_sel:DWORD
	s_and_saveexec_b64 s[40:41], s[0:1]
	s_cbranch_execz .LBB258_360
; %bb.355:                              ;   in Loop: Header=BB258_13 Depth=1
	v_cmp_ne_u16_sdwa s[0:1], v10, s52 src0_sel:BYTE_0 src1_sel:DWORD
	v_mov_b32_e32 v82, 0x8000
	s_and_saveexec_b64 s[42:43], s[0:1]
	s_cbranch_execz .LBB258_359
; %bb.356:                              ;   in Loop: Header=BB258_13 Depth=1
	v_and_b32_e32 v2, 0x7f, v10
	v_cmp_ne_u32_e64 s[0:1], s53, v2
	v_mov_b32_e32 v82, 0x7c01
	s_and_saveexec_b64 s[44:45], s[0:1]
	s_cbranch_execz .LBB258_358
; %bb.357:                              ;   in Loop: Header=BB258_13 Depth=1
	v_and_b32_e32 v82, 7, v10
	v_ffbh_u32_e32 v86, v82
	v_min_u32_e32 v88, 32, v86
	v_subrev_u32_e32 v86, 28, v88
	v_lshlrev_b64 v[86:87], v86, v[10:11]
	v_lshrrev_b32_e32 v85, 3, v2
	v_sub_u32_e32 v87, 29, v88
	v_cmp_gt_u32_e64 s[0:1], 8, v2
	v_and_b32_e32 v86, 7, v86
	s_nop 0
	v_cndmask_b32_e64 v2, v85, v87, s[0:1]
	v_lshl_add_u32 v2, v2, 10, v21
	v_lshlrev_b32_e32 v85, 8, v10
	v_and_b32_e32 v2, 0xfc00, v2
	v_cndmask_b32_e64 v82, v82, v86, s[0:1]
	v_and_or_b32 v2, v85, s54, v2
	v_lshl_or_b32 v82, v82, 7, v2
.LBB258_358:                            ;   in Loop: Header=BB258_13 Depth=1
	s_or_b64 exec, exec, s[44:45]
.LBB258_359:                            ;   in Loop: Header=BB258_13 Depth=1
	s_or_b64 exec, exec, s[42:43]
.LBB258_360:                            ;   in Loop: Header=BB258_13 Depth=1
	s_or_b64 exec, exec, s[40:41]
	v_lshrrev_b16_e32 v2, 8, v10
	v_cmp_ne_u16_e64 s[0:1], 0, v2
	s_and_saveexec_b64 s[40:41], s[0:1]
	s_cbranch_execz .LBB258_366
; %bb.361:                              ;   in Loop: Header=BB258_13 Depth=1
	v_cmp_ne_u16_e64 s[0:1], s52, v2
	v_bfrev_b32_e32 v81, 1
	s_and_saveexec_b64 s[42:43], s[0:1]
	s_cbranch_execz .LBB258_365
; %bb.362:                              ;   in Loop: Header=BB258_13 Depth=1
	v_and_b32_e32 v85, 0x7f, v2
	v_cmp_ne_u32_e64 s[0:1], s53, v85
	v_mov_b32_e32 v81, 0x7c010000
	s_and_saveexec_b64 s[44:45], s[0:1]
	s_cbranch_execz .LBB258_364
; %bb.363:                              ;   in Loop: Header=BB258_13 Depth=1
	v_and_b32_e32 v81, 7, v2
	v_ffbh_u32_e32 v86, v81
	v_min_u32_e32 v89, 32, v86
	v_subrev_u32_e32 v86, 28, v89
	v_lshlrev_b64 v[86:87], v86, v[2:3]
	v_lshrrev_b32_e32 v88, 3, v85
	v_sub_u32_e32 v87, 29, v89
	v_cmp_gt_u32_e64 s[0:1], 8, v85
	v_lshlrev_b32_e32 v2, 8, v2
	v_and_b32_e32 v86, 7, v86
	v_cndmask_b32_e64 v85, v88, v87, s[0:1]
	v_lshl_add_u32 v85, v85, 10, v21
	v_and_or_b32 v2, v2, s54, v85
	v_cndmask_b32_e64 v81, v81, v86, s[0:1]
	v_lshlrev_b32_e32 v2, 16, v2
	v_lshl_or_b32 v81, v81, 23, v2
.LBB258_364:                            ;   in Loop: Header=BB258_13 Depth=1
	s_or_b64 exec, exec, s[44:45]
.LBB258_365:                            ;   in Loop: Header=BB258_13 Depth=1
	s_or_b64 exec, exec, s[42:43]
.LBB258_366:                            ;   in Loop: Header=BB258_13 Depth=1
	s_or_b64 exec, exec, s[40:41]
	v_lshrrev_b32_e32 v2, 16, v10
	v_cmp_ne_u16_sdwa s[0:1], v2, v3 src0_sel:BYTE_0 src1_sel:DWORD
	v_mov_b32_e32 v85, 0
	v_mov_b32_e32 v86, 0
	s_and_saveexec_b64 s[40:41], s[0:1]
	s_cbranch_execz .LBB258_372
; %bb.367:                              ;   in Loop: Header=BB258_13 Depth=1
	v_cmp_ne_u16_sdwa s[0:1], v2, s52 src0_sel:BYTE_0 src1_sel:DWORD
	v_mov_b32_e32 v86, 0x8000
	s_and_saveexec_b64 s[42:43], s[0:1]
	s_cbranch_execz .LBB258_371
; %bb.368:                              ;   in Loop: Header=BB258_13 Depth=1
	v_bfe_u32 v87, v10, 16, 7
	v_cmp_ne_u32_e64 s[0:1], s53, v87
	v_mov_b32_e32 v86, 0x7c01
	s_and_saveexec_b64 s[44:45], s[0:1]
	s_cbranch_execz .LBB258_370
; %bb.369:                              ;   in Loop: Header=BB258_13 Depth=1
	v_and_b32_e32 v86, 7, v2
	v_ffbh_u32_e32 v88, v86
	v_min_u32_e32 v91, 32, v88
	v_subrev_u32_e32 v88, 28, v91
	v_lshlrev_b64 v[88:89], v88, v[2:3]
	v_lshrrev_b32_e32 v90, 3, v87
	v_sub_u32_e32 v89, 29, v91
	v_cmp_gt_u32_e64 s[0:1], 8, v87
	v_lshlrev_b32_e32 v2, 8, v2
	v_and_b32_e32 v88, 7, v88
	v_cndmask_b32_e64 v87, v90, v89, s[0:1]
	v_lshl_add_u32 v87, v87, 10, v21
	v_and_b32_e32 v87, 0xfc00, v87
	v_cndmask_b32_e64 v86, v86, v88, s[0:1]
	v_and_or_b32 v2, v2, s54, v87
	v_lshl_or_b32 v86, v86, 7, v2
.LBB258_370:                            ;   in Loop: Header=BB258_13 Depth=1
	s_or_b64 exec, exec, s[44:45]
.LBB258_371:                            ;   in Loop: Header=BB258_13 Depth=1
	s_or_b64 exec, exec, s[42:43]
.LBB258_372:                            ;   in Loop: Header=BB258_13 Depth=1
	s_or_b64 exec, exec, s[40:41]
	v_cmp_lt_u32_e64 s[0:1], s55, v10
	s_and_saveexec_b64 s[40:41], s[0:1]
	s_cbranch_execz .LBB258_378
; %bb.373:                              ;   in Loop: Header=BB258_13 Depth=1
	v_lshrrev_b32_e32 v2, 24, v10
	v_cmp_ne_u32_e64 s[0:1], s52, v2
	v_bfrev_b32_e32 v85, 1
	s_and_saveexec_b64 s[42:43], s[0:1]
	s_cbranch_execz .LBB258_377
; %bb.374:                              ;   in Loop: Header=BB258_13 Depth=1
	v_and_b32_e32 v10, 0x7f, v2
	v_cmp_ne_u32_e64 s[0:1], s53, v10
	v_mov_b32_e32 v85, 0x7c010000
	s_and_saveexec_b64 s[44:45], s[0:1]
	s_cbranch_execz .LBB258_376
; %bb.375:                              ;   in Loop: Header=BB258_13 Depth=1
	v_and_b32_e32 v85, 7, v2
	v_ffbh_u32_e32 v88, v85
	v_min_u32_e32 v90, 32, v88
	v_subrev_u32_e32 v88, 28, v90
	v_lshlrev_b64 v[88:89], v88, v[2:3]
	v_lshrrev_b32_e32 v87, 3, v10
	v_sub_u32_e32 v89, 29, v90
	v_cmp_gt_u32_e64 s[0:1], 8, v10
	v_lshlrev_b32_e32 v2, 8, v2
	s_nop 0
	v_cndmask_b32_e64 v10, v87, v89, s[0:1]
	v_lshl_add_u32 v10, v10, 10, v21
	v_and_b32_e32 v87, 7, v88
	v_and_or_b32 v2, v2, s54, v10
	v_cndmask_b32_e64 v85, v85, v87, s[0:1]
	v_lshlrev_b32_e32 v2, 16, v2
	v_lshl_or_b32 v85, v85, 23, v2
.LBB258_376:                            ;   in Loop: Header=BB258_13 Depth=1
	s_or_b64 exec, exec, s[44:45]
.LBB258_377:                            ;   in Loop: Header=BB258_13 Depth=1
	s_or_b64 exec, exec, s[42:43]
.LBB258_378:                            ;   in Loop: Header=BB258_13 Depth=1
	s_or_b64 exec, exec, s[40:41]
	global_load_dword v8, v[8:9], off offset:3592
	v_mov_b32_e32 v87, 0
	v_mov_b32_e32 v88, 0
	s_waitcnt vmcnt(0)
	v_cmp_ne_u16_sdwa s[0:1], v8, v3 src0_sel:BYTE_0 src1_sel:DWORD
	s_and_saveexec_b64 s[40:41], s[0:1]
	s_cbranch_execz .LBB258_384
; %bb.379:                              ;   in Loop: Header=BB258_13 Depth=1
	v_cmp_ne_u16_sdwa s[0:1], v8, s52 src0_sel:BYTE_0 src1_sel:DWORD
	v_mov_b32_e32 v88, 0x8000
	s_and_saveexec_b64 s[42:43], s[0:1]
	s_cbranch_execz .LBB258_383
; %bb.380:                              ;   in Loop: Header=BB258_13 Depth=1
	v_and_b32_e32 v2, 0x7f, v8
	v_cmp_ne_u32_e64 s[0:1], s53, v2
	v_mov_b32_e32 v88, 0x7c01
	s_and_saveexec_b64 s[44:45], s[0:1]
	s_cbranch_execz .LBB258_382
; %bb.381:                              ;   in Loop: Header=BB258_13 Depth=1
	v_and_b32_e32 v9, 7, v8
	v_ffbh_u32_e32 v88, v9
	v_min_u32_e32 v90, 32, v88
	v_subrev_u32_e32 v88, 28, v90
	v_lshlrev_b64 v[88:89], v88, v[8:9]
	v_lshrrev_b32_e32 v10, 3, v2
	v_sub_u32_e32 v89, 29, v90
	v_cmp_gt_u32_e64 s[0:1], 8, v2
	v_and_b32_e32 v88, 7, v88
	s_nop 0
	v_cndmask_b32_e64 v2, v10, v89, s[0:1]
	v_lshl_add_u32 v2, v2, 10, v21
	v_lshlrev_b32_e32 v10, 8, v8
	v_and_b32_e32 v2, 0xfc00, v2
	v_cndmask_b32_e64 v9, v9, v88, s[0:1]
	v_and_or_b32 v2, v10, s54, v2
	v_lshl_or_b32 v88, v9, 7, v2
.LBB258_382:                            ;   in Loop: Header=BB258_13 Depth=1
	s_or_b64 exec, exec, s[44:45]
.LBB258_383:                            ;   in Loop: Header=BB258_13 Depth=1
	s_or_b64 exec, exec, s[42:43]
.LBB258_384:                            ;   in Loop: Header=BB258_13 Depth=1
	s_or_b64 exec, exec, s[40:41]
	v_lshrrev_b16_e32 v2, 8, v8
	v_cmp_ne_u16_e64 s[0:1], 0, v2
	s_and_saveexec_b64 s[40:41], s[0:1]
	s_cbranch_execz .LBB258_390
; %bb.385:                              ;   in Loop: Header=BB258_13 Depth=1
	v_cmp_ne_u16_e64 s[0:1], s52, v2
	v_bfrev_b32_e32 v87, 1
	s_and_saveexec_b64 s[42:43], s[0:1]
	s_cbranch_execz .LBB258_389
; %bb.386:                              ;   in Loop: Header=BB258_13 Depth=1
	v_and_b32_e32 v9, 0x7f, v2
	v_cmp_ne_u32_e64 s[0:1], s53, v9
	v_mov_b32_e32 v87, 0x7c010000
	s_and_saveexec_b64 s[44:45], s[0:1]
	s_cbranch_execz .LBB258_388
; %bb.387:                              ;   in Loop: Header=BB258_13 Depth=1
	v_and_b32_e32 v10, 7, v2
	v_ffbh_u32_e32 v89, v10
	v_min_u32_e32 v89, 32, v89
	v_lshrrev_b32_e32 v87, 3, v9
	v_subrev_u32_e32 v90, 28, v89
	v_sub_u32_e32 v89, 29, v89
	v_cmp_gt_u32_e64 s[0:1], 8, v9
	v_lshlrev_b64 v[90:91], v90, v[2:3]
	v_lshlrev_b32_e32 v2, 8, v2
	v_cndmask_b32_e64 v9, v87, v89, s[0:1]
	v_lshl_add_u32 v9, v9, 10, v21
	v_and_b32_e32 v87, 7, v90
	v_and_or_b32 v2, v2, s54, v9
	v_cndmask_b32_e64 v10, v10, v87, s[0:1]
	v_lshlrev_b32_e32 v2, 16, v2
	v_lshl_or_b32 v87, v10, 23, v2
.LBB258_388:                            ;   in Loop: Header=BB258_13 Depth=1
	s_or_b64 exec, exec, s[44:45]
.LBB258_389:                            ;   in Loop: Header=BB258_13 Depth=1
	s_or_b64 exec, exec, s[42:43]
.LBB258_390:                            ;   in Loop: Header=BB258_13 Depth=1
	s_or_b64 exec, exec, s[40:41]
	v_lshrrev_b32_e32 v2, 16, v8
	v_cmp_ne_u16_sdwa s[0:1], v2, v3 src0_sel:BYTE_0 src1_sel:DWORD
	v_mov_b32_e32 v89, 0
	v_mov_b32_e32 v90, 0
	s_and_saveexec_b64 s[40:41], s[0:1]
	s_cbranch_execz .LBB258_396
; %bb.391:                              ;   in Loop: Header=BB258_13 Depth=1
	v_cmp_ne_u16_sdwa s[0:1], v2, s52 src0_sel:BYTE_0 src1_sel:DWORD
	v_mov_b32_e32 v90, 0x8000
	s_and_saveexec_b64 s[42:43], s[0:1]
	s_cbranch_execz .LBB258_395
; %bb.392:                              ;   in Loop: Header=BB258_13 Depth=1
	v_bfe_u32 v9, v8, 16, 7
	v_cmp_ne_u32_e64 s[0:1], s53, v9
	v_mov_b32_e32 v90, 0x7c01
	s_and_saveexec_b64 s[44:45], s[0:1]
	s_cbranch_execz .LBB258_394
; %bb.393:                              ;   in Loop: Header=BB258_13 Depth=1
	v_and_b32_e32 v10, 7, v2
	v_ffbh_u32_e32 v90, v10
	v_min_u32_e32 v93, 32, v90
	v_subrev_u32_e32 v90, 28, v93
	v_lshlrev_b64 v[90:91], v90, v[2:3]
	v_lshrrev_b32_e32 v92, 3, v9
	v_sub_u32_e32 v91, 29, v93
	v_cmp_gt_u32_e64 s[0:1], 8, v9
	v_lshlrev_b32_e32 v2, 8, v2
	v_and_b32_e32 v90, 7, v90
	v_cndmask_b32_e64 v9, v92, v91, s[0:1]
	v_lshl_add_u32 v9, v9, 10, v21
	v_and_b32_e32 v9, 0xfc00, v9
	v_cndmask_b32_e64 v10, v10, v90, s[0:1]
	v_and_or_b32 v2, v2, s54, v9
	v_lshl_or_b32 v90, v10, 7, v2
.LBB258_394:                            ;   in Loop: Header=BB258_13 Depth=1
	s_or_b64 exec, exec, s[44:45]
.LBB258_395:                            ;   in Loop: Header=BB258_13 Depth=1
	s_or_b64 exec, exec, s[42:43]
.LBB258_396:                            ;   in Loop: Header=BB258_13 Depth=1
	s_or_b64 exec, exec, s[40:41]
	v_cmp_lt_u32_e64 s[0:1], s55, v8
	s_and_saveexec_b64 s[40:41], s[0:1]
	s_cbranch_execz .LBB258_402
; %bb.397:                              ;   in Loop: Header=BB258_13 Depth=1
	v_lshrrev_b32_e32 v2, 24, v8
	v_cmp_ne_u32_e64 s[0:1], s52, v2
	v_bfrev_b32_e32 v89, 1
	s_and_saveexec_b64 s[42:43], s[0:1]
	s_cbranch_execz .LBB258_401
; %bb.398:                              ;   in Loop: Header=BB258_13 Depth=1
	v_and_b32_e32 v8, 0x7f, v2
	v_cmp_ne_u32_e64 s[0:1], s53, v8
	v_mov_b32_e32 v89, 0x7c010000
	s_and_saveexec_b64 s[44:45], s[0:1]
	s_cbranch_execz .LBB258_400
; %bb.399:                              ;   in Loop: Header=BB258_13 Depth=1
	v_and_b32_e32 v9, 7, v2
	v_ffbh_u32_e32 v89, v9
	v_min_u32_e32 v89, 32, v89
	v_lshrrev_b32_e32 v10, 3, v8
	v_subrev_u32_e32 v91, 28, v89
	v_sub_u32_e32 v89, 29, v89
	v_cmp_gt_u32_e64 s[0:1], 8, v8
	v_lshlrev_b64 v[92:93], v91, v[2:3]
	v_lshlrev_b32_e32 v2, 8, v2
	v_cndmask_b32_e64 v8, v10, v89, s[0:1]
	v_lshl_add_u32 v8, v8, 10, v21
	v_and_b32_e32 v10, 7, v92
	v_and_or_b32 v2, v2, s54, v8
	v_cndmask_b32_e64 v9, v9, v10, s[0:1]
	v_lshlrev_b32_e32 v2, 16, v2
	v_lshl_or_b32 v89, v9, 23, v2
.LBB258_400:                            ;   in Loop: Header=BB258_13 Depth=1
	s_or_b64 exec, exec, s[44:45]
.LBB258_401:                            ;   in Loop: Header=BB258_13 Depth=1
	s_or_b64 exec, exec, s[42:43]
.LBB258_402:                            ;   in Loop: Header=BB258_13 Depth=1
	s_or_b64 exec, exec, s[40:41]
	v_or_b32_e32 v2, v81, v82
	v_fma_mixlo_f16 v9, v24, v81, 0 op_sel:[0,1,0] op_sel_hi:[0,1,0]
	v_or_b32_e32 v80, v79, v80
	v_fma_mixlo_f16 v81, v24, v79, 0 op_sel:[0,1,0] op_sel_hi:[0,1,0]
	v_or_b32_e32 v79, v83, v84
	v_fma_mixlo_f16 v82, v24, v80, 0 op_sel_hi:[0,1,0]
	v_fma_mixlo_f16 v80, v24, v79, 0 op_sel_hi:[0,1,0]
	v_fma_mixlo_f16 v79, v24, v83, 0 op_sel:[0,1,0] op_sel_hi:[0,1,0]
	v_or_b32_e32 v76, v75, v76
	v_fma_mixlo_f16 v83, v24, v75, 0 op_sel:[0,1,0] op_sel_hi:[0,1,0]
	v_or_b32_e32 v75, v77, v78
	v_fma_mixlo_f16 v84, v24, v76, 0 op_sel_hi:[0,1,0]
	v_fma_mixlo_f16 v76, v24, v75, 0 op_sel_hi:[0,1,0]
	;; [unrolled: 6-line block ×8, first 2 shown]
	v_fma_mixlo_f16 v51, v24, v53, 0 op_sel:[0,1,0] op_sel_hi:[0,1,0]
	v_or_b32_e32 v36, v35, v36
	v_fma_mixlo_f16 v53, v24, v35, 0 op_sel:[0,1,0] op_sel_hi:[0,1,0]
	v_or_b32_e32 v35, v37, v38
	v_fma_mixlo_f16 v38, v24, v35, 0 op_sel_hi:[0,1,0]
	v_or_b32_e32 v32, v31, v32
	v_fma_mixlo_f16 v35, v24, v31, 0 op_sel:[0,1,0] op_sel_hi:[0,1,0]
	v_or_b32_e32 v31, v33, v34
	v_fma_mixlo_f16 v54, v24, v32, 0 op_sel_hi:[0,1,0]
	v_fma_mixlo_f16 v34, v24, v31, 0 op_sel_hi:[0,1,0]
	v_or_b32_e32 v26, v25, v26
	v_fma_mixlo_f16 v32, v24, v25, 0 op_sel:[0,1,0] op_sel_hi:[0,1,0]
	v_or_b32_e32 v25, v27, v30
	ds_read_b64 v[30:31], v13
	v_fma_mixlo_f16 v10, v24, v2, 0 op_sel_hi:[0,1,0]
	v_or_b32_e32 v2, v85, v86
	v_fma_mixlo_f16 v26, v24, v26, 0 op_sel_hi:[0,1,0]
	v_fma_mixlo_f16 v8, v24, v2, 0 op_sel_hi:[0,1,0]
	v_fma_mixlo_f16 v2, v24, v85, 0 op_sel:[0,1,0] op_sel_hi:[0,1,0]
	v_fma_mixlo_f16 v85, v24, v33, 0 op_sel:[0,1,0] op_sel_hi:[0,1,0]
	v_fma_mixlo_f16 v33, v24, v25, 0 op_sel_hi:[0,1,0]
	v_or_b32_e32 v86, v87, v88
	v_fma_mixlo_f16 v25, v24, v87, 0 op_sel:[0,1,0] op_sel_hi:[0,1,0]
	s_waitcnt lgkmcnt(0)
	v_lshrrev_b32_e32 v87, 16, v30
	v_and_b32_e32 v30, 0xffff, v30
	v_and_b32_e32 v26, 0xffff, v26
	;;#ASMSTART
	v_cvt_f32_f16 v30, v30;
	;;#ASMEND
	;;#ASMSTART
	v_cvt_f32_f16 v87, v87;
	;;#ASMEND
	;; [unrolled: 3-line block ×3, first 2 shown]
	v_and_b32_e32 v26, 0xffff, v32
	;;#ASMSTART
	v_cvt_f32_f16 v91, v26;
	;;#ASMEND
	v_lshrrev_b32_e32 v26, 16, v31
	v_fma_mixlo_f16 v27, v24, v27, 0 op_sel:[0,1,0] op_sel_hi:[0,1,0]
	v_and_b32_e32 v31, 0xffff, v31
	;;#ASMSTART
	v_cvt_f32_f16 v92, v31;
	;;#ASMEND
	;;#ASMSTART
	v_cvt_f32_f16 v93, v26;
	;;#ASMEND
	v_and_b32_e32 v26, 0xffff, v33
	;;#ASMSTART
	v_cvt_f32_f16 v94, v26;
	;;#ASMEND
	v_and_b32_e32 v26, 0xffff, v27
	;;#ASMSTART
	v_cvt_f32_f16 v95, v26;
	;;#ASMEND
	ds_read_b64 v[32:33], v13 offset:8
	v_and_b32_e32 v54, 0xffff, v54
	v_fma_mixlo_f16 v31, v24, v86, 0 op_sel_hi:[0,1,0]
	v_and_b32_e32 v35, 0xffff, v35
	v_and_b32_e32 v34, 0xffff, v34
	s_waitcnt lgkmcnt(0)
	v_and_b32_e32 v27, 0xffff, v32
	;;#ASMSTART
	v_cvt_f32_f16 v27, v27;
	;;#ASMEND
	v_lshrrev_b32_e32 v86, 16, v32
	;;#ASMSTART
	v_cvt_f32_f16 v32, v86;
	;;#ASMEND
	;;#ASMSTART
	v_cvt_f32_f16 v54, v54;
	;;#ASMEND
	;;#ASMSTART
	v_cvt_f32_f16 v35, v35;
	;;#ASMEND
	v_fma_mixlo_f16 v36, v24, v36, 0 op_sel_hi:[0,1,0]
	v_mul_f32_e32 v27, v27, v54
	v_fmac_f32_e32 v27, v30, v88
	v_mul_f32_e32 v30, v32, v35
	v_and_b32_e32 v32, 0xffff, v33
	v_lshrrev_b32_e32 v35, 16, v33
	;;#ASMSTART
	v_cvt_f32_f16 v32, v32;
	;;#ASMEND
	;;#ASMSTART
	v_cvt_f32_f16 v33, v35;
	;;#ASMEND
	;; [unrolled: 3-line block ×3, first 2 shown]
	v_and_b32_e32 v34, 0xffff, v85
	;;#ASMSTART
	v_cvt_f32_f16 v85, v34;
	;;#ASMEND
	ds_read_b64 v[34:35], v13 offset:16
	v_mul_f32_e32 v33, v33, v85
	v_mul_f32_e32 v32, v32, v54
	v_fma_mixlo_f16 v37, v24, v37, 0 op_sel:[0,1,0] op_sel_hi:[0,1,0]
	v_fmac_f32_e32 v30, v87, v91
	s_waitcnt lgkmcnt(0)
	v_lshrrev_b32_e32 v85, 16, v34
	v_and_b32_e32 v34, 0xffff, v34
	;;#ASMSTART
	v_cvt_f32_f16 v54, v34;
	;;#ASMEND
	v_and_b32_e32 v34, 0xffff, v36
	;;#ASMSTART
	v_cvt_f32_f16 v85, v85;
	;;#ASMEND
	;;#ASMSTART
	v_cvt_f32_f16 v36, v34;
	;;#ASMEND
	v_and_b32_e32 v34, 0xffff, v53
	;;#ASMSTART
	v_cvt_f32_f16 v53, v34;
	;;#ASMEND
	v_lshrrev_b32_e32 v34, 16, v35
	v_and_b32_e32 v35, 0xffff, v35
	;;#ASMSTART
	v_cvt_f32_f16 v86, v35;
	;;#ASMEND
	;;#ASMSTART
	v_cvt_f32_f16 v87, v34;
	;;#ASMEND
	v_and_b32_e32 v34, 0xffff, v38
	;;#ASMSTART
	v_cvt_f32_f16 v38, v34;
	;;#ASMEND
	v_and_b32_e32 v34, 0xffff, v37
	;;#ASMSTART
	v_cvt_f32_f16 v37, v34;
	;;#ASMEND
	ds_read_b64 v[34:35], v13 offset:24
	v_or_b32_e32 v40, v39, v40
	v_fmac_f32_e32 v33, v93, v95
	v_fma_mixlo_f16 v40, v24, v40, 0 op_sel_hi:[0,1,0]
	v_fmac_f32_e32 v33, v87, v37
	s_waitcnt lgkmcnt(0)
	v_lshrrev_b32_e32 v37, 16, v34
	v_and_b32_e32 v34, 0xffff, v34
	v_fma_mixlo_f16 v39, v24, v39, 0 op_sel:[0,1,0] op_sel_hi:[0,1,0]
	v_fmac_f32_e32 v32, v92, v94
	v_fmac_f32_e32 v27, v54, v36
	;;#ASMSTART
	v_cvt_f32_f16 v36, v34;
	;;#ASMEND
	v_and_b32_e32 v34, 0xffff, v40
	v_or_b32_e32 v42, v41, v42
	v_fmac_f32_e32 v32, v86, v38
	;;#ASMSTART
	v_cvt_f32_f16 v37, v37;
	;;#ASMEND
	;;#ASMSTART
	v_cvt_f32_f16 v38, v34;
	;;#ASMEND
	v_and_b32_e32 v34, 0xffff, v39
	v_fma_mixlo_f16 v42, v24, v42, 0 op_sel_hi:[0,1,0]
	;;#ASMSTART
	v_cvt_f32_f16 v39, v34;
	;;#ASMEND
	v_lshrrev_b32_e32 v34, 16, v35
	v_fma_mixlo_f16 v41, v24, v41, 0 op_sel:[0,1,0] op_sel_hi:[0,1,0]
	v_fmac_f32_e32 v30, v85, v53
	v_and_b32_e32 v35, 0xffff, v35
	;;#ASMSTART
	v_cvt_f32_f16 v40, v35;
	;;#ASMEND
	;;#ASMSTART
	v_cvt_f32_f16 v53, v34;
	;;#ASMEND
	v_and_b32_e32 v34, 0xffff, v42
	;;#ASMSTART
	v_cvt_f32_f16 v42, v34;
	;;#ASMEND
	v_and_b32_e32 v34, 0xffff, v41
	;;#ASMSTART
	v_cvt_f32_f16 v41, v34;
	;;#ASMEND
	ds_read_b64 v[34:35], v13 offset:32
	v_or_b32_e32 v44, v43, v44
	v_fma_mixlo_f16 v44, v24, v44, 0 op_sel_hi:[0,1,0]
	v_fmac_f32_e32 v30, v37, v39
	v_fma_mixlo_f16 v43, v24, v43, 0 op_sel:[0,1,0] op_sel_hi:[0,1,0]
	s_waitcnt lgkmcnt(0)
	v_lshrrev_b32_e32 v37, 16, v34
	v_and_b32_e32 v34, 0xffff, v34
	v_fmac_f32_e32 v27, v36, v38
	;;#ASMSTART
	v_cvt_f32_f16 v36, v34;
	;;#ASMEND
	v_and_b32_e32 v34, 0xffff, v44
	v_or_b32_e32 v46, v45, v46
	;;#ASMSTART
	v_cvt_f32_f16 v37, v37;
	;;#ASMEND
	;;#ASMSTART
	v_cvt_f32_f16 v38, v34;
	;;#ASMEND
	v_and_b32_e32 v34, 0xffff, v43
	v_fma_mixlo_f16 v46, v24, v46, 0 op_sel_hi:[0,1,0]
	;;#ASMSTART
	v_cvt_f32_f16 v39, v34;
	;;#ASMEND
	v_lshrrev_b32_e32 v34, 16, v35
	v_fma_mixlo_f16 v45, v24, v45, 0 op_sel:[0,1,0] op_sel_hi:[0,1,0]
	v_fmac_f32_e32 v32, v40, v42
	v_fmac_f32_e32 v33, v53, v41
	v_and_b32_e32 v35, 0xffff, v35
	;;#ASMSTART
	v_cvt_f32_f16 v40, v35;
	;;#ASMEND
	;;#ASMSTART
	v_cvt_f32_f16 v41, v34;
	;;#ASMEND
	v_and_b32_e32 v34, 0xffff, v46
	;;#ASMSTART
	v_cvt_f32_f16 v42, v34;
	;;#ASMEND
	v_and_b32_e32 v34, 0xffff, v45
	;;#ASMSTART
	v_cvt_f32_f16 v43, v34;
	;;#ASMEND
	ds_read_b64 v[34:35], v13 offset:40
	v_or_b32_e32 v48, v47, v48
	v_fma_mixlo_f16 v48, v24, v48, 0 op_sel_hi:[0,1,0]
	v_fmac_f32_e32 v30, v37, v39
	v_fma_mixlo_f16 v47, v24, v47, 0 op_sel:[0,1,0] op_sel_hi:[0,1,0]
	s_waitcnt lgkmcnt(0)
	v_lshrrev_b32_e32 v37, 16, v34
	v_and_b32_e32 v34, 0xffff, v34
	v_fmac_f32_e32 v27, v36, v38
	;;#ASMSTART
	v_cvt_f32_f16 v36, v34;
	;;#ASMEND
	v_and_b32_e32 v34, 0xffff, v48
	v_or_b32_e32 v50, v49, v50
	;;#ASMSTART
	v_cvt_f32_f16 v37, v37;
	;;#ASMEND
	;;#ASMSTART
	v_cvt_f32_f16 v38, v34;
	;;#ASMEND
	v_and_b32_e32 v34, 0xffff, v47
	v_fma_mixlo_f16 v50, v24, v50, 0 op_sel_hi:[0,1,0]
	;;#ASMSTART
	v_cvt_f32_f16 v39, v34;
	;;#ASMEND
	v_lshrrev_b32_e32 v34, 16, v35
	v_fma_mixlo_f16 v49, v24, v49, 0 op_sel:[0,1,0] op_sel_hi:[0,1,0]
	v_fmac_f32_e32 v32, v40, v42
	v_fmac_f32_e32 v33, v41, v43
	v_and_b32_e32 v35, 0xffff, v35
	;;#ASMSTART
	v_cvt_f32_f16 v40, v35;
	;;#ASMEND
	;;#ASMSTART
	v_cvt_f32_f16 v41, v34;
	;;#ASMEND
	v_and_b32_e32 v34, 0xffff, v50
	;;#ASMSTART
	v_cvt_f32_f16 v42, v34;
	;;#ASMEND
	v_and_b32_e32 v34, 0xffff, v49
	;;#ASMSTART
	v_cvt_f32_f16 v43, v34;
	;;#ASMEND
	ds_read_b64 v[34:35], v13 offset:48
	v_fmac_f32_e32 v30, v37, v39
	v_fmac_f32_e32 v27, v36, v38
	v_fmac_f32_e32 v32, v40, v42
	v_fmac_f32_e32 v33, v41, v43
	s_waitcnt lgkmcnt(0)
	v_lshrrev_b32_e32 v37, 16, v34
	v_and_b32_e32 v34, 0xffff, v34
	;;#ASMSTART
	v_cvt_f32_f16 v36, v34;
	;;#ASMEND
	v_and_b32_e32 v34, 0xffff, v58
	;;#ASMSTART
	v_cvt_f32_f16 v37, v37;
	;;#ASMEND
	;;#ASMSTART
	v_cvt_f32_f16 v38, v34;
	;;#ASMEND
	v_and_b32_e32 v34, 0xffff, v57
	;;#ASMSTART
	v_cvt_f32_f16 v39, v34;
	;;#ASMEND
	v_lshrrev_b32_e32 v34, 16, v35
	v_and_b32_e32 v35, 0xffff, v35
	;;#ASMSTART
	v_cvt_f32_f16 v40, v35;
	;;#ASMEND
	;;#ASMSTART
	v_cvt_f32_f16 v41, v34;
	;;#ASMEND
	v_and_b32_e32 v34, 0xffff, v52
	;;#ASMSTART
	v_cvt_f32_f16 v42, v34;
	;;#ASMEND
	v_and_b32_e32 v34, 0xffff, v51
	;;#ASMSTART
	v_cvt_f32_f16 v43, v34;
	;;#ASMEND
	ds_read_b64 v[34:35], v13 offset:56
	v_fmac_f32_e32 v30, v37, v39
	v_fmac_f32_e32 v27, v36, v38
	v_fmac_f32_e32 v32, v40, v42
	v_fmac_f32_e32 v33, v41, v43
	s_waitcnt lgkmcnt(0)
	v_lshrrev_b32_e32 v37, 16, v34
	v_and_b32_e32 v34, 0xffff, v34
	;;#ASMSTART
	v_cvt_f32_f16 v36, v34;
	;;#ASMEND
	v_and_b32_e32 v34, 0xffff, v62
	;;#ASMSTART
	v_cvt_f32_f16 v37, v37;
	;;#ASMEND
	;;#ASMSTART
	v_cvt_f32_f16 v38, v34;
	;;#ASMEND
	v_and_b32_e32 v34, 0xffff, v61
	;;#ASMSTART
	v_cvt_f32_f16 v39, v34;
	;;#ASMEND
	v_lshrrev_b32_e32 v34, 16, v35
	;; [unrolled: 38-line block ×8, first 2 shown]
	v_and_b32_e32 v35, 0xffff, v35
	;;#ASMSTART
	v_cvt_f32_f16 v40, v35;
	;;#ASMEND
	;;#ASMSTART
	v_cvt_f32_f16 v41, v34;
	;;#ASMEND
	v_and_b32_e32 v34, 0xffff, v80
	;;#ASMSTART
	v_cvt_f32_f16 v42, v34;
	;;#ASMEND
	v_and_b32_e32 v34, 0xffff, v79
	;;#ASMSTART
	v_cvt_f32_f16 v43, v34;
	;;#ASMEND
	ds_read_b64 v[34:35], v13 offset:112
	v_fmac_f32_e32 v27, v36, v38
	v_and_b32_e32 v10, 0xffff, v10
	v_and_b32_e32 v9, 0xffff, v9
	v_fmac_f32_e32 v30, v37, v39
	s_waitcnt lgkmcnt(0)
	v_lshrrev_b32_e32 v36, 16, v34
	v_and_b32_e32 v34, 0xffff, v34
	;;#ASMSTART
	v_cvt_f32_f16 v34, v34;
	;;#ASMEND
	;;#ASMSTART
	v_cvt_f32_f16 v36, v36;
	;;#ASMEND
	;; [unrolled: 3-line block ×4, first 2 shown]
	v_lshrrev_b32_e32 v9, 16, v35
	v_and_b32_e32 v35, 0xffff, v35
	v_and_b32_e32 v8, 0xffff, v8
	;; [unrolled: 1-line block ×3, first 2 shown]
	;;#ASMSTART
	v_cvt_f32_f16 v35, v35;
	;;#ASMEND
	;;#ASMSTART
	v_cvt_f32_f16 v38, v9;
	;;#ASMEND
	;; [unrolled: 3-line block ×4, first 2 shown]
	ds_read_b64 v[8:9], v13 offset:120
	v_fmac_f32_e32 v33, v41, v43
	v_or_b32_e32 v26, v89, v90
	v_fmac_f32_e32 v27, v34, v10
	v_fmac_f32_e32 v33, v38, v2
	s_waitcnt lgkmcnt(0)
	v_lshrrev_b32_e32 v10, 16, v8
	v_and_b32_e32 v2, 0xffff, v8
	v_fma_mixlo_f16 v26, v24, v26, 0 op_sel_hi:[0,1,0]
	v_fmac_f32_e32 v30, v36, v37
	;;#ASMSTART
	v_cvt_f32_f16 v2, v2;
	;;#ASMEND
	;;#ASMSTART
	v_cvt_f32_f16 v8, v10;
	;;#ASMEND
	v_and_b32_e32 v10, 0xffff, v31
	v_and_b32_e32 v25, 0xffff, v25
	v_fmac_f32_e32 v32, v40, v42
	;;#ASMSTART
	v_cvt_f32_f16 v10, v10;
	;;#ASMEND
	;;#ASMSTART
	v_cvt_f32_f16 v25, v25;
	;;#ASMEND
	v_fma_mixlo_f16 v24, v24, v89, 0 op_sel:[0,1,0] op_sel_hi:[0,1,0]
	v_fmac_f32_e32 v27, v2, v10
	v_fmac_f32_e32 v30, v8, v25
	v_lshrrev_b32_e32 v8, 16, v9
	v_and_b32_e32 v2, 0xffff, v9
	v_and_b32_e32 v9, 0xffff, v26
	v_fmac_f32_e32 v32, v35, v39
	;;#ASMSTART
	v_cvt_f32_f16 v2, v2;
	;;#ASMEND
	;;#ASMSTART
	v_cvt_f32_f16 v8, v8;
	;;#ASMEND
	;; [unrolled: 3-line block ×3, first 2 shown]
	v_and_b32_e32 v10, 0xffff, v24
	v_fmac_f32_e32 v32, v2, v9
	v_and_b32_e32 v9, 64, v22
	;;#ASMSTART
	v_cvt_f32_f16 v10, v10;
	;;#ASMEND
	v_add_u32_e32 v9, 64, v9
	v_fmac_f32_e32 v33, v8, v10
	v_xor_b32_e32 v8, 1, v22
	v_add_f32_e32 v2, v27, v30
	v_cmp_lt_i32_e64 s[0:1], v8, v9
	v_add_f32_e32 v2, v2, v32
	v_add_f32_e32 v2, v33, v2
	v_cndmask_b32_e64 v8, v22, v8, s[0:1]
	v_lshlrev_b32_e32 v8, 2, v8
	ds_bpermute_b32 v8, v8, v2
	s_and_saveexec_b64 s[40:41], vcc
	s_cbranch_execz .LBB258_11
; %bb.403:                              ;   in Loop: Header=BB258_13 Depth=1
	v_add_u32_e32 v9, v18, v17
	v_cvt_f32_i32_e32 v9, v9
	s_waitcnt lgkmcnt(0)
	v_add_f32_e32 v2, v2, v8
	v_add_u32_e32 v10, v12, v17
	v_cmp_gt_i32_e64 s[0:1], s33, v10
	v_mul_f32_e32 v8, s48, v9
	v_cndmask_b32_e64 v8, 0, v8, s[2:3]
	v_fmac_f32_e32 v8, s37, v2
	v_cndmask_b32_e64 v2, 0, v8, s[0:1]
	ds_write_b32 v19, v2
	v_max_f32_e32 v2, v15, v15
	v_max_f32_e32 v2, v2, v8
	v_cndmask_b32_e64 v15, v15, v2, s[0:1]
	s_branch .LBB258_11
.LBB258_404:
	s_or_b64 exec, exec, s[38:39]
.LBB258_405:
	s_or_b64 exec, exec, s[18:19]
	v_mbcnt_hi_u32_b32 v2, -1, v11
	v_and_b32_e32 v9, 64, v2
	v_add_u32_e32 v10, 64, v9
	v_xor_b32_e32 v3, 32, v2
	v_cmp_lt_i32_e32 vcc, v3, v10
	v_xor_b32_e32 v6, 16, v2
	v_max_f32_e32 v5, v15, v15
	v_cndmask_b32_e32 v3, v2, v3, vcc
	v_lshlrev_b32_e32 v3, 2, v3
	ds_bpermute_b32 v4, v3, v15
	v_cmp_lt_i32_e32 vcc, v6, v10
	v_xor_b32_e32 v7, 8, v2
	s_waitcnt lgkmcnt(1)
	v_xor_b32_e32 v8, 4, v2
	v_xor_b32_e32 v11, 2, v2
	s_waitcnt lgkmcnt(0)
	v_max_f32_e32 v4, v4, v4
	v_max_f32_e32 v5, v5, v4
	v_cndmask_b32_e32 v4, v2, v6, vcc
	v_lshlrev_b32_e32 v4, 2, v4
	ds_bpermute_b32 v6, v4, v5
	v_cmp_lt_i32_e32 vcc, v7, v10
	v_and_b32_e32 v30, 63, v0
	s_waitcnt lgkmcnt(0)
	v_max_f32_e32 v6, v6, v6
	v_max_f32_e32 v6, v5, v6
	v_cndmask_b32_e32 v5, v2, v7, vcc
	v_lshlrev_b32_e32 v5, 2, v5
	ds_bpermute_b32 v7, v5, v6
	v_cmp_lt_i32_e32 vcc, v8, v10
	s_waitcnt lgkmcnt(0)
	v_max_f32_e32 v7, v7, v7
	v_max_f32_e32 v7, v6, v7
	v_cndmask_b32_e32 v6, v2, v8, vcc
	v_lshlrev_b32_e32 v6, 2, v6
	ds_bpermute_b32 v8, v6, v7
	v_cmp_lt_i32_e32 vcc, v11, v10
	s_waitcnt lgkmcnt(0)
	v_max_f32_e32 v8, v8, v8
	v_max_f32_e32 v8, v7, v8
	v_cndmask_b32_e32 v7, v2, v11, vcc
	v_lshlrev_b32_e32 v31, 2, v7
	ds_bpermute_b32 v11, v31, v8
	v_cmp_eq_u32_e32 vcc, 0, v30
	v_lshlrev_b32_e32 v7, 2, v28
	s_and_saveexec_b64 s[0:1], vcc
	s_cbranch_execz .LBB258_407
; %bb.406:
	s_waitcnt lgkmcnt(0)
	v_max_f32_e32 v11, v11, v11
	v_max_f32_e32 v8, v8, v8
	;; [unrolled: 1-line block ×3, first 2 shown]
	ds_write_b32 v7, v8 offset:256
.LBB258_407:
	s_or_b64 exec, exec, s[0:1]
	v_cmp_gt_u32_e64 s[0:1], 2, v30
	s_waitcnt lgkmcnt(0)
	v_mov_b32_e32 v11, 0xff7fffff
	v_lshlrev_b32_e32 v8, 2, v30
	s_barrier
	s_and_saveexec_b64 s[2:3], s[0:1]
; %bb.408:
	ds_read_b32 v11, v8 offset:256
; %bb.409:
	s_or_b64 exec, exec, s[2:3]
	v_xor_b32_e32 v12, 1, v2
	v_cmp_lt_i32_e64 s[2:3], v12, v10
	v_lshlrev_b32_e32 v9, 2, v9
	s_nop 0
	v_cndmask_b32_e64 v10, v2, v12, s[2:3]
	v_lshlrev_b32_e32 v32, 2, v10
	s_waitcnt lgkmcnt(0)
	ds_bpermute_b32 v10, v32, v11
	v_max_f32_e32 v11, v11, v11
	s_lshl_b32 s2, s47, 5
	s_min_i32 s37, s2, s33
	v_cmp_gt_i32_e64 s[2:3], s37, v0
	s_waitcnt lgkmcnt(0)
	v_max_f32_e32 v10, v10, v10
	v_max_f32_e32 v10, v11, v10
	ds_bpermute_b32 v10, v9, v10
	v_mov_b32_e32 v9, 0
	s_and_saveexec_b64 s[12:13], s[2:3]
	s_cbranch_execz .LBB258_413
; %bb.410:
	v_mov_b32_e32 v9, 0x110
	v_lshl_add_u32 v11, v0, 2, v9
	v_mov_b32_e32 v9, 0
	s_mov_b64 s[18:19], 0
	v_mov_b32_e32 v12, v0
.LBB258_411:                            ; =>This Inner Loop Header: Depth=1
	ds_read_b32 v13, v11
	v_add_u32_e32 v12, 0x80, v12
	v_cmp_le_i32_e64 s[8:9], s37, v12
	s_or_b64 s[18:19], s[8:9], s[18:19]
	s_waitcnt lgkmcnt(0)
	v_sub_f32_e32 v13, v13, v10
	v_mul_f32_e32 v13, 0x3fb8aa3b, v13
	v_exp_f32_e32 v13, v13
	ds_write_b32 v11, v13
	v_add_f32_e32 v9, v9, v13
	v_add_u32_e32 v11, 0x200, v11
	s_andn2_b64 exec, exec, s[18:19]
	s_cbranch_execnz .LBB258_411
; %bb.412:
	s_or_b64 exec, exec, s[18:19]
.LBB258_413:
	s_or_b64 exec, exec, s[12:13]
	ds_bpermute_b32 v3, v3, v9
	s_waitcnt lgkmcnt(0)
	v_add_f32_e32 v3, v9, v3
	ds_bpermute_b32 v4, v4, v3
	s_waitcnt lgkmcnt(0)
	v_add_f32_e32 v3, v3, v4
	;; [unrolled: 3-line block ×6, first 2 shown]
	s_and_saveexec_b64 s[8:9], vcc
; %bb.414:
	ds_write_b32 v7, v3 offset:264
; %bb.415:
	s_or_b64 exec, exec, s[8:9]
	s_waitcnt lgkmcnt(0)
	s_barrier
	s_and_saveexec_b64 s[8:9], s[0:1]
; %bb.416:
	ds_read_b32 v3, v8 offset:264
; %bb.417:
	s_or_b64 exec, exec, s[8:9]
	s_waitcnt lgkmcnt(0)
	ds_bpermute_b32 v4, v32, v3
	v_lshlrev_b32_e32 v2, 2, v2
	v_and_b32_e32 v2, 0x100, v2
	s_waitcnt lgkmcnt(0)
	v_add_f32_e32 v3, v3, v4
	ds_bpermute_b32 v2, v2, v3
	s_and_saveexec_b64 s[0:1], s[2:3]
	s_cbranch_execz .LBB258_430
; %bb.418:
	s_waitcnt lgkmcnt(0)
	v_add_f32_e32 v2, 0x358637bd, v2
	v_div_scale_f32 v3, s[2:3], v2, v2, 1.0
	v_rcp_f32_e32 v4, v3
	v_div_scale_f32 v5, vcc, 1.0, v2, 1.0
	s_movk_i32 s2, 0x7f
	v_fma_f32 v6, -v3, v4, 1.0
	v_fmac_f32_e32 v4, v6, v4
	v_mul_f32_e32 v6, v5, v4
	v_fma_f32 v7, -v3, v6, v5
	v_fmac_f32_e32 v6, v7, v4
	v_fma_f32 v3, -v3, v6, v5
	v_div_fmas_f32 v3, v3, v4, v6
	v_xad_u32 v4, v0, -1, s37
	v_div_fixup_f32 v2, v3, v2, 1.0
	v_cmp_lt_u32_e32 vcc, s2, v4
	s_mov_b64 s[8:9], -1
	v_mov_b32_e32 v3, v0
	s_and_saveexec_b64 s[2:3], vcc
	s_cbranch_execz .LBB258_427
; %bb.419:
	v_lshrrev_b32_e32 v4, 7, v4
	v_add_u32_e32 v6, -1, v4
	v_lshrrev_b32_e32 v5, 1, v6
	v_mov_b32_e32 v3, v2
	v_add_u32_e32 v5, 1, v5
	v_cmp_lt_u32_e32 vcc, 13, v6
	v_mov_b32_e32 v8, 0
	s_and_saveexec_b64 s[8:9], vcc
	s_cbranch_execz .LBB258_423
; %bb.420:
	v_mov_b32_e32 v7, 0x110
	v_and_b32_e32 v6, -8, v5
	v_lshl_add_u32 v7, v0, 2, v7
	s_mov_b32 s18, 0
	s_mov_b64 s[12:13], 0
.LBB258_421:                            ; =>This Inner Loop Header: Depth=1
	ds_read2st64_b32 v[8:9], v7 offset1:2
	ds_read2st64_b32 v[10:11], v7 offset0:4 offset1:6
	ds_read2st64_b32 v[12:13], v7 offset0:8 offset1:10
	ds_read2st64_b32 v[16:17], v7 offset0:12 offset1:14
	v_add_u32_e32 v6, -8, v6
	s_waitcnt lgkmcnt(3)
	v_pk_mul_f32 v[8:9], v[2:3], v[8:9]
	s_waitcnt lgkmcnt(2)
	v_pk_mul_f32 v[10:11], v[2:3], v[10:11]
	ds_write2st64_b32 v7, v8, v9 offset1:2
	ds_write2st64_b32 v7, v10, v11 offset0:4 offset1:6
	ds_read2st64_b32 v[10:11], v7 offset0:16 offset1:18
	s_waitcnt lgkmcnt(4)
	v_pk_mul_f32 v[8:9], v[2:3], v[12:13]
	ds_write2st64_b32 v7, v8, v9 offset0:8 offset1:10
	s_waitcnt lgkmcnt(4)
	v_pk_mul_f32 v[8:9], v[2:3], v[16:17]
	ds_write2st64_b32 v7, v8, v9 offset0:12 offset1:14
	ds_read2st64_b32 v[8:9], v7 offset0:20 offset1:22
	s_waitcnt lgkmcnt(3)
	v_pk_mul_f32 v[10:11], v[2:3], v[10:11]
	ds_read2st64_b32 v[12:13], v7 offset0:24 offset1:26
	ds_write2st64_b32 v7, v10, v11 offset0:16 offset1:18
	ds_read2st64_b32 v[10:11], v7 offset0:28 offset1:30
	s_waitcnt lgkmcnt(3)
	v_pk_mul_f32 v[8:9], v[2:3], v[8:9]
	ds_write2st64_b32 v7, v8, v9 offset0:20 offset1:22
	s_waitcnt lgkmcnt(3)
	v_pk_mul_f32 v[8:9], v[2:3], v[12:13]
	ds_write2st64_b32 v7, v8, v9 offset0:24 offset1:26
	s_waitcnt lgkmcnt(2)
	v_pk_mul_f32 v[8:9], v[2:3], v[10:11]
	s_add_i32 s18, s18, 16
	v_cmp_eq_u32_e32 vcc, 0, v6
	ds_write2st64_b32 v7, v8, v9 offset0:28 offset1:30
	v_add_u32_e32 v7, 0x2000, v7
	s_or_b64 s[12:13], vcc, s[12:13]
	v_mov_b32_e32 v8, s18
	s_andn2_b64 exec, exec, s[12:13]
	s_cbranch_execnz .LBB258_421
; %bb.422:
	s_or_b64 exec, exec, s[12:13]
.LBB258_423:
	s_or_b64 exec, exec, s[8:9]
	v_and_b32_e32 v5, 7, v5
	v_cmp_ne_u32_e32 vcc, 0, v5
	s_and_saveexec_b64 s[8:9], vcc
	s_cbranch_execz .LBB258_426
; %bb.424:
	v_lshlrev_b32_e32 v6, 9, v8
	v_lshlrev_b32_e32 v7, 2, v0
	s_movk_i32 s12, 0x110
	v_add3_u32 v6, v6, v7, s12
	s_mov_b64 s[12:13], 0
.LBB258_425:                            ; =>This Inner Loop Header: Depth=1
	ds_read2st64_b32 v[8:9], v6 offset1:2
	v_add_u32_e32 v5, -1, v5
	v_cmp_eq_u32_e32 vcc, 0, v5
	s_or_b64 s[12:13], vcc, s[12:13]
	s_waitcnt lgkmcnt(0)
	v_pk_mul_f32 v[8:9], v[2:3], v[8:9]
	ds_write2st64_b32 v6, v8, v9 offset1:2
	v_add_u32_e32 v6, 0x400, v6
	s_andn2_b64 exec, exec, s[12:13]
	s_cbranch_execnz .LBB258_425
.LBB258_426:
	s_or_b64 exec, exec, s[8:9]
	v_add_u32_e32 v4, 1, v4
	v_and_b32_e32 v5, 0x3fffffe, v4
	v_cmp_ne_u32_e32 vcc, v4, v5
	v_lshl_add_u32 v3, v5, 7, v0
	s_orn2_b64 s[8:9], vcc, exec
.LBB258_427:
	s_or_b64 exec, exec, s[2:3]
	s_and_b64 exec, exec, s[8:9]
	s_cbranch_execz .LBB258_430
; %bb.428:
	v_mov_b32_e32 v4, 0x110
	v_lshl_add_u32 v4, v3, 2, v4
	s_mov_b64 s[2:3], 0
.LBB258_429:                            ; =>This Inner Loop Header: Depth=1
	ds_read_b32 v5, v4
	v_add_u32_e32 v3, 0x80, v3
	v_cmp_le_i32_e32 vcc, s37, v3
	s_or_b64 s[2:3], vcc, s[2:3]
	s_waitcnt lgkmcnt(0)
	v_mul_f32_e32 v5, v2, v5
	ds_write_b32 v4, v5
	v_add_u32_e32 v4, 0x200, v4
	s_andn2_b64 exec, exec, s[2:3]
	s_cbranch_execnz .LBB258_429
.LBB258_430:
	s_or_b64 exec, exec, s[0:1]
	v_mov_b32_e32 v3, 0
	v_and_b32_e32 v33, 3, v0
	s_waitcnt lgkmcnt(0)
	v_mov_b32_e32 v2, 0
	v_mov_b32_e32 v5, 0
	;; [unrolled: 1-line block ×7, first 2 shown]
	s_barrier
	s_and_saveexec_b64 s[2:3], s[6:7]
	s_cbranch_execz .LBB258_836
; %bb.431:
	s_sub_i32 s37, s16, s21
	s_ashr_i32 s1, s20, 31
	s_add_u32 s0, s34, s20
	s_addc_u32 s1, s35, s1
	s_abs_i32 s22, s22
	v_cvt_f32_u32_e32 v2, s22
	v_and_b32_e32 v34, 24, v1
	v_and_b32_e32 v10, 0x1f8, v1
	v_mov_b32_e32 v11, 0
	v_rcp_iflag_f32_e32 v1, v2
	v_lshl_add_u64 v[12:13], s[0:1], 0, v[10:11]
	s_sub_i32 s0, 0, s22
	s_add_i32 s35, s47, -1
	v_mul_f32_e32 v1, 0x4f7ffffe, v1
	v_cvt_u32_f32_e32 v1, v1
	s_mov_b32 s6, -1
	v_and_b32_e32 v10, 60, v14
	s_mov_b32 s34, s17
	v_mul_lo_u32 v2, s0, v1
	v_mul_hi_u32 v2, v1, v2
	s_lshl_b64 s[0:1], s[30:31], 2
	v_add_u32_e32 v35, v1, v2
	s_add_u32 s0, s28, s0
	v_lshlrev_b32_e32 v1, 5, v33
	s_addc_u32 s1, s29, s1
	v_lshl_or_b32 v1, v28, 7, v1
	s_mov_b32 s7, 0xffffff
	s_mov_b32 s38, s33
	v_lshl_add_u64 v[14:15], s[0:1], 0, v[10:11]
	v_add_u32_e32 v36, 0x110, v1
	s_mov_b64 s[8:9], 0
	s_movk_i32 s28, 0x80
	s_movk_i32 s29, 0x7f
	s_mov_b32 s30, 0x8000
	v_mov_b32_e32 v37, 0x2000
	v_mov_b32_e32 v8, 0
	;; [unrolled: 1-line block ×9, first 2 shown]
	s_branch .LBB258_434
.LBB258_432:                            ;   in Loop: Header=BB258_434 Depth=1
	s_or_b64 exec, exec, s[0:1]
	v_add_f32_e32 v17, v26, v27
	v_add_f32_e32 v2, v2, v17
	;; [unrolled: 1-line block ×13, first 2 shown]
	;;#ASMSTART
	v_pk_mul_f16 v1, v49, v1;

	;;#ASMEND
	v_add_f32_e32 v8, v8, v17
	;;#ASMSTART
	v_pk_mul_f16 v10, v48, v10;

	;;#ASMEND
	;;#ASMSTART
	v_pk_mul_f16 v17, v47, v21;

	;;#ASMEND
	;; [unrolled: 4-line block ×3, first 2 shown]
	s_nop 0
	;;#ASMSTART
	v_pk_add_f16 v1, v1, v10;

	;;#ASMEND
	s_nop 0
	;;#ASMSTART
	v_pk_add_f16 v1, v1, v17;

	;;#ASMEND
	;; [unrolled: 5-line block ×3, first 2 shown]
	s_nop 0
	v_lshrrev_b32_e32 v10, 16, v1
	v_and_b32_e32 v1, 0xffff, v1
	;;#ASMSTART
	v_cvt_f32_f16 v1, v1;
	;;#ASMEND
	;;#ASMSTART
	v_cvt_f32_f16 v10, v10;
	;;#ASMEND
	s_nop 0
	v_add_f32_e32 v1, v1, v10
	v_add_f32_e32 v3, v3, v1
.LBB258_433:                            ;   in Loop: Header=BB258_434 Depth=1
	s_or_b64 exec, exec, s[12:13]
	v_add_u32_e32 v28, 2, v28
	v_cmp_le_i32_e32 vcc, s47, v28
	v_lshl_add_u64 v[14:15], v[14:15], 0, 8
	v_add_u32_e32 v29, 64, v29
	s_or_b64 s[8:9], vcc, s[8:9]
	v_add_u32_e32 v36, 0x100, v36
	s_andn2_b64 exec, exec, s[8:9]
	s_cbranch_execz .LBB258_835
.LBB258_434:                            ; =>This Inner Loop Header: Depth=1
	v_mul_hi_u32 v1, v29, s46
	v_mul_lo_u32 v10, v1, s25
	v_sub_u32_e32 v10, v29, v10
	v_add_u32_e32 v16, 1, v1
	v_cmp_le_u32_e32 vcc, s25, v10
	s_nop 1
	v_cndmask_b32_e32 v1, v1, v16, vcc
	v_subrev_u32_e32 v16, s25, v10
	v_cndmask_b32_e32 v10, v10, v16, vcc
	v_add_u32_e32 v16, 1, v1
	v_cmp_le_u32_e32 vcc, s25, v10
	s_nop 1
	v_cndmask_b32_e32 v1, v1, v16, vcc
	v_xor_b32_e32 v1, s23, v1
	v_subrev_u32_e32 v1, s23, v1
	v_add_u32_e32 v10, s36, v1
	v_sub_u32_e32 v17, 0, v10
	v_ashrrev_i32_e32 v16, 31, v10
	v_max_i32_e32 v10, v10, v17
	v_mul_hi_u32 v17, v10, v35
	v_mul_lo_u32 v17, v17, s22
	v_sub_u32_e32 v10, v10, v17
	v_subrev_u32_e32 v17, s22, v10
	v_cmp_le_u32_e32 vcc, s22, v10
	v_cmp_lt_i32_e64 s[0:1], s37, v1
	s_nop 0
	v_cndmask_b32_e32 v10, v10, v17, vcc
	v_subrev_u32_e32 v17, s22, v10
	v_cmp_le_u32_e32 vcc, s22, v10
	s_nop 1
	v_cndmask_b32_e32 v10, v10, v17, vcc
	v_xor_b32_e32 v10, v10, v16
	v_sub_u32_e32 v10, v10, v16
	v_cmp_eq_u32_e32 vcc, 0, v10
	s_or_b64 s[0:1], vcc, s[0:1]
	s_and_saveexec_b64 s[12:13], s[0:1]
	s_cbranch_execz .LBB258_433
; %bb.435:                              ;   in Loop: Header=BB258_434 Depth=1
	global_load_dword v1, v[14:15], off
	ds_read2_b64 v[16:19], v36 offset1:1
	ds_read2_b64 v[20:23], v36 offset0:2 offset1:3
	s_waitcnt lgkmcnt(1)
	;;#ASMSTART
	v_cvt_f16_f32 v45, v16;

	;;#ASMEND
	;;#ASMSTART
	v_cvt_f16_f32 v47, v17;

	;;#ASMEND
	;; [unrolled: 4-line block ×4, first 2 shown]
	s_waitcnt lgkmcnt(0)
	;;#ASMSTART
	v_cvt_f16_f32 v51, v20;

	;;#ASMEND
	;;#ASMSTART
	v_cvt_f16_f32 v52, v21;

	;;#ASMEND
	;;#ASMSTART
	v_cvt_f16_f32 v53, v22;

	;;#ASMEND
	;;#ASMSTART
	v_cvt_f16_f32 v54, v23;

	;;#ASMEND
	v_mov_b32_e32 v19, 0
	s_waitcnt vmcnt(0)
	v_mad_i64_i32 v[16:17], s[0:1], v1, s34, v[12:13]
	global_load_dwordx2 v[20:21], v[16:17], off
	v_mov_b32_e32 v1, 0
	global_load_dword v18, v1, s[14:15]
	s_waitcnt vmcnt(1)
	v_cmp_ne_u16_sdwa s[16:17], v20, v11 src0_sel:BYTE_0 src1_sel:DWORD
	s_and_saveexec_b64 s[0:1], s[16:17]
	s_cbranch_execz .LBB258_441
; %bb.436:                              ;   in Loop: Header=BB258_434 Depth=1
	v_cmp_ne_u16_sdwa s[18:19], v20, s28 src0_sel:BYTE_0 src1_sel:DWORD
	v_mov_b32_e32 v19, 0x8000
	s_and_saveexec_b64 s[16:17], s[18:19]
	s_cbranch_execz .LBB258_440
; %bb.437:                              ;   in Loop: Header=BB258_434 Depth=1
	v_and_b32_e32 v10, 0x7f, v20
	v_cmp_ne_u32_e32 vcc, s29, v10
	v_mov_b32_e32 v19, 0x7c01
	s_and_saveexec_b64 s[18:19], vcc
	s_cbranch_execz .LBB258_439
; %bb.438:                              ;   in Loop: Header=BB258_434 Depth=1
	v_and_b32_e32 v19, 7, v20
	v_ffbh_u32_e32 v22, v19
	v_min_u32_e32 v25, 32, v22
	v_subrev_u32_e32 v22, 28, v25
	v_lshlrev_b64 v[22:23], v22, v[20:21]
	v_lshrrev_b32_e32 v24, 3, v10
	v_sub_u32_e32 v23, 29, v25
	v_cmp_gt_u32_e32 vcc, 8, v10
	v_and_b32_e32 v22, 7, v22
	s_nop 0
	v_cndmask_b32_e32 v10, v24, v23, vcc
	v_lshl_add_u32 v10, v10, 10, v37
	v_lshlrev_b32_e32 v23, 8, v20
	v_and_b32_e32 v10, 0xfc00, v10
	v_cndmask_b32_e32 v19, v19, v22, vcc
	v_and_or_b32 v10, v23, s30, v10
	v_lshl_or_b32 v19, v19, 7, v10
.LBB258_439:                            ;   in Loop: Header=BB258_434 Depth=1
	s_or_b64 exec, exec, s[18:19]
.LBB258_440:                            ;   in Loop: Header=BB258_434 Depth=1
	s_or_b64 exec, exec, s[16:17]
.LBB258_441:                            ;   in Loop: Header=BB258_434 Depth=1
	s_or_b64 exec, exec, s[0:1]
	v_lshrrev_b16_e32 v10, 8, v20
	v_cmp_ne_u16_e32 vcc, 0, v10
	s_and_saveexec_b64 s[0:1], vcc
	s_cbranch_execz .LBB258_447
; %bb.442:                              ;   in Loop: Header=BB258_434 Depth=1
	v_cmp_ne_u16_e32 vcc, s28, v10
	v_bfrev_b32_e32 v1, 1
	s_and_saveexec_b64 s[16:17], vcc
	s_cbranch_execz .LBB258_446
; %bb.443:                              ;   in Loop: Header=BB258_434 Depth=1
	v_and_b32_e32 v22, 0x7f, v10
	v_cmp_ne_u32_e32 vcc, s29, v22
	v_mov_b32_e32 v1, 0x7c010000
	s_and_saveexec_b64 s[18:19], vcc
	s_cbranch_execz .LBB258_445
; %bb.444:                              ;   in Loop: Header=BB258_434 Depth=1
	v_and_b32_e32 v1, 7, v10
	v_ffbh_u32_e32 v24, v1
	v_min_u32_e32 v26, 32, v24
	v_subrev_u32_e32 v24, 28, v26
	v_lshlrev_b64 v[24:25], v24, v[10:11]
	v_lshrrev_b32_e32 v23, 3, v22
	v_sub_u32_e32 v25, 29, v26
	v_cmp_gt_u32_e32 vcc, 8, v22
	v_lshlrev_b32_e32 v10, 8, v10
	s_nop 0
	v_cndmask_b32_e32 v22, v23, v25, vcc
	v_lshl_add_u32 v22, v22, 10, v37
	v_and_b32_e32 v23, 7, v24
	v_and_or_b32 v10, v10, s30, v22
	v_cndmask_b32_e32 v1, v1, v23, vcc
	v_lshlrev_b32_e32 v10, 16, v10
	v_lshl_or_b32 v1, v1, 23, v10
.LBB258_445:                            ;   in Loop: Header=BB258_434 Depth=1
	s_or_b64 exec, exec, s[18:19]
.LBB258_446:                            ;   in Loop: Header=BB258_434 Depth=1
	s_or_b64 exec, exec, s[16:17]
.LBB258_447:                            ;   in Loop: Header=BB258_434 Depth=1
	s_or_b64 exec, exec, s[0:1]
	v_lshrrev_b32_e32 v10, 16, v20
	v_cmp_ne_u16_sdwa s[16:17], v10, v11 src0_sel:BYTE_0 src1_sel:DWORD
	v_mov_b32_e32 v23, 0
	v_mov_b32_e32 v22, 0
	s_and_saveexec_b64 s[0:1], s[16:17]
	s_cbranch_execz .LBB258_453
; %bb.448:                              ;   in Loop: Header=BB258_434 Depth=1
	v_cmp_ne_u16_sdwa s[18:19], v10, s28 src0_sel:BYTE_0 src1_sel:DWORD
	v_mov_b32_e32 v22, 0x8000
	s_and_saveexec_b64 s[16:17], s[18:19]
	s_cbranch_execz .LBB258_452
; %bb.449:                              ;   in Loop: Header=BB258_434 Depth=1
	v_bfe_u32 v24, v20, 16, 7
	v_cmp_ne_u32_e32 vcc, s29, v24
	v_mov_b32_e32 v22, 0x7c01
	s_and_saveexec_b64 s[18:19], vcc
	s_cbranch_execz .LBB258_451
; %bb.450:                              ;   in Loop: Header=BB258_434 Depth=1
	v_and_b32_e32 v22, 7, v10
	v_ffbh_u32_e32 v26, v22
	v_min_u32_e32 v38, 32, v26
	v_subrev_u32_e32 v26, 28, v38
	v_lshlrev_b64 v[26:27], v26, v[10:11]
	v_lshrrev_b32_e32 v25, 3, v24
	v_sub_u32_e32 v27, 29, v38
	v_cmp_gt_u32_e32 vcc, 8, v24
	v_lshlrev_b32_e32 v10, 8, v10
	s_nop 0
	v_cndmask_b32_e32 v24, v25, v27, vcc
	v_lshl_add_u32 v24, v24, 10, v37
	v_and_b32_e32 v25, 7, v26
	v_and_b32_e32 v24, 0xfc00, v24
	v_cndmask_b32_e32 v22, v22, v25, vcc
	v_and_or_b32 v10, v10, s30, v24
	v_lshl_or_b32 v22, v22, 7, v10
.LBB258_451:                            ;   in Loop: Header=BB258_434 Depth=1
	s_or_b64 exec, exec, s[18:19]
.LBB258_452:                            ;   in Loop: Header=BB258_434 Depth=1
	s_or_b64 exec, exec, s[16:17]
.LBB258_453:                            ;   in Loop: Header=BB258_434 Depth=1
	s_or_b64 exec, exec, s[0:1]
	v_cmp_lt_u32_e32 vcc, s7, v20
	s_and_saveexec_b64 s[0:1], vcc
	s_cbranch_execz .LBB258_459
; %bb.454:                              ;   in Loop: Header=BB258_434 Depth=1
	v_lshrrev_b32_e32 v10, 24, v20
	v_cmp_ne_u32_e32 vcc, s28, v10
	v_bfrev_b32_e32 v23, 1
	s_and_saveexec_b64 s[16:17], vcc
	s_cbranch_execz .LBB258_458
; %bb.455:                              ;   in Loop: Header=BB258_434 Depth=1
	v_and_b32_e32 v24, 0x7f, v10
	v_cmp_ne_u32_e32 vcc, s29, v24
	v_mov_b32_e32 v23, 0x7c010000
	s_and_saveexec_b64 s[18:19], vcc
	s_cbranch_execz .LBB258_457
; %bb.456:                              ;   in Loop: Header=BB258_434 Depth=1
	v_and_b32_e32 v23, 7, v10
	v_ffbh_u32_e32 v26, v23
	v_min_u32_e32 v38, 32, v26
	v_subrev_u32_e32 v26, 28, v38
	v_lshlrev_b64 v[26:27], v26, v[10:11]
	v_lshrrev_b32_e32 v25, 3, v24
	v_sub_u32_e32 v27, 29, v38
	v_cmp_gt_u32_e32 vcc, 8, v24
	v_lshlrev_b32_e32 v10, 8, v10
	s_nop 0
	v_cndmask_b32_e32 v24, v25, v27, vcc
	v_lshl_add_u32 v24, v24, 10, v37
	v_and_b32_e32 v25, 7, v26
	v_and_or_b32 v10, v10, s30, v24
	v_cndmask_b32_e32 v23, v23, v25, vcc
	v_lshlrev_b32_e32 v10, 16, v10
	v_lshl_or_b32 v23, v23, 23, v10
.LBB258_457:                            ;   in Loop: Header=BB258_434 Depth=1
	s_or_b64 exec, exec, s[18:19]
.LBB258_458:                            ;   in Loop: Header=BB258_434 Depth=1
	s_or_b64 exec, exec, s[16:17]
.LBB258_459:                            ;   in Loop: Header=BB258_434 Depth=1
	s_or_b64 exec, exec, s[0:1]
	v_mov_b32_e32 v10, v21
	v_cmp_ne_u16_sdwa s[16:17], v21, v11 src0_sel:BYTE_0 src1_sel:DWORD
	v_mov_b32_e32 v24, 0
	v_mov_b32_e32 v25, 0
	s_and_saveexec_b64 s[0:1], s[16:17]
	s_cbranch_execz .LBB258_465
; %bb.460:                              ;   in Loop: Header=BB258_434 Depth=1
	v_cmp_ne_u16_sdwa s[18:19], v21, s28 src0_sel:BYTE_0 src1_sel:DWORD
	v_mov_b32_e32 v25, 0x8000
	s_and_saveexec_b64 s[16:17], s[18:19]
	s_cbranch_execz .LBB258_464
; %bb.461:                              ;   in Loop: Header=BB258_434 Depth=1
	v_and_b32_e32 v26, 0x7f, v21
	v_cmp_ne_u32_e32 vcc, s29, v26
	v_mov_b32_e32 v25, 0x7c01
	s_and_saveexec_b64 s[18:19], vcc
	s_cbranch_execz .LBB258_463
; %bb.462:                              ;   in Loop: Header=BB258_434 Depth=1
	v_and_b32_e32 v25, 7, v21
	v_ffbh_u32_e32 v38, v25
	v_min_u32_e32 v40, 32, v38
	v_subrev_u32_e32 v38, 28, v40
	v_lshlrev_b64 v[38:39], v38, v[10:11]
	v_lshrrev_b32_e32 v27, 3, v26
	v_sub_u32_e32 v39, 29, v40
	v_cmp_gt_u32_e32 vcc, 8, v26
	v_and_b32_e32 v38, 7, v38
	s_nop 0
	v_cndmask_b32_e32 v26, v27, v39, vcc
	v_lshl_add_u32 v26, v26, 10, v37
	v_lshlrev_b32_e32 v27, 8, v21
	v_and_b32_e32 v26, 0xfc00, v26
	v_cndmask_b32_e32 v25, v25, v38, vcc
	v_and_or_b32 v26, v27, s30, v26
	v_lshl_or_b32 v25, v25, 7, v26
.LBB258_463:                            ;   in Loop: Header=BB258_434 Depth=1
	s_or_b64 exec, exec, s[18:19]
.LBB258_464:                            ;   in Loop: Header=BB258_434 Depth=1
	s_or_b64 exec, exec, s[16:17]
.LBB258_465:                            ;   in Loop: Header=BB258_434 Depth=1
	s_or_b64 exec, exec, s[0:1]
	v_lshrrev_b16_e32 v10, 8, v10
	v_cmp_ne_u16_e32 vcc, 0, v10
	v_mov_b32_e32 v26, 0
	s_and_saveexec_b64 s[0:1], vcc
	s_cbranch_execz .LBB258_471
; %bb.466:                              ;   in Loop: Header=BB258_434 Depth=1
	v_cmp_ne_u16_e32 vcc, s28, v10
	v_bfrev_b32_e32 v26, 1
	s_and_saveexec_b64 s[16:17], vcc
	s_cbranch_execz .LBB258_470
; %bb.467:                              ;   in Loop: Header=BB258_434 Depth=1
	v_and_b32_e32 v27, 0x7f, v10
	v_cmp_ne_u32_e32 vcc, s29, v27
	v_mov_b32_e32 v26, 0x7c010000
	s_and_saveexec_b64 s[18:19], vcc
	s_cbranch_execz .LBB258_469
; %bb.468:                              ;   in Loop: Header=BB258_434 Depth=1
	v_and_b32_e32 v26, 7, v10
	v_ffbh_u32_e32 v38, v26
	v_min_u32_e32 v41, 32, v38
	v_subrev_u32_e32 v38, 28, v41
	v_lshlrev_b64 v[38:39], v38, v[10:11]
	v_lshrrev_b32_e32 v40, 3, v27
	v_sub_u32_e32 v39, 29, v41
	v_cmp_gt_u32_e32 vcc, 8, v27
	v_lshlrev_b32_e32 v10, 8, v10
	v_and_b32_e32 v38, 7, v38
	v_cndmask_b32_e32 v27, v40, v39, vcc
	v_lshl_add_u32 v27, v27, 10, v37
	v_and_or_b32 v10, v10, s30, v27
	v_cndmask_b32_e32 v26, v26, v38, vcc
	v_lshlrev_b32_e32 v10, 16, v10
	v_lshl_or_b32 v26, v26, 23, v10
.LBB258_469:                            ;   in Loop: Header=BB258_434 Depth=1
	s_or_b64 exec, exec, s[18:19]
.LBB258_470:                            ;   in Loop: Header=BB258_434 Depth=1
	s_or_b64 exec, exec, s[16:17]
.LBB258_471:                            ;   in Loop: Header=BB258_434 Depth=1
	s_or_b64 exec, exec, s[0:1]
	v_lshrrev_b32_e32 v10, 16, v21
	v_cmp_ne_u16_sdwa s[16:17], v10, v11 src0_sel:BYTE_0 src1_sel:DWORD
	s_and_saveexec_b64 s[0:1], s[16:17]
	s_cbranch_execz .LBB258_477
; %bb.472:                              ;   in Loop: Header=BB258_434 Depth=1
	v_cmp_ne_u16_sdwa s[18:19], v10, s28 src0_sel:BYTE_0 src1_sel:DWORD
	v_mov_b32_e32 v24, 0x8000
	s_and_saveexec_b64 s[16:17], s[18:19]
	s_cbranch_execz .LBB258_476
; %bb.473:                              ;   in Loop: Header=BB258_434 Depth=1
	v_bfe_u32 v27, v21, 16, 7
	v_cmp_ne_u32_e32 vcc, s29, v27
	v_mov_b32_e32 v24, 0x7c01
	s_and_saveexec_b64 s[18:19], vcc
	s_cbranch_execz .LBB258_475
; %bb.474:                              ;   in Loop: Header=BB258_434 Depth=1
	v_and_b32_e32 v24, 7, v10
	v_ffbh_u32_e32 v38, v24
	v_min_u32_e32 v41, 32, v38
	v_subrev_u32_e32 v38, 28, v41
	v_lshlrev_b64 v[38:39], v38, v[10:11]
	v_lshrrev_b32_e32 v40, 3, v27
	v_sub_u32_e32 v39, 29, v41
	v_cmp_gt_u32_e32 vcc, 8, v27
	v_lshlrev_b32_e32 v10, 8, v10
	v_and_b32_e32 v38, 7, v38
	v_cndmask_b32_e32 v27, v40, v39, vcc
	v_lshl_add_u32 v27, v27, 10, v37
	v_and_b32_e32 v27, 0xfc00, v27
	v_cndmask_b32_e32 v24, v24, v38, vcc
	v_and_or_b32 v10, v10, s30, v27
	v_lshl_or_b32 v24, v24, 7, v10
.LBB258_475:                            ;   in Loop: Header=BB258_434 Depth=1
	s_or_b64 exec, exec, s[18:19]
.LBB258_476:                            ;   in Loop: Header=BB258_434 Depth=1
	s_or_b64 exec, exec, s[16:17]
.LBB258_477:                            ;   in Loop: Header=BB258_434 Depth=1
	s_or_b64 exec, exec, s[0:1]
	v_cmp_lt_u64_e32 vcc, s[6:7], v[20:21]
	v_mov_b32_e32 v27, 0
	s_and_saveexec_b64 s[0:1], vcc
	s_cbranch_execz .LBB258_483
; %bb.478:                              ;   in Loop: Header=BB258_434 Depth=1
	v_lshrrev_b32_e32 v10, 24, v21
	v_cmp_ne_u32_e32 vcc, s28, v10
	v_bfrev_b32_e32 v27, 1
	s_and_saveexec_b64 s[16:17], vcc
	s_cbranch_execz .LBB258_482
; %bb.479:                              ;   in Loop: Header=BB258_434 Depth=1
	v_and_b32_e32 v20, 0x7f, v10
	v_cmp_ne_u32_e32 vcc, s29, v20
	v_mov_b32_e32 v27, 0x7c010000
	s_and_saveexec_b64 s[18:19], vcc
	s_cbranch_execz .LBB258_481
; %bb.480:                              ;   in Loop: Header=BB258_434 Depth=1
	v_and_b32_e32 v21, 7, v10
	v_ffbh_u32_e32 v38, v21
	v_min_u32_e32 v40, 32, v38
	v_subrev_u32_e32 v38, 28, v40
	v_lshlrev_b64 v[38:39], v38, v[10:11]
	v_lshrrev_b32_e32 v27, 3, v20
	v_sub_u32_e32 v39, 29, v40
	v_cmp_gt_u32_e32 vcc, 8, v20
	v_lshlrev_b32_e32 v10, 8, v10
	s_nop 0
	v_cndmask_b32_e32 v20, v27, v39, vcc
	v_lshl_add_u32 v20, v20, 10, v37
	v_and_b32_e32 v27, 7, v38
	v_and_or_b32 v10, v10, s30, v20
	v_cndmask_b32_e32 v21, v21, v27, vcc
	v_lshlrev_b32_e32 v10, 16, v10
	v_lshl_or_b32 v27, v21, 23, v10
.LBB258_481:                            ;   in Loop: Header=BB258_434 Depth=1
	s_or_b64 exec, exec, s[18:19]
.LBB258_482:                            ;   in Loop: Header=BB258_434 Depth=1
	s_or_b64 exec, exec, s[16:17]
.LBB258_483:                            ;   in Loop: Header=BB258_434 Depth=1
	s_or_b64 exec, exec, s[0:1]
	v_cvt_f32_f16_sdwa v21, v1 dst_sel:DWORD dst_unused:UNUSED_PAD src0_sel:WORD_1
	v_cvt_f32_f16_sdwa v20, v23 dst_sel:DWORD dst_unused:UNUSED_PAD src0_sel:WORD_1
	v_or_b32_e32 v1, v1, v19
	v_or_b32_e32 v10, v23, v22
	v_cvt_f32_f16_e32 v22, v10
	v_cvt_f32_f16_e32 v23, v1
	s_waitcnt vmcnt(0)
	v_pk_mul_f32 v[20:21], v[18:19], v[20:21] op_sel_hi:[0,1]
	v_cvt_pk_f16_f32 v1, v20, v21
	v_and_b32_e32 v19, 0xffff0000, v1
	v_pk_mul_f32 v[22:23], v[18:19], v[22:23] op_sel_hi:[0,1]
	v_lshlrev_b32_e32 v20, 16, v1
	v_cvt_pk_f16_f32 v1, v22, v23
	v_or_b32_e32 v10, v26, v25
	v_or_b32_e32 v23, v27, v24
	v_cvt_f32_f16_e32 v24, v23
	v_cvt_f32_f16_e32 v25, v10
	v_cvt_f32_f16_sdwa v41, v26 dst_sel:DWORD dst_unused:UNUSED_PAD src0_sel:WORD_1
	v_cvt_f32_f16_sdwa v40, v27 dst_sel:DWORD dst_unused:UNUSED_PAD src0_sel:WORD_1
	v_add_u32_e32 v38, v34, v29
	v_pk_mul_f32 v[24:25], v[18:19], v[24:25] op_sel_hi:[0,1]
	v_cvt_pk_f16_f32 v26, v24, v25
	v_pk_mul_f32 v[24:25], v[18:19], v[40:41] op_sel_hi:[0,1]
	v_cvt_pk_f16_f32 v18, v24, v25
	v_lshrrev_b32_e32 v21, 16, v1
	v_and_b32_e32 v22, 0xffff, v1
	v_and_b32_e32 v23, 0xffff0000, v18
	v_lshlrev_b32_e32 v18, 16, v18
	v_lshrrev_b32_e32 v27, 16, v26
	v_and_b32_e32 v26, 0xffff, v26
	v_cmp_eq_u32_e32 vcc, s35, v28
	v_or_b32_e32 v1, v19, v21
	v_or_b32_e32 v10, v20, v22
	v_or_b32_e32 v25, v23, v27
	v_or_b32_e32 v24, v18, v26
	v_add_u32_e32 v46, 2, v38
	v_or_b32_e32 v44, 1, v38
	v_or_b32_e32 v43, 3, v38
	;; [unrolled: 1-line block ×6, first 2 shown]
	s_and_saveexec_b64 s[16:17], vcc
	s_cbranch_execz .LBB258_485
; %bb.484:                              ;   in Loop: Header=BB258_434 Depth=1
	v_cmp_gt_i32_e64 s[0:1], s38, v38
	s_nop 1
	v_cndmask_b32_e64 v1, 0, v21, s[0:1]
	v_cmp_gt_i32_e64 s[0:1], s33, v46
	s_nop 1
	v_cndmask_b32_e64 v10, 0, v22, s[0:1]
	;; [unrolled: 3-line block ×3, first 2 shown]
	v_cmp_gt_i32_e64 s[0:1], s33, v43
	v_or_b32_e32 v1, v19, v1
	s_nop 0
	v_cndmask_b32_e64 v20, 0, v20, s[0:1]
	v_cmp_gt_i32_e64 s[0:1], s38, v42
	v_or_b32_e32 v10, v20, v10
	s_nop 0
	v_cndmask_b32_e64 v19, 0, v27, s[0:1]
	v_cmp_gt_i32_e64 s[0:1], s33, v41
	s_nop 1
	v_cndmask_b32_e64 v20, 0, v26, s[0:1]
	v_cmp_gt_i32_e64 s[0:1], s38, v40
	;; [unrolled: 3-line block ×3, first 2 shown]
	v_or_b32_e32 v25, v21, v19
	s_nop 0
	v_cndmask_b32_e64 v18, 0, v18, s[0:1]
	v_or_b32_e32 v24, v18, v20
.LBB258_485:                            ;   in Loop: Header=BB258_434 Depth=1
	s_or_b64 exec, exec, s[16:17]
	v_and_b32_e32 v18, 0xffff, v45
	v_lshl_or_b32 v49, v47, 16, v18
	v_and_b32_e32 v18, 0xffff, v48
	v_lshl_or_b32 v48, v50, 16, v18
	;; [unrolled: 2-line block ×3, first 2 shown]
	v_and_b32_e32 v18, 0xffff, v53
	;;#ASMSTART
	v_pk_mul_f16 v1, v49, v1;

	;;#ASMEND
	v_lshl_or_b32 v45, v54, 16, v18
	;;#ASMSTART
	v_pk_mul_f16 v10, v48, v10;

	;;#ASMEND
	;;#ASMSTART
	v_pk_mul_f16 v18, v47, v25;

	;;#ASMEND
	;; [unrolled: 4-line block ×3, first 2 shown]
	s_nop 0
	;;#ASMSTART
	v_pk_add_f16 v1, v1, v10;

	;;#ASMEND
	s_nop 0
	;;#ASMSTART
	v_pk_add_f16 v1, v1, v18;

	;;#ASMEND
	;; [unrolled: 5-line block ×3, first 2 shown]
	v_mov_b32_e32 v19, 0
	v_lshrrev_b32_e32 v10, 16, v1
	v_and_b32_e32 v1, 0xffff, v1
	;;#ASMSTART
	v_cvt_f32_f16 v50, v1;
	;;#ASMEND
	;;#ASMSTART
	v_cvt_f32_f16 v51, v10;
	;;#ASMEND
	global_load_dwordx2 v[20:21], v[16:17], off offset:512
	v_mov_b32_e32 v1, 0
	global_load_dword v18, v1, s[14:15]
	s_waitcnt vmcnt(1)
	v_cmp_ne_u16_sdwa s[0:1], v20, v11 src0_sel:BYTE_0 src1_sel:DWORD
	s_and_saveexec_b64 s[16:17], s[0:1]
	s_cbranch_execz .LBB258_491
; %bb.486:                              ;   in Loop: Header=BB258_434 Depth=1
	v_cmp_ne_u16_sdwa s[0:1], v20, s28 src0_sel:BYTE_0 src1_sel:DWORD
	v_mov_b32_e32 v19, 0x8000
	s_and_saveexec_b64 s[18:19], s[0:1]
	s_cbranch_execz .LBB258_490
; %bb.487:                              ;   in Loop: Header=BB258_434 Depth=1
	v_and_b32_e32 v10, 0x7f, v20
	v_cmp_ne_u32_e64 s[0:1], s29, v10
	v_mov_b32_e32 v19, 0x7c01
	s_and_saveexec_b64 s[20:21], s[0:1]
	s_cbranch_execz .LBB258_489
; %bb.488:                              ;   in Loop: Header=BB258_434 Depth=1
	v_and_b32_e32 v19, 7, v20
	v_ffbh_u32_e32 v22, v19
	v_min_u32_e32 v25, 32, v22
	v_subrev_u32_e32 v22, 28, v25
	v_lshlrev_b64 v[22:23], v22, v[20:21]
	v_lshrrev_b32_e32 v24, 3, v10
	v_sub_u32_e32 v23, 29, v25
	v_cmp_gt_u32_e64 s[0:1], 8, v10
	v_and_b32_e32 v22, 7, v22
	s_nop 0
	v_cndmask_b32_e64 v10, v24, v23, s[0:1]
	v_lshl_add_u32 v10, v10, 10, v37
	v_lshlrev_b32_e32 v23, 8, v20
	v_and_b32_e32 v10, 0xfc00, v10
	v_cndmask_b32_e64 v19, v19, v22, s[0:1]
	v_and_or_b32 v10, v23, s30, v10
	v_lshl_or_b32 v19, v19, 7, v10
.LBB258_489:                            ;   in Loop: Header=BB258_434 Depth=1
	s_or_b64 exec, exec, s[20:21]
.LBB258_490:                            ;   in Loop: Header=BB258_434 Depth=1
	s_or_b64 exec, exec, s[18:19]
.LBB258_491:                            ;   in Loop: Header=BB258_434 Depth=1
	s_or_b64 exec, exec, s[16:17]
	v_lshrrev_b16_e32 v10, 8, v20
	v_cmp_ne_u16_e64 s[0:1], 0, v10
	s_and_saveexec_b64 s[16:17], s[0:1]
	s_cbranch_execz .LBB258_497
; %bb.492:                              ;   in Loop: Header=BB258_434 Depth=1
	v_cmp_ne_u16_e64 s[0:1], s28, v10
	v_bfrev_b32_e32 v1, 1
	s_and_saveexec_b64 s[18:19], s[0:1]
	s_cbranch_execz .LBB258_496
; %bb.493:                              ;   in Loop: Header=BB258_434 Depth=1
	v_and_b32_e32 v22, 0x7f, v10
	v_cmp_ne_u32_e64 s[0:1], s29, v22
	v_mov_b32_e32 v1, 0x7c010000
	s_and_saveexec_b64 s[20:21], s[0:1]
	s_cbranch_execz .LBB258_495
; %bb.494:                              ;   in Loop: Header=BB258_434 Depth=1
	v_and_b32_e32 v1, 7, v10
	v_ffbh_u32_e32 v24, v1
	v_min_u32_e32 v26, 32, v24
	v_subrev_u32_e32 v24, 28, v26
	v_lshlrev_b64 v[24:25], v24, v[10:11]
	v_lshrrev_b32_e32 v23, 3, v22
	v_sub_u32_e32 v25, 29, v26
	v_cmp_gt_u32_e64 s[0:1], 8, v22
	v_lshlrev_b32_e32 v10, 8, v10
	s_nop 0
	v_cndmask_b32_e64 v22, v23, v25, s[0:1]
	v_lshl_add_u32 v22, v22, 10, v37
	v_and_b32_e32 v23, 7, v24
	v_and_or_b32 v10, v10, s30, v22
	v_cndmask_b32_e64 v1, v1, v23, s[0:1]
	v_lshlrev_b32_e32 v10, 16, v10
	v_lshl_or_b32 v1, v1, 23, v10
.LBB258_495:                            ;   in Loop: Header=BB258_434 Depth=1
	s_or_b64 exec, exec, s[20:21]
.LBB258_496:                            ;   in Loop: Header=BB258_434 Depth=1
	s_or_b64 exec, exec, s[18:19]
.LBB258_497:                            ;   in Loop: Header=BB258_434 Depth=1
	s_or_b64 exec, exec, s[16:17]
	v_lshrrev_b32_e32 v10, 16, v20
	v_cmp_ne_u16_sdwa s[0:1], v10, v11 src0_sel:BYTE_0 src1_sel:DWORD
	v_mov_b32_e32 v23, 0
	v_mov_b32_e32 v22, 0
	s_and_saveexec_b64 s[16:17], s[0:1]
	s_cbranch_execz .LBB258_503
; %bb.498:                              ;   in Loop: Header=BB258_434 Depth=1
	v_cmp_ne_u16_sdwa s[0:1], v10, s28 src0_sel:BYTE_0 src1_sel:DWORD
	v_mov_b32_e32 v22, 0x8000
	s_and_saveexec_b64 s[18:19], s[0:1]
	s_cbranch_execz .LBB258_502
; %bb.499:                              ;   in Loop: Header=BB258_434 Depth=1
	v_bfe_u32 v24, v20, 16, 7
	v_cmp_ne_u32_e64 s[0:1], s29, v24
	v_mov_b32_e32 v22, 0x7c01
	s_and_saveexec_b64 s[20:21], s[0:1]
	s_cbranch_execz .LBB258_501
; %bb.500:                              ;   in Loop: Header=BB258_434 Depth=1
	v_and_b32_e32 v22, 7, v10
	v_ffbh_u32_e32 v26, v22
	v_min_u32_e32 v52, 32, v26
	v_subrev_u32_e32 v26, 28, v52
	v_lshlrev_b64 v[26:27], v26, v[10:11]
	v_lshrrev_b32_e32 v25, 3, v24
	v_sub_u32_e32 v27, 29, v52
	v_cmp_gt_u32_e64 s[0:1], 8, v24
	v_lshlrev_b32_e32 v10, 8, v10
	s_nop 0
	v_cndmask_b32_e64 v24, v25, v27, s[0:1]
	v_lshl_add_u32 v24, v24, 10, v37
	v_and_b32_e32 v25, 7, v26
	v_and_b32_e32 v24, 0xfc00, v24
	v_cndmask_b32_e64 v22, v22, v25, s[0:1]
	v_and_or_b32 v10, v10, s30, v24
	v_lshl_or_b32 v22, v22, 7, v10
.LBB258_501:                            ;   in Loop: Header=BB258_434 Depth=1
	s_or_b64 exec, exec, s[20:21]
.LBB258_502:                            ;   in Loop: Header=BB258_434 Depth=1
	s_or_b64 exec, exec, s[18:19]
.LBB258_503:                            ;   in Loop: Header=BB258_434 Depth=1
	s_or_b64 exec, exec, s[16:17]
	v_cmp_lt_u32_e64 s[0:1], s7, v20
	s_and_saveexec_b64 s[16:17], s[0:1]
	s_cbranch_execz .LBB258_509
; %bb.504:                              ;   in Loop: Header=BB258_434 Depth=1
	v_lshrrev_b32_e32 v10, 24, v20
	v_cmp_ne_u32_e64 s[0:1], s28, v10
	v_bfrev_b32_e32 v23, 1
	s_and_saveexec_b64 s[18:19], s[0:1]
	s_cbranch_execz .LBB258_508
; %bb.505:                              ;   in Loop: Header=BB258_434 Depth=1
	v_and_b32_e32 v24, 0x7f, v10
	v_cmp_ne_u32_e64 s[0:1], s29, v24
	v_mov_b32_e32 v23, 0x7c010000
	s_and_saveexec_b64 s[20:21], s[0:1]
	s_cbranch_execz .LBB258_507
; %bb.506:                              ;   in Loop: Header=BB258_434 Depth=1
	v_and_b32_e32 v23, 7, v10
	v_ffbh_u32_e32 v26, v23
	v_min_u32_e32 v52, 32, v26
	v_subrev_u32_e32 v26, 28, v52
	v_lshlrev_b64 v[26:27], v26, v[10:11]
	v_lshrrev_b32_e32 v25, 3, v24
	v_sub_u32_e32 v27, 29, v52
	v_cmp_gt_u32_e64 s[0:1], 8, v24
	v_lshlrev_b32_e32 v10, 8, v10
	s_nop 0
	v_cndmask_b32_e64 v24, v25, v27, s[0:1]
	v_lshl_add_u32 v24, v24, 10, v37
	v_and_b32_e32 v25, 7, v26
	v_and_or_b32 v10, v10, s30, v24
	v_cndmask_b32_e64 v23, v23, v25, s[0:1]
	v_lshlrev_b32_e32 v10, 16, v10
	v_lshl_or_b32 v23, v23, 23, v10
.LBB258_507:                            ;   in Loop: Header=BB258_434 Depth=1
	s_or_b64 exec, exec, s[20:21]
.LBB258_508:                            ;   in Loop: Header=BB258_434 Depth=1
	s_or_b64 exec, exec, s[18:19]
.LBB258_509:                            ;   in Loop: Header=BB258_434 Depth=1
	s_or_b64 exec, exec, s[16:17]
	v_mov_b32_e32 v10, v21
	v_cmp_ne_u16_sdwa s[0:1], v21, v11 src0_sel:BYTE_0 src1_sel:DWORD
	v_mov_b32_e32 v24, 0
	v_mov_b32_e32 v25, 0
	s_and_saveexec_b64 s[16:17], s[0:1]
	s_cbranch_execz .LBB258_515
; %bb.510:                              ;   in Loop: Header=BB258_434 Depth=1
	v_cmp_ne_u16_sdwa s[0:1], v21, s28 src0_sel:BYTE_0 src1_sel:DWORD
	v_mov_b32_e32 v25, 0x8000
	s_and_saveexec_b64 s[18:19], s[0:1]
	s_cbranch_execz .LBB258_514
; %bb.511:                              ;   in Loop: Header=BB258_434 Depth=1
	v_and_b32_e32 v26, 0x7f, v21
	v_cmp_ne_u32_e64 s[0:1], s29, v26
	v_mov_b32_e32 v25, 0x7c01
	s_and_saveexec_b64 s[20:21], s[0:1]
	s_cbranch_execz .LBB258_513
; %bb.512:                              ;   in Loop: Header=BB258_434 Depth=1
	v_and_b32_e32 v25, 7, v21
	v_ffbh_u32_e32 v52, v25
	v_min_u32_e32 v54, 32, v52
	v_subrev_u32_e32 v52, 28, v54
	v_lshlrev_b64 v[52:53], v52, v[10:11]
	v_lshrrev_b32_e32 v27, 3, v26
	v_sub_u32_e32 v53, 29, v54
	v_cmp_gt_u32_e64 s[0:1], 8, v26
	v_and_b32_e32 v52, 7, v52
	s_nop 0
	v_cndmask_b32_e64 v26, v27, v53, s[0:1]
	v_lshl_add_u32 v26, v26, 10, v37
	v_lshlrev_b32_e32 v27, 8, v21
	v_and_b32_e32 v26, 0xfc00, v26
	v_cndmask_b32_e64 v25, v25, v52, s[0:1]
	v_and_or_b32 v26, v27, s30, v26
	v_lshl_or_b32 v25, v25, 7, v26
.LBB258_513:                            ;   in Loop: Header=BB258_434 Depth=1
	s_or_b64 exec, exec, s[20:21]
.LBB258_514:                            ;   in Loop: Header=BB258_434 Depth=1
	s_or_b64 exec, exec, s[18:19]
.LBB258_515:                            ;   in Loop: Header=BB258_434 Depth=1
	s_or_b64 exec, exec, s[16:17]
	v_lshrrev_b16_e32 v10, 8, v10
	v_cmp_ne_u16_e64 s[0:1], 0, v10
	v_mov_b32_e32 v26, 0
	s_and_saveexec_b64 s[16:17], s[0:1]
	s_cbranch_execz .LBB258_521
; %bb.516:                              ;   in Loop: Header=BB258_434 Depth=1
	v_cmp_ne_u16_e64 s[0:1], s28, v10
	v_bfrev_b32_e32 v26, 1
	s_and_saveexec_b64 s[18:19], s[0:1]
	s_cbranch_execz .LBB258_520
; %bb.517:                              ;   in Loop: Header=BB258_434 Depth=1
	v_and_b32_e32 v27, 0x7f, v10
	v_cmp_ne_u32_e64 s[0:1], s29, v27
	v_mov_b32_e32 v26, 0x7c010000
	s_and_saveexec_b64 s[20:21], s[0:1]
	s_cbranch_execz .LBB258_519
; %bb.518:                              ;   in Loop: Header=BB258_434 Depth=1
	v_and_b32_e32 v26, 7, v10
	v_ffbh_u32_e32 v52, v26
	v_min_u32_e32 v55, 32, v52
	v_subrev_u32_e32 v52, 28, v55
	v_lshlrev_b64 v[52:53], v52, v[10:11]
	v_lshrrev_b32_e32 v54, 3, v27
	v_sub_u32_e32 v53, 29, v55
	v_cmp_gt_u32_e64 s[0:1], 8, v27
	v_lshlrev_b32_e32 v10, 8, v10
	v_and_b32_e32 v52, 7, v52
	v_cndmask_b32_e64 v27, v54, v53, s[0:1]
	v_lshl_add_u32 v27, v27, 10, v37
	v_and_or_b32 v10, v10, s30, v27
	v_cndmask_b32_e64 v26, v26, v52, s[0:1]
	v_lshlrev_b32_e32 v10, 16, v10
	v_lshl_or_b32 v26, v26, 23, v10
.LBB258_519:                            ;   in Loop: Header=BB258_434 Depth=1
	s_or_b64 exec, exec, s[20:21]
.LBB258_520:                            ;   in Loop: Header=BB258_434 Depth=1
	s_or_b64 exec, exec, s[18:19]
.LBB258_521:                            ;   in Loop: Header=BB258_434 Depth=1
	s_or_b64 exec, exec, s[16:17]
	v_lshrrev_b32_e32 v10, 16, v21
	v_cmp_ne_u16_sdwa s[0:1], v10, v11 src0_sel:BYTE_0 src1_sel:DWORD
	s_and_saveexec_b64 s[16:17], s[0:1]
	s_cbranch_execz .LBB258_527
; %bb.522:                              ;   in Loop: Header=BB258_434 Depth=1
	v_cmp_ne_u16_sdwa s[0:1], v10, s28 src0_sel:BYTE_0 src1_sel:DWORD
	v_mov_b32_e32 v24, 0x8000
	s_and_saveexec_b64 s[18:19], s[0:1]
	s_cbranch_execz .LBB258_526
; %bb.523:                              ;   in Loop: Header=BB258_434 Depth=1
	v_bfe_u32 v27, v21, 16, 7
	v_cmp_ne_u32_e64 s[0:1], s29, v27
	v_mov_b32_e32 v24, 0x7c01
	s_and_saveexec_b64 s[20:21], s[0:1]
	s_cbranch_execz .LBB258_525
; %bb.524:                              ;   in Loop: Header=BB258_434 Depth=1
	v_and_b32_e32 v24, 7, v10
	v_ffbh_u32_e32 v52, v24
	v_min_u32_e32 v55, 32, v52
	v_subrev_u32_e32 v52, 28, v55
	v_lshlrev_b64 v[52:53], v52, v[10:11]
	v_lshrrev_b32_e32 v54, 3, v27
	v_sub_u32_e32 v53, 29, v55
	v_cmp_gt_u32_e64 s[0:1], 8, v27
	v_lshlrev_b32_e32 v10, 8, v10
	v_and_b32_e32 v52, 7, v52
	v_cndmask_b32_e64 v27, v54, v53, s[0:1]
	v_lshl_add_u32 v27, v27, 10, v37
	v_and_b32_e32 v27, 0xfc00, v27
	v_cndmask_b32_e64 v24, v24, v52, s[0:1]
	v_and_or_b32 v10, v10, s30, v27
	v_lshl_or_b32 v24, v24, 7, v10
.LBB258_525:                            ;   in Loop: Header=BB258_434 Depth=1
	s_or_b64 exec, exec, s[20:21]
.LBB258_526:                            ;   in Loop: Header=BB258_434 Depth=1
	s_or_b64 exec, exec, s[18:19]
.LBB258_527:                            ;   in Loop: Header=BB258_434 Depth=1
	s_or_b64 exec, exec, s[16:17]
	v_cmp_lt_u64_e64 s[0:1], s[6:7], v[20:21]
	v_mov_b32_e32 v20, 0
	s_and_saveexec_b64 s[16:17], s[0:1]
	s_cbranch_execz .LBB258_533
; %bb.528:                              ;   in Loop: Header=BB258_434 Depth=1
	v_lshrrev_b32_e32 v10, 24, v21
	v_cmp_ne_u32_e64 s[0:1], s28, v10
	v_bfrev_b32_e32 v20, 1
	s_and_saveexec_b64 s[18:19], s[0:1]
	s_cbranch_execz .LBB258_532
; %bb.529:                              ;   in Loop: Header=BB258_434 Depth=1
	v_and_b32_e32 v21, 0x7f, v10
	v_cmp_ne_u32_e64 s[0:1], s29, v21
	v_mov_b32_e32 v20, 0x7c010000
	s_and_saveexec_b64 s[20:21], s[0:1]
	s_cbranch_execz .LBB258_531
; %bb.530:                              ;   in Loop: Header=BB258_434 Depth=1
	v_and_b32_e32 v20, 7, v10
	v_ffbh_u32_e32 v52, v20
	v_min_u32_e32 v54, 32, v52
	v_subrev_u32_e32 v52, 28, v54
	v_lshlrev_b64 v[52:53], v52, v[10:11]
	v_lshrrev_b32_e32 v27, 3, v21
	v_sub_u32_e32 v53, 29, v54
	v_cmp_gt_u32_e64 s[0:1], 8, v21
	v_lshlrev_b32_e32 v10, 8, v10
	s_nop 0
	v_cndmask_b32_e64 v21, v27, v53, s[0:1]
	v_lshl_add_u32 v21, v21, 10, v37
	v_and_b32_e32 v27, 7, v52
	v_and_or_b32 v10, v10, s30, v21
	v_cndmask_b32_e64 v20, v20, v27, s[0:1]
	v_lshlrev_b32_e32 v10, 16, v10
	v_lshl_or_b32 v20, v20, 23, v10
.LBB258_531:                            ;   in Loop: Header=BB258_434 Depth=1
	s_or_b64 exec, exec, s[20:21]
.LBB258_532:                            ;   in Loop: Header=BB258_434 Depth=1
	s_or_b64 exec, exec, s[18:19]
.LBB258_533:                            ;   in Loop: Header=BB258_434 Depth=1
	s_or_b64 exec, exec, s[16:17]
	v_cvt_f32_f16_sdwa v53, v1 dst_sel:DWORD dst_unused:UNUSED_PAD src0_sel:WORD_1
	v_cvt_f32_f16_sdwa v52, v23 dst_sel:DWORD dst_unused:UNUSED_PAD src0_sel:WORD_1
	v_or_b32_e32 v1, v1, v19
	v_or_b32_e32 v10, v23, v22
	;; [unrolled: 1-line block ×3, first 2 shown]
	s_waitcnt vmcnt(0)
	v_pk_mul_f32 v[22:23], v[18:19], v[52:53] op_sel_hi:[0,1]
	v_cvt_f32_f16_e32 v52, v10
	v_cvt_f32_f16_e32 v53, v1
	v_cvt_pk_f16_f32 v1, v22, v23
	v_and_b32_e32 v19, 0xffff0000, v1
	v_lshlrev_b32_e32 v10, 16, v1
	v_pk_mul_f32 v[22:23], v[18:19], v[52:53] op_sel_hi:[0,1]
	v_cvt_pk_f16_f32 v1, v22, v23
	v_or_b32_e32 v23, v26, v25
	v_cvt_f32_f16_e32 v24, v24
	v_cvt_f32_f16_e32 v25, v23
	v_cvt_f32_f16_sdwa v27, v26 dst_sel:DWORD dst_unused:UNUSED_PAD src0_sel:WORD_1
	v_cvt_f32_f16_sdwa v26, v20 dst_sel:DWORD dst_unused:UNUSED_PAD src0_sel:WORD_1
	v_lshrrev_b32_e32 v21, 16, v1
	v_pk_mul_f32 v[24:25], v[18:19], v[24:25] op_sel_hi:[0,1]
	v_cvt_pk_f16_f32 v52, v24, v25
	v_pk_mul_f32 v[24:25], v[18:19], v[26:27] op_sel_hi:[0,1]
	v_cvt_pk_f16_f32 v18, v24, v25
	v_and_b32_e32 v22, 0xffff, v1
	v_and_b32_e32 v23, 0xffff0000, v18
	v_lshlrev_b32_e32 v18, 16, v18
	v_lshrrev_b32_e32 v25, 16, v52
	v_and_b32_e32 v24, 0xffff, v52
	v_or_b32_e32 v1, v19, v21
	v_or_b32_e32 v20, v10, v22
	;; [unrolled: 1-line block ×4, first 2 shown]
	s_and_saveexec_b64 s[16:17], vcc
	s_cbranch_execz .LBB258_535
; %bb.534:                              ;   in Loop: Header=BB258_434 Depth=1
	v_cmp_gt_i32_e64 s[0:1], s38, v38
	s_nop 1
	v_cndmask_b32_e64 v1, 0, v21, s[0:1]
	v_cmp_gt_i32_e64 s[0:1], s33, v46
	s_nop 1
	v_cndmask_b32_e64 v20, 0, v22, s[0:1]
	;; [unrolled: 3-line block ×3, first 2 shown]
	v_cmp_gt_i32_e64 s[0:1], s33, v43
	v_or_b32_e32 v1, v19, v1
	s_nop 0
	v_cndmask_b32_e64 v10, 0, v10, s[0:1]
	v_cmp_gt_i32_e64 s[0:1], s38, v42
	v_or_b32_e32 v20, v10, v20
	s_nop 0
	v_cndmask_b32_e64 v10, 0, v25, s[0:1]
	v_cmp_gt_i32_e64 s[0:1], s33, v41
	s_nop 1
	v_cndmask_b32_e64 v19, 0, v24, s[0:1]
	v_cmp_gt_i32_e64 s[0:1], s38, v40
	;; [unrolled: 3-line block ×3, first 2 shown]
	v_or_b32_e32 v27, v21, v10
	s_nop 0
	v_cndmask_b32_e64 v18, 0, v18, s[0:1]
	v_or_b32_e32 v26, v18, v19
.LBB258_535:                            ;   in Loop: Header=BB258_434 Depth=1
	s_or_b64 exec, exec, s[16:17]
	;;#ASMSTART
	v_pk_mul_f16 v1, v49, v1;

	;;#ASMEND
	;;#ASMSTART
	v_pk_mul_f16 v10, v48, v20;

	;;#ASMEND
	;; [unrolled: 4-line block ×4, first 2 shown]
	s_nop 0
	;;#ASMSTART
	v_pk_add_f16 v1, v1, v10;

	;;#ASMEND
	s_nop 0
	;;#ASMSTART
	v_pk_add_f16 v1, v1, v18;

	;;#ASMEND
	;; [unrolled: 5-line block ×3, first 2 shown]
	v_mov_b32_e32 v19, 0
	v_lshrrev_b32_e32 v10, 16, v1
	v_and_b32_e32 v1, 0xffff, v1
	;;#ASMSTART
	v_cvt_f32_f16 v52, v1;
	;;#ASMEND
	;;#ASMSTART
	v_cvt_f32_f16 v53, v10;
	;;#ASMEND
	global_load_dwordx2 v[20:21], v[16:17], off offset:1024
	v_mov_b32_e32 v1, 0
	global_load_dword v18, v1, s[14:15]
	s_waitcnt vmcnt(1)
	v_cmp_ne_u16_sdwa s[0:1], v20, v11 src0_sel:BYTE_0 src1_sel:DWORD
	s_and_saveexec_b64 s[16:17], s[0:1]
	s_cbranch_execz .LBB258_541
; %bb.536:                              ;   in Loop: Header=BB258_434 Depth=1
	v_cmp_ne_u16_sdwa s[0:1], v20, s28 src0_sel:BYTE_0 src1_sel:DWORD
	v_mov_b32_e32 v19, 0x8000
	s_and_saveexec_b64 s[18:19], s[0:1]
	s_cbranch_execz .LBB258_540
; %bb.537:                              ;   in Loop: Header=BB258_434 Depth=1
	v_and_b32_e32 v10, 0x7f, v20
	v_cmp_ne_u32_e64 s[0:1], s29, v10
	v_mov_b32_e32 v19, 0x7c01
	s_and_saveexec_b64 s[20:21], s[0:1]
	s_cbranch_execz .LBB258_539
; %bb.538:                              ;   in Loop: Header=BB258_434 Depth=1
	v_and_b32_e32 v19, 7, v20
	v_ffbh_u32_e32 v22, v19
	v_min_u32_e32 v25, 32, v22
	v_subrev_u32_e32 v22, 28, v25
	v_lshlrev_b64 v[22:23], v22, v[20:21]
	v_lshrrev_b32_e32 v24, 3, v10
	v_sub_u32_e32 v23, 29, v25
	v_cmp_gt_u32_e64 s[0:1], 8, v10
	v_and_b32_e32 v22, 7, v22
	s_nop 0
	v_cndmask_b32_e64 v10, v24, v23, s[0:1]
	v_lshl_add_u32 v10, v10, 10, v37
	v_lshlrev_b32_e32 v23, 8, v20
	v_and_b32_e32 v10, 0xfc00, v10
	v_cndmask_b32_e64 v19, v19, v22, s[0:1]
	v_and_or_b32 v10, v23, s30, v10
	v_lshl_or_b32 v19, v19, 7, v10
.LBB258_539:                            ;   in Loop: Header=BB258_434 Depth=1
	s_or_b64 exec, exec, s[20:21]
.LBB258_540:                            ;   in Loop: Header=BB258_434 Depth=1
	s_or_b64 exec, exec, s[18:19]
.LBB258_541:                            ;   in Loop: Header=BB258_434 Depth=1
	s_or_b64 exec, exec, s[16:17]
	v_lshrrev_b16_e32 v10, 8, v20
	v_cmp_ne_u16_e64 s[0:1], 0, v10
	s_and_saveexec_b64 s[16:17], s[0:1]
	s_cbranch_execz .LBB258_547
; %bb.542:                              ;   in Loop: Header=BB258_434 Depth=1
	v_cmp_ne_u16_e64 s[0:1], s28, v10
	v_bfrev_b32_e32 v1, 1
	s_and_saveexec_b64 s[18:19], s[0:1]
	s_cbranch_execz .LBB258_546
; %bb.543:                              ;   in Loop: Header=BB258_434 Depth=1
	v_and_b32_e32 v22, 0x7f, v10
	v_cmp_ne_u32_e64 s[0:1], s29, v22
	v_mov_b32_e32 v1, 0x7c010000
	s_and_saveexec_b64 s[20:21], s[0:1]
	s_cbranch_execz .LBB258_545
; %bb.544:                              ;   in Loop: Header=BB258_434 Depth=1
	v_and_b32_e32 v1, 7, v10
	v_ffbh_u32_e32 v24, v1
	v_min_u32_e32 v26, 32, v24
	v_subrev_u32_e32 v24, 28, v26
	v_lshlrev_b64 v[24:25], v24, v[10:11]
	v_lshrrev_b32_e32 v23, 3, v22
	v_sub_u32_e32 v25, 29, v26
	v_cmp_gt_u32_e64 s[0:1], 8, v22
	v_lshlrev_b32_e32 v10, 8, v10
	s_nop 0
	v_cndmask_b32_e64 v22, v23, v25, s[0:1]
	v_lshl_add_u32 v22, v22, 10, v37
	v_and_b32_e32 v23, 7, v24
	v_and_or_b32 v10, v10, s30, v22
	v_cndmask_b32_e64 v1, v1, v23, s[0:1]
	v_lshlrev_b32_e32 v10, 16, v10
	v_lshl_or_b32 v1, v1, 23, v10
.LBB258_545:                            ;   in Loop: Header=BB258_434 Depth=1
	s_or_b64 exec, exec, s[20:21]
.LBB258_546:                            ;   in Loop: Header=BB258_434 Depth=1
	s_or_b64 exec, exec, s[18:19]
.LBB258_547:                            ;   in Loop: Header=BB258_434 Depth=1
	s_or_b64 exec, exec, s[16:17]
	v_lshrrev_b32_e32 v10, 16, v20
	v_cmp_ne_u16_sdwa s[0:1], v10, v11 src0_sel:BYTE_0 src1_sel:DWORD
	v_mov_b32_e32 v23, 0
	v_mov_b32_e32 v22, 0
	s_and_saveexec_b64 s[16:17], s[0:1]
	s_cbranch_execz .LBB258_553
; %bb.548:                              ;   in Loop: Header=BB258_434 Depth=1
	v_cmp_ne_u16_sdwa s[0:1], v10, s28 src0_sel:BYTE_0 src1_sel:DWORD
	v_mov_b32_e32 v22, 0x8000
	s_and_saveexec_b64 s[18:19], s[0:1]
	s_cbranch_execz .LBB258_552
; %bb.549:                              ;   in Loop: Header=BB258_434 Depth=1
	v_bfe_u32 v24, v20, 16, 7
	v_cmp_ne_u32_e64 s[0:1], s29, v24
	v_mov_b32_e32 v22, 0x7c01
	s_and_saveexec_b64 s[20:21], s[0:1]
	s_cbranch_execz .LBB258_551
; %bb.550:                              ;   in Loop: Header=BB258_434 Depth=1
	v_and_b32_e32 v22, 7, v10
	v_ffbh_u32_e32 v26, v22
	v_min_u32_e32 v54, 32, v26
	v_subrev_u32_e32 v26, 28, v54
	v_lshlrev_b64 v[26:27], v26, v[10:11]
	v_lshrrev_b32_e32 v25, 3, v24
	v_sub_u32_e32 v27, 29, v54
	v_cmp_gt_u32_e64 s[0:1], 8, v24
	v_lshlrev_b32_e32 v10, 8, v10
	s_nop 0
	v_cndmask_b32_e64 v24, v25, v27, s[0:1]
	v_lshl_add_u32 v24, v24, 10, v37
	v_and_b32_e32 v25, 7, v26
	v_and_b32_e32 v24, 0xfc00, v24
	v_cndmask_b32_e64 v22, v22, v25, s[0:1]
	v_and_or_b32 v10, v10, s30, v24
	v_lshl_or_b32 v22, v22, 7, v10
.LBB258_551:                            ;   in Loop: Header=BB258_434 Depth=1
	s_or_b64 exec, exec, s[20:21]
.LBB258_552:                            ;   in Loop: Header=BB258_434 Depth=1
	s_or_b64 exec, exec, s[18:19]
.LBB258_553:                            ;   in Loop: Header=BB258_434 Depth=1
	s_or_b64 exec, exec, s[16:17]
	v_cmp_lt_u32_e64 s[0:1], s7, v20
	s_and_saveexec_b64 s[16:17], s[0:1]
	s_cbranch_execz .LBB258_559
; %bb.554:                              ;   in Loop: Header=BB258_434 Depth=1
	v_lshrrev_b32_e32 v10, 24, v20
	v_cmp_ne_u32_e64 s[0:1], s28, v10
	v_bfrev_b32_e32 v23, 1
	s_and_saveexec_b64 s[18:19], s[0:1]
	s_cbranch_execz .LBB258_558
; %bb.555:                              ;   in Loop: Header=BB258_434 Depth=1
	v_and_b32_e32 v24, 0x7f, v10
	v_cmp_ne_u32_e64 s[0:1], s29, v24
	v_mov_b32_e32 v23, 0x7c010000
	s_and_saveexec_b64 s[20:21], s[0:1]
	s_cbranch_execz .LBB258_557
; %bb.556:                              ;   in Loop: Header=BB258_434 Depth=1
	v_and_b32_e32 v23, 7, v10
	v_ffbh_u32_e32 v26, v23
	v_min_u32_e32 v54, 32, v26
	v_subrev_u32_e32 v26, 28, v54
	v_lshlrev_b64 v[26:27], v26, v[10:11]
	v_lshrrev_b32_e32 v25, 3, v24
	v_sub_u32_e32 v27, 29, v54
	v_cmp_gt_u32_e64 s[0:1], 8, v24
	v_lshlrev_b32_e32 v10, 8, v10
	s_nop 0
	v_cndmask_b32_e64 v24, v25, v27, s[0:1]
	v_lshl_add_u32 v24, v24, 10, v37
	v_and_b32_e32 v25, 7, v26
	v_and_or_b32 v10, v10, s30, v24
	v_cndmask_b32_e64 v23, v23, v25, s[0:1]
	v_lshlrev_b32_e32 v10, 16, v10
	v_lshl_or_b32 v23, v23, 23, v10
.LBB258_557:                            ;   in Loop: Header=BB258_434 Depth=1
	s_or_b64 exec, exec, s[20:21]
.LBB258_558:                            ;   in Loop: Header=BB258_434 Depth=1
	s_or_b64 exec, exec, s[18:19]
.LBB258_559:                            ;   in Loop: Header=BB258_434 Depth=1
	s_or_b64 exec, exec, s[16:17]
	v_mov_b32_e32 v10, v21
	v_cmp_ne_u16_sdwa s[0:1], v21, v11 src0_sel:BYTE_0 src1_sel:DWORD
	v_mov_b32_e32 v24, 0
	v_mov_b32_e32 v25, 0
	s_and_saveexec_b64 s[16:17], s[0:1]
	s_cbranch_execz .LBB258_565
; %bb.560:                              ;   in Loop: Header=BB258_434 Depth=1
	v_cmp_ne_u16_sdwa s[0:1], v21, s28 src0_sel:BYTE_0 src1_sel:DWORD
	v_mov_b32_e32 v25, 0x8000
	s_and_saveexec_b64 s[18:19], s[0:1]
	s_cbranch_execz .LBB258_564
; %bb.561:                              ;   in Loop: Header=BB258_434 Depth=1
	v_and_b32_e32 v26, 0x7f, v21
	v_cmp_ne_u32_e64 s[0:1], s29, v26
	v_mov_b32_e32 v25, 0x7c01
	s_and_saveexec_b64 s[20:21], s[0:1]
	s_cbranch_execz .LBB258_563
; %bb.562:                              ;   in Loop: Header=BB258_434 Depth=1
	v_and_b32_e32 v25, 7, v21
	v_ffbh_u32_e32 v54, v25
	v_min_u32_e32 v56, 32, v54
	v_subrev_u32_e32 v54, 28, v56
	v_lshlrev_b64 v[54:55], v54, v[10:11]
	v_lshrrev_b32_e32 v27, 3, v26
	v_sub_u32_e32 v55, 29, v56
	v_cmp_gt_u32_e64 s[0:1], 8, v26
	v_and_b32_e32 v54, 7, v54
	s_nop 0
	v_cndmask_b32_e64 v26, v27, v55, s[0:1]
	v_lshl_add_u32 v26, v26, 10, v37
	v_lshlrev_b32_e32 v27, 8, v21
	v_and_b32_e32 v26, 0xfc00, v26
	v_cndmask_b32_e64 v25, v25, v54, s[0:1]
	v_and_or_b32 v26, v27, s30, v26
	v_lshl_or_b32 v25, v25, 7, v26
.LBB258_563:                            ;   in Loop: Header=BB258_434 Depth=1
	s_or_b64 exec, exec, s[20:21]
.LBB258_564:                            ;   in Loop: Header=BB258_434 Depth=1
	s_or_b64 exec, exec, s[18:19]
.LBB258_565:                            ;   in Loop: Header=BB258_434 Depth=1
	s_or_b64 exec, exec, s[16:17]
	v_lshrrev_b16_e32 v10, 8, v10
	v_cmp_ne_u16_e64 s[0:1], 0, v10
	v_mov_b32_e32 v26, 0
	s_and_saveexec_b64 s[16:17], s[0:1]
	s_cbranch_execz .LBB258_571
; %bb.566:                              ;   in Loop: Header=BB258_434 Depth=1
	v_cmp_ne_u16_e64 s[0:1], s28, v10
	v_bfrev_b32_e32 v26, 1
	s_and_saveexec_b64 s[18:19], s[0:1]
	s_cbranch_execz .LBB258_570
; %bb.567:                              ;   in Loop: Header=BB258_434 Depth=1
	v_and_b32_e32 v27, 0x7f, v10
	v_cmp_ne_u32_e64 s[0:1], s29, v27
	v_mov_b32_e32 v26, 0x7c010000
	s_and_saveexec_b64 s[20:21], s[0:1]
	s_cbranch_execz .LBB258_569
; %bb.568:                              ;   in Loop: Header=BB258_434 Depth=1
	v_and_b32_e32 v26, 7, v10
	v_ffbh_u32_e32 v54, v26
	v_min_u32_e32 v57, 32, v54
	v_subrev_u32_e32 v54, 28, v57
	v_lshlrev_b64 v[54:55], v54, v[10:11]
	v_lshrrev_b32_e32 v56, 3, v27
	v_sub_u32_e32 v55, 29, v57
	v_cmp_gt_u32_e64 s[0:1], 8, v27
	v_lshlrev_b32_e32 v10, 8, v10
	v_and_b32_e32 v54, 7, v54
	v_cndmask_b32_e64 v27, v56, v55, s[0:1]
	v_lshl_add_u32 v27, v27, 10, v37
	v_and_or_b32 v10, v10, s30, v27
	v_cndmask_b32_e64 v26, v26, v54, s[0:1]
	v_lshlrev_b32_e32 v10, 16, v10
	v_lshl_or_b32 v26, v26, 23, v10
.LBB258_569:                            ;   in Loop: Header=BB258_434 Depth=1
	s_or_b64 exec, exec, s[20:21]
.LBB258_570:                            ;   in Loop: Header=BB258_434 Depth=1
	s_or_b64 exec, exec, s[18:19]
.LBB258_571:                            ;   in Loop: Header=BB258_434 Depth=1
	s_or_b64 exec, exec, s[16:17]
	v_lshrrev_b32_e32 v10, 16, v21
	v_cmp_ne_u16_sdwa s[0:1], v10, v11 src0_sel:BYTE_0 src1_sel:DWORD
	s_and_saveexec_b64 s[16:17], s[0:1]
	s_cbranch_execz .LBB258_577
; %bb.572:                              ;   in Loop: Header=BB258_434 Depth=1
	v_cmp_ne_u16_sdwa s[0:1], v10, s28 src0_sel:BYTE_0 src1_sel:DWORD
	v_mov_b32_e32 v24, 0x8000
	s_and_saveexec_b64 s[18:19], s[0:1]
	s_cbranch_execz .LBB258_576
; %bb.573:                              ;   in Loop: Header=BB258_434 Depth=1
	v_bfe_u32 v27, v21, 16, 7
	v_cmp_ne_u32_e64 s[0:1], s29, v27
	v_mov_b32_e32 v24, 0x7c01
	s_and_saveexec_b64 s[20:21], s[0:1]
	s_cbranch_execz .LBB258_575
; %bb.574:                              ;   in Loop: Header=BB258_434 Depth=1
	v_and_b32_e32 v24, 7, v10
	v_ffbh_u32_e32 v54, v24
	v_min_u32_e32 v57, 32, v54
	v_subrev_u32_e32 v54, 28, v57
	v_lshlrev_b64 v[54:55], v54, v[10:11]
	v_lshrrev_b32_e32 v56, 3, v27
	v_sub_u32_e32 v55, 29, v57
	v_cmp_gt_u32_e64 s[0:1], 8, v27
	v_lshlrev_b32_e32 v10, 8, v10
	v_and_b32_e32 v54, 7, v54
	v_cndmask_b32_e64 v27, v56, v55, s[0:1]
	v_lshl_add_u32 v27, v27, 10, v37
	v_and_b32_e32 v27, 0xfc00, v27
	v_cndmask_b32_e64 v24, v24, v54, s[0:1]
	v_and_or_b32 v10, v10, s30, v27
	v_lshl_or_b32 v24, v24, 7, v10
.LBB258_575:                            ;   in Loop: Header=BB258_434 Depth=1
	s_or_b64 exec, exec, s[20:21]
.LBB258_576:                            ;   in Loop: Header=BB258_434 Depth=1
	s_or_b64 exec, exec, s[18:19]
.LBB258_577:                            ;   in Loop: Header=BB258_434 Depth=1
	s_or_b64 exec, exec, s[16:17]
	v_cmp_lt_u64_e64 s[0:1], s[6:7], v[20:21]
	v_mov_b32_e32 v20, 0
	s_and_saveexec_b64 s[16:17], s[0:1]
	s_cbranch_execz .LBB258_583
; %bb.578:                              ;   in Loop: Header=BB258_434 Depth=1
	v_lshrrev_b32_e32 v10, 24, v21
	v_cmp_ne_u32_e64 s[0:1], s28, v10
	v_bfrev_b32_e32 v20, 1
	s_and_saveexec_b64 s[18:19], s[0:1]
	s_cbranch_execz .LBB258_582
; %bb.579:                              ;   in Loop: Header=BB258_434 Depth=1
	v_and_b32_e32 v21, 0x7f, v10
	v_cmp_ne_u32_e64 s[0:1], s29, v21
	v_mov_b32_e32 v20, 0x7c010000
	s_and_saveexec_b64 s[20:21], s[0:1]
	s_cbranch_execz .LBB258_581
; %bb.580:                              ;   in Loop: Header=BB258_434 Depth=1
	v_and_b32_e32 v20, 7, v10
	v_ffbh_u32_e32 v54, v20
	v_min_u32_e32 v56, 32, v54
	v_subrev_u32_e32 v54, 28, v56
	v_lshlrev_b64 v[54:55], v54, v[10:11]
	v_lshrrev_b32_e32 v27, 3, v21
	v_sub_u32_e32 v55, 29, v56
	v_cmp_gt_u32_e64 s[0:1], 8, v21
	v_lshlrev_b32_e32 v10, 8, v10
	s_nop 0
	v_cndmask_b32_e64 v21, v27, v55, s[0:1]
	v_lshl_add_u32 v21, v21, 10, v37
	v_and_b32_e32 v27, 7, v54
	v_and_or_b32 v10, v10, s30, v21
	v_cndmask_b32_e64 v20, v20, v27, s[0:1]
	v_lshlrev_b32_e32 v10, 16, v10
	v_lshl_or_b32 v20, v20, 23, v10
.LBB258_581:                            ;   in Loop: Header=BB258_434 Depth=1
	s_or_b64 exec, exec, s[20:21]
.LBB258_582:                            ;   in Loop: Header=BB258_434 Depth=1
	s_or_b64 exec, exec, s[18:19]
.LBB258_583:                            ;   in Loop: Header=BB258_434 Depth=1
	s_or_b64 exec, exec, s[16:17]
	v_cvt_f32_f16_sdwa v55, v1 dst_sel:DWORD dst_unused:UNUSED_PAD src0_sel:WORD_1
	v_cvt_f32_f16_sdwa v54, v23 dst_sel:DWORD dst_unused:UNUSED_PAD src0_sel:WORD_1
	v_or_b32_e32 v1, v1, v19
	v_or_b32_e32 v10, v23, v22
	;; [unrolled: 1-line block ×3, first 2 shown]
	s_waitcnt vmcnt(0)
	v_pk_mul_f32 v[22:23], v[18:19], v[54:55] op_sel_hi:[0,1]
	v_cvt_f32_f16_e32 v54, v10
	v_cvt_f32_f16_e32 v55, v1
	v_cvt_pk_f16_f32 v1, v22, v23
	v_and_b32_e32 v19, 0xffff0000, v1
	v_lshlrev_b32_e32 v10, 16, v1
	v_pk_mul_f32 v[22:23], v[18:19], v[54:55] op_sel_hi:[0,1]
	v_cvt_pk_f16_f32 v1, v22, v23
	v_or_b32_e32 v23, v26, v25
	v_cvt_f32_f16_e32 v24, v24
	v_cvt_f32_f16_e32 v25, v23
	v_cvt_f32_f16_sdwa v27, v26 dst_sel:DWORD dst_unused:UNUSED_PAD src0_sel:WORD_1
	v_cvt_f32_f16_sdwa v26, v20 dst_sel:DWORD dst_unused:UNUSED_PAD src0_sel:WORD_1
	v_lshrrev_b32_e32 v21, 16, v1
	v_pk_mul_f32 v[24:25], v[18:19], v[24:25] op_sel_hi:[0,1]
	v_cvt_pk_f16_f32 v54, v24, v25
	v_pk_mul_f32 v[24:25], v[18:19], v[26:27] op_sel_hi:[0,1]
	v_cvt_pk_f16_f32 v18, v24, v25
	v_and_b32_e32 v22, 0xffff, v1
	v_and_b32_e32 v23, 0xffff0000, v18
	v_lshlrev_b32_e32 v18, 16, v18
	v_lshrrev_b32_e32 v25, 16, v54
	v_and_b32_e32 v24, 0xffff, v54
	v_or_b32_e32 v1, v19, v21
	v_or_b32_e32 v20, v10, v22
	;; [unrolled: 1-line block ×4, first 2 shown]
	s_and_saveexec_b64 s[16:17], vcc
	s_cbranch_execz .LBB258_585
; %bb.584:                              ;   in Loop: Header=BB258_434 Depth=1
	v_cmp_gt_i32_e64 s[0:1], s38, v38
	s_nop 1
	v_cndmask_b32_e64 v1, 0, v21, s[0:1]
	v_cmp_gt_i32_e64 s[0:1], s33, v46
	s_nop 1
	v_cndmask_b32_e64 v20, 0, v22, s[0:1]
	;; [unrolled: 3-line block ×3, first 2 shown]
	v_cmp_gt_i32_e64 s[0:1], s33, v43
	v_or_b32_e32 v1, v19, v1
	s_nop 0
	v_cndmask_b32_e64 v10, 0, v10, s[0:1]
	v_cmp_gt_i32_e64 s[0:1], s38, v42
	v_or_b32_e32 v20, v10, v20
	s_nop 0
	v_cndmask_b32_e64 v10, 0, v25, s[0:1]
	v_cmp_gt_i32_e64 s[0:1], s33, v41
	s_nop 1
	v_cndmask_b32_e64 v19, 0, v24, s[0:1]
	v_cmp_gt_i32_e64 s[0:1], s38, v40
	;; [unrolled: 3-line block ×3, first 2 shown]
	v_or_b32_e32 v27, v21, v10
	s_nop 0
	v_cndmask_b32_e64 v18, 0, v18, s[0:1]
	v_or_b32_e32 v26, v18, v19
.LBB258_585:                            ;   in Loop: Header=BB258_434 Depth=1
	s_or_b64 exec, exec, s[16:17]
	;;#ASMSTART
	v_pk_mul_f16 v1, v49, v1;

	;;#ASMEND
	;;#ASMSTART
	v_pk_mul_f16 v10, v48, v20;

	;;#ASMEND
	;; [unrolled: 4-line block ×4, first 2 shown]
	s_nop 0
	;;#ASMSTART
	v_pk_add_f16 v1, v1, v10;

	;;#ASMEND
	s_nop 0
	;;#ASMSTART
	v_pk_add_f16 v1, v1, v18;

	;;#ASMEND
	;; [unrolled: 5-line block ×3, first 2 shown]
	v_mov_b32_e32 v19, 0
	v_lshrrev_b32_e32 v10, 16, v1
	v_and_b32_e32 v1, 0xffff, v1
	;;#ASMSTART
	v_cvt_f32_f16 v54, v1;
	;;#ASMEND
	;;#ASMSTART
	v_cvt_f32_f16 v55, v10;
	;;#ASMEND
	global_load_dwordx2 v[20:21], v[16:17], off offset:1536
	v_mov_b32_e32 v1, 0
	global_load_dword v18, v1, s[14:15]
	s_waitcnt vmcnt(1)
	v_cmp_ne_u16_sdwa s[0:1], v20, v11 src0_sel:BYTE_0 src1_sel:DWORD
	s_and_saveexec_b64 s[16:17], s[0:1]
	s_cbranch_execz .LBB258_591
; %bb.586:                              ;   in Loop: Header=BB258_434 Depth=1
	v_cmp_ne_u16_sdwa s[0:1], v20, s28 src0_sel:BYTE_0 src1_sel:DWORD
	v_mov_b32_e32 v19, 0x8000
	s_and_saveexec_b64 s[18:19], s[0:1]
	s_cbranch_execz .LBB258_590
; %bb.587:                              ;   in Loop: Header=BB258_434 Depth=1
	v_and_b32_e32 v10, 0x7f, v20
	v_cmp_ne_u32_e64 s[0:1], s29, v10
	v_mov_b32_e32 v19, 0x7c01
	s_and_saveexec_b64 s[20:21], s[0:1]
	s_cbranch_execz .LBB258_589
; %bb.588:                              ;   in Loop: Header=BB258_434 Depth=1
	v_and_b32_e32 v19, 7, v20
	v_ffbh_u32_e32 v22, v19
	v_min_u32_e32 v25, 32, v22
	v_subrev_u32_e32 v22, 28, v25
	v_lshlrev_b64 v[22:23], v22, v[20:21]
	v_lshrrev_b32_e32 v24, 3, v10
	v_sub_u32_e32 v23, 29, v25
	v_cmp_gt_u32_e64 s[0:1], 8, v10
	v_and_b32_e32 v22, 7, v22
	s_nop 0
	v_cndmask_b32_e64 v10, v24, v23, s[0:1]
	v_lshl_add_u32 v10, v10, 10, v37
	v_lshlrev_b32_e32 v23, 8, v20
	v_and_b32_e32 v10, 0xfc00, v10
	v_cndmask_b32_e64 v19, v19, v22, s[0:1]
	v_and_or_b32 v10, v23, s30, v10
	v_lshl_or_b32 v19, v19, 7, v10
.LBB258_589:                            ;   in Loop: Header=BB258_434 Depth=1
	s_or_b64 exec, exec, s[20:21]
.LBB258_590:                            ;   in Loop: Header=BB258_434 Depth=1
	s_or_b64 exec, exec, s[18:19]
.LBB258_591:                            ;   in Loop: Header=BB258_434 Depth=1
	s_or_b64 exec, exec, s[16:17]
	v_lshrrev_b16_e32 v10, 8, v20
	v_cmp_ne_u16_e64 s[0:1], 0, v10
	s_and_saveexec_b64 s[16:17], s[0:1]
	s_cbranch_execz .LBB258_597
; %bb.592:                              ;   in Loop: Header=BB258_434 Depth=1
	v_cmp_ne_u16_e64 s[0:1], s28, v10
	v_bfrev_b32_e32 v1, 1
	s_and_saveexec_b64 s[18:19], s[0:1]
	s_cbranch_execz .LBB258_596
; %bb.593:                              ;   in Loop: Header=BB258_434 Depth=1
	v_and_b32_e32 v22, 0x7f, v10
	v_cmp_ne_u32_e64 s[0:1], s29, v22
	v_mov_b32_e32 v1, 0x7c010000
	s_and_saveexec_b64 s[20:21], s[0:1]
	s_cbranch_execz .LBB258_595
; %bb.594:                              ;   in Loop: Header=BB258_434 Depth=1
	v_and_b32_e32 v1, 7, v10
	v_ffbh_u32_e32 v24, v1
	v_min_u32_e32 v26, 32, v24
	v_subrev_u32_e32 v24, 28, v26
	v_lshlrev_b64 v[24:25], v24, v[10:11]
	v_lshrrev_b32_e32 v23, 3, v22
	v_sub_u32_e32 v25, 29, v26
	v_cmp_gt_u32_e64 s[0:1], 8, v22
	v_lshlrev_b32_e32 v10, 8, v10
	s_nop 0
	v_cndmask_b32_e64 v22, v23, v25, s[0:1]
	v_lshl_add_u32 v22, v22, 10, v37
	v_and_b32_e32 v23, 7, v24
	v_and_or_b32 v10, v10, s30, v22
	v_cndmask_b32_e64 v1, v1, v23, s[0:1]
	v_lshlrev_b32_e32 v10, 16, v10
	v_lshl_or_b32 v1, v1, 23, v10
.LBB258_595:                            ;   in Loop: Header=BB258_434 Depth=1
	s_or_b64 exec, exec, s[20:21]
.LBB258_596:                            ;   in Loop: Header=BB258_434 Depth=1
	s_or_b64 exec, exec, s[18:19]
.LBB258_597:                            ;   in Loop: Header=BB258_434 Depth=1
	s_or_b64 exec, exec, s[16:17]
	v_lshrrev_b32_e32 v10, 16, v20
	v_cmp_ne_u16_sdwa s[0:1], v10, v11 src0_sel:BYTE_0 src1_sel:DWORD
	v_mov_b32_e32 v23, 0
	v_mov_b32_e32 v22, 0
	s_and_saveexec_b64 s[16:17], s[0:1]
	s_cbranch_execz .LBB258_603
; %bb.598:                              ;   in Loop: Header=BB258_434 Depth=1
	v_cmp_ne_u16_sdwa s[0:1], v10, s28 src0_sel:BYTE_0 src1_sel:DWORD
	v_mov_b32_e32 v22, 0x8000
	s_and_saveexec_b64 s[18:19], s[0:1]
	s_cbranch_execz .LBB258_602
; %bb.599:                              ;   in Loop: Header=BB258_434 Depth=1
	v_bfe_u32 v24, v20, 16, 7
	v_cmp_ne_u32_e64 s[0:1], s29, v24
	v_mov_b32_e32 v22, 0x7c01
	s_and_saveexec_b64 s[20:21], s[0:1]
	s_cbranch_execz .LBB258_601
; %bb.600:                              ;   in Loop: Header=BB258_434 Depth=1
	v_and_b32_e32 v22, 7, v10
	v_ffbh_u32_e32 v26, v22
	v_min_u32_e32 v56, 32, v26
	v_subrev_u32_e32 v26, 28, v56
	v_lshlrev_b64 v[26:27], v26, v[10:11]
	v_lshrrev_b32_e32 v25, 3, v24
	v_sub_u32_e32 v27, 29, v56
	v_cmp_gt_u32_e64 s[0:1], 8, v24
	v_lshlrev_b32_e32 v10, 8, v10
	s_nop 0
	v_cndmask_b32_e64 v24, v25, v27, s[0:1]
	v_lshl_add_u32 v24, v24, 10, v37
	v_and_b32_e32 v25, 7, v26
	v_and_b32_e32 v24, 0xfc00, v24
	v_cndmask_b32_e64 v22, v22, v25, s[0:1]
	v_and_or_b32 v10, v10, s30, v24
	v_lshl_or_b32 v22, v22, 7, v10
.LBB258_601:                            ;   in Loop: Header=BB258_434 Depth=1
	s_or_b64 exec, exec, s[20:21]
.LBB258_602:                            ;   in Loop: Header=BB258_434 Depth=1
	s_or_b64 exec, exec, s[18:19]
.LBB258_603:                            ;   in Loop: Header=BB258_434 Depth=1
	s_or_b64 exec, exec, s[16:17]
	v_cmp_lt_u32_e64 s[0:1], s7, v20
	s_and_saveexec_b64 s[16:17], s[0:1]
	s_cbranch_execz .LBB258_609
; %bb.604:                              ;   in Loop: Header=BB258_434 Depth=1
	v_lshrrev_b32_e32 v10, 24, v20
	v_cmp_ne_u32_e64 s[0:1], s28, v10
	v_bfrev_b32_e32 v23, 1
	s_and_saveexec_b64 s[18:19], s[0:1]
	s_cbranch_execz .LBB258_608
; %bb.605:                              ;   in Loop: Header=BB258_434 Depth=1
	v_and_b32_e32 v24, 0x7f, v10
	v_cmp_ne_u32_e64 s[0:1], s29, v24
	v_mov_b32_e32 v23, 0x7c010000
	s_and_saveexec_b64 s[20:21], s[0:1]
	s_cbranch_execz .LBB258_607
; %bb.606:                              ;   in Loop: Header=BB258_434 Depth=1
	v_and_b32_e32 v23, 7, v10
	v_ffbh_u32_e32 v26, v23
	v_min_u32_e32 v56, 32, v26
	v_subrev_u32_e32 v26, 28, v56
	v_lshlrev_b64 v[26:27], v26, v[10:11]
	v_lshrrev_b32_e32 v25, 3, v24
	v_sub_u32_e32 v27, 29, v56
	v_cmp_gt_u32_e64 s[0:1], 8, v24
	v_lshlrev_b32_e32 v10, 8, v10
	s_nop 0
	v_cndmask_b32_e64 v24, v25, v27, s[0:1]
	v_lshl_add_u32 v24, v24, 10, v37
	v_and_b32_e32 v25, 7, v26
	v_and_or_b32 v10, v10, s30, v24
	v_cndmask_b32_e64 v23, v23, v25, s[0:1]
	v_lshlrev_b32_e32 v10, 16, v10
	v_lshl_or_b32 v23, v23, 23, v10
.LBB258_607:                            ;   in Loop: Header=BB258_434 Depth=1
	s_or_b64 exec, exec, s[20:21]
.LBB258_608:                            ;   in Loop: Header=BB258_434 Depth=1
	s_or_b64 exec, exec, s[18:19]
.LBB258_609:                            ;   in Loop: Header=BB258_434 Depth=1
	s_or_b64 exec, exec, s[16:17]
	v_mov_b32_e32 v10, v21
	v_cmp_ne_u16_sdwa s[0:1], v21, v11 src0_sel:BYTE_0 src1_sel:DWORD
	v_mov_b32_e32 v24, 0
	v_mov_b32_e32 v25, 0
	s_and_saveexec_b64 s[16:17], s[0:1]
	s_cbranch_execz .LBB258_615
; %bb.610:                              ;   in Loop: Header=BB258_434 Depth=1
	v_cmp_ne_u16_sdwa s[0:1], v21, s28 src0_sel:BYTE_0 src1_sel:DWORD
	v_mov_b32_e32 v25, 0x8000
	s_and_saveexec_b64 s[18:19], s[0:1]
	s_cbranch_execz .LBB258_614
; %bb.611:                              ;   in Loop: Header=BB258_434 Depth=1
	v_and_b32_e32 v26, 0x7f, v21
	v_cmp_ne_u32_e64 s[0:1], s29, v26
	v_mov_b32_e32 v25, 0x7c01
	s_and_saveexec_b64 s[20:21], s[0:1]
	s_cbranch_execz .LBB258_613
; %bb.612:                              ;   in Loop: Header=BB258_434 Depth=1
	v_and_b32_e32 v25, 7, v21
	v_ffbh_u32_e32 v56, v25
	v_min_u32_e32 v58, 32, v56
	v_subrev_u32_e32 v56, 28, v58
	v_lshlrev_b64 v[56:57], v56, v[10:11]
	v_lshrrev_b32_e32 v27, 3, v26
	v_sub_u32_e32 v57, 29, v58
	v_cmp_gt_u32_e64 s[0:1], 8, v26
	v_and_b32_e32 v56, 7, v56
	s_nop 0
	v_cndmask_b32_e64 v26, v27, v57, s[0:1]
	v_lshl_add_u32 v26, v26, 10, v37
	v_lshlrev_b32_e32 v27, 8, v21
	v_and_b32_e32 v26, 0xfc00, v26
	v_cndmask_b32_e64 v25, v25, v56, s[0:1]
	v_and_or_b32 v26, v27, s30, v26
	v_lshl_or_b32 v25, v25, 7, v26
.LBB258_613:                            ;   in Loop: Header=BB258_434 Depth=1
	s_or_b64 exec, exec, s[20:21]
.LBB258_614:                            ;   in Loop: Header=BB258_434 Depth=1
	s_or_b64 exec, exec, s[18:19]
.LBB258_615:                            ;   in Loop: Header=BB258_434 Depth=1
	s_or_b64 exec, exec, s[16:17]
	v_lshrrev_b16_e32 v10, 8, v10
	v_cmp_ne_u16_e64 s[0:1], 0, v10
	v_mov_b32_e32 v26, 0
	s_and_saveexec_b64 s[16:17], s[0:1]
	s_cbranch_execz .LBB258_621
; %bb.616:                              ;   in Loop: Header=BB258_434 Depth=1
	v_cmp_ne_u16_e64 s[0:1], s28, v10
	v_bfrev_b32_e32 v26, 1
	s_and_saveexec_b64 s[18:19], s[0:1]
	s_cbranch_execz .LBB258_620
; %bb.617:                              ;   in Loop: Header=BB258_434 Depth=1
	v_and_b32_e32 v27, 0x7f, v10
	v_cmp_ne_u32_e64 s[0:1], s29, v27
	v_mov_b32_e32 v26, 0x7c010000
	s_and_saveexec_b64 s[20:21], s[0:1]
	s_cbranch_execz .LBB258_619
; %bb.618:                              ;   in Loop: Header=BB258_434 Depth=1
	v_and_b32_e32 v26, 7, v10
	v_ffbh_u32_e32 v56, v26
	v_min_u32_e32 v59, 32, v56
	v_subrev_u32_e32 v56, 28, v59
	v_lshlrev_b64 v[56:57], v56, v[10:11]
	v_lshrrev_b32_e32 v58, 3, v27
	v_sub_u32_e32 v57, 29, v59
	v_cmp_gt_u32_e64 s[0:1], 8, v27
	v_lshlrev_b32_e32 v10, 8, v10
	v_and_b32_e32 v56, 7, v56
	v_cndmask_b32_e64 v27, v58, v57, s[0:1]
	v_lshl_add_u32 v27, v27, 10, v37
	v_and_or_b32 v10, v10, s30, v27
	v_cndmask_b32_e64 v26, v26, v56, s[0:1]
	v_lshlrev_b32_e32 v10, 16, v10
	v_lshl_or_b32 v26, v26, 23, v10
.LBB258_619:                            ;   in Loop: Header=BB258_434 Depth=1
	s_or_b64 exec, exec, s[20:21]
.LBB258_620:                            ;   in Loop: Header=BB258_434 Depth=1
	s_or_b64 exec, exec, s[18:19]
.LBB258_621:                            ;   in Loop: Header=BB258_434 Depth=1
	s_or_b64 exec, exec, s[16:17]
	v_lshrrev_b32_e32 v10, 16, v21
	v_cmp_ne_u16_sdwa s[0:1], v10, v11 src0_sel:BYTE_0 src1_sel:DWORD
	s_and_saveexec_b64 s[16:17], s[0:1]
	s_cbranch_execz .LBB258_627
; %bb.622:                              ;   in Loop: Header=BB258_434 Depth=1
	v_cmp_ne_u16_sdwa s[0:1], v10, s28 src0_sel:BYTE_0 src1_sel:DWORD
	v_mov_b32_e32 v24, 0x8000
	s_and_saveexec_b64 s[18:19], s[0:1]
	s_cbranch_execz .LBB258_626
; %bb.623:                              ;   in Loop: Header=BB258_434 Depth=1
	v_bfe_u32 v27, v21, 16, 7
	v_cmp_ne_u32_e64 s[0:1], s29, v27
	v_mov_b32_e32 v24, 0x7c01
	s_and_saveexec_b64 s[20:21], s[0:1]
	s_cbranch_execz .LBB258_625
; %bb.624:                              ;   in Loop: Header=BB258_434 Depth=1
	v_and_b32_e32 v24, 7, v10
	v_ffbh_u32_e32 v56, v24
	v_min_u32_e32 v59, 32, v56
	v_subrev_u32_e32 v56, 28, v59
	v_lshlrev_b64 v[56:57], v56, v[10:11]
	v_lshrrev_b32_e32 v58, 3, v27
	v_sub_u32_e32 v57, 29, v59
	v_cmp_gt_u32_e64 s[0:1], 8, v27
	v_lshlrev_b32_e32 v10, 8, v10
	v_and_b32_e32 v56, 7, v56
	v_cndmask_b32_e64 v27, v58, v57, s[0:1]
	v_lshl_add_u32 v27, v27, 10, v37
	v_and_b32_e32 v27, 0xfc00, v27
	v_cndmask_b32_e64 v24, v24, v56, s[0:1]
	v_and_or_b32 v10, v10, s30, v27
	v_lshl_or_b32 v24, v24, 7, v10
.LBB258_625:                            ;   in Loop: Header=BB258_434 Depth=1
	s_or_b64 exec, exec, s[20:21]
.LBB258_626:                            ;   in Loop: Header=BB258_434 Depth=1
	s_or_b64 exec, exec, s[18:19]
.LBB258_627:                            ;   in Loop: Header=BB258_434 Depth=1
	s_or_b64 exec, exec, s[16:17]
	v_cmp_lt_u64_e64 s[0:1], s[6:7], v[20:21]
	v_mov_b32_e32 v20, 0
	s_and_saveexec_b64 s[16:17], s[0:1]
	s_cbranch_execz .LBB258_633
; %bb.628:                              ;   in Loop: Header=BB258_434 Depth=1
	v_lshrrev_b32_e32 v10, 24, v21
	v_cmp_ne_u32_e64 s[0:1], s28, v10
	v_bfrev_b32_e32 v20, 1
	s_and_saveexec_b64 s[18:19], s[0:1]
	s_cbranch_execz .LBB258_632
; %bb.629:                              ;   in Loop: Header=BB258_434 Depth=1
	v_and_b32_e32 v21, 0x7f, v10
	v_cmp_ne_u32_e64 s[0:1], s29, v21
	v_mov_b32_e32 v20, 0x7c010000
	s_and_saveexec_b64 s[20:21], s[0:1]
	s_cbranch_execz .LBB258_631
; %bb.630:                              ;   in Loop: Header=BB258_434 Depth=1
	v_and_b32_e32 v20, 7, v10
	v_ffbh_u32_e32 v56, v20
	v_min_u32_e32 v58, 32, v56
	v_subrev_u32_e32 v56, 28, v58
	v_lshlrev_b64 v[56:57], v56, v[10:11]
	v_lshrrev_b32_e32 v27, 3, v21
	v_sub_u32_e32 v57, 29, v58
	v_cmp_gt_u32_e64 s[0:1], 8, v21
	v_lshlrev_b32_e32 v10, 8, v10
	s_nop 0
	v_cndmask_b32_e64 v21, v27, v57, s[0:1]
	v_lshl_add_u32 v21, v21, 10, v37
	v_and_b32_e32 v27, 7, v56
	v_and_or_b32 v10, v10, s30, v21
	v_cndmask_b32_e64 v20, v20, v27, s[0:1]
	v_lshlrev_b32_e32 v10, 16, v10
	v_lshl_or_b32 v20, v20, 23, v10
.LBB258_631:                            ;   in Loop: Header=BB258_434 Depth=1
	s_or_b64 exec, exec, s[20:21]
.LBB258_632:                            ;   in Loop: Header=BB258_434 Depth=1
	s_or_b64 exec, exec, s[18:19]
.LBB258_633:                            ;   in Loop: Header=BB258_434 Depth=1
	s_or_b64 exec, exec, s[16:17]
	v_cvt_f32_f16_sdwa v57, v1 dst_sel:DWORD dst_unused:UNUSED_PAD src0_sel:WORD_1
	v_cvt_f32_f16_sdwa v56, v23 dst_sel:DWORD dst_unused:UNUSED_PAD src0_sel:WORD_1
	v_or_b32_e32 v1, v1, v19
	v_or_b32_e32 v10, v23, v22
	;; [unrolled: 1-line block ×3, first 2 shown]
	s_waitcnt vmcnt(0)
	v_pk_mul_f32 v[22:23], v[18:19], v[56:57] op_sel_hi:[0,1]
	v_cvt_f32_f16_e32 v56, v10
	v_cvt_f32_f16_e32 v57, v1
	v_cvt_pk_f16_f32 v1, v22, v23
	v_and_b32_e32 v19, 0xffff0000, v1
	v_lshlrev_b32_e32 v10, 16, v1
	v_pk_mul_f32 v[22:23], v[18:19], v[56:57] op_sel_hi:[0,1]
	v_cvt_pk_f16_f32 v1, v22, v23
	v_or_b32_e32 v23, v26, v25
	v_cvt_f32_f16_e32 v24, v24
	v_cvt_f32_f16_e32 v25, v23
	v_cvt_f32_f16_sdwa v27, v26 dst_sel:DWORD dst_unused:UNUSED_PAD src0_sel:WORD_1
	v_cvt_f32_f16_sdwa v26, v20 dst_sel:DWORD dst_unused:UNUSED_PAD src0_sel:WORD_1
	v_lshrrev_b32_e32 v21, 16, v1
	v_pk_mul_f32 v[24:25], v[18:19], v[24:25] op_sel_hi:[0,1]
	v_cvt_pk_f16_f32 v56, v24, v25
	v_pk_mul_f32 v[24:25], v[18:19], v[26:27] op_sel_hi:[0,1]
	v_cvt_pk_f16_f32 v18, v24, v25
	v_and_b32_e32 v22, 0xffff, v1
	v_and_b32_e32 v23, 0xffff0000, v18
	v_lshlrev_b32_e32 v18, 16, v18
	v_lshrrev_b32_e32 v25, 16, v56
	v_and_b32_e32 v24, 0xffff, v56
	v_or_b32_e32 v1, v19, v21
	v_or_b32_e32 v20, v10, v22
	;; [unrolled: 1-line block ×4, first 2 shown]
	s_and_saveexec_b64 s[16:17], vcc
	s_cbranch_execz .LBB258_635
; %bb.634:                              ;   in Loop: Header=BB258_434 Depth=1
	v_cmp_gt_i32_e64 s[0:1], s38, v38
	s_nop 1
	v_cndmask_b32_e64 v1, 0, v21, s[0:1]
	v_cmp_gt_i32_e64 s[0:1], s33, v46
	s_nop 1
	v_cndmask_b32_e64 v20, 0, v22, s[0:1]
	;; [unrolled: 3-line block ×3, first 2 shown]
	v_cmp_gt_i32_e64 s[0:1], s33, v43
	v_or_b32_e32 v1, v19, v1
	s_nop 0
	v_cndmask_b32_e64 v10, 0, v10, s[0:1]
	v_cmp_gt_i32_e64 s[0:1], s38, v42
	v_or_b32_e32 v20, v10, v20
	s_nop 0
	v_cndmask_b32_e64 v10, 0, v25, s[0:1]
	v_cmp_gt_i32_e64 s[0:1], s33, v41
	s_nop 1
	v_cndmask_b32_e64 v19, 0, v24, s[0:1]
	v_cmp_gt_i32_e64 s[0:1], s38, v40
	;; [unrolled: 3-line block ×3, first 2 shown]
	v_or_b32_e32 v27, v21, v10
	s_nop 0
	v_cndmask_b32_e64 v18, 0, v18, s[0:1]
	v_or_b32_e32 v26, v18, v19
.LBB258_635:                            ;   in Loop: Header=BB258_434 Depth=1
	s_or_b64 exec, exec, s[16:17]
	;;#ASMSTART
	v_pk_mul_f16 v1, v49, v1;

	;;#ASMEND
	;;#ASMSTART
	v_pk_mul_f16 v10, v48, v20;

	;;#ASMEND
	;; [unrolled: 4-line block ×4, first 2 shown]
	s_nop 0
	;;#ASMSTART
	v_pk_add_f16 v1, v1, v10;

	;;#ASMEND
	s_nop 0
	;;#ASMSTART
	v_pk_add_f16 v1, v1, v18;

	;;#ASMEND
	;; [unrolled: 5-line block ×3, first 2 shown]
	v_mov_b32_e32 v19, 0
	v_lshrrev_b32_e32 v10, 16, v1
	v_and_b32_e32 v1, 0xffff, v1
	;;#ASMSTART
	v_cvt_f32_f16 v56, v1;
	;;#ASMEND
	;;#ASMSTART
	v_cvt_f32_f16 v57, v10;
	;;#ASMEND
	global_load_dwordx2 v[20:21], v[16:17], off offset:2048
	v_mov_b32_e32 v1, 0
	global_load_dword v18, v1, s[14:15]
	s_waitcnt vmcnt(1)
	v_cmp_ne_u16_sdwa s[0:1], v20, v11 src0_sel:BYTE_0 src1_sel:DWORD
	s_and_saveexec_b64 s[16:17], s[0:1]
	s_cbranch_execz .LBB258_641
; %bb.636:                              ;   in Loop: Header=BB258_434 Depth=1
	v_cmp_ne_u16_sdwa s[0:1], v20, s28 src0_sel:BYTE_0 src1_sel:DWORD
	v_mov_b32_e32 v19, 0x8000
	s_and_saveexec_b64 s[18:19], s[0:1]
	s_cbranch_execz .LBB258_640
; %bb.637:                              ;   in Loop: Header=BB258_434 Depth=1
	v_and_b32_e32 v10, 0x7f, v20
	v_cmp_ne_u32_e64 s[0:1], s29, v10
	v_mov_b32_e32 v19, 0x7c01
	s_and_saveexec_b64 s[20:21], s[0:1]
	s_cbranch_execz .LBB258_639
; %bb.638:                              ;   in Loop: Header=BB258_434 Depth=1
	v_and_b32_e32 v19, 7, v20
	v_ffbh_u32_e32 v22, v19
	v_min_u32_e32 v25, 32, v22
	v_subrev_u32_e32 v22, 28, v25
	v_lshlrev_b64 v[22:23], v22, v[20:21]
	v_lshrrev_b32_e32 v24, 3, v10
	v_sub_u32_e32 v23, 29, v25
	v_cmp_gt_u32_e64 s[0:1], 8, v10
	v_and_b32_e32 v22, 7, v22
	s_nop 0
	v_cndmask_b32_e64 v10, v24, v23, s[0:1]
	v_lshl_add_u32 v10, v10, 10, v37
	v_lshlrev_b32_e32 v23, 8, v20
	v_and_b32_e32 v10, 0xfc00, v10
	v_cndmask_b32_e64 v19, v19, v22, s[0:1]
	v_and_or_b32 v10, v23, s30, v10
	v_lshl_or_b32 v19, v19, 7, v10
.LBB258_639:                            ;   in Loop: Header=BB258_434 Depth=1
	s_or_b64 exec, exec, s[20:21]
.LBB258_640:                            ;   in Loop: Header=BB258_434 Depth=1
	s_or_b64 exec, exec, s[18:19]
.LBB258_641:                            ;   in Loop: Header=BB258_434 Depth=1
	s_or_b64 exec, exec, s[16:17]
	v_lshrrev_b16_e32 v10, 8, v20
	v_cmp_ne_u16_e64 s[0:1], 0, v10
	s_and_saveexec_b64 s[16:17], s[0:1]
	s_cbranch_execz .LBB258_647
; %bb.642:                              ;   in Loop: Header=BB258_434 Depth=1
	v_cmp_ne_u16_e64 s[0:1], s28, v10
	v_bfrev_b32_e32 v1, 1
	s_and_saveexec_b64 s[18:19], s[0:1]
	s_cbranch_execz .LBB258_646
; %bb.643:                              ;   in Loop: Header=BB258_434 Depth=1
	v_and_b32_e32 v22, 0x7f, v10
	v_cmp_ne_u32_e64 s[0:1], s29, v22
	v_mov_b32_e32 v1, 0x7c010000
	s_and_saveexec_b64 s[20:21], s[0:1]
	s_cbranch_execz .LBB258_645
; %bb.644:                              ;   in Loop: Header=BB258_434 Depth=1
	v_and_b32_e32 v1, 7, v10
	v_ffbh_u32_e32 v24, v1
	v_min_u32_e32 v26, 32, v24
	v_subrev_u32_e32 v24, 28, v26
	v_lshlrev_b64 v[24:25], v24, v[10:11]
	v_lshrrev_b32_e32 v23, 3, v22
	v_sub_u32_e32 v25, 29, v26
	v_cmp_gt_u32_e64 s[0:1], 8, v22
	v_lshlrev_b32_e32 v10, 8, v10
	s_nop 0
	v_cndmask_b32_e64 v22, v23, v25, s[0:1]
	v_lshl_add_u32 v22, v22, 10, v37
	v_and_b32_e32 v23, 7, v24
	v_and_or_b32 v10, v10, s30, v22
	v_cndmask_b32_e64 v1, v1, v23, s[0:1]
	v_lshlrev_b32_e32 v10, 16, v10
	v_lshl_or_b32 v1, v1, 23, v10
.LBB258_645:                            ;   in Loop: Header=BB258_434 Depth=1
	s_or_b64 exec, exec, s[20:21]
.LBB258_646:                            ;   in Loop: Header=BB258_434 Depth=1
	s_or_b64 exec, exec, s[18:19]
.LBB258_647:                            ;   in Loop: Header=BB258_434 Depth=1
	s_or_b64 exec, exec, s[16:17]
	v_lshrrev_b32_e32 v10, 16, v20
	v_cmp_ne_u16_sdwa s[0:1], v10, v11 src0_sel:BYTE_0 src1_sel:DWORD
	v_mov_b32_e32 v23, 0
	v_mov_b32_e32 v22, 0
	s_and_saveexec_b64 s[16:17], s[0:1]
	s_cbranch_execz .LBB258_653
; %bb.648:                              ;   in Loop: Header=BB258_434 Depth=1
	v_cmp_ne_u16_sdwa s[0:1], v10, s28 src0_sel:BYTE_0 src1_sel:DWORD
	v_mov_b32_e32 v22, 0x8000
	s_and_saveexec_b64 s[18:19], s[0:1]
	s_cbranch_execz .LBB258_652
; %bb.649:                              ;   in Loop: Header=BB258_434 Depth=1
	v_bfe_u32 v24, v20, 16, 7
	v_cmp_ne_u32_e64 s[0:1], s29, v24
	v_mov_b32_e32 v22, 0x7c01
	s_and_saveexec_b64 s[20:21], s[0:1]
	s_cbranch_execz .LBB258_651
; %bb.650:                              ;   in Loop: Header=BB258_434 Depth=1
	v_and_b32_e32 v22, 7, v10
	v_ffbh_u32_e32 v26, v22
	v_min_u32_e32 v58, 32, v26
	v_subrev_u32_e32 v26, 28, v58
	v_lshlrev_b64 v[26:27], v26, v[10:11]
	v_lshrrev_b32_e32 v25, 3, v24
	v_sub_u32_e32 v27, 29, v58
	v_cmp_gt_u32_e64 s[0:1], 8, v24
	v_lshlrev_b32_e32 v10, 8, v10
	s_nop 0
	v_cndmask_b32_e64 v24, v25, v27, s[0:1]
	v_lshl_add_u32 v24, v24, 10, v37
	v_and_b32_e32 v25, 7, v26
	v_and_b32_e32 v24, 0xfc00, v24
	v_cndmask_b32_e64 v22, v22, v25, s[0:1]
	v_and_or_b32 v10, v10, s30, v24
	v_lshl_or_b32 v22, v22, 7, v10
.LBB258_651:                            ;   in Loop: Header=BB258_434 Depth=1
	s_or_b64 exec, exec, s[20:21]
.LBB258_652:                            ;   in Loop: Header=BB258_434 Depth=1
	s_or_b64 exec, exec, s[18:19]
.LBB258_653:                            ;   in Loop: Header=BB258_434 Depth=1
	s_or_b64 exec, exec, s[16:17]
	v_cmp_lt_u32_e64 s[0:1], s7, v20
	s_and_saveexec_b64 s[16:17], s[0:1]
	s_cbranch_execz .LBB258_659
; %bb.654:                              ;   in Loop: Header=BB258_434 Depth=1
	v_lshrrev_b32_e32 v10, 24, v20
	v_cmp_ne_u32_e64 s[0:1], s28, v10
	v_bfrev_b32_e32 v23, 1
	s_and_saveexec_b64 s[18:19], s[0:1]
	s_cbranch_execz .LBB258_658
; %bb.655:                              ;   in Loop: Header=BB258_434 Depth=1
	v_and_b32_e32 v24, 0x7f, v10
	v_cmp_ne_u32_e64 s[0:1], s29, v24
	v_mov_b32_e32 v23, 0x7c010000
	s_and_saveexec_b64 s[20:21], s[0:1]
	s_cbranch_execz .LBB258_657
; %bb.656:                              ;   in Loop: Header=BB258_434 Depth=1
	v_and_b32_e32 v23, 7, v10
	v_ffbh_u32_e32 v26, v23
	v_min_u32_e32 v58, 32, v26
	v_subrev_u32_e32 v26, 28, v58
	v_lshlrev_b64 v[26:27], v26, v[10:11]
	v_lshrrev_b32_e32 v25, 3, v24
	v_sub_u32_e32 v27, 29, v58
	v_cmp_gt_u32_e64 s[0:1], 8, v24
	v_lshlrev_b32_e32 v10, 8, v10
	s_nop 0
	v_cndmask_b32_e64 v24, v25, v27, s[0:1]
	v_lshl_add_u32 v24, v24, 10, v37
	v_and_b32_e32 v25, 7, v26
	v_and_or_b32 v10, v10, s30, v24
	v_cndmask_b32_e64 v23, v23, v25, s[0:1]
	v_lshlrev_b32_e32 v10, 16, v10
	v_lshl_or_b32 v23, v23, 23, v10
.LBB258_657:                            ;   in Loop: Header=BB258_434 Depth=1
	s_or_b64 exec, exec, s[20:21]
.LBB258_658:                            ;   in Loop: Header=BB258_434 Depth=1
	s_or_b64 exec, exec, s[18:19]
.LBB258_659:                            ;   in Loop: Header=BB258_434 Depth=1
	s_or_b64 exec, exec, s[16:17]
	v_mov_b32_e32 v10, v21
	v_cmp_ne_u16_sdwa s[0:1], v21, v11 src0_sel:BYTE_0 src1_sel:DWORD
	v_mov_b32_e32 v24, 0
	v_mov_b32_e32 v25, 0
	s_and_saveexec_b64 s[16:17], s[0:1]
	s_cbranch_execz .LBB258_665
; %bb.660:                              ;   in Loop: Header=BB258_434 Depth=1
	v_cmp_ne_u16_sdwa s[0:1], v21, s28 src0_sel:BYTE_0 src1_sel:DWORD
	v_mov_b32_e32 v25, 0x8000
	s_and_saveexec_b64 s[18:19], s[0:1]
	s_cbranch_execz .LBB258_664
; %bb.661:                              ;   in Loop: Header=BB258_434 Depth=1
	v_and_b32_e32 v26, 0x7f, v21
	v_cmp_ne_u32_e64 s[0:1], s29, v26
	v_mov_b32_e32 v25, 0x7c01
	s_and_saveexec_b64 s[20:21], s[0:1]
	s_cbranch_execz .LBB258_663
; %bb.662:                              ;   in Loop: Header=BB258_434 Depth=1
	v_and_b32_e32 v25, 7, v21
	v_ffbh_u32_e32 v58, v25
	v_min_u32_e32 v60, 32, v58
	v_subrev_u32_e32 v58, 28, v60
	v_lshlrev_b64 v[58:59], v58, v[10:11]
	v_lshrrev_b32_e32 v27, 3, v26
	v_sub_u32_e32 v59, 29, v60
	v_cmp_gt_u32_e64 s[0:1], 8, v26
	v_and_b32_e32 v58, 7, v58
	s_nop 0
	v_cndmask_b32_e64 v26, v27, v59, s[0:1]
	v_lshl_add_u32 v26, v26, 10, v37
	v_lshlrev_b32_e32 v27, 8, v21
	v_and_b32_e32 v26, 0xfc00, v26
	v_cndmask_b32_e64 v25, v25, v58, s[0:1]
	v_and_or_b32 v26, v27, s30, v26
	v_lshl_or_b32 v25, v25, 7, v26
.LBB258_663:                            ;   in Loop: Header=BB258_434 Depth=1
	s_or_b64 exec, exec, s[20:21]
.LBB258_664:                            ;   in Loop: Header=BB258_434 Depth=1
	s_or_b64 exec, exec, s[18:19]
.LBB258_665:                            ;   in Loop: Header=BB258_434 Depth=1
	s_or_b64 exec, exec, s[16:17]
	v_lshrrev_b16_e32 v10, 8, v10
	v_cmp_ne_u16_e64 s[0:1], 0, v10
	v_mov_b32_e32 v26, 0
	s_and_saveexec_b64 s[16:17], s[0:1]
	s_cbranch_execz .LBB258_671
; %bb.666:                              ;   in Loop: Header=BB258_434 Depth=1
	v_cmp_ne_u16_e64 s[0:1], s28, v10
	v_bfrev_b32_e32 v26, 1
	s_and_saveexec_b64 s[18:19], s[0:1]
	s_cbranch_execz .LBB258_670
; %bb.667:                              ;   in Loop: Header=BB258_434 Depth=1
	v_and_b32_e32 v27, 0x7f, v10
	v_cmp_ne_u32_e64 s[0:1], s29, v27
	v_mov_b32_e32 v26, 0x7c010000
	s_and_saveexec_b64 s[20:21], s[0:1]
	s_cbranch_execz .LBB258_669
; %bb.668:                              ;   in Loop: Header=BB258_434 Depth=1
	v_and_b32_e32 v26, 7, v10
	v_ffbh_u32_e32 v58, v26
	v_min_u32_e32 v61, 32, v58
	v_subrev_u32_e32 v58, 28, v61
	v_lshlrev_b64 v[58:59], v58, v[10:11]
	v_lshrrev_b32_e32 v60, 3, v27
	v_sub_u32_e32 v59, 29, v61
	v_cmp_gt_u32_e64 s[0:1], 8, v27
	v_lshlrev_b32_e32 v10, 8, v10
	v_and_b32_e32 v58, 7, v58
	v_cndmask_b32_e64 v27, v60, v59, s[0:1]
	v_lshl_add_u32 v27, v27, 10, v37
	v_and_or_b32 v10, v10, s30, v27
	v_cndmask_b32_e64 v26, v26, v58, s[0:1]
	v_lshlrev_b32_e32 v10, 16, v10
	v_lshl_or_b32 v26, v26, 23, v10
.LBB258_669:                            ;   in Loop: Header=BB258_434 Depth=1
	s_or_b64 exec, exec, s[20:21]
.LBB258_670:                            ;   in Loop: Header=BB258_434 Depth=1
	s_or_b64 exec, exec, s[18:19]
.LBB258_671:                            ;   in Loop: Header=BB258_434 Depth=1
	s_or_b64 exec, exec, s[16:17]
	v_lshrrev_b32_e32 v10, 16, v21
	v_cmp_ne_u16_sdwa s[0:1], v10, v11 src0_sel:BYTE_0 src1_sel:DWORD
	s_and_saveexec_b64 s[16:17], s[0:1]
	s_cbranch_execz .LBB258_677
; %bb.672:                              ;   in Loop: Header=BB258_434 Depth=1
	v_cmp_ne_u16_sdwa s[0:1], v10, s28 src0_sel:BYTE_0 src1_sel:DWORD
	v_mov_b32_e32 v24, 0x8000
	s_and_saveexec_b64 s[18:19], s[0:1]
	s_cbranch_execz .LBB258_676
; %bb.673:                              ;   in Loop: Header=BB258_434 Depth=1
	v_bfe_u32 v27, v21, 16, 7
	v_cmp_ne_u32_e64 s[0:1], s29, v27
	v_mov_b32_e32 v24, 0x7c01
	s_and_saveexec_b64 s[20:21], s[0:1]
	s_cbranch_execz .LBB258_675
; %bb.674:                              ;   in Loop: Header=BB258_434 Depth=1
	v_and_b32_e32 v24, 7, v10
	v_ffbh_u32_e32 v58, v24
	v_min_u32_e32 v61, 32, v58
	v_subrev_u32_e32 v58, 28, v61
	v_lshlrev_b64 v[58:59], v58, v[10:11]
	v_lshrrev_b32_e32 v60, 3, v27
	v_sub_u32_e32 v59, 29, v61
	v_cmp_gt_u32_e64 s[0:1], 8, v27
	v_lshlrev_b32_e32 v10, 8, v10
	v_and_b32_e32 v58, 7, v58
	v_cndmask_b32_e64 v27, v60, v59, s[0:1]
	v_lshl_add_u32 v27, v27, 10, v37
	v_and_b32_e32 v27, 0xfc00, v27
	v_cndmask_b32_e64 v24, v24, v58, s[0:1]
	v_and_or_b32 v10, v10, s30, v27
	v_lshl_or_b32 v24, v24, 7, v10
.LBB258_675:                            ;   in Loop: Header=BB258_434 Depth=1
	s_or_b64 exec, exec, s[20:21]
.LBB258_676:                            ;   in Loop: Header=BB258_434 Depth=1
	s_or_b64 exec, exec, s[18:19]
.LBB258_677:                            ;   in Loop: Header=BB258_434 Depth=1
	s_or_b64 exec, exec, s[16:17]
	v_cmp_lt_u64_e64 s[0:1], s[6:7], v[20:21]
	v_mov_b32_e32 v20, 0
	s_and_saveexec_b64 s[16:17], s[0:1]
	s_cbranch_execz .LBB258_683
; %bb.678:                              ;   in Loop: Header=BB258_434 Depth=1
	v_lshrrev_b32_e32 v10, 24, v21
	v_cmp_ne_u32_e64 s[0:1], s28, v10
	v_bfrev_b32_e32 v20, 1
	s_and_saveexec_b64 s[18:19], s[0:1]
	s_cbranch_execz .LBB258_682
; %bb.679:                              ;   in Loop: Header=BB258_434 Depth=1
	v_and_b32_e32 v21, 0x7f, v10
	v_cmp_ne_u32_e64 s[0:1], s29, v21
	v_mov_b32_e32 v20, 0x7c010000
	s_and_saveexec_b64 s[20:21], s[0:1]
	s_cbranch_execz .LBB258_681
; %bb.680:                              ;   in Loop: Header=BB258_434 Depth=1
	v_and_b32_e32 v20, 7, v10
	v_ffbh_u32_e32 v58, v20
	v_min_u32_e32 v60, 32, v58
	v_subrev_u32_e32 v58, 28, v60
	v_lshlrev_b64 v[58:59], v58, v[10:11]
	v_lshrrev_b32_e32 v27, 3, v21
	v_sub_u32_e32 v59, 29, v60
	v_cmp_gt_u32_e64 s[0:1], 8, v21
	v_lshlrev_b32_e32 v10, 8, v10
	s_nop 0
	v_cndmask_b32_e64 v21, v27, v59, s[0:1]
	v_lshl_add_u32 v21, v21, 10, v37
	v_and_b32_e32 v27, 7, v58
	v_and_or_b32 v10, v10, s30, v21
	v_cndmask_b32_e64 v20, v20, v27, s[0:1]
	v_lshlrev_b32_e32 v10, 16, v10
	v_lshl_or_b32 v20, v20, 23, v10
.LBB258_681:                            ;   in Loop: Header=BB258_434 Depth=1
	s_or_b64 exec, exec, s[20:21]
.LBB258_682:                            ;   in Loop: Header=BB258_434 Depth=1
	s_or_b64 exec, exec, s[18:19]
.LBB258_683:                            ;   in Loop: Header=BB258_434 Depth=1
	s_or_b64 exec, exec, s[16:17]
	v_cvt_f32_f16_sdwa v59, v1 dst_sel:DWORD dst_unused:UNUSED_PAD src0_sel:WORD_1
	v_cvt_f32_f16_sdwa v58, v23 dst_sel:DWORD dst_unused:UNUSED_PAD src0_sel:WORD_1
	v_or_b32_e32 v1, v1, v19
	v_or_b32_e32 v10, v23, v22
	;; [unrolled: 1-line block ×3, first 2 shown]
	s_waitcnt vmcnt(0)
	v_pk_mul_f32 v[22:23], v[18:19], v[58:59] op_sel_hi:[0,1]
	v_cvt_f32_f16_e32 v58, v10
	v_cvt_f32_f16_e32 v59, v1
	v_cvt_pk_f16_f32 v1, v22, v23
	v_and_b32_e32 v19, 0xffff0000, v1
	v_lshlrev_b32_e32 v10, 16, v1
	v_pk_mul_f32 v[22:23], v[18:19], v[58:59] op_sel_hi:[0,1]
	v_cvt_pk_f16_f32 v1, v22, v23
	v_or_b32_e32 v23, v26, v25
	v_cvt_f32_f16_e32 v24, v24
	v_cvt_f32_f16_e32 v25, v23
	v_cvt_f32_f16_sdwa v27, v26 dst_sel:DWORD dst_unused:UNUSED_PAD src0_sel:WORD_1
	v_cvt_f32_f16_sdwa v26, v20 dst_sel:DWORD dst_unused:UNUSED_PAD src0_sel:WORD_1
	v_lshrrev_b32_e32 v21, 16, v1
	v_pk_mul_f32 v[24:25], v[18:19], v[24:25] op_sel_hi:[0,1]
	v_cvt_pk_f16_f32 v58, v24, v25
	v_pk_mul_f32 v[24:25], v[18:19], v[26:27] op_sel_hi:[0,1]
	v_cvt_pk_f16_f32 v18, v24, v25
	v_and_b32_e32 v22, 0xffff, v1
	v_and_b32_e32 v23, 0xffff0000, v18
	v_lshlrev_b32_e32 v18, 16, v18
	v_lshrrev_b32_e32 v25, 16, v58
	v_and_b32_e32 v24, 0xffff, v58
	v_or_b32_e32 v1, v19, v21
	v_or_b32_e32 v20, v10, v22
	;; [unrolled: 1-line block ×4, first 2 shown]
	s_and_saveexec_b64 s[16:17], vcc
	s_cbranch_execz .LBB258_685
; %bb.684:                              ;   in Loop: Header=BB258_434 Depth=1
	v_cmp_gt_i32_e64 s[0:1], s38, v38
	s_nop 1
	v_cndmask_b32_e64 v1, 0, v21, s[0:1]
	v_cmp_gt_i32_e64 s[0:1], s33, v46
	s_nop 1
	v_cndmask_b32_e64 v20, 0, v22, s[0:1]
	;; [unrolled: 3-line block ×3, first 2 shown]
	v_cmp_gt_i32_e64 s[0:1], s33, v43
	v_or_b32_e32 v1, v19, v1
	s_nop 0
	v_cndmask_b32_e64 v10, 0, v10, s[0:1]
	v_cmp_gt_i32_e64 s[0:1], s38, v42
	v_or_b32_e32 v20, v10, v20
	s_nop 0
	v_cndmask_b32_e64 v10, 0, v25, s[0:1]
	v_cmp_gt_i32_e64 s[0:1], s33, v41
	s_nop 1
	v_cndmask_b32_e64 v19, 0, v24, s[0:1]
	v_cmp_gt_i32_e64 s[0:1], s38, v40
	;; [unrolled: 3-line block ×3, first 2 shown]
	v_or_b32_e32 v27, v21, v10
	s_nop 0
	v_cndmask_b32_e64 v18, 0, v18, s[0:1]
	v_or_b32_e32 v26, v18, v19
.LBB258_685:                            ;   in Loop: Header=BB258_434 Depth=1
	s_or_b64 exec, exec, s[16:17]
	;;#ASMSTART
	v_pk_mul_f16 v1, v49, v1;

	;;#ASMEND
	;;#ASMSTART
	v_pk_mul_f16 v10, v48, v20;

	;;#ASMEND
	;; [unrolled: 4-line block ×4, first 2 shown]
	s_nop 0
	;;#ASMSTART
	v_pk_add_f16 v1, v1, v10;

	;;#ASMEND
	s_nop 0
	;;#ASMSTART
	v_pk_add_f16 v1, v1, v18;

	;;#ASMEND
	;; [unrolled: 5-line block ×3, first 2 shown]
	v_mov_b32_e32 v19, 0
	v_lshrrev_b32_e32 v10, 16, v1
	v_and_b32_e32 v1, 0xffff, v1
	;;#ASMSTART
	v_cvt_f32_f16 v58, v1;
	;;#ASMEND
	;;#ASMSTART
	v_cvt_f32_f16 v59, v10;
	;;#ASMEND
	global_load_dwordx2 v[20:21], v[16:17], off offset:2560
	v_mov_b32_e32 v1, 0
	global_load_dword v18, v1, s[14:15]
	s_waitcnt vmcnt(1)
	v_cmp_ne_u16_sdwa s[0:1], v20, v11 src0_sel:BYTE_0 src1_sel:DWORD
	s_and_saveexec_b64 s[16:17], s[0:1]
	s_cbranch_execz .LBB258_691
; %bb.686:                              ;   in Loop: Header=BB258_434 Depth=1
	v_cmp_ne_u16_sdwa s[0:1], v20, s28 src0_sel:BYTE_0 src1_sel:DWORD
	v_mov_b32_e32 v19, 0x8000
	s_and_saveexec_b64 s[18:19], s[0:1]
	s_cbranch_execz .LBB258_690
; %bb.687:                              ;   in Loop: Header=BB258_434 Depth=1
	v_and_b32_e32 v10, 0x7f, v20
	v_cmp_ne_u32_e64 s[0:1], s29, v10
	v_mov_b32_e32 v19, 0x7c01
	s_and_saveexec_b64 s[20:21], s[0:1]
	s_cbranch_execz .LBB258_689
; %bb.688:                              ;   in Loop: Header=BB258_434 Depth=1
	v_and_b32_e32 v19, 7, v20
	v_ffbh_u32_e32 v22, v19
	v_min_u32_e32 v25, 32, v22
	v_subrev_u32_e32 v22, 28, v25
	v_lshlrev_b64 v[22:23], v22, v[20:21]
	v_lshrrev_b32_e32 v24, 3, v10
	v_sub_u32_e32 v23, 29, v25
	v_cmp_gt_u32_e64 s[0:1], 8, v10
	v_and_b32_e32 v22, 7, v22
	s_nop 0
	v_cndmask_b32_e64 v10, v24, v23, s[0:1]
	v_lshl_add_u32 v10, v10, 10, v37
	v_lshlrev_b32_e32 v23, 8, v20
	v_and_b32_e32 v10, 0xfc00, v10
	v_cndmask_b32_e64 v19, v19, v22, s[0:1]
	v_and_or_b32 v10, v23, s30, v10
	v_lshl_or_b32 v19, v19, 7, v10
.LBB258_689:                            ;   in Loop: Header=BB258_434 Depth=1
	s_or_b64 exec, exec, s[20:21]
.LBB258_690:                            ;   in Loop: Header=BB258_434 Depth=1
	s_or_b64 exec, exec, s[18:19]
.LBB258_691:                            ;   in Loop: Header=BB258_434 Depth=1
	s_or_b64 exec, exec, s[16:17]
	v_lshrrev_b16_e32 v10, 8, v20
	v_cmp_ne_u16_e64 s[0:1], 0, v10
	s_and_saveexec_b64 s[16:17], s[0:1]
	s_cbranch_execz .LBB258_697
; %bb.692:                              ;   in Loop: Header=BB258_434 Depth=1
	v_cmp_ne_u16_e64 s[0:1], s28, v10
	v_bfrev_b32_e32 v1, 1
	s_and_saveexec_b64 s[18:19], s[0:1]
	s_cbranch_execz .LBB258_696
; %bb.693:                              ;   in Loop: Header=BB258_434 Depth=1
	v_and_b32_e32 v22, 0x7f, v10
	v_cmp_ne_u32_e64 s[0:1], s29, v22
	v_mov_b32_e32 v1, 0x7c010000
	s_and_saveexec_b64 s[20:21], s[0:1]
	s_cbranch_execz .LBB258_695
; %bb.694:                              ;   in Loop: Header=BB258_434 Depth=1
	v_and_b32_e32 v1, 7, v10
	v_ffbh_u32_e32 v24, v1
	v_min_u32_e32 v26, 32, v24
	v_subrev_u32_e32 v24, 28, v26
	v_lshlrev_b64 v[24:25], v24, v[10:11]
	v_lshrrev_b32_e32 v23, 3, v22
	v_sub_u32_e32 v25, 29, v26
	v_cmp_gt_u32_e64 s[0:1], 8, v22
	v_lshlrev_b32_e32 v10, 8, v10
	s_nop 0
	v_cndmask_b32_e64 v22, v23, v25, s[0:1]
	v_lshl_add_u32 v22, v22, 10, v37
	v_and_b32_e32 v23, 7, v24
	v_and_or_b32 v10, v10, s30, v22
	v_cndmask_b32_e64 v1, v1, v23, s[0:1]
	v_lshlrev_b32_e32 v10, 16, v10
	v_lshl_or_b32 v1, v1, 23, v10
.LBB258_695:                            ;   in Loop: Header=BB258_434 Depth=1
	s_or_b64 exec, exec, s[20:21]
.LBB258_696:                            ;   in Loop: Header=BB258_434 Depth=1
	s_or_b64 exec, exec, s[18:19]
.LBB258_697:                            ;   in Loop: Header=BB258_434 Depth=1
	s_or_b64 exec, exec, s[16:17]
	v_lshrrev_b32_e32 v10, 16, v20
	v_cmp_ne_u16_sdwa s[0:1], v10, v11 src0_sel:BYTE_0 src1_sel:DWORD
	v_mov_b32_e32 v23, 0
	v_mov_b32_e32 v22, 0
	s_and_saveexec_b64 s[16:17], s[0:1]
	s_cbranch_execz .LBB258_703
; %bb.698:                              ;   in Loop: Header=BB258_434 Depth=1
	v_cmp_ne_u16_sdwa s[0:1], v10, s28 src0_sel:BYTE_0 src1_sel:DWORD
	v_mov_b32_e32 v22, 0x8000
	s_and_saveexec_b64 s[18:19], s[0:1]
	s_cbranch_execz .LBB258_702
; %bb.699:                              ;   in Loop: Header=BB258_434 Depth=1
	v_bfe_u32 v24, v20, 16, 7
	v_cmp_ne_u32_e64 s[0:1], s29, v24
	v_mov_b32_e32 v22, 0x7c01
	s_and_saveexec_b64 s[20:21], s[0:1]
	s_cbranch_execz .LBB258_701
; %bb.700:                              ;   in Loop: Header=BB258_434 Depth=1
	v_and_b32_e32 v22, 7, v10
	v_ffbh_u32_e32 v26, v22
	v_min_u32_e32 v60, 32, v26
	v_subrev_u32_e32 v26, 28, v60
	v_lshlrev_b64 v[26:27], v26, v[10:11]
	v_lshrrev_b32_e32 v25, 3, v24
	v_sub_u32_e32 v27, 29, v60
	v_cmp_gt_u32_e64 s[0:1], 8, v24
	v_lshlrev_b32_e32 v10, 8, v10
	s_nop 0
	v_cndmask_b32_e64 v24, v25, v27, s[0:1]
	v_lshl_add_u32 v24, v24, 10, v37
	v_and_b32_e32 v25, 7, v26
	v_and_b32_e32 v24, 0xfc00, v24
	v_cndmask_b32_e64 v22, v22, v25, s[0:1]
	v_and_or_b32 v10, v10, s30, v24
	v_lshl_or_b32 v22, v22, 7, v10
.LBB258_701:                            ;   in Loop: Header=BB258_434 Depth=1
	s_or_b64 exec, exec, s[20:21]
.LBB258_702:                            ;   in Loop: Header=BB258_434 Depth=1
	s_or_b64 exec, exec, s[18:19]
.LBB258_703:                            ;   in Loop: Header=BB258_434 Depth=1
	s_or_b64 exec, exec, s[16:17]
	v_cmp_lt_u32_e64 s[0:1], s7, v20
	s_and_saveexec_b64 s[16:17], s[0:1]
	s_cbranch_execz .LBB258_709
; %bb.704:                              ;   in Loop: Header=BB258_434 Depth=1
	v_lshrrev_b32_e32 v10, 24, v20
	v_cmp_ne_u32_e64 s[0:1], s28, v10
	v_bfrev_b32_e32 v23, 1
	s_and_saveexec_b64 s[18:19], s[0:1]
	s_cbranch_execz .LBB258_708
; %bb.705:                              ;   in Loop: Header=BB258_434 Depth=1
	v_and_b32_e32 v24, 0x7f, v10
	v_cmp_ne_u32_e64 s[0:1], s29, v24
	v_mov_b32_e32 v23, 0x7c010000
	s_and_saveexec_b64 s[20:21], s[0:1]
	s_cbranch_execz .LBB258_707
; %bb.706:                              ;   in Loop: Header=BB258_434 Depth=1
	v_and_b32_e32 v23, 7, v10
	v_ffbh_u32_e32 v26, v23
	v_min_u32_e32 v60, 32, v26
	v_subrev_u32_e32 v26, 28, v60
	v_lshlrev_b64 v[26:27], v26, v[10:11]
	v_lshrrev_b32_e32 v25, 3, v24
	v_sub_u32_e32 v27, 29, v60
	v_cmp_gt_u32_e64 s[0:1], 8, v24
	v_lshlrev_b32_e32 v10, 8, v10
	s_nop 0
	v_cndmask_b32_e64 v24, v25, v27, s[0:1]
	v_lshl_add_u32 v24, v24, 10, v37
	v_and_b32_e32 v25, 7, v26
	v_and_or_b32 v10, v10, s30, v24
	v_cndmask_b32_e64 v23, v23, v25, s[0:1]
	v_lshlrev_b32_e32 v10, 16, v10
	v_lshl_or_b32 v23, v23, 23, v10
.LBB258_707:                            ;   in Loop: Header=BB258_434 Depth=1
	s_or_b64 exec, exec, s[20:21]
.LBB258_708:                            ;   in Loop: Header=BB258_434 Depth=1
	s_or_b64 exec, exec, s[18:19]
.LBB258_709:                            ;   in Loop: Header=BB258_434 Depth=1
	s_or_b64 exec, exec, s[16:17]
	v_mov_b32_e32 v10, v21
	v_cmp_ne_u16_sdwa s[0:1], v21, v11 src0_sel:BYTE_0 src1_sel:DWORD
	v_mov_b32_e32 v24, 0
	v_mov_b32_e32 v25, 0
	s_and_saveexec_b64 s[16:17], s[0:1]
	s_cbranch_execz .LBB258_715
; %bb.710:                              ;   in Loop: Header=BB258_434 Depth=1
	v_cmp_ne_u16_sdwa s[0:1], v21, s28 src0_sel:BYTE_0 src1_sel:DWORD
	v_mov_b32_e32 v25, 0x8000
	s_and_saveexec_b64 s[18:19], s[0:1]
	s_cbranch_execz .LBB258_714
; %bb.711:                              ;   in Loop: Header=BB258_434 Depth=1
	v_and_b32_e32 v26, 0x7f, v21
	v_cmp_ne_u32_e64 s[0:1], s29, v26
	v_mov_b32_e32 v25, 0x7c01
	s_and_saveexec_b64 s[20:21], s[0:1]
	s_cbranch_execz .LBB258_713
; %bb.712:                              ;   in Loop: Header=BB258_434 Depth=1
	v_and_b32_e32 v25, 7, v21
	v_ffbh_u32_e32 v60, v25
	v_min_u32_e32 v62, 32, v60
	v_subrev_u32_e32 v60, 28, v62
	v_lshlrev_b64 v[60:61], v60, v[10:11]
	v_lshrrev_b32_e32 v27, 3, v26
	v_sub_u32_e32 v61, 29, v62
	v_cmp_gt_u32_e64 s[0:1], 8, v26
	v_and_b32_e32 v60, 7, v60
	s_nop 0
	v_cndmask_b32_e64 v26, v27, v61, s[0:1]
	v_lshl_add_u32 v26, v26, 10, v37
	v_lshlrev_b32_e32 v27, 8, v21
	v_and_b32_e32 v26, 0xfc00, v26
	v_cndmask_b32_e64 v25, v25, v60, s[0:1]
	v_and_or_b32 v26, v27, s30, v26
	v_lshl_or_b32 v25, v25, 7, v26
.LBB258_713:                            ;   in Loop: Header=BB258_434 Depth=1
	s_or_b64 exec, exec, s[20:21]
.LBB258_714:                            ;   in Loop: Header=BB258_434 Depth=1
	s_or_b64 exec, exec, s[18:19]
.LBB258_715:                            ;   in Loop: Header=BB258_434 Depth=1
	s_or_b64 exec, exec, s[16:17]
	v_lshrrev_b16_e32 v10, 8, v10
	v_cmp_ne_u16_e64 s[0:1], 0, v10
	v_mov_b32_e32 v26, 0
	s_and_saveexec_b64 s[16:17], s[0:1]
	s_cbranch_execz .LBB258_721
; %bb.716:                              ;   in Loop: Header=BB258_434 Depth=1
	v_cmp_ne_u16_e64 s[0:1], s28, v10
	v_bfrev_b32_e32 v26, 1
	s_and_saveexec_b64 s[18:19], s[0:1]
	s_cbranch_execz .LBB258_720
; %bb.717:                              ;   in Loop: Header=BB258_434 Depth=1
	v_and_b32_e32 v27, 0x7f, v10
	v_cmp_ne_u32_e64 s[0:1], s29, v27
	v_mov_b32_e32 v26, 0x7c010000
	s_and_saveexec_b64 s[20:21], s[0:1]
	s_cbranch_execz .LBB258_719
; %bb.718:                              ;   in Loop: Header=BB258_434 Depth=1
	v_and_b32_e32 v26, 7, v10
	v_ffbh_u32_e32 v60, v26
	v_min_u32_e32 v63, 32, v60
	v_subrev_u32_e32 v60, 28, v63
	v_lshlrev_b64 v[60:61], v60, v[10:11]
	v_lshrrev_b32_e32 v62, 3, v27
	v_sub_u32_e32 v61, 29, v63
	v_cmp_gt_u32_e64 s[0:1], 8, v27
	v_lshlrev_b32_e32 v10, 8, v10
	v_and_b32_e32 v60, 7, v60
	v_cndmask_b32_e64 v27, v62, v61, s[0:1]
	v_lshl_add_u32 v27, v27, 10, v37
	v_and_or_b32 v10, v10, s30, v27
	v_cndmask_b32_e64 v26, v26, v60, s[0:1]
	v_lshlrev_b32_e32 v10, 16, v10
	v_lshl_or_b32 v26, v26, 23, v10
.LBB258_719:                            ;   in Loop: Header=BB258_434 Depth=1
	s_or_b64 exec, exec, s[20:21]
.LBB258_720:                            ;   in Loop: Header=BB258_434 Depth=1
	s_or_b64 exec, exec, s[18:19]
.LBB258_721:                            ;   in Loop: Header=BB258_434 Depth=1
	s_or_b64 exec, exec, s[16:17]
	v_lshrrev_b32_e32 v10, 16, v21
	v_cmp_ne_u16_sdwa s[0:1], v10, v11 src0_sel:BYTE_0 src1_sel:DWORD
	s_and_saveexec_b64 s[16:17], s[0:1]
	s_cbranch_execz .LBB258_727
; %bb.722:                              ;   in Loop: Header=BB258_434 Depth=1
	v_cmp_ne_u16_sdwa s[0:1], v10, s28 src0_sel:BYTE_0 src1_sel:DWORD
	v_mov_b32_e32 v24, 0x8000
	s_and_saveexec_b64 s[18:19], s[0:1]
	s_cbranch_execz .LBB258_726
; %bb.723:                              ;   in Loop: Header=BB258_434 Depth=1
	v_bfe_u32 v27, v21, 16, 7
	v_cmp_ne_u32_e64 s[0:1], s29, v27
	v_mov_b32_e32 v24, 0x7c01
	s_and_saveexec_b64 s[20:21], s[0:1]
	s_cbranch_execz .LBB258_725
; %bb.724:                              ;   in Loop: Header=BB258_434 Depth=1
	v_and_b32_e32 v24, 7, v10
	v_ffbh_u32_e32 v60, v24
	v_min_u32_e32 v63, 32, v60
	v_subrev_u32_e32 v60, 28, v63
	v_lshlrev_b64 v[60:61], v60, v[10:11]
	v_lshrrev_b32_e32 v62, 3, v27
	v_sub_u32_e32 v61, 29, v63
	v_cmp_gt_u32_e64 s[0:1], 8, v27
	v_lshlrev_b32_e32 v10, 8, v10
	v_and_b32_e32 v60, 7, v60
	v_cndmask_b32_e64 v27, v62, v61, s[0:1]
	v_lshl_add_u32 v27, v27, 10, v37
	v_and_b32_e32 v27, 0xfc00, v27
	v_cndmask_b32_e64 v24, v24, v60, s[0:1]
	v_and_or_b32 v10, v10, s30, v27
	v_lshl_or_b32 v24, v24, 7, v10
.LBB258_725:                            ;   in Loop: Header=BB258_434 Depth=1
	s_or_b64 exec, exec, s[20:21]
.LBB258_726:                            ;   in Loop: Header=BB258_434 Depth=1
	s_or_b64 exec, exec, s[18:19]
.LBB258_727:                            ;   in Loop: Header=BB258_434 Depth=1
	s_or_b64 exec, exec, s[16:17]
	v_cmp_lt_u64_e64 s[0:1], s[6:7], v[20:21]
	v_mov_b32_e32 v20, 0
	s_and_saveexec_b64 s[16:17], s[0:1]
	s_cbranch_execz .LBB258_733
; %bb.728:                              ;   in Loop: Header=BB258_434 Depth=1
	v_lshrrev_b32_e32 v10, 24, v21
	v_cmp_ne_u32_e64 s[0:1], s28, v10
	v_bfrev_b32_e32 v20, 1
	s_and_saveexec_b64 s[18:19], s[0:1]
	s_cbranch_execz .LBB258_732
; %bb.729:                              ;   in Loop: Header=BB258_434 Depth=1
	v_and_b32_e32 v21, 0x7f, v10
	v_cmp_ne_u32_e64 s[0:1], s29, v21
	v_mov_b32_e32 v20, 0x7c010000
	s_and_saveexec_b64 s[20:21], s[0:1]
	s_cbranch_execz .LBB258_731
; %bb.730:                              ;   in Loop: Header=BB258_434 Depth=1
	v_and_b32_e32 v20, 7, v10
	v_ffbh_u32_e32 v60, v20
	v_min_u32_e32 v62, 32, v60
	v_subrev_u32_e32 v60, 28, v62
	v_lshlrev_b64 v[60:61], v60, v[10:11]
	v_lshrrev_b32_e32 v27, 3, v21
	v_sub_u32_e32 v61, 29, v62
	v_cmp_gt_u32_e64 s[0:1], 8, v21
	v_lshlrev_b32_e32 v10, 8, v10
	s_nop 0
	v_cndmask_b32_e64 v21, v27, v61, s[0:1]
	v_lshl_add_u32 v21, v21, 10, v37
	v_and_b32_e32 v27, 7, v60
	v_and_or_b32 v10, v10, s30, v21
	v_cndmask_b32_e64 v20, v20, v27, s[0:1]
	v_lshlrev_b32_e32 v10, 16, v10
	v_lshl_or_b32 v20, v20, 23, v10
.LBB258_731:                            ;   in Loop: Header=BB258_434 Depth=1
	s_or_b64 exec, exec, s[20:21]
.LBB258_732:                            ;   in Loop: Header=BB258_434 Depth=1
	s_or_b64 exec, exec, s[18:19]
.LBB258_733:                            ;   in Loop: Header=BB258_434 Depth=1
	s_or_b64 exec, exec, s[16:17]
	v_cvt_f32_f16_sdwa v61, v1 dst_sel:DWORD dst_unused:UNUSED_PAD src0_sel:WORD_1
	v_cvt_f32_f16_sdwa v60, v23 dst_sel:DWORD dst_unused:UNUSED_PAD src0_sel:WORD_1
	v_or_b32_e32 v1, v1, v19
	v_or_b32_e32 v10, v23, v22
	;; [unrolled: 1-line block ×3, first 2 shown]
	s_waitcnt vmcnt(0)
	v_pk_mul_f32 v[22:23], v[18:19], v[60:61] op_sel_hi:[0,1]
	v_cvt_f32_f16_e32 v60, v10
	v_cvt_f32_f16_e32 v61, v1
	v_cvt_pk_f16_f32 v1, v22, v23
	v_and_b32_e32 v19, 0xffff0000, v1
	v_lshlrev_b32_e32 v10, 16, v1
	v_pk_mul_f32 v[22:23], v[18:19], v[60:61] op_sel_hi:[0,1]
	v_cvt_pk_f16_f32 v1, v22, v23
	v_or_b32_e32 v23, v26, v25
	v_cvt_f32_f16_e32 v24, v24
	v_cvt_f32_f16_e32 v25, v23
	v_cvt_f32_f16_sdwa v27, v26 dst_sel:DWORD dst_unused:UNUSED_PAD src0_sel:WORD_1
	v_cvt_f32_f16_sdwa v26, v20 dst_sel:DWORD dst_unused:UNUSED_PAD src0_sel:WORD_1
	v_lshrrev_b32_e32 v21, 16, v1
	v_pk_mul_f32 v[24:25], v[18:19], v[24:25] op_sel_hi:[0,1]
	v_cvt_pk_f16_f32 v60, v24, v25
	v_pk_mul_f32 v[24:25], v[18:19], v[26:27] op_sel_hi:[0,1]
	v_cvt_pk_f16_f32 v18, v24, v25
	v_and_b32_e32 v22, 0xffff, v1
	v_and_b32_e32 v23, 0xffff0000, v18
	v_lshlrev_b32_e32 v18, 16, v18
	v_lshrrev_b32_e32 v25, 16, v60
	v_and_b32_e32 v24, 0xffff, v60
	v_or_b32_e32 v1, v19, v21
	v_or_b32_e32 v20, v10, v22
	;; [unrolled: 1-line block ×4, first 2 shown]
	s_and_saveexec_b64 s[16:17], vcc
	s_cbranch_execz .LBB258_735
; %bb.734:                              ;   in Loop: Header=BB258_434 Depth=1
	v_cmp_gt_i32_e64 s[0:1], s38, v38
	s_nop 1
	v_cndmask_b32_e64 v1, 0, v21, s[0:1]
	v_cmp_gt_i32_e64 s[0:1], s33, v46
	s_nop 1
	v_cndmask_b32_e64 v20, 0, v22, s[0:1]
	;; [unrolled: 3-line block ×3, first 2 shown]
	v_cmp_gt_i32_e64 s[0:1], s33, v43
	v_or_b32_e32 v1, v19, v1
	s_nop 0
	v_cndmask_b32_e64 v10, 0, v10, s[0:1]
	v_cmp_gt_i32_e64 s[0:1], s38, v42
	v_or_b32_e32 v20, v10, v20
	s_nop 0
	v_cndmask_b32_e64 v10, 0, v25, s[0:1]
	v_cmp_gt_i32_e64 s[0:1], s33, v41
	s_nop 1
	v_cndmask_b32_e64 v19, 0, v24, s[0:1]
	v_cmp_gt_i32_e64 s[0:1], s38, v40
	s_nop 1
	v_cndmask_b32_e64 v21, 0, v23, s[0:1]
	v_cmp_gt_i32_e64 s[0:1], s33, v39
	v_or_b32_e32 v27, v21, v10
	s_nop 0
	v_cndmask_b32_e64 v18, 0, v18, s[0:1]
	v_or_b32_e32 v26, v18, v19
.LBB258_735:                            ;   in Loop: Header=BB258_434 Depth=1
	s_or_b64 exec, exec, s[16:17]
	;;#ASMSTART
	v_pk_mul_f16 v1, v49, v1;

	;;#ASMEND
	;;#ASMSTART
	v_pk_mul_f16 v10, v48, v20;

	;;#ASMEND
	;; [unrolled: 4-line block ×4, first 2 shown]
	s_nop 0
	;;#ASMSTART
	v_pk_add_f16 v1, v1, v10;

	;;#ASMEND
	s_nop 0
	;;#ASMSTART
	v_pk_add_f16 v1, v1, v18;

	;;#ASMEND
	;; [unrolled: 5-line block ×3, first 2 shown]
	v_mov_b32_e32 v19, 0
	v_lshrrev_b32_e32 v10, 16, v1
	v_and_b32_e32 v1, 0xffff, v1
	;;#ASMSTART
	v_cvt_f32_f16 v60, v1;
	;;#ASMEND
	;;#ASMSTART
	v_cvt_f32_f16 v61, v10;
	;;#ASMEND
	global_load_dwordx2 v[20:21], v[16:17], off offset:3072
	v_mov_b32_e32 v1, 0
	global_load_dword v18, v1, s[14:15]
	s_waitcnt vmcnt(1)
	v_cmp_ne_u16_sdwa s[0:1], v20, v11 src0_sel:BYTE_0 src1_sel:DWORD
	s_and_saveexec_b64 s[16:17], s[0:1]
	s_cbranch_execz .LBB258_741
; %bb.736:                              ;   in Loop: Header=BB258_434 Depth=1
	v_cmp_ne_u16_sdwa s[0:1], v20, s28 src0_sel:BYTE_0 src1_sel:DWORD
	v_mov_b32_e32 v19, 0x8000
	s_and_saveexec_b64 s[18:19], s[0:1]
	s_cbranch_execz .LBB258_740
; %bb.737:                              ;   in Loop: Header=BB258_434 Depth=1
	v_and_b32_e32 v10, 0x7f, v20
	v_cmp_ne_u32_e64 s[0:1], s29, v10
	v_mov_b32_e32 v19, 0x7c01
	s_and_saveexec_b64 s[20:21], s[0:1]
	s_cbranch_execz .LBB258_739
; %bb.738:                              ;   in Loop: Header=BB258_434 Depth=1
	v_and_b32_e32 v19, 7, v20
	v_ffbh_u32_e32 v22, v19
	v_min_u32_e32 v25, 32, v22
	v_subrev_u32_e32 v22, 28, v25
	v_lshlrev_b64 v[22:23], v22, v[20:21]
	v_lshrrev_b32_e32 v24, 3, v10
	v_sub_u32_e32 v23, 29, v25
	v_cmp_gt_u32_e64 s[0:1], 8, v10
	v_and_b32_e32 v22, 7, v22
	s_nop 0
	v_cndmask_b32_e64 v10, v24, v23, s[0:1]
	v_lshl_add_u32 v10, v10, 10, v37
	v_lshlrev_b32_e32 v23, 8, v20
	v_and_b32_e32 v10, 0xfc00, v10
	v_cndmask_b32_e64 v19, v19, v22, s[0:1]
	v_and_or_b32 v10, v23, s30, v10
	v_lshl_or_b32 v19, v19, 7, v10
.LBB258_739:                            ;   in Loop: Header=BB258_434 Depth=1
	s_or_b64 exec, exec, s[20:21]
.LBB258_740:                            ;   in Loop: Header=BB258_434 Depth=1
	s_or_b64 exec, exec, s[18:19]
.LBB258_741:                            ;   in Loop: Header=BB258_434 Depth=1
	s_or_b64 exec, exec, s[16:17]
	v_lshrrev_b16_e32 v10, 8, v20
	v_cmp_ne_u16_e64 s[0:1], 0, v10
	s_and_saveexec_b64 s[16:17], s[0:1]
	s_cbranch_execz .LBB258_747
; %bb.742:                              ;   in Loop: Header=BB258_434 Depth=1
	v_cmp_ne_u16_e64 s[0:1], s28, v10
	v_bfrev_b32_e32 v1, 1
	s_and_saveexec_b64 s[18:19], s[0:1]
	s_cbranch_execz .LBB258_746
; %bb.743:                              ;   in Loop: Header=BB258_434 Depth=1
	v_and_b32_e32 v22, 0x7f, v10
	v_cmp_ne_u32_e64 s[0:1], s29, v22
	v_mov_b32_e32 v1, 0x7c010000
	s_and_saveexec_b64 s[20:21], s[0:1]
	s_cbranch_execz .LBB258_745
; %bb.744:                              ;   in Loop: Header=BB258_434 Depth=1
	v_and_b32_e32 v1, 7, v10
	v_ffbh_u32_e32 v24, v1
	v_min_u32_e32 v26, 32, v24
	v_subrev_u32_e32 v24, 28, v26
	v_lshlrev_b64 v[24:25], v24, v[10:11]
	v_lshrrev_b32_e32 v23, 3, v22
	v_sub_u32_e32 v25, 29, v26
	v_cmp_gt_u32_e64 s[0:1], 8, v22
	v_lshlrev_b32_e32 v10, 8, v10
	s_nop 0
	v_cndmask_b32_e64 v22, v23, v25, s[0:1]
	v_lshl_add_u32 v22, v22, 10, v37
	v_and_b32_e32 v23, 7, v24
	v_and_or_b32 v10, v10, s30, v22
	v_cndmask_b32_e64 v1, v1, v23, s[0:1]
	v_lshlrev_b32_e32 v10, 16, v10
	v_lshl_or_b32 v1, v1, 23, v10
.LBB258_745:                            ;   in Loop: Header=BB258_434 Depth=1
	s_or_b64 exec, exec, s[20:21]
.LBB258_746:                            ;   in Loop: Header=BB258_434 Depth=1
	s_or_b64 exec, exec, s[18:19]
.LBB258_747:                            ;   in Loop: Header=BB258_434 Depth=1
	s_or_b64 exec, exec, s[16:17]
	v_lshrrev_b32_e32 v10, 16, v20
	v_cmp_ne_u16_sdwa s[0:1], v10, v11 src0_sel:BYTE_0 src1_sel:DWORD
	v_mov_b32_e32 v23, 0
	v_mov_b32_e32 v22, 0
	s_and_saveexec_b64 s[16:17], s[0:1]
	s_cbranch_execz .LBB258_753
; %bb.748:                              ;   in Loop: Header=BB258_434 Depth=1
	v_cmp_ne_u16_sdwa s[0:1], v10, s28 src0_sel:BYTE_0 src1_sel:DWORD
	v_mov_b32_e32 v22, 0x8000
	s_and_saveexec_b64 s[18:19], s[0:1]
	s_cbranch_execz .LBB258_752
; %bb.749:                              ;   in Loop: Header=BB258_434 Depth=1
	v_bfe_u32 v24, v20, 16, 7
	v_cmp_ne_u32_e64 s[0:1], s29, v24
	v_mov_b32_e32 v22, 0x7c01
	s_and_saveexec_b64 s[20:21], s[0:1]
	s_cbranch_execz .LBB258_751
; %bb.750:                              ;   in Loop: Header=BB258_434 Depth=1
	v_and_b32_e32 v22, 7, v10
	v_ffbh_u32_e32 v26, v22
	v_min_u32_e32 v62, 32, v26
	v_subrev_u32_e32 v26, 28, v62
	v_lshlrev_b64 v[26:27], v26, v[10:11]
	v_lshrrev_b32_e32 v25, 3, v24
	v_sub_u32_e32 v27, 29, v62
	v_cmp_gt_u32_e64 s[0:1], 8, v24
	v_lshlrev_b32_e32 v10, 8, v10
	s_nop 0
	v_cndmask_b32_e64 v24, v25, v27, s[0:1]
	v_lshl_add_u32 v24, v24, 10, v37
	v_and_b32_e32 v25, 7, v26
	v_and_b32_e32 v24, 0xfc00, v24
	v_cndmask_b32_e64 v22, v22, v25, s[0:1]
	v_and_or_b32 v10, v10, s30, v24
	v_lshl_or_b32 v22, v22, 7, v10
.LBB258_751:                            ;   in Loop: Header=BB258_434 Depth=1
	s_or_b64 exec, exec, s[20:21]
.LBB258_752:                            ;   in Loop: Header=BB258_434 Depth=1
	s_or_b64 exec, exec, s[18:19]
.LBB258_753:                            ;   in Loop: Header=BB258_434 Depth=1
	s_or_b64 exec, exec, s[16:17]
	v_cmp_lt_u32_e64 s[0:1], s7, v20
	s_and_saveexec_b64 s[16:17], s[0:1]
	s_cbranch_execz .LBB258_759
; %bb.754:                              ;   in Loop: Header=BB258_434 Depth=1
	v_lshrrev_b32_e32 v10, 24, v20
	v_cmp_ne_u32_e64 s[0:1], s28, v10
	v_bfrev_b32_e32 v23, 1
	s_and_saveexec_b64 s[18:19], s[0:1]
	s_cbranch_execz .LBB258_758
; %bb.755:                              ;   in Loop: Header=BB258_434 Depth=1
	v_and_b32_e32 v24, 0x7f, v10
	v_cmp_ne_u32_e64 s[0:1], s29, v24
	v_mov_b32_e32 v23, 0x7c010000
	s_and_saveexec_b64 s[20:21], s[0:1]
	s_cbranch_execz .LBB258_757
; %bb.756:                              ;   in Loop: Header=BB258_434 Depth=1
	v_and_b32_e32 v23, 7, v10
	v_ffbh_u32_e32 v26, v23
	v_min_u32_e32 v62, 32, v26
	v_subrev_u32_e32 v26, 28, v62
	v_lshlrev_b64 v[26:27], v26, v[10:11]
	v_lshrrev_b32_e32 v25, 3, v24
	v_sub_u32_e32 v27, 29, v62
	v_cmp_gt_u32_e64 s[0:1], 8, v24
	v_lshlrev_b32_e32 v10, 8, v10
	s_nop 0
	v_cndmask_b32_e64 v24, v25, v27, s[0:1]
	v_lshl_add_u32 v24, v24, 10, v37
	v_and_b32_e32 v25, 7, v26
	v_and_or_b32 v10, v10, s30, v24
	v_cndmask_b32_e64 v23, v23, v25, s[0:1]
	v_lshlrev_b32_e32 v10, 16, v10
	v_lshl_or_b32 v23, v23, 23, v10
.LBB258_757:                            ;   in Loop: Header=BB258_434 Depth=1
	s_or_b64 exec, exec, s[20:21]
.LBB258_758:                            ;   in Loop: Header=BB258_434 Depth=1
	s_or_b64 exec, exec, s[18:19]
.LBB258_759:                            ;   in Loop: Header=BB258_434 Depth=1
	s_or_b64 exec, exec, s[16:17]
	v_mov_b32_e32 v10, v21
	v_cmp_ne_u16_sdwa s[0:1], v21, v11 src0_sel:BYTE_0 src1_sel:DWORD
	v_mov_b32_e32 v24, 0
	v_mov_b32_e32 v25, 0
	s_and_saveexec_b64 s[16:17], s[0:1]
	s_cbranch_execz .LBB258_765
; %bb.760:                              ;   in Loop: Header=BB258_434 Depth=1
	v_cmp_ne_u16_sdwa s[0:1], v21, s28 src0_sel:BYTE_0 src1_sel:DWORD
	v_mov_b32_e32 v25, 0x8000
	s_and_saveexec_b64 s[18:19], s[0:1]
	s_cbranch_execz .LBB258_764
; %bb.761:                              ;   in Loop: Header=BB258_434 Depth=1
	v_and_b32_e32 v26, 0x7f, v21
	v_cmp_ne_u32_e64 s[0:1], s29, v26
	v_mov_b32_e32 v25, 0x7c01
	s_and_saveexec_b64 s[20:21], s[0:1]
	s_cbranch_execz .LBB258_763
; %bb.762:                              ;   in Loop: Header=BB258_434 Depth=1
	v_and_b32_e32 v25, 7, v21
	v_ffbh_u32_e32 v62, v25
	v_min_u32_e32 v64, 32, v62
	v_subrev_u32_e32 v62, 28, v64
	v_lshlrev_b64 v[62:63], v62, v[10:11]
	v_lshrrev_b32_e32 v27, 3, v26
	v_sub_u32_e32 v63, 29, v64
	v_cmp_gt_u32_e64 s[0:1], 8, v26
	v_and_b32_e32 v62, 7, v62
	s_nop 0
	v_cndmask_b32_e64 v26, v27, v63, s[0:1]
	v_lshl_add_u32 v26, v26, 10, v37
	v_lshlrev_b32_e32 v27, 8, v21
	v_and_b32_e32 v26, 0xfc00, v26
	v_cndmask_b32_e64 v25, v25, v62, s[0:1]
	v_and_or_b32 v26, v27, s30, v26
	v_lshl_or_b32 v25, v25, 7, v26
.LBB258_763:                            ;   in Loop: Header=BB258_434 Depth=1
	s_or_b64 exec, exec, s[20:21]
.LBB258_764:                            ;   in Loop: Header=BB258_434 Depth=1
	s_or_b64 exec, exec, s[18:19]
.LBB258_765:                            ;   in Loop: Header=BB258_434 Depth=1
	s_or_b64 exec, exec, s[16:17]
	v_lshrrev_b16_e32 v10, 8, v10
	v_cmp_ne_u16_e64 s[0:1], 0, v10
	v_mov_b32_e32 v26, 0
	s_and_saveexec_b64 s[16:17], s[0:1]
	s_cbranch_execz .LBB258_771
; %bb.766:                              ;   in Loop: Header=BB258_434 Depth=1
	v_cmp_ne_u16_e64 s[0:1], s28, v10
	v_bfrev_b32_e32 v26, 1
	s_and_saveexec_b64 s[18:19], s[0:1]
	s_cbranch_execz .LBB258_770
; %bb.767:                              ;   in Loop: Header=BB258_434 Depth=1
	v_and_b32_e32 v27, 0x7f, v10
	v_cmp_ne_u32_e64 s[0:1], s29, v27
	v_mov_b32_e32 v26, 0x7c010000
	s_and_saveexec_b64 s[20:21], s[0:1]
	s_cbranch_execz .LBB258_769
; %bb.768:                              ;   in Loop: Header=BB258_434 Depth=1
	v_and_b32_e32 v26, 7, v10
	v_ffbh_u32_e32 v62, v26
	v_min_u32_e32 v65, 32, v62
	v_subrev_u32_e32 v62, 28, v65
	v_lshlrev_b64 v[62:63], v62, v[10:11]
	v_lshrrev_b32_e32 v64, 3, v27
	v_sub_u32_e32 v63, 29, v65
	v_cmp_gt_u32_e64 s[0:1], 8, v27
	v_lshlrev_b32_e32 v10, 8, v10
	v_and_b32_e32 v62, 7, v62
	v_cndmask_b32_e64 v27, v64, v63, s[0:1]
	v_lshl_add_u32 v27, v27, 10, v37
	v_and_or_b32 v10, v10, s30, v27
	v_cndmask_b32_e64 v26, v26, v62, s[0:1]
	v_lshlrev_b32_e32 v10, 16, v10
	v_lshl_or_b32 v26, v26, 23, v10
.LBB258_769:                            ;   in Loop: Header=BB258_434 Depth=1
	s_or_b64 exec, exec, s[20:21]
.LBB258_770:                            ;   in Loop: Header=BB258_434 Depth=1
	s_or_b64 exec, exec, s[18:19]
.LBB258_771:                            ;   in Loop: Header=BB258_434 Depth=1
	s_or_b64 exec, exec, s[16:17]
	v_lshrrev_b32_e32 v10, 16, v21
	v_cmp_ne_u16_sdwa s[0:1], v10, v11 src0_sel:BYTE_0 src1_sel:DWORD
	s_and_saveexec_b64 s[16:17], s[0:1]
	s_cbranch_execz .LBB258_777
; %bb.772:                              ;   in Loop: Header=BB258_434 Depth=1
	v_cmp_ne_u16_sdwa s[0:1], v10, s28 src0_sel:BYTE_0 src1_sel:DWORD
	v_mov_b32_e32 v24, 0x8000
	s_and_saveexec_b64 s[18:19], s[0:1]
	s_cbranch_execz .LBB258_776
; %bb.773:                              ;   in Loop: Header=BB258_434 Depth=1
	v_bfe_u32 v27, v21, 16, 7
	v_cmp_ne_u32_e64 s[0:1], s29, v27
	v_mov_b32_e32 v24, 0x7c01
	s_and_saveexec_b64 s[20:21], s[0:1]
	s_cbranch_execz .LBB258_775
; %bb.774:                              ;   in Loop: Header=BB258_434 Depth=1
	v_and_b32_e32 v24, 7, v10
	v_ffbh_u32_e32 v62, v24
	v_min_u32_e32 v65, 32, v62
	v_subrev_u32_e32 v62, 28, v65
	v_lshlrev_b64 v[62:63], v62, v[10:11]
	v_lshrrev_b32_e32 v64, 3, v27
	v_sub_u32_e32 v63, 29, v65
	v_cmp_gt_u32_e64 s[0:1], 8, v27
	v_lshlrev_b32_e32 v10, 8, v10
	v_and_b32_e32 v62, 7, v62
	v_cndmask_b32_e64 v27, v64, v63, s[0:1]
	v_lshl_add_u32 v27, v27, 10, v37
	v_and_b32_e32 v27, 0xfc00, v27
	v_cndmask_b32_e64 v24, v24, v62, s[0:1]
	v_and_or_b32 v10, v10, s30, v27
	v_lshl_or_b32 v24, v24, 7, v10
.LBB258_775:                            ;   in Loop: Header=BB258_434 Depth=1
	s_or_b64 exec, exec, s[20:21]
.LBB258_776:                            ;   in Loop: Header=BB258_434 Depth=1
	s_or_b64 exec, exec, s[18:19]
.LBB258_777:                            ;   in Loop: Header=BB258_434 Depth=1
	s_or_b64 exec, exec, s[16:17]
	v_cmp_lt_u64_e64 s[0:1], s[6:7], v[20:21]
	v_mov_b32_e32 v20, 0
	s_and_saveexec_b64 s[16:17], s[0:1]
	s_cbranch_execz .LBB258_783
; %bb.778:                              ;   in Loop: Header=BB258_434 Depth=1
	v_lshrrev_b32_e32 v10, 24, v21
	v_cmp_ne_u32_e64 s[0:1], s28, v10
	v_bfrev_b32_e32 v20, 1
	s_and_saveexec_b64 s[18:19], s[0:1]
	s_cbranch_execz .LBB258_782
; %bb.779:                              ;   in Loop: Header=BB258_434 Depth=1
	v_and_b32_e32 v21, 0x7f, v10
	v_cmp_ne_u32_e64 s[0:1], s29, v21
	v_mov_b32_e32 v20, 0x7c010000
	s_and_saveexec_b64 s[20:21], s[0:1]
	s_cbranch_execz .LBB258_781
; %bb.780:                              ;   in Loop: Header=BB258_434 Depth=1
	v_and_b32_e32 v20, 7, v10
	v_ffbh_u32_e32 v62, v20
	v_min_u32_e32 v64, 32, v62
	v_subrev_u32_e32 v62, 28, v64
	v_lshlrev_b64 v[62:63], v62, v[10:11]
	v_lshrrev_b32_e32 v27, 3, v21
	v_sub_u32_e32 v63, 29, v64
	v_cmp_gt_u32_e64 s[0:1], 8, v21
	v_lshlrev_b32_e32 v10, 8, v10
	s_nop 0
	v_cndmask_b32_e64 v21, v27, v63, s[0:1]
	v_lshl_add_u32 v21, v21, 10, v37
	v_and_b32_e32 v27, 7, v62
	v_and_or_b32 v10, v10, s30, v21
	v_cndmask_b32_e64 v20, v20, v27, s[0:1]
	v_lshlrev_b32_e32 v10, 16, v10
	v_lshl_or_b32 v20, v20, 23, v10
.LBB258_781:                            ;   in Loop: Header=BB258_434 Depth=1
	s_or_b64 exec, exec, s[20:21]
.LBB258_782:                            ;   in Loop: Header=BB258_434 Depth=1
	s_or_b64 exec, exec, s[18:19]
.LBB258_783:                            ;   in Loop: Header=BB258_434 Depth=1
	s_or_b64 exec, exec, s[16:17]
	v_cvt_f32_f16_sdwa v63, v1 dst_sel:DWORD dst_unused:UNUSED_PAD src0_sel:WORD_1
	v_cvt_f32_f16_sdwa v62, v23 dst_sel:DWORD dst_unused:UNUSED_PAD src0_sel:WORD_1
	v_or_b32_e32 v1, v1, v19
	v_or_b32_e32 v10, v23, v22
	;; [unrolled: 1-line block ×3, first 2 shown]
	s_waitcnt vmcnt(0)
	v_pk_mul_f32 v[22:23], v[18:19], v[62:63] op_sel_hi:[0,1]
	v_cvt_f32_f16_e32 v62, v10
	v_cvt_f32_f16_e32 v63, v1
	v_cvt_pk_f16_f32 v1, v22, v23
	v_and_b32_e32 v19, 0xffff0000, v1
	v_lshlrev_b32_e32 v10, 16, v1
	v_pk_mul_f32 v[22:23], v[18:19], v[62:63] op_sel_hi:[0,1]
	v_cvt_pk_f16_f32 v1, v22, v23
	v_or_b32_e32 v23, v26, v25
	v_cvt_f32_f16_e32 v24, v24
	v_cvt_f32_f16_e32 v25, v23
	v_cvt_f32_f16_sdwa v27, v26 dst_sel:DWORD dst_unused:UNUSED_PAD src0_sel:WORD_1
	v_cvt_f32_f16_sdwa v26, v20 dst_sel:DWORD dst_unused:UNUSED_PAD src0_sel:WORD_1
	v_lshrrev_b32_e32 v21, 16, v1
	v_pk_mul_f32 v[24:25], v[18:19], v[24:25] op_sel_hi:[0,1]
	v_cvt_pk_f16_f32 v62, v24, v25
	v_pk_mul_f32 v[24:25], v[18:19], v[26:27] op_sel_hi:[0,1]
	v_cvt_pk_f16_f32 v18, v24, v25
	v_and_b32_e32 v22, 0xffff, v1
	v_and_b32_e32 v23, 0xffff0000, v18
	v_lshlrev_b32_e32 v18, 16, v18
	v_lshrrev_b32_e32 v25, 16, v62
	v_and_b32_e32 v24, 0xffff, v62
	v_or_b32_e32 v1, v19, v21
	v_or_b32_e32 v20, v10, v22
	;; [unrolled: 1-line block ×4, first 2 shown]
	s_and_saveexec_b64 s[16:17], vcc
	s_cbranch_execz .LBB258_785
; %bb.784:                              ;   in Loop: Header=BB258_434 Depth=1
	v_cmp_gt_i32_e64 s[0:1], s38, v38
	s_nop 1
	v_cndmask_b32_e64 v1, 0, v21, s[0:1]
	v_cmp_gt_i32_e64 s[0:1], s33, v46
	s_nop 1
	v_cndmask_b32_e64 v20, 0, v22, s[0:1]
	;; [unrolled: 3-line block ×3, first 2 shown]
	v_cmp_gt_i32_e64 s[0:1], s33, v43
	v_or_b32_e32 v1, v19, v1
	s_nop 0
	v_cndmask_b32_e64 v10, 0, v10, s[0:1]
	v_cmp_gt_i32_e64 s[0:1], s38, v42
	v_or_b32_e32 v20, v10, v20
	s_nop 0
	v_cndmask_b32_e64 v10, 0, v25, s[0:1]
	v_cmp_gt_i32_e64 s[0:1], s33, v41
	s_nop 1
	v_cndmask_b32_e64 v19, 0, v24, s[0:1]
	v_cmp_gt_i32_e64 s[0:1], s38, v40
	;; [unrolled: 3-line block ×3, first 2 shown]
	v_or_b32_e32 v27, v21, v10
	s_nop 0
	v_cndmask_b32_e64 v18, 0, v18, s[0:1]
	v_or_b32_e32 v26, v18, v19
.LBB258_785:                            ;   in Loop: Header=BB258_434 Depth=1
	s_or_b64 exec, exec, s[16:17]
	;;#ASMSTART
	v_pk_mul_f16 v1, v49, v1;

	;;#ASMEND
	;;#ASMSTART
	v_pk_mul_f16 v10, v48, v20;

	;;#ASMEND
	;;#ASMSTART
	v_pk_mul_f16 v18, v47, v27;

	;;#ASMEND
	;;#ASMSTART
	v_pk_mul_f16 v19, v45, v26;

	;;#ASMEND
	s_nop 0
	;;#ASMSTART
	v_pk_add_f16 v1, v1, v10;

	;;#ASMEND
	s_nop 0
	;;#ASMSTART
	v_pk_add_f16 v1, v1, v18;

	;;#ASMEND
	;; [unrolled: 5-line block ×3, first 2 shown]
	s_nop 0
	v_lshrrev_b32_e32 v10, 16, v1
	v_and_b32_e32 v1, 0xffff, v1
	;;#ASMSTART
	v_cvt_f32_f16 v26, v1;
	;;#ASMEND
	;;#ASMSTART
	v_cvt_f32_f16 v27, v10;
	;;#ASMEND
	global_load_dwordx2 v[18:19], v[16:17], off offset:3584
	v_mov_b32_e32 v1, 0
	global_load_dword v16, v1, s[14:15]
	v_mov_b32_e32 v17, 0
	s_waitcnt vmcnt(1)
	v_cmp_ne_u16_sdwa s[0:1], v18, v11 src0_sel:BYTE_0 src1_sel:DWORD
	s_and_saveexec_b64 s[16:17], s[0:1]
	s_cbranch_execz .LBB258_791
; %bb.786:                              ;   in Loop: Header=BB258_434 Depth=1
	v_cmp_ne_u16_sdwa s[0:1], v18, s28 src0_sel:BYTE_0 src1_sel:DWORD
	v_mov_b32_e32 v17, 0x8000
	s_and_saveexec_b64 s[18:19], s[0:1]
	s_cbranch_execz .LBB258_790
; %bb.787:                              ;   in Loop: Header=BB258_434 Depth=1
	v_and_b32_e32 v10, 0x7f, v18
	v_cmp_ne_u32_e64 s[0:1], s29, v10
	v_mov_b32_e32 v17, 0x7c01
	s_and_saveexec_b64 s[20:21], s[0:1]
	s_cbranch_execz .LBB258_789
; %bb.788:                              ;   in Loop: Header=BB258_434 Depth=1
	v_and_b32_e32 v17, 7, v18
	v_ffbh_u32_e32 v20, v17
	v_min_u32_e32 v23, 32, v20
	v_subrev_u32_e32 v20, 28, v23
	v_lshlrev_b64 v[20:21], v20, v[18:19]
	v_lshrrev_b32_e32 v22, 3, v10
	v_sub_u32_e32 v21, 29, v23
	v_cmp_gt_u32_e64 s[0:1], 8, v10
	v_and_b32_e32 v20, 7, v20
	s_nop 0
	v_cndmask_b32_e64 v10, v22, v21, s[0:1]
	v_lshl_add_u32 v10, v10, 10, v37
	v_lshlrev_b32_e32 v21, 8, v18
	v_and_b32_e32 v10, 0xfc00, v10
	v_cndmask_b32_e64 v17, v17, v20, s[0:1]
	v_and_or_b32 v10, v21, s30, v10
	v_lshl_or_b32 v17, v17, 7, v10
.LBB258_789:                            ;   in Loop: Header=BB258_434 Depth=1
	s_or_b64 exec, exec, s[20:21]
.LBB258_790:                            ;   in Loop: Header=BB258_434 Depth=1
	s_or_b64 exec, exec, s[18:19]
.LBB258_791:                            ;   in Loop: Header=BB258_434 Depth=1
	s_or_b64 exec, exec, s[16:17]
	v_lshrrev_b16_e32 v10, 8, v18
	v_cmp_ne_u16_e64 s[0:1], 0, v10
	s_and_saveexec_b64 s[16:17], s[0:1]
	s_cbranch_execz .LBB258_797
; %bb.792:                              ;   in Loop: Header=BB258_434 Depth=1
	v_cmp_ne_u16_e64 s[0:1], s28, v10
	v_bfrev_b32_e32 v1, 1
	s_and_saveexec_b64 s[18:19], s[0:1]
	s_cbranch_execz .LBB258_796
; %bb.793:                              ;   in Loop: Header=BB258_434 Depth=1
	v_and_b32_e32 v20, 0x7f, v10
	v_cmp_ne_u32_e64 s[0:1], s29, v20
	v_mov_b32_e32 v1, 0x7c010000
	s_and_saveexec_b64 s[20:21], s[0:1]
	s_cbranch_execz .LBB258_795
; %bb.794:                              ;   in Loop: Header=BB258_434 Depth=1
	v_and_b32_e32 v1, 7, v10
	v_ffbh_u32_e32 v22, v1
	v_min_u32_e32 v24, 32, v22
	v_subrev_u32_e32 v22, 28, v24
	v_lshlrev_b64 v[22:23], v22, v[10:11]
	v_lshrrev_b32_e32 v21, 3, v20
	v_sub_u32_e32 v23, 29, v24
	v_cmp_gt_u32_e64 s[0:1], 8, v20
	v_lshlrev_b32_e32 v10, 8, v10
	s_nop 0
	v_cndmask_b32_e64 v20, v21, v23, s[0:1]
	v_lshl_add_u32 v20, v20, 10, v37
	v_and_b32_e32 v21, 7, v22
	v_and_or_b32 v10, v10, s30, v20
	v_cndmask_b32_e64 v1, v1, v21, s[0:1]
	v_lshlrev_b32_e32 v10, 16, v10
	v_lshl_or_b32 v1, v1, 23, v10
.LBB258_795:                            ;   in Loop: Header=BB258_434 Depth=1
	s_or_b64 exec, exec, s[20:21]
.LBB258_796:                            ;   in Loop: Header=BB258_434 Depth=1
	s_or_b64 exec, exec, s[18:19]
.LBB258_797:                            ;   in Loop: Header=BB258_434 Depth=1
	s_or_b64 exec, exec, s[16:17]
	v_lshrrev_b32_e32 v10, 16, v18
	v_cmp_ne_u16_sdwa s[0:1], v10, v11 src0_sel:BYTE_0 src1_sel:DWORD
	v_mov_b32_e32 v21, 0
	v_mov_b32_e32 v20, 0
	s_and_saveexec_b64 s[16:17], s[0:1]
	s_cbranch_execz .LBB258_803
; %bb.798:                              ;   in Loop: Header=BB258_434 Depth=1
	v_cmp_ne_u16_sdwa s[0:1], v10, s28 src0_sel:BYTE_0 src1_sel:DWORD
	v_mov_b32_e32 v20, 0x8000
	s_and_saveexec_b64 s[18:19], s[0:1]
	s_cbranch_execz .LBB258_802
; %bb.799:                              ;   in Loop: Header=BB258_434 Depth=1
	v_bfe_u32 v22, v18, 16, 7
	v_cmp_ne_u32_e64 s[0:1], s29, v22
	v_mov_b32_e32 v20, 0x7c01
	s_and_saveexec_b64 s[20:21], s[0:1]
	s_cbranch_execz .LBB258_801
; %bb.800:                              ;   in Loop: Header=BB258_434 Depth=1
	v_and_b32_e32 v20, 7, v10
	v_ffbh_u32_e32 v24, v20
	v_min_u32_e32 v62, 32, v24
	v_subrev_u32_e32 v24, 28, v62
	v_lshlrev_b64 v[24:25], v24, v[10:11]
	v_lshrrev_b32_e32 v23, 3, v22
	v_sub_u32_e32 v25, 29, v62
	v_cmp_gt_u32_e64 s[0:1], 8, v22
	v_lshlrev_b32_e32 v10, 8, v10
	s_nop 0
	v_cndmask_b32_e64 v22, v23, v25, s[0:1]
	v_lshl_add_u32 v22, v22, 10, v37
	v_and_b32_e32 v23, 7, v24
	v_and_b32_e32 v22, 0xfc00, v22
	v_cndmask_b32_e64 v20, v20, v23, s[0:1]
	v_and_or_b32 v10, v10, s30, v22
	v_lshl_or_b32 v20, v20, 7, v10
.LBB258_801:                            ;   in Loop: Header=BB258_434 Depth=1
	s_or_b64 exec, exec, s[20:21]
.LBB258_802:                            ;   in Loop: Header=BB258_434 Depth=1
	s_or_b64 exec, exec, s[18:19]
.LBB258_803:                            ;   in Loop: Header=BB258_434 Depth=1
	s_or_b64 exec, exec, s[16:17]
	v_cmp_lt_u32_e64 s[0:1], s7, v18
	s_and_saveexec_b64 s[16:17], s[0:1]
	s_cbranch_execz .LBB258_809
; %bb.804:                              ;   in Loop: Header=BB258_434 Depth=1
	v_lshrrev_b32_e32 v10, 24, v18
	v_cmp_ne_u32_e64 s[0:1], s28, v10
	v_bfrev_b32_e32 v21, 1
	s_and_saveexec_b64 s[18:19], s[0:1]
	s_cbranch_execz .LBB258_808
; %bb.805:                              ;   in Loop: Header=BB258_434 Depth=1
	v_and_b32_e32 v22, 0x7f, v10
	v_cmp_ne_u32_e64 s[0:1], s29, v22
	v_mov_b32_e32 v21, 0x7c010000
	s_and_saveexec_b64 s[20:21], s[0:1]
	s_cbranch_execz .LBB258_807
; %bb.806:                              ;   in Loop: Header=BB258_434 Depth=1
	v_and_b32_e32 v21, 7, v10
	v_ffbh_u32_e32 v24, v21
	v_min_u32_e32 v62, 32, v24
	v_subrev_u32_e32 v24, 28, v62
	v_lshlrev_b64 v[24:25], v24, v[10:11]
	v_lshrrev_b32_e32 v23, 3, v22
	v_sub_u32_e32 v25, 29, v62
	v_cmp_gt_u32_e64 s[0:1], 8, v22
	v_lshlrev_b32_e32 v10, 8, v10
	s_nop 0
	v_cndmask_b32_e64 v22, v23, v25, s[0:1]
	v_lshl_add_u32 v22, v22, 10, v37
	v_and_b32_e32 v23, 7, v24
	v_and_or_b32 v10, v10, s30, v22
	v_cndmask_b32_e64 v21, v21, v23, s[0:1]
	v_lshlrev_b32_e32 v10, 16, v10
	v_lshl_or_b32 v21, v21, 23, v10
.LBB258_807:                            ;   in Loop: Header=BB258_434 Depth=1
	s_or_b64 exec, exec, s[20:21]
.LBB258_808:                            ;   in Loop: Header=BB258_434 Depth=1
	s_or_b64 exec, exec, s[18:19]
.LBB258_809:                            ;   in Loop: Header=BB258_434 Depth=1
	s_or_b64 exec, exec, s[16:17]
	v_mov_b32_e32 v10, v19
	v_cmp_ne_u16_sdwa s[0:1], v19, v11 src0_sel:BYTE_0 src1_sel:DWORD
	v_mov_b32_e32 v22, 0
	v_mov_b32_e32 v23, 0
	s_and_saveexec_b64 s[16:17], s[0:1]
	s_cbranch_execz .LBB258_815
; %bb.810:                              ;   in Loop: Header=BB258_434 Depth=1
	v_cmp_ne_u16_sdwa s[0:1], v19, s28 src0_sel:BYTE_0 src1_sel:DWORD
	v_mov_b32_e32 v23, 0x8000
	s_and_saveexec_b64 s[18:19], s[0:1]
	s_cbranch_execz .LBB258_814
; %bb.811:                              ;   in Loop: Header=BB258_434 Depth=1
	v_and_b32_e32 v24, 0x7f, v19
	v_cmp_ne_u32_e64 s[0:1], s29, v24
	v_mov_b32_e32 v23, 0x7c01
	s_and_saveexec_b64 s[20:21], s[0:1]
	s_cbranch_execz .LBB258_813
; %bb.812:                              ;   in Loop: Header=BB258_434 Depth=1
	v_and_b32_e32 v23, 7, v19
	v_ffbh_u32_e32 v62, v23
	v_min_u32_e32 v64, 32, v62
	v_subrev_u32_e32 v62, 28, v64
	v_lshlrev_b64 v[62:63], v62, v[10:11]
	v_lshrrev_b32_e32 v25, 3, v24
	v_sub_u32_e32 v63, 29, v64
	v_cmp_gt_u32_e64 s[0:1], 8, v24
	v_and_b32_e32 v62, 7, v62
	s_nop 0
	v_cndmask_b32_e64 v24, v25, v63, s[0:1]
	v_lshl_add_u32 v24, v24, 10, v37
	v_lshlrev_b32_e32 v25, 8, v19
	v_and_b32_e32 v24, 0xfc00, v24
	v_cndmask_b32_e64 v23, v23, v62, s[0:1]
	v_and_or_b32 v24, v25, s30, v24
	v_lshl_or_b32 v23, v23, 7, v24
.LBB258_813:                            ;   in Loop: Header=BB258_434 Depth=1
	s_or_b64 exec, exec, s[20:21]
.LBB258_814:                            ;   in Loop: Header=BB258_434 Depth=1
	s_or_b64 exec, exec, s[18:19]
.LBB258_815:                            ;   in Loop: Header=BB258_434 Depth=1
	s_or_b64 exec, exec, s[16:17]
	v_lshrrev_b16_e32 v10, 8, v10
	v_cmp_ne_u16_e64 s[0:1], 0, v10
	v_mov_b32_e32 v24, 0
	s_and_saveexec_b64 s[16:17], s[0:1]
	s_cbranch_execz .LBB258_821
; %bb.816:                              ;   in Loop: Header=BB258_434 Depth=1
	v_cmp_ne_u16_e64 s[0:1], s28, v10
	v_bfrev_b32_e32 v24, 1
	s_and_saveexec_b64 s[18:19], s[0:1]
	s_cbranch_execz .LBB258_820
; %bb.817:                              ;   in Loop: Header=BB258_434 Depth=1
	v_and_b32_e32 v25, 0x7f, v10
	v_cmp_ne_u32_e64 s[0:1], s29, v25
	v_mov_b32_e32 v24, 0x7c010000
	s_and_saveexec_b64 s[20:21], s[0:1]
	s_cbranch_execz .LBB258_819
; %bb.818:                              ;   in Loop: Header=BB258_434 Depth=1
	v_and_b32_e32 v24, 7, v10
	v_ffbh_u32_e32 v62, v24
	v_min_u32_e32 v65, 32, v62
	v_subrev_u32_e32 v62, 28, v65
	v_lshlrev_b64 v[62:63], v62, v[10:11]
	v_lshrrev_b32_e32 v64, 3, v25
	v_sub_u32_e32 v63, 29, v65
	v_cmp_gt_u32_e64 s[0:1], 8, v25
	v_lshlrev_b32_e32 v10, 8, v10
	v_and_b32_e32 v62, 7, v62
	v_cndmask_b32_e64 v25, v64, v63, s[0:1]
	v_lshl_add_u32 v25, v25, 10, v37
	v_and_or_b32 v10, v10, s30, v25
	v_cndmask_b32_e64 v24, v24, v62, s[0:1]
	v_lshlrev_b32_e32 v10, 16, v10
	v_lshl_or_b32 v24, v24, 23, v10
.LBB258_819:                            ;   in Loop: Header=BB258_434 Depth=1
	s_or_b64 exec, exec, s[20:21]
.LBB258_820:                            ;   in Loop: Header=BB258_434 Depth=1
	s_or_b64 exec, exec, s[18:19]
.LBB258_821:                            ;   in Loop: Header=BB258_434 Depth=1
	s_or_b64 exec, exec, s[16:17]
	v_lshrrev_b32_e32 v10, 16, v19
	v_cmp_ne_u16_sdwa s[0:1], v10, v11 src0_sel:BYTE_0 src1_sel:DWORD
	s_and_saveexec_b64 s[16:17], s[0:1]
	s_cbranch_execz .LBB258_827
; %bb.822:                              ;   in Loop: Header=BB258_434 Depth=1
	v_cmp_ne_u16_sdwa s[0:1], v10, s28 src0_sel:BYTE_0 src1_sel:DWORD
	v_mov_b32_e32 v22, 0x8000
	s_and_saveexec_b64 s[18:19], s[0:1]
	s_cbranch_execz .LBB258_826
; %bb.823:                              ;   in Loop: Header=BB258_434 Depth=1
	v_bfe_u32 v25, v19, 16, 7
	v_cmp_ne_u32_e64 s[0:1], s29, v25
	v_mov_b32_e32 v22, 0x7c01
	s_and_saveexec_b64 s[20:21], s[0:1]
	s_cbranch_execz .LBB258_825
; %bb.824:                              ;   in Loop: Header=BB258_434 Depth=1
	v_and_b32_e32 v22, 7, v10
	v_ffbh_u32_e32 v62, v22
	v_min_u32_e32 v65, 32, v62
	v_subrev_u32_e32 v62, 28, v65
	v_lshlrev_b64 v[62:63], v62, v[10:11]
	v_lshrrev_b32_e32 v64, 3, v25
	v_sub_u32_e32 v63, 29, v65
	v_cmp_gt_u32_e64 s[0:1], 8, v25
	v_lshlrev_b32_e32 v10, 8, v10
	v_and_b32_e32 v62, 7, v62
	v_cndmask_b32_e64 v25, v64, v63, s[0:1]
	v_lshl_add_u32 v25, v25, 10, v37
	v_and_b32_e32 v25, 0xfc00, v25
	v_cndmask_b32_e64 v22, v22, v62, s[0:1]
	v_and_or_b32 v10, v10, s30, v25
	v_lshl_or_b32 v22, v22, 7, v10
.LBB258_825:                            ;   in Loop: Header=BB258_434 Depth=1
	s_or_b64 exec, exec, s[20:21]
.LBB258_826:                            ;   in Loop: Header=BB258_434 Depth=1
	s_or_b64 exec, exec, s[18:19]
.LBB258_827:                            ;   in Loop: Header=BB258_434 Depth=1
	s_or_b64 exec, exec, s[16:17]
	v_cmp_lt_u64_e64 s[0:1], s[6:7], v[18:19]
	v_mov_b32_e32 v25, 0
	s_and_saveexec_b64 s[16:17], s[0:1]
	s_cbranch_execz .LBB258_833
; %bb.828:                              ;   in Loop: Header=BB258_434 Depth=1
	v_lshrrev_b32_e32 v10, 24, v19
	v_cmp_ne_u32_e64 s[0:1], s28, v10
	v_bfrev_b32_e32 v25, 1
	s_and_saveexec_b64 s[18:19], s[0:1]
	s_cbranch_execz .LBB258_832
; %bb.829:                              ;   in Loop: Header=BB258_434 Depth=1
	v_and_b32_e32 v18, 0x7f, v10
	v_cmp_ne_u32_e64 s[0:1], s29, v18
	v_mov_b32_e32 v25, 0x7c010000
	s_and_saveexec_b64 s[20:21], s[0:1]
	s_cbranch_execz .LBB258_831
; %bb.830:                              ;   in Loop: Header=BB258_434 Depth=1
	v_and_b32_e32 v19, 7, v10
	v_ffbh_u32_e32 v62, v19
	v_min_u32_e32 v64, 32, v62
	v_subrev_u32_e32 v62, 28, v64
	v_lshlrev_b64 v[62:63], v62, v[10:11]
	v_lshrrev_b32_e32 v25, 3, v18
	v_sub_u32_e32 v63, 29, v64
	v_cmp_gt_u32_e64 s[0:1], 8, v18
	v_lshlrev_b32_e32 v10, 8, v10
	s_nop 0
	v_cndmask_b32_e64 v18, v25, v63, s[0:1]
	v_lshl_add_u32 v18, v18, 10, v37
	v_and_b32_e32 v25, 7, v62
	v_and_or_b32 v10, v10, s30, v18
	v_cndmask_b32_e64 v19, v19, v25, s[0:1]
	v_lshlrev_b32_e32 v10, 16, v10
	v_lshl_or_b32 v25, v19, 23, v10
.LBB258_831:                            ;   in Loop: Header=BB258_434 Depth=1
	s_or_b64 exec, exec, s[20:21]
.LBB258_832:                            ;   in Loop: Header=BB258_434 Depth=1
	s_or_b64 exec, exec, s[18:19]
.LBB258_833:                            ;   in Loop: Header=BB258_434 Depth=1
	s_or_b64 exec, exec, s[16:17]
	v_cvt_f32_f16_sdwa v19, v1 dst_sel:DWORD dst_unused:UNUSED_PAD src0_sel:WORD_1
	v_cvt_f32_f16_sdwa v18, v21 dst_sel:DWORD dst_unused:UNUSED_PAD src0_sel:WORD_1
	v_or_b32_e32 v1, v1, v17
	v_or_b32_e32 v10, v21, v20
	v_cvt_f32_f16_e32 v20, v10
	v_cvt_f32_f16_e32 v21, v1
	s_waitcnt vmcnt(0)
	v_pk_mul_f32 v[18:19], v[16:17], v[18:19] op_sel_hi:[0,1]
	v_cvt_pk_f16_f32 v1, v18, v19
	v_and_b32_e32 v17, 0xffff0000, v1
	v_pk_mul_f32 v[20:21], v[16:17], v[20:21] op_sel_hi:[0,1]
	v_lshlrev_b32_e32 v18, 16, v1
	v_cvt_pk_f16_f32 v1, v20, v21
	v_or_b32_e32 v10, v24, v23
	v_or_b32_e32 v21, v25, v22
	v_cvt_f32_f16_e32 v22, v21
	v_cvt_f32_f16_e32 v23, v10
	v_cvt_f32_f16_sdwa v63, v24 dst_sel:DWORD dst_unused:UNUSED_PAD src0_sel:WORD_1
	v_cvt_f32_f16_sdwa v62, v25 dst_sel:DWORD dst_unused:UNUSED_PAD src0_sel:WORD_1
	v_lshrrev_b32_e32 v19, 16, v1
	v_pk_mul_f32 v[22:23], v[16:17], v[22:23] op_sel_hi:[0,1]
	v_cvt_pk_f16_f32 v21, v22, v23
	v_pk_mul_f32 v[22:23], v[16:17], v[62:63] op_sel_hi:[0,1]
	v_cvt_pk_f16_f32 v16, v22, v23
	v_and_b32_e32 v20, 0xffff, v1
	v_and_b32_e32 v23, 0xffff0000, v16
	v_lshlrev_b32_e32 v22, 16, v16
	v_lshrrev_b32_e32 v25, 16, v21
	v_and_b32_e32 v24, 0xffff, v21
	v_or_b32_e32 v1, v17, v19
	v_or_b32_e32 v10, v18, v20
	;; [unrolled: 1-line block ×4, first 2 shown]
	s_and_saveexec_b64 s[0:1], vcc
	s_cbranch_execz .LBB258_432
; %bb.834:                              ;   in Loop: Header=BB258_434 Depth=1
	v_cmp_gt_i32_e32 vcc, s38, v38
	s_nop 1
	v_cndmask_b32_e32 v1, 0, v19, vcc
	v_cmp_gt_i32_e32 vcc, s33, v46
	s_nop 1
	v_cndmask_b32_e32 v10, 0, v20, vcc
	;; [unrolled: 3-line block ×3, first 2 shown]
	v_cmp_gt_i32_e32 vcc, s33, v43
	v_or_b32_e32 v1, v16, v1
	s_nop 0
	v_cndmask_b32_e32 v17, 0, v18, vcc
	v_cmp_gt_i32_e32 vcc, s38, v42
	v_or_b32_e32 v10, v17, v10
	s_nop 0
	v_cndmask_b32_e32 v16, 0, v25, vcc
	v_cmp_gt_i32_e32 vcc, s33, v41
	s_nop 1
	v_cndmask_b32_e32 v17, 0, v24, vcc
	v_cmp_gt_i32_e32 vcc, s38, v40
	;; [unrolled: 3-line block ×3, first 2 shown]
	v_or_b32_e32 v21, v18, v16
	s_nop 0
	v_cndmask_b32_e32 v19, 0, v22, vcc
	v_or_b32_e32 v16, v19, v17
	s_branch .LBB258_432
.LBB258_835:
	s_or_b64 exec, exec, s[8:9]
.LBB258_836:
	s_or_b64 exec, exec, s[2:3]
	ds_bpermute_b32 v10, v31, v8
	ds_bpermute_b32 v11, v31, v9
	;; [unrolled: 1-line block ×6, first 2 shown]
	s_waitcnt lgkmcnt(4)
	v_pk_add_f32 v[8:9], v[8:9], v[10:11]
	ds_bpermute_b32 v16, v31, v2
	ds_bpermute_b32 v17, v31, v3
	;; [unrolled: 1-line block ×4, first 2 shown]
	s_waitcnt lgkmcnt(6)
	v_pk_add_f32 v[6:7], v[6:7], v[12:13]
	s_waitcnt lgkmcnt(4)
	v_pk_add_f32 v[4:5], v[4:5], v[14:15]
	ds_bpermute_b32 v12, v32, v6
	ds_bpermute_b32 v13, v32, v7
	;; [unrolled: 1-line block ×4, first 2 shown]
	s_waitcnt lgkmcnt(6)
	v_pk_add_f32 v[2:3], v[2:3], v[16:17]
	s_waitcnt lgkmcnt(4)
	v_pk_add_f32 v[8:9], v[8:9], v[10:11]
	ds_bpermute_b32 v10, v32, v2
	ds_bpermute_b32 v11, v32, v3
	v_and_b32_e32 v1, 0x3c3, v0
	s_waitcnt lgkmcnt(4)
	v_pk_add_f32 v[6:7], v[6:7], v[12:13]
	s_waitcnt lgkmcnt(2)
	v_pk_add_f32 v[4:5], v[4:5], v[14:15]
	v_cmp_ne_u32_e32 vcc, 64, v1
	s_waitcnt lgkmcnt(0)
	s_barrier
	s_and_saveexec_b64 s[0:1], vcc
	s_xor_b64 s[0:1], exec, s[0:1]
; %bb.837:
                                        ; implicit-def: $vgpr30
; %bb.838:
	s_or_saveexec_b64 s[0:1], s[0:1]
	v_pk_add_f32 v[2:3], v[2:3], v[10:11]
	s_xor_b64 exec, exec, s[0:1]
	s_cbranch_execz .LBB258_840
; %bb.839:
	v_add_u32_e32 v10, 0x110, v30
	ds_write2_b32 v10, v8, v9 offset1:16
	ds_write2_b32 v10, v6, v7 offset0:32 offset1:48
	ds_write2_b32 v10, v4, v5 offset0:64 offset1:80
	ds_write2_b32 v10, v2, v3 offset0:96 offset1:112
.LBB258_840:
	s_or_b64 exec, exec, s[0:1]
	v_cmp_gt_u32_e32 vcc, 64, v0
	v_lshrrev_b32_e32 v0, 2, v0
	s_waitcnt lgkmcnt(0)
	s_barrier
	s_and_saveexec_b64 s[0:1], vcc
	s_cbranch_execz .LBB258_851
; %bb.841:
	v_mov_b32_e32 v10, 0x110
	v_cmp_eq_u32_e32 vcc, 0, v33
	v_lshl_add_u32 v10, v0, 2, v10
	s_and_saveexec_b64 s[2:3], vcc
	s_cbranch_execnz .LBB258_854
; %bb.842:
	s_or_b64 exec, exec, s[2:3]
	s_and_saveexec_b64 s[2:3], vcc
	s_cbranch_execnz .LBB258_855
.LBB258_843:
	s_or_b64 exec, exec, s[2:3]
	s_and_saveexec_b64 s[2:3], vcc
	s_cbranch_execnz .LBB258_856
.LBB258_844:
	s_or_b64 exec, exec, s[2:3]
	s_and_saveexec_b64 s[2:3], vcc
	s_cbranch_execnz .LBB258_857
.LBB258_845:
	s_or_b64 exec, exec, s[2:3]
	s_and_saveexec_b64 s[2:3], vcc
	s_cbranch_execnz .LBB258_858
.LBB258_846:
	s_or_b64 exec, exec, s[2:3]
	s_and_saveexec_b64 s[2:3], vcc
	s_cbranch_execnz .LBB258_859
.LBB258_847:
	s_or_b64 exec, exec, s[2:3]
	s_and_saveexec_b64 s[2:3], vcc
	s_cbranch_execnz .LBB258_860
.LBB258_848:
	s_or_b64 exec, exec, s[2:3]
	s_and_saveexec_b64 s[2:3], vcc
	s_cbranch_execz .LBB258_850
.LBB258_849:
	ds_read_b32 v10, v10 offset:448
	s_waitcnt lgkmcnt(0)
	v_add_f32_e32 v3, v3, v10
.LBB258_850:
	s_or_b64 exec, exec, s[2:3]
.LBB258_851:
	s_or_b64 exec, exec, s[0:1]
	v_cmp_eq_u32_e32 vcc, 0, v1
	s_barrier
	s_and_saveexec_b64 s[0:1], vcc
	s_cbranch_execz .LBB258_853
; %bb.852:
	s_mul_i32 s0, s10, s11
	s_mul_i32 s0, s0, s5
	s_lshl_b32 s0, s0, 7
	s_ashr_i32 s1, s0, 31
	s_lshl_b64 s[0:1], s[0:1], 1
	s_add_u32 s2, s26, s0
	s_mul_i32 s0, s11, s24
	s_addc_u32 s3, s27, s1
	s_ashr_i32 s1, s0, 31
	s_lshl_b64 s[0:1], s[0:1], 1
	s_add_u32 s2, s2, s0
	s_addc_u32 s3, s3, s1
	s_lshl_b32 s0, s4, 7
	s_ashr_i32 s1, s0, 31
	s_lshl_b64 s[0:1], s[0:1], 1
	s_add_u32 s0, s2, s0
	s_addc_u32 s1, s3, s1
	v_lshlrev_b32_e32 v0, 1, v0
	;;#ASMSTART
	v_cvt_f16_f32 v1, v8;

	;;#ASMEND
	global_store_short v0, v1, s[0:1]
	;;#ASMSTART
	v_cvt_f16_f32 v1, v9;

	;;#ASMEND
	global_store_short v0, v1, s[0:1] offset:32
	;;#ASMSTART
	v_cvt_f16_f32 v1, v6;

	;;#ASMEND
	global_store_short v0, v1, s[0:1] offset:64
	;; [unrolled: 5-line block ×7, first 2 shown]
.LBB258_853:
	s_endpgm
.LBB258_854:
	ds_read_b32 v11, v10
	s_waitcnt lgkmcnt(0)
	v_add_f32_e32 v8, v8, v11
	s_or_b64 exec, exec, s[2:3]
	s_and_saveexec_b64 s[2:3], vcc
	s_cbranch_execz .LBB258_843
.LBB258_855:
	ds_read_b32 v11, v10 offset:64
	s_waitcnt lgkmcnt(0)
	v_add_f32_e32 v9, v9, v11
	s_or_b64 exec, exec, s[2:3]
	s_and_saveexec_b64 s[2:3], vcc
	s_cbranch_execz .LBB258_844
.LBB258_856:
	ds_read_b32 v11, v10 offset:128
	s_waitcnt lgkmcnt(0)
	v_add_f32_e32 v6, v6, v11
	s_or_b64 exec, exec, s[2:3]
	s_and_saveexec_b64 s[2:3], vcc
	s_cbranch_execz .LBB258_845
.LBB258_857:
	ds_read_b32 v11, v10 offset:192
	s_waitcnt lgkmcnt(0)
	v_add_f32_e32 v7, v7, v11
	s_or_b64 exec, exec, s[2:3]
	s_and_saveexec_b64 s[2:3], vcc
	s_cbranch_execz .LBB258_846
.LBB258_858:
	ds_read_b32 v11, v10 offset:256
	s_waitcnt lgkmcnt(0)
	v_add_f32_e32 v4, v4, v11
	s_or_b64 exec, exec, s[2:3]
	s_and_saveexec_b64 s[2:3], vcc
	s_cbranch_execz .LBB258_847
.LBB258_859:
	ds_read_b32 v11, v10 offset:320
	s_waitcnt lgkmcnt(0)
	v_add_f32_e32 v5, v5, v11
	s_or_b64 exec, exec, s[2:3]
	s_and_saveexec_b64 s[2:3], vcc
	s_cbranch_execz .LBB258_848
.LBB258_860:
	ds_read_b32 v11, v10 offset:384
	s_waitcnt lgkmcnt(0)
	v_add_f32_e32 v2, v2, v11
	s_or_b64 exec, exec, s[2:3]
	s_and_saveexec_b64 s[2:3], vcc
	s_cbranch_execnz .LBB258_849
	s_branch .LBB258_850
	.section	.rodata,"a",@progbits
	.p2align	6, 0x0
	.amdhsa_kernel _ZN4vllm25paged_attention_v1_kernelIthLi128ELi32ELi128ELNS_18Fp8KVCacheDataTypeE1ELb1EEEvPT_PKS2_PKT0_S8_ifPKiSA_iPKfiiiSC_SC_iiiii
		.amdhsa_group_segment_fixed_size 272
		.amdhsa_private_segment_fixed_size 0
		.amdhsa_kernarg_size 384
		.amdhsa_user_sgpr_count 2
		.amdhsa_user_sgpr_dispatch_ptr 0
		.amdhsa_user_sgpr_queue_ptr 0
		.amdhsa_user_sgpr_kernarg_segment_ptr 1
		.amdhsa_user_sgpr_dispatch_id 0
		.amdhsa_user_sgpr_kernarg_preload_length 0
		.amdhsa_user_sgpr_kernarg_preload_offset 0
		.amdhsa_user_sgpr_private_segment_size 0
		.amdhsa_uses_dynamic_stack 0
		.amdhsa_enable_private_segment 0
		.amdhsa_system_sgpr_workgroup_id_x 1
		.amdhsa_system_sgpr_workgroup_id_y 1
		.amdhsa_system_sgpr_workgroup_id_z 1
		.amdhsa_system_sgpr_workgroup_info 0
		.amdhsa_system_vgpr_workitem_id 0
		.amdhsa_next_free_vgpr 96
		.amdhsa_next_free_sgpr 56
		.amdhsa_accum_offset 96
		.amdhsa_reserve_vcc 1
		.amdhsa_float_round_mode_32 0
		.amdhsa_float_round_mode_16_64 0
		.amdhsa_float_denorm_mode_32 3
		.amdhsa_float_denorm_mode_16_64 3
		.amdhsa_dx10_clamp 1
		.amdhsa_ieee_mode 1
		.amdhsa_fp16_overflow 0
		.amdhsa_tg_split 0
		.amdhsa_exception_fp_ieee_invalid_op 0
		.amdhsa_exception_fp_denorm_src 0
		.amdhsa_exception_fp_ieee_div_zero 0
		.amdhsa_exception_fp_ieee_overflow 0
		.amdhsa_exception_fp_ieee_underflow 0
		.amdhsa_exception_fp_ieee_inexact 0
		.amdhsa_exception_int_div_zero 0
	.end_amdhsa_kernel
	.section	.text._ZN4vllm25paged_attention_v1_kernelIthLi128ELi32ELi128ELNS_18Fp8KVCacheDataTypeE1ELb1EEEvPT_PKS2_PKT0_S8_ifPKiSA_iPKfiiiSC_SC_iiiii,"axG",@progbits,_ZN4vllm25paged_attention_v1_kernelIthLi128ELi32ELi128ELNS_18Fp8KVCacheDataTypeE1ELb1EEEvPT_PKS2_PKT0_S8_ifPKiSA_iPKfiiiSC_SC_iiiii,comdat
.Lfunc_end258:
	.size	_ZN4vllm25paged_attention_v1_kernelIthLi128ELi32ELi128ELNS_18Fp8KVCacheDataTypeE1ELb1EEEvPT_PKS2_PKT0_S8_ifPKiSA_iPKfiiiSC_SC_iiiii, .Lfunc_end258-_ZN4vllm25paged_attention_v1_kernelIthLi128ELi32ELi128ELNS_18Fp8KVCacheDataTypeE1ELb1EEEvPT_PKS2_PKT0_S8_ifPKiSA_iPKfiiiSC_SC_iiiii
                                        ; -- End function
	.set _ZN4vllm25paged_attention_v1_kernelIthLi128ELi32ELi128ELNS_18Fp8KVCacheDataTypeE1ELb1EEEvPT_PKS2_PKT0_S8_ifPKiSA_iPKfiiiSC_SC_iiiii.num_vgpr, 96
	.set _ZN4vllm25paged_attention_v1_kernelIthLi128ELi32ELi128ELNS_18Fp8KVCacheDataTypeE1ELb1EEEvPT_PKS2_PKT0_S8_ifPKiSA_iPKfiiiSC_SC_iiiii.num_agpr, 0
	.set _ZN4vllm25paged_attention_v1_kernelIthLi128ELi32ELi128ELNS_18Fp8KVCacheDataTypeE1ELb1EEEvPT_PKS2_PKT0_S8_ifPKiSA_iPKfiiiSC_SC_iiiii.numbered_sgpr, 56
	.set _ZN4vllm25paged_attention_v1_kernelIthLi128ELi32ELi128ELNS_18Fp8KVCacheDataTypeE1ELb1EEEvPT_PKS2_PKT0_S8_ifPKiSA_iPKfiiiSC_SC_iiiii.num_named_barrier, 0
	.set _ZN4vllm25paged_attention_v1_kernelIthLi128ELi32ELi128ELNS_18Fp8KVCacheDataTypeE1ELb1EEEvPT_PKS2_PKT0_S8_ifPKiSA_iPKfiiiSC_SC_iiiii.private_seg_size, 0
	.set _ZN4vllm25paged_attention_v1_kernelIthLi128ELi32ELi128ELNS_18Fp8KVCacheDataTypeE1ELb1EEEvPT_PKS2_PKT0_S8_ifPKiSA_iPKfiiiSC_SC_iiiii.uses_vcc, 1
	.set _ZN4vllm25paged_attention_v1_kernelIthLi128ELi32ELi128ELNS_18Fp8KVCacheDataTypeE1ELb1EEEvPT_PKS2_PKT0_S8_ifPKiSA_iPKfiiiSC_SC_iiiii.uses_flat_scratch, 0
	.set _ZN4vllm25paged_attention_v1_kernelIthLi128ELi32ELi128ELNS_18Fp8KVCacheDataTypeE1ELb1EEEvPT_PKS2_PKT0_S8_ifPKiSA_iPKfiiiSC_SC_iiiii.has_dyn_sized_stack, 0
	.set _ZN4vllm25paged_attention_v1_kernelIthLi128ELi32ELi128ELNS_18Fp8KVCacheDataTypeE1ELb1EEEvPT_PKS2_PKT0_S8_ifPKiSA_iPKfiiiSC_SC_iiiii.has_recursion, 0
	.set _ZN4vllm25paged_attention_v1_kernelIthLi128ELi32ELi128ELNS_18Fp8KVCacheDataTypeE1ELb1EEEvPT_PKS2_PKT0_S8_ifPKiSA_iPKfiiiSC_SC_iiiii.has_indirect_call, 0
	.section	.AMDGPU.csdata,"",@progbits
; Kernel info:
; codeLenInByte = 36992
; TotalNumSgprs: 62
; NumVgprs: 96
; NumAgprs: 0
; TotalNumVgprs: 96
; ScratchSize: 0
; MemoryBound: 0
; FloatMode: 240
; IeeeMode: 1
; LDSByteSize: 272 bytes/workgroup (compile time only)
; SGPRBlocks: 7
; VGPRBlocks: 11
; NumSGPRsForWavesPerEU: 62
; NumVGPRsForWavesPerEU: 96
; AccumOffset: 96
; Occupancy: 5
; WaveLimiterHint : 1
; COMPUTE_PGM_RSRC2:SCRATCH_EN: 0
; COMPUTE_PGM_RSRC2:USER_SGPR: 2
; COMPUTE_PGM_RSRC2:TRAP_HANDLER: 0
; COMPUTE_PGM_RSRC2:TGID_X_EN: 1
; COMPUTE_PGM_RSRC2:TGID_Y_EN: 1
; COMPUTE_PGM_RSRC2:TGID_Z_EN: 1
; COMPUTE_PGM_RSRC2:TIDIG_COMP_CNT: 0
; COMPUTE_PGM_RSRC3_GFX90A:ACCUM_OFFSET: 23
; COMPUTE_PGM_RSRC3_GFX90A:TG_SPLIT: 0
	.section	.text._ZN4vllm25paged_attention_v1_kernelIthLi192ELi32ELi128ELNS_18Fp8KVCacheDataTypeE1ELb1EEEvPT_PKS2_PKT0_S8_ifPKiSA_iPKfiiiSC_SC_iiiii,"axG",@progbits,_ZN4vllm25paged_attention_v1_kernelIthLi192ELi32ELi128ELNS_18Fp8KVCacheDataTypeE1ELb1EEEvPT_PKS2_PKT0_S8_ifPKiSA_iPKfiiiSC_SC_iiiii,comdat
	.protected	_ZN4vllm25paged_attention_v1_kernelIthLi192ELi32ELi128ELNS_18Fp8KVCacheDataTypeE1ELb1EEEvPT_PKS2_PKT0_S8_ifPKiSA_iPKfiiiSC_SC_iiiii ; -- Begin function _ZN4vllm25paged_attention_v1_kernelIthLi192ELi32ELi128ELNS_18Fp8KVCacheDataTypeE1ELb1EEEvPT_PKS2_PKT0_S8_ifPKiSA_iPKfiiiSC_SC_iiiii
	.globl	_ZN4vllm25paged_attention_v1_kernelIthLi192ELi32ELi128ELNS_18Fp8KVCacheDataTypeE1ELb1EEEvPT_PKS2_PKT0_S8_ifPKiSA_iPKfiiiSC_SC_iiiii
	.p2align	8
	.type	_ZN4vllm25paged_attention_v1_kernelIthLi192ELi32ELi128ELNS_18Fp8KVCacheDataTypeE1ELb1EEEvPT_PKS2_PKT0_S8_ifPKiSA_iPKfiiiSC_SC_iiiii,@function
_ZN4vllm25paged_attention_v1_kernelIthLi192ELi32ELi128ELNS_18Fp8KVCacheDataTypeE1ELb1EEEvPT_PKS2_PKT0_S8_ifPKiSA_iPKfiiiSC_SC_iiiii: ; @_ZN4vllm25paged_attention_v1_kernelIthLi192ELi32ELi128ELNS_18Fp8KVCacheDataTypeE1ELb1EEEvPT_PKS2_PKT0_S8_ifPKiSA_iPKfiiiSC_SC_iiiii
; %bb.0:
	s_load_dword s5, s[0:1], 0x80
	s_load_dwordx2 s[6:7], s[0:1], 0x30
	s_load_dwordx2 s[36:37], s[0:1], 0x20
	s_mov_b32 s10, s3
	s_ashr_i32 s11, s3, 31
	s_lshl_b64 s[8:9], s[10:11], 2
	s_waitcnt lgkmcnt(0)
	s_add_u32 s6, s6, s8
	s_addc_u32 s7, s7, s9
	s_abs_i32 s3, s36
	v_cvt_f32_u32_e32 v1, s3
	s_sub_i32 s11, 0, s3
	s_abs_i32 s9, s5
	s_xor_b32 s8, s5, s36
	v_rcp_iflag_f32_e32 v1, v1
	s_ashr_i32 s8, s8, 31
	s_mov_b32 s56, 0
	v_mul_f32_e32 v1, 0x4f7ffffe, v1
	v_cvt_u32_f32_e32 v1, v1
	s_nop 0
	v_readfirstlane_b32 s12, v1
	s_mul_i32 s11, s11, s12
	s_mul_hi_u32 s11, s12, s11
	s_add_i32 s12, s12, s11
	s_mul_hi_u32 s11, s9, s12
	s_mul_i32 s12, s11, s3
	s_sub_i32 s9, s9, s12
	s_add_i32 s12, s11, 1
	s_sub_i32 s13, s9, s3
	s_cmp_ge_u32 s9, s3
	s_cselect_b32 s11, s12, s11
	s_cselect_b32 s9, s13, s9
	s_add_i32 s12, s11, 1
	s_cmp_ge_u32 s9, s3
	s_cselect_b32 s3, s12, s11
	s_xor_b32 s3, s3, s8
	s_sub_i32 s14, s3, s8
	s_abs_i32 s11, s14
	v_cvt_f32_u32_e32 v1, s11
	s_load_dwordx2 s[8:9], s[0:1], 0x40
	s_sub_i32 s3, 0, s11
	s_abs_i32 s12, s2
	v_rcp_iflag_f32_e32 v1, v1
	s_nop 0
	v_mul_f32_e32 v1, 0x4f7ffffe, v1
	v_cvt_u32_f32_e32 v1, v1
	s_nop 0
	v_readfirstlane_b32 s13, v1
	s_mul_i32 s3, s3, s13
	s_mul_hi_u32 s3, s13, s3
	s_add_i32 s13, s13, s3
	s_waitcnt lgkmcnt(0)
	s_cmp_eq_u64 s[8:9], 0
	s_mul_hi_u32 s13, s12, s13
	s_cbranch_scc1 .LBB259_2
; %bb.1:
	s_ashr_i32 s3, s2, 31
	s_lshl_b64 s[16:17], s[2:3], 2
	s_add_u32 s8, s8, s16
	s_addc_u32 s9, s9, s17
	s_load_dword s56, s[8:9], 0x0
.LBB259_2:
	s_load_dword s33, s[6:7], 0x0
	s_load_dwordx4 s[16:19], s[0:1], 0x48
	s_ashr_i32 s3, s2, 31
	s_ashr_i32 s9, s14, 31
	v_and_b32_e32 v7, 1, v0
	s_movk_i32 s8, 0xc0
	s_mul_i32 s24, s2, 0xc0
	v_cmp_gt_u32_e32 vcc, 48, v0
	v_lshlrev_b32_e32 v16, 3, v0
	s_and_saveexec_b64 s[6:7], vcc
	s_cbranch_execz .LBB259_4
; %bb.3:
	s_load_dwordx2 s[14:15], s[0:1], 0x8
	s_waitcnt lgkmcnt(0)
	s_mul_i32 s20, s16, s10
	s_ashr_i32 s21, s20, 31
	s_lshl_b64 s[20:21], s[20:21], 1
	v_lshlrev_b32_e32 v4, 2, v0
	s_add_u32 s16, s14, s20
	s_addc_u32 s19, s15, s21
	s_ashr_i32 s25, s24, 31
	s_lshl_b64 s[14:15], s[24:25], 1
	s_add_u32 s14, s16, s14
	s_addc_u32 s15, s19, s15
	global_load_dwordx2 v[2:3], v16, s[14:15]
	v_and_b32_e32 v4, 0xff8, v4
	v_mad_u32_u24 v4, v7, s8, v4
	s_waitcnt vmcnt(0)
	ds_write_b64 v4, v[2:3]
.LBB259_4:
	s_or_b64 exec, exec, s[6:7]
	s_mul_i32 s6, s13, s11
	s_sub_i32 s6, s12, s6
	s_xor_b32 s3, s3, s9
	s_add_i32 s7, s13, 1
	s_sub_i32 s9, s6, s11
	s_load_dwordx4 s[20:23], s[0:1], 0x68
	s_load_dword s8, s[0:1], 0x78
	s_cmp_ge_u32 s6, s11
	s_cselect_b32 s7, s7, s13
	s_cselect_b32 s6, s9, s6
	s_add_i32 s9, s7, 1
	s_cmp_ge_u32 s6, s11
	s_cselect_b32 s6, s9, s7
	s_waitcnt lgkmcnt(0)
	s_abs_i32 s25, s23
	v_cvt_f32_u32_e32 v2, s25
	s_xor_b32 s6, s6, s3
	s_sub_i32 s3, s6, s3
	s_sub_i32 s6, 0, s25
	v_rcp_iflag_f32_e32 v2, v2
	s_add_i32 s11, s33, -1
	s_abs_i32 s9, s11
	v_mul_f32_e32 v2, 0x4f7ffffe, v2
	v_cvt_u32_f32_e32 v2, v2
	s_barrier
	v_readfirstlane_b32 s54, v2
	s_mul_i32 s6, s6, s54
	s_mul_hi_u32 s6, s54, s6
	s_add_i32 s54, s54, s6
	s_cmp_lt_i32 s8, 0
	s_mul_hi_u32 s16, s9, s54
	s_cbranch_scc0 .LBB259_6
; %bb.5:
	s_mul_i32 s6, s20, s36
	s_add_i32 s6, s3, s6
	s_mul_i32 s6, s6, s8
	s_sub_i32 s36, 1, s6
	s_mov_b64 s[6:7], 0
	s_branch .LBB259_7
.LBB259_6:
	s_mov_b64 s[6:7], -1
                                        ; implicit-def: $sgpr36
.LBB259_7:
	s_load_dwordx2 s[28:29], s[0:1], 0x28
	s_ashr_i32 s19, s11, 31
	s_andn2_b64 vcc, exec, s[6:7]
	s_ashr_i32 s23, s23, 31
	s_cbranch_vccnz .LBB259_9
; %bb.8:
	s_mul_i32 s6, s5, s20
	s_add_i32 s2, s6, s2
	s_mul_i32 s2, s2, s8
	s_add_i32 s36, s2, 1
.LBB259_9:
	s_load_dword s2, s[0:1], 0x38
	s_load_dwordx2 s[26:27], s[0:1], 0x0
	s_load_dwordx2 s[34:35], s[0:1], 0x18
	s_load_dword s11, s[0:1], 0x88
	s_load_dwordx4 s[12:15], s[0:1], 0x58
	s_mul_i32 s6, s16, s25
	s_waitcnt lgkmcnt(0)
	s_mul_i32 s30, s2, s10
	s_sub_i32 s6, s9, s6
	s_ashr_i32 s31, s30, 31
	s_xor_b32 s2, s19, s23
	s_add_i32 s7, s16, 1
	s_sub_i32 s8, s6, s25
	s_cmp_ge_u32 s6, s25
	s_cselect_b32 s7, s7, s16
	s_cselect_b32 s6, s8, s6
	s_add_i32 s8, s7, 1
	s_cmp_ge_u32 s6, s25
	s_cselect_b32 s6, s8, s7
	s_xor_b32 s6, s6, s2
	s_sub_i32 s16, s6, s2
	s_add_i32 s2, s33, 31
	s_ashr_i32 s6, s2, 31
	s_lshr_b32 s6, s6, 27
	s_add_i32 s2, s2, s6
	s_ashr_i32 s55, s2, 5
	v_lshrrev_b32_e32 v32, 6, v0
	v_cmp_gt_i32_e64 s[6:7], s55, v32
	v_mov_b32_e32 v22, 0xff7fffff
	s_mul_i32 s20, s3, s18
	v_lshrrev_b32_e32 v18, 4, v0
	v_lshlrev_b32_e32 v33, 5, v32
	v_mbcnt_lo_u32_b32 v1, -1, 0
	s_and_saveexec_b64 s[18:19], s[6:7]
	s_cbranch_execz .LBB259_597
; %bb.10:
	s_load_dwordx2 s[0:1], s[0:1], 0x10
	s_sub_i32 s57, s16, s21
	s_ashr_i32 s2, s20, 31
	v_bfe_u32 v12, v0, 1, 5
	v_lshlrev_b32_e32 v2, 4, v12
	s_waitcnt lgkmcnt(0)
	s_add_u32 s0, s0, s20
	s_addc_u32 s1, s1, s2
	s_abs_i32 s59, s22
	v_cvt_f32_u32_e32 v8, s59
	v_mov_b32_e32 v3, 0
	v_lshl_add_u64 v[4:5], s[0:1], 0, v[2:3]
	s_sub_i32 s0, 0, s59
	v_rcp_iflag_f32_e32 v2, v8
	v_lshlrev_b32_e32 v6, 2, v7
	v_cmp_eq_u32_e32 vcc, 0, v7
	s_mov_b32 s58, s17
	v_mul_f32_e32 v2, 0x4f7ffffe, v2
	v_cvt_u32_f32_e32 v2, v2
	v_mul_u32_u24_e32 v20, 0xc0, v7
	v_cmp_neq_f32_e64 s[2:3], s56, 0
	v_mov_b32_e32 v7, v3
	v_mul_lo_u32 v10, s0, v2
	s_lshl_b64 s[0:1], s[30:31], 2
	v_mul_hi_u32 v10, v2, v10
	s_add_u32 s0, s28, s0
	v_add_u32_e32 v21, v2, v10
	v_and_b32_e32 v2, 60, v18
	s_addc_u32 s1, s29, s1
	v_lshl_add_u64 v[10:11], s[0:1], 0, v[2:3]
	v_subrev_u32_e32 v2, s33, v12
	v_add_u32_e32 v2, 1, v2
	scratch_store_dword off, v2, off        ; 4-byte Folded Spill
	v_lshlrev_b32_e32 v2, 2, v12
	v_lshl_or_b32 v2, v32, 7, v2
	v_or_b32_e32 v8, 8, v6
	v_mov_b32_e32 v9, v3
	v_lshlrev_b32_e32 v23, 5, v32
	v_add_u32_e32 v25, 0x190, v2
	s_mov_b64 s[38:39], 0
	s_movk_i32 s60, 0x80
	s_movk_i32 s61, 0x7f
	s_mov_b32 s62, 0x8000
	s_mov_b32 s63, 0xffffff
	s_mov_b64 s[40:41], 0x1000
	s_mov_b64 s[42:43], 0x1200
	;; [unrolled: 1-line block ×4, first 2 shown]
	v_mov_b32_e32 v26, 0x2000
	v_mbcnt_hi_u32_b32 v27, -1, v1
	v_mov_b32_e32 v22, 0xff7fffff
	v_mov_b32_e32 v28, v32
	s_branch .LBB259_13
.LBB259_11:                             ;   in Loop: Header=BB259_13 Depth=1
	s_or_b64 exec, exec, s[48:49]
.LBB259_12:                             ;   in Loop: Header=BB259_13 Depth=1
	s_or_b64 exec, exec, s[8:9]
	v_add_u32_e32 v28, 2, v28
	v_cmp_le_i32_e64 s[0:1], s55, v28
	v_lshl_add_u64 v[10:11], v[10:11], 0, 8
	v_add_u32_e32 v23, 64, v23
	s_or_b64 s[38:39], s[0:1], s[38:39]
	v_add_u32_e32 v25, 0x100, v25
	s_andn2_b64 exec, exec, s[38:39]
	s_cbranch_execz .LBB259_596
.LBB259_13:                             ; =>This Inner Loop Header: Depth=1
	v_mul_hi_u32 v2, v23, s54
	s_waitcnt lgkmcnt(0)
	v_mul_lo_u32 v12, v2, s25
	v_sub_u32_e32 v12, v23, v12
	v_add_u32_e32 v13, 1, v2
	v_cmp_le_u32_e64 s[0:1], s25, v12
	s_nop 1
	v_cndmask_b32_e64 v2, v2, v13, s[0:1]
	v_subrev_u32_e32 v13, s25, v12
	v_cndmask_b32_e64 v12, v12, v13, s[0:1]
	v_add_u32_e32 v13, 1, v2
	v_cmp_le_u32_e64 s[0:1], s25, v12
	s_nop 1
	v_cndmask_b32_e64 v2, v2, v13, s[0:1]
	v_xor_b32_e32 v2, s23, v2
	v_subrev_u32_e32 v2, s23, v2
	v_add_u32_e32 v12, s36, v2
	v_sub_u32_e32 v14, 0, v12
	v_ashrrev_i32_e32 v13, 31, v12
	v_max_i32_e32 v12, v12, v14
	v_mul_hi_u32 v14, v12, v21
	v_mul_lo_u32 v14, v14, s59
	v_sub_u32_e32 v12, v12, v14
	v_subrev_u32_e32 v14, s59, v12
	v_cmp_le_u32_e64 s[0:1], s59, v12
	v_cmp_ge_i32_e64 s[8:9], s57, v2
	s_nop 0
	v_cndmask_b32_e64 v12, v12, v14, s[0:1]
	v_subrev_u32_e32 v14, s59, v12
	v_cmp_le_u32_e64 s[0:1], s59, v12
	s_nop 1
	v_cndmask_b32_e64 v12, v12, v14, s[0:1]
	v_xor_b32_e32 v12, v12, v13
	v_sub_u32_e32 v12, v12, v13
	v_cmp_ne_u32_e64 s[0:1], 0, v12
	s_and_b64 s[0:1], s[0:1], s[8:9]
	s_and_saveexec_b64 s[8:9], s[0:1]
	s_xor_b64 s[0:1], exec, s[8:9]
	s_cbranch_execz .LBB259_17
; %bb.14:                               ;   in Loop: Header=BB259_13 Depth=1
	s_and_saveexec_b64 s[8:9], vcc
; %bb.15:                               ;   in Loop: Header=BB259_13 Depth=1
	v_mov_b32_e32 v2, 0xff7fffff
	ds_write_b32 v25, v2
; %bb.16:                               ;   in Loop: Header=BB259_13 Depth=1
	s_or_b64 exec, exec, s[8:9]
.LBB259_17:                             ;   in Loop: Header=BB259_13 Depth=1
	s_andn2_saveexec_b64 s[8:9], s[0:1]
	s_cbranch_execz .LBB259_12
; %bb.18:                               ;   in Loop: Header=BB259_13 Depth=1
	global_load_dword v2, v[10:11], off
	v_mov_b32_e32 v30, 0
	global_load_dword v29, v30, s[12:13]
	v_mov_b32_e32 v31, 0
	s_waitcnt vmcnt(1)
	v_mad_i64_i32 v[12:13], s[0:1], v2, s58, v[4:5]
	v_lshl_add_u64 v[14:15], v[12:13], 0, v[6:7]
	global_load_dword v16, v[14:15], off
	s_waitcnt vmcnt(0)
	v_cmp_ne_u16_sdwa s[0:1], v16, v3 src0_sel:BYTE_0 src1_sel:DWORD
	s_and_saveexec_b64 s[48:49], s[0:1]
	s_cbranch_execz .LBB259_24
; %bb.19:                               ;   in Loop: Header=BB259_13 Depth=1
	v_cmp_ne_u16_sdwa s[0:1], v16, s60 src0_sel:BYTE_0 src1_sel:DWORD
	v_mov_b32_e32 v31, 0x8000
	s_and_saveexec_b64 s[50:51], s[0:1]
	s_cbranch_execz .LBB259_23
; %bb.20:                               ;   in Loop: Header=BB259_13 Depth=1
	v_and_b32_e32 v2, 0x7f, v16
	v_cmp_ne_u32_e64 s[0:1], s61, v2
	v_mov_b32_e32 v31, 0x7c01
	s_and_saveexec_b64 s[52:53], s[0:1]
	s_cbranch_execz .LBB259_22
; %bb.21:                               ;   in Loop: Header=BB259_13 Depth=1
	v_and_b32_e32 v31, 7, v16
	v_ffbh_u32_e32 v34, v31
	v_min_u32_e32 v37, 32, v34
	v_subrev_u32_e32 v34, 28, v37
	v_lshlrev_b64 v[34:35], v34, v[16:17]
	v_lshrrev_b32_e32 v36, 3, v2
	v_sub_u32_e32 v35, 29, v37
	v_cmp_gt_u32_e64 s[0:1], 8, v2
	v_and_b32_e32 v34, 7, v34
	s_nop 0
	v_cndmask_b32_e64 v2, v36, v35, s[0:1]
	v_lshl_add_u32 v2, v2, 10, v26
	v_lshlrev_b32_e32 v35, 8, v16
	v_and_b32_e32 v2, 0xfc00, v2
	v_cndmask_b32_e64 v31, v31, v34, s[0:1]
	v_and_or_b32 v2, v35, s62, v2
	v_lshl_or_b32 v31, v31, 7, v2
.LBB259_22:                             ;   in Loop: Header=BB259_13 Depth=1
	s_or_b64 exec, exec, s[52:53]
.LBB259_23:                             ;   in Loop: Header=BB259_13 Depth=1
	s_or_b64 exec, exec, s[50:51]
.LBB259_24:                             ;   in Loop: Header=BB259_13 Depth=1
	s_or_b64 exec, exec, s[48:49]
	v_lshrrev_b16_e32 v2, 8, v16
	v_cmp_ne_u16_e64 s[0:1], 0, v2
	s_and_saveexec_b64 s[48:49], s[0:1]
	s_cbranch_execz .LBB259_30
; %bb.25:                               ;   in Loop: Header=BB259_13 Depth=1
	v_cmp_ne_u16_e64 s[0:1], s60, v2
	v_bfrev_b32_e32 v30, 1
	s_and_saveexec_b64 s[50:51], s[0:1]
	s_cbranch_execz .LBB259_29
; %bb.26:                               ;   in Loop: Header=BB259_13 Depth=1
	v_and_b32_e32 v34, 0x7f, v2
	v_cmp_ne_u32_e64 s[0:1], s61, v34
	v_mov_b32_e32 v30, 0x7c010000
	s_and_saveexec_b64 s[52:53], s[0:1]
	s_cbranch_execz .LBB259_28
; %bb.27:                               ;   in Loop: Header=BB259_13 Depth=1
	v_and_b32_e32 v30, 7, v2
	v_ffbh_u32_e32 v36, v30
	v_min_u32_e32 v38, 32, v36
	v_subrev_u32_e32 v36, 28, v38
	v_lshlrev_b64 v[36:37], v36, v[2:3]
	v_lshrrev_b32_e32 v35, 3, v34
	v_sub_u32_e32 v37, 29, v38
	v_cmp_gt_u32_e64 s[0:1], 8, v34
	v_lshlrev_b32_e32 v2, 8, v2
	s_nop 0
	v_cndmask_b32_e64 v34, v35, v37, s[0:1]
	v_lshl_add_u32 v34, v34, 10, v26
	v_and_b32_e32 v35, 7, v36
	v_and_or_b32 v2, v2, s62, v34
	v_cndmask_b32_e64 v30, v30, v35, s[0:1]
	v_lshlrev_b32_e32 v2, 16, v2
	v_lshl_or_b32 v30, v30, 23, v2
.LBB259_28:                             ;   in Loop: Header=BB259_13 Depth=1
	s_or_b64 exec, exec, s[52:53]
.LBB259_29:                             ;   in Loop: Header=BB259_13 Depth=1
	s_or_b64 exec, exec, s[50:51]
.LBB259_30:                             ;   in Loop: Header=BB259_13 Depth=1
	s_or_b64 exec, exec, s[48:49]
	v_lshrrev_b32_e32 v2, 16, v16
	v_cmp_ne_u16_sdwa s[0:1], v2, v3 src0_sel:BYTE_0 src1_sel:DWORD
	v_mov_b32_e32 v34, 0
	v_mov_b32_e32 v35, 0
	s_and_saveexec_b64 s[48:49], s[0:1]
	s_cbranch_execz .LBB259_36
; %bb.31:                               ;   in Loop: Header=BB259_13 Depth=1
	v_cmp_ne_u16_sdwa s[0:1], v2, s60 src0_sel:BYTE_0 src1_sel:DWORD
	v_mov_b32_e32 v35, 0x8000
	s_and_saveexec_b64 s[50:51], s[0:1]
	s_cbranch_execz .LBB259_35
; %bb.32:                               ;   in Loop: Header=BB259_13 Depth=1
	v_bfe_u32 v36, v16, 16, 7
	v_cmp_ne_u32_e64 s[0:1], s61, v36
	v_mov_b32_e32 v35, 0x7c01
	s_and_saveexec_b64 s[52:53], s[0:1]
	s_cbranch_execz .LBB259_34
; %bb.33:                               ;   in Loop: Header=BB259_13 Depth=1
	v_and_b32_e32 v35, 7, v2
	v_ffbh_u32_e32 v38, v35
	v_min_u32_e32 v40, 32, v38
	v_subrev_u32_e32 v38, 28, v40
	v_lshlrev_b64 v[38:39], v38, v[2:3]
	v_lshrrev_b32_e32 v37, 3, v36
	v_sub_u32_e32 v39, 29, v40
	v_cmp_gt_u32_e64 s[0:1], 8, v36
	v_lshlrev_b32_e32 v2, 8, v2
	s_nop 0
	v_cndmask_b32_e64 v36, v37, v39, s[0:1]
	v_lshl_add_u32 v36, v36, 10, v26
	v_and_b32_e32 v37, 7, v38
	v_and_b32_e32 v36, 0xfc00, v36
	v_cndmask_b32_e64 v35, v35, v37, s[0:1]
	v_and_or_b32 v2, v2, s62, v36
	v_lshl_or_b32 v35, v35, 7, v2
.LBB259_34:                             ;   in Loop: Header=BB259_13 Depth=1
	s_or_b64 exec, exec, s[52:53]
.LBB259_35:                             ;   in Loop: Header=BB259_13 Depth=1
	s_or_b64 exec, exec, s[50:51]
.LBB259_36:                             ;   in Loop: Header=BB259_13 Depth=1
	s_or_b64 exec, exec, s[48:49]
	v_cmp_lt_u32_e64 s[0:1], s63, v16
	s_and_saveexec_b64 s[48:49], s[0:1]
	s_cbranch_execz .LBB259_42
; %bb.37:                               ;   in Loop: Header=BB259_13 Depth=1
	v_lshrrev_b32_e32 v2, 24, v16
	v_cmp_ne_u32_e64 s[0:1], s60, v2
	v_bfrev_b32_e32 v34, 1
	s_and_saveexec_b64 s[50:51], s[0:1]
	s_cbranch_execz .LBB259_41
; %bb.38:                               ;   in Loop: Header=BB259_13 Depth=1
	v_and_b32_e32 v16, 0x7f, v2
	v_cmp_ne_u32_e64 s[0:1], s61, v16
	v_mov_b32_e32 v34, 0x7c010000
	s_and_saveexec_b64 s[52:53], s[0:1]
	s_cbranch_execz .LBB259_40
; %bb.39:                               ;   in Loop: Header=BB259_13 Depth=1
	v_and_b32_e32 v34, 7, v2
	v_ffbh_u32_e32 v36, v34
	v_min_u32_e32 v39, 32, v36
	v_subrev_u32_e32 v36, 28, v39
	v_lshlrev_b64 v[36:37], v36, v[2:3]
	v_lshrrev_b32_e32 v38, 3, v16
	v_sub_u32_e32 v37, 29, v39
	v_cmp_gt_u32_e64 s[0:1], 8, v16
	v_lshlrev_b32_e32 v2, 8, v2
	v_and_b32_e32 v36, 7, v36
	v_cndmask_b32_e64 v16, v38, v37, s[0:1]
	v_lshl_add_u32 v16, v16, 10, v26
	v_and_or_b32 v2, v2, s62, v16
	v_cndmask_b32_e64 v34, v34, v36, s[0:1]
	v_lshlrev_b32_e32 v2, 16, v2
	v_lshl_or_b32 v34, v34, 23, v2
.LBB259_40:                             ;   in Loop: Header=BB259_13 Depth=1
	s_or_b64 exec, exec, s[52:53]
.LBB259_41:                             ;   in Loop: Header=BB259_13 Depth=1
	s_or_b64 exec, exec, s[50:51]
.LBB259_42:                             ;   in Loop: Header=BB259_13 Depth=1
	s_or_b64 exec, exec, s[48:49]
	global_load_dword v16, v[14:15], off offset:8
	v_mov_b32_e32 v36, 0
	v_mov_b32_e32 v37, 0
	s_waitcnt vmcnt(0)
	v_cmp_ne_u16_sdwa s[0:1], v16, v3 src0_sel:BYTE_0 src1_sel:DWORD
	s_and_saveexec_b64 s[48:49], s[0:1]
	s_cbranch_execz .LBB259_48
; %bb.43:                               ;   in Loop: Header=BB259_13 Depth=1
	v_cmp_ne_u16_sdwa s[0:1], v16, s60 src0_sel:BYTE_0 src1_sel:DWORD
	v_mov_b32_e32 v37, 0x8000
	s_and_saveexec_b64 s[50:51], s[0:1]
	s_cbranch_execz .LBB259_47
; %bb.44:                               ;   in Loop: Header=BB259_13 Depth=1
	v_and_b32_e32 v2, 0x7f, v16
	v_cmp_ne_u32_e64 s[0:1], s61, v2
	v_mov_b32_e32 v37, 0x7c01
	s_and_saveexec_b64 s[52:53], s[0:1]
	s_cbranch_execz .LBB259_46
; %bb.45:                               ;   in Loop: Header=BB259_13 Depth=1
	v_and_b32_e32 v37, 7, v16
	v_ffbh_u32_e32 v38, v37
	v_min_u32_e32 v41, 32, v38
	v_subrev_u32_e32 v38, 28, v41
	v_lshlrev_b64 v[38:39], v38, v[16:17]
	v_lshrrev_b32_e32 v40, 3, v2
	v_sub_u32_e32 v39, 29, v41
	v_cmp_gt_u32_e64 s[0:1], 8, v2
	v_and_b32_e32 v38, 7, v38
	s_nop 0
	v_cndmask_b32_e64 v2, v40, v39, s[0:1]
	v_lshl_add_u32 v2, v2, 10, v26
	v_lshlrev_b32_e32 v39, 8, v16
	v_and_b32_e32 v2, 0xfc00, v2
	v_cndmask_b32_e64 v37, v37, v38, s[0:1]
	v_and_or_b32 v2, v39, s62, v2
	v_lshl_or_b32 v37, v37, 7, v2
.LBB259_46:                             ;   in Loop: Header=BB259_13 Depth=1
	s_or_b64 exec, exec, s[52:53]
.LBB259_47:                             ;   in Loop: Header=BB259_13 Depth=1
	s_or_b64 exec, exec, s[50:51]
.LBB259_48:                             ;   in Loop: Header=BB259_13 Depth=1
	s_or_b64 exec, exec, s[48:49]
	v_lshrrev_b16_e32 v2, 8, v16
	v_cmp_ne_u16_e64 s[0:1], 0, v2
	s_and_saveexec_b64 s[48:49], s[0:1]
	s_cbranch_execz .LBB259_54
; %bb.49:                               ;   in Loop: Header=BB259_13 Depth=1
	v_cmp_ne_u16_e64 s[0:1], s60, v2
	v_bfrev_b32_e32 v36, 1
	s_and_saveexec_b64 s[50:51], s[0:1]
	s_cbranch_execz .LBB259_53
; %bb.50:                               ;   in Loop: Header=BB259_13 Depth=1
	v_and_b32_e32 v38, 0x7f, v2
	v_cmp_ne_u32_e64 s[0:1], s61, v38
	v_mov_b32_e32 v36, 0x7c010000
	s_and_saveexec_b64 s[52:53], s[0:1]
	s_cbranch_execz .LBB259_52
; %bb.51:                               ;   in Loop: Header=BB259_13 Depth=1
	v_and_b32_e32 v36, 7, v2
	v_ffbh_u32_e32 v40, v36
	v_min_u32_e32 v42, 32, v40
	v_subrev_u32_e32 v40, 28, v42
	v_lshlrev_b64 v[40:41], v40, v[2:3]
	v_lshrrev_b32_e32 v39, 3, v38
	v_sub_u32_e32 v41, 29, v42
	v_cmp_gt_u32_e64 s[0:1], 8, v38
	v_lshlrev_b32_e32 v2, 8, v2
	s_nop 0
	v_cndmask_b32_e64 v38, v39, v41, s[0:1]
	v_lshl_add_u32 v38, v38, 10, v26
	v_and_b32_e32 v39, 7, v40
	v_and_or_b32 v2, v2, s62, v38
	v_cndmask_b32_e64 v36, v36, v39, s[0:1]
	v_lshlrev_b32_e32 v2, 16, v2
	v_lshl_or_b32 v36, v36, 23, v2
.LBB259_52:                             ;   in Loop: Header=BB259_13 Depth=1
	s_or_b64 exec, exec, s[52:53]
.LBB259_53:                             ;   in Loop: Header=BB259_13 Depth=1
	s_or_b64 exec, exec, s[50:51]
.LBB259_54:                             ;   in Loop: Header=BB259_13 Depth=1
	s_or_b64 exec, exec, s[48:49]
	v_lshrrev_b32_e32 v2, 16, v16
	v_cmp_ne_u16_sdwa s[0:1], v2, v3 src0_sel:BYTE_0 src1_sel:DWORD
	v_mov_b32_e32 v38, 0
	v_mov_b32_e32 v39, 0
	s_and_saveexec_b64 s[48:49], s[0:1]
	s_cbranch_execz .LBB259_60
; %bb.55:                               ;   in Loop: Header=BB259_13 Depth=1
	v_cmp_ne_u16_sdwa s[0:1], v2, s60 src0_sel:BYTE_0 src1_sel:DWORD
	v_mov_b32_e32 v39, 0x8000
	s_and_saveexec_b64 s[50:51], s[0:1]
	s_cbranch_execz .LBB259_59
; %bb.56:                               ;   in Loop: Header=BB259_13 Depth=1
	v_bfe_u32 v40, v16, 16, 7
	v_cmp_ne_u32_e64 s[0:1], s61, v40
	v_mov_b32_e32 v39, 0x7c01
	s_and_saveexec_b64 s[52:53], s[0:1]
	s_cbranch_execz .LBB259_58
; %bb.57:                               ;   in Loop: Header=BB259_13 Depth=1
	v_and_b32_e32 v39, 7, v2
	v_ffbh_u32_e32 v42, v39
	v_min_u32_e32 v44, 32, v42
	v_subrev_u32_e32 v42, 28, v44
	v_lshlrev_b64 v[42:43], v42, v[2:3]
	v_lshrrev_b32_e32 v41, 3, v40
	v_sub_u32_e32 v43, 29, v44
	v_cmp_gt_u32_e64 s[0:1], 8, v40
	v_lshlrev_b32_e32 v2, 8, v2
	s_nop 0
	v_cndmask_b32_e64 v40, v41, v43, s[0:1]
	v_lshl_add_u32 v40, v40, 10, v26
	v_and_b32_e32 v41, 7, v42
	v_and_b32_e32 v40, 0xfc00, v40
	v_cndmask_b32_e64 v39, v39, v41, s[0:1]
	v_and_or_b32 v2, v2, s62, v40
	v_lshl_or_b32 v39, v39, 7, v2
.LBB259_58:                             ;   in Loop: Header=BB259_13 Depth=1
	s_or_b64 exec, exec, s[52:53]
.LBB259_59:                             ;   in Loop: Header=BB259_13 Depth=1
	s_or_b64 exec, exec, s[50:51]
.LBB259_60:                             ;   in Loop: Header=BB259_13 Depth=1
	s_or_b64 exec, exec, s[48:49]
	v_cmp_lt_u32_e64 s[0:1], s63, v16
	s_and_saveexec_b64 s[48:49], s[0:1]
	s_cbranch_execz .LBB259_66
; %bb.61:                               ;   in Loop: Header=BB259_13 Depth=1
	v_lshrrev_b32_e32 v2, 24, v16
	v_cmp_ne_u32_e64 s[0:1], s60, v2
	v_bfrev_b32_e32 v38, 1
	s_and_saveexec_b64 s[50:51], s[0:1]
	s_cbranch_execz .LBB259_65
; %bb.62:                               ;   in Loop: Header=BB259_13 Depth=1
	v_and_b32_e32 v16, 0x7f, v2
	v_cmp_ne_u32_e64 s[0:1], s61, v16
	v_mov_b32_e32 v38, 0x7c010000
	s_and_saveexec_b64 s[52:53], s[0:1]
	s_cbranch_execz .LBB259_64
; %bb.63:                               ;   in Loop: Header=BB259_13 Depth=1
	v_and_b32_e32 v38, 7, v2
	v_ffbh_u32_e32 v40, v38
	v_min_u32_e32 v43, 32, v40
	v_subrev_u32_e32 v40, 28, v43
	v_lshlrev_b64 v[40:41], v40, v[2:3]
	v_lshrrev_b32_e32 v42, 3, v16
	v_sub_u32_e32 v41, 29, v43
	v_cmp_gt_u32_e64 s[0:1], 8, v16
	v_lshlrev_b32_e32 v2, 8, v2
	v_and_b32_e32 v40, 7, v40
	v_cndmask_b32_e64 v16, v42, v41, s[0:1]
	v_lshl_add_u32 v16, v16, 10, v26
	v_and_or_b32 v2, v2, s62, v16
	v_cndmask_b32_e64 v38, v38, v40, s[0:1]
	v_lshlrev_b32_e32 v2, 16, v2
	v_lshl_or_b32 v38, v38, 23, v2
.LBB259_64:                             ;   in Loop: Header=BB259_13 Depth=1
	s_or_b64 exec, exec, s[52:53]
.LBB259_65:                             ;   in Loop: Header=BB259_13 Depth=1
	s_or_b64 exec, exec, s[50:51]
.LBB259_66:                             ;   in Loop: Header=BB259_13 Depth=1
	s_or_b64 exec, exec, s[48:49]
	global_load_dword v16, v[14:15], off offset:512
	v_mov_b32_e32 v40, 0
	v_mov_b32_e32 v41, 0
	s_waitcnt vmcnt(0)
	v_cmp_ne_u16_sdwa s[0:1], v16, v3 src0_sel:BYTE_0 src1_sel:DWORD
	s_and_saveexec_b64 s[48:49], s[0:1]
	s_cbranch_execz .LBB259_72
; %bb.67:                               ;   in Loop: Header=BB259_13 Depth=1
	v_cmp_ne_u16_sdwa s[0:1], v16, s60 src0_sel:BYTE_0 src1_sel:DWORD
	v_mov_b32_e32 v41, 0x8000
	s_and_saveexec_b64 s[50:51], s[0:1]
	s_cbranch_execz .LBB259_71
; %bb.68:                               ;   in Loop: Header=BB259_13 Depth=1
	v_and_b32_e32 v2, 0x7f, v16
	v_cmp_ne_u32_e64 s[0:1], s61, v2
	v_mov_b32_e32 v41, 0x7c01
	s_and_saveexec_b64 s[52:53], s[0:1]
	s_cbranch_execz .LBB259_70
; %bb.69:                               ;   in Loop: Header=BB259_13 Depth=1
	v_and_b32_e32 v41, 7, v16
	v_ffbh_u32_e32 v42, v41
	v_min_u32_e32 v45, 32, v42
	v_subrev_u32_e32 v42, 28, v45
	v_lshlrev_b64 v[42:43], v42, v[16:17]
	v_lshrrev_b32_e32 v44, 3, v2
	v_sub_u32_e32 v43, 29, v45
	v_cmp_gt_u32_e64 s[0:1], 8, v2
	v_and_b32_e32 v42, 7, v42
	s_nop 0
	v_cndmask_b32_e64 v2, v44, v43, s[0:1]
	v_lshl_add_u32 v2, v2, 10, v26
	v_lshlrev_b32_e32 v43, 8, v16
	v_and_b32_e32 v2, 0xfc00, v2
	v_cndmask_b32_e64 v41, v41, v42, s[0:1]
	v_and_or_b32 v2, v43, s62, v2
	v_lshl_or_b32 v41, v41, 7, v2
.LBB259_70:                             ;   in Loop: Header=BB259_13 Depth=1
	s_or_b64 exec, exec, s[52:53]
.LBB259_71:                             ;   in Loop: Header=BB259_13 Depth=1
	s_or_b64 exec, exec, s[50:51]
.LBB259_72:                             ;   in Loop: Header=BB259_13 Depth=1
	s_or_b64 exec, exec, s[48:49]
	v_lshrrev_b16_e32 v2, 8, v16
	v_cmp_ne_u16_e64 s[0:1], 0, v2
	s_and_saveexec_b64 s[48:49], s[0:1]
	s_cbranch_execz .LBB259_78
; %bb.73:                               ;   in Loop: Header=BB259_13 Depth=1
	v_cmp_ne_u16_e64 s[0:1], s60, v2
	v_bfrev_b32_e32 v40, 1
	s_and_saveexec_b64 s[50:51], s[0:1]
	s_cbranch_execz .LBB259_77
; %bb.74:                               ;   in Loop: Header=BB259_13 Depth=1
	v_and_b32_e32 v42, 0x7f, v2
	v_cmp_ne_u32_e64 s[0:1], s61, v42
	v_mov_b32_e32 v40, 0x7c010000
	s_and_saveexec_b64 s[52:53], s[0:1]
	s_cbranch_execz .LBB259_76
; %bb.75:                               ;   in Loop: Header=BB259_13 Depth=1
	v_and_b32_e32 v40, 7, v2
	v_ffbh_u32_e32 v44, v40
	v_min_u32_e32 v46, 32, v44
	v_subrev_u32_e32 v44, 28, v46
	v_lshlrev_b64 v[44:45], v44, v[2:3]
	v_lshrrev_b32_e32 v43, 3, v42
	v_sub_u32_e32 v45, 29, v46
	v_cmp_gt_u32_e64 s[0:1], 8, v42
	v_lshlrev_b32_e32 v2, 8, v2
	s_nop 0
	v_cndmask_b32_e64 v42, v43, v45, s[0:1]
	v_lshl_add_u32 v42, v42, 10, v26
	v_and_b32_e32 v43, 7, v44
	v_and_or_b32 v2, v2, s62, v42
	v_cndmask_b32_e64 v40, v40, v43, s[0:1]
	v_lshlrev_b32_e32 v2, 16, v2
	v_lshl_or_b32 v40, v40, 23, v2
.LBB259_76:                             ;   in Loop: Header=BB259_13 Depth=1
	s_or_b64 exec, exec, s[52:53]
.LBB259_77:                             ;   in Loop: Header=BB259_13 Depth=1
	s_or_b64 exec, exec, s[50:51]
.LBB259_78:                             ;   in Loop: Header=BB259_13 Depth=1
	s_or_b64 exec, exec, s[48:49]
	v_lshrrev_b32_e32 v2, 16, v16
	v_cmp_ne_u16_sdwa s[0:1], v2, v3 src0_sel:BYTE_0 src1_sel:DWORD
	v_mov_b32_e32 v42, 0
	v_mov_b32_e32 v43, 0
	s_and_saveexec_b64 s[48:49], s[0:1]
	s_cbranch_execz .LBB259_84
; %bb.79:                               ;   in Loop: Header=BB259_13 Depth=1
	v_cmp_ne_u16_sdwa s[0:1], v2, s60 src0_sel:BYTE_0 src1_sel:DWORD
	v_mov_b32_e32 v43, 0x8000
	s_and_saveexec_b64 s[50:51], s[0:1]
	s_cbranch_execz .LBB259_83
; %bb.80:                               ;   in Loop: Header=BB259_13 Depth=1
	v_bfe_u32 v44, v16, 16, 7
	v_cmp_ne_u32_e64 s[0:1], s61, v44
	v_mov_b32_e32 v43, 0x7c01
	s_and_saveexec_b64 s[52:53], s[0:1]
	s_cbranch_execz .LBB259_82
; %bb.81:                               ;   in Loop: Header=BB259_13 Depth=1
	v_and_b32_e32 v43, 7, v2
	v_ffbh_u32_e32 v46, v43
	v_min_u32_e32 v48, 32, v46
	v_subrev_u32_e32 v46, 28, v48
	v_lshlrev_b64 v[46:47], v46, v[2:3]
	v_lshrrev_b32_e32 v45, 3, v44
	v_sub_u32_e32 v47, 29, v48
	v_cmp_gt_u32_e64 s[0:1], 8, v44
	v_lshlrev_b32_e32 v2, 8, v2
	s_nop 0
	v_cndmask_b32_e64 v44, v45, v47, s[0:1]
	v_lshl_add_u32 v44, v44, 10, v26
	v_and_b32_e32 v45, 7, v46
	v_and_b32_e32 v44, 0xfc00, v44
	v_cndmask_b32_e64 v43, v43, v45, s[0:1]
	v_and_or_b32 v2, v2, s62, v44
	v_lshl_or_b32 v43, v43, 7, v2
.LBB259_82:                             ;   in Loop: Header=BB259_13 Depth=1
	s_or_b64 exec, exec, s[52:53]
.LBB259_83:                             ;   in Loop: Header=BB259_13 Depth=1
	s_or_b64 exec, exec, s[50:51]
.LBB259_84:                             ;   in Loop: Header=BB259_13 Depth=1
	s_or_b64 exec, exec, s[48:49]
	v_cmp_lt_u32_e64 s[0:1], s63, v16
	s_and_saveexec_b64 s[48:49], s[0:1]
	s_cbranch_execz .LBB259_90
; %bb.85:                               ;   in Loop: Header=BB259_13 Depth=1
	v_lshrrev_b32_e32 v2, 24, v16
	v_cmp_ne_u32_e64 s[0:1], s60, v2
	v_bfrev_b32_e32 v42, 1
	s_and_saveexec_b64 s[50:51], s[0:1]
	s_cbranch_execz .LBB259_89
; %bb.86:                               ;   in Loop: Header=BB259_13 Depth=1
	v_and_b32_e32 v16, 0x7f, v2
	v_cmp_ne_u32_e64 s[0:1], s61, v16
	v_mov_b32_e32 v42, 0x7c010000
	s_and_saveexec_b64 s[52:53], s[0:1]
	s_cbranch_execz .LBB259_88
; %bb.87:                               ;   in Loop: Header=BB259_13 Depth=1
	v_and_b32_e32 v42, 7, v2
	v_ffbh_u32_e32 v44, v42
	v_min_u32_e32 v47, 32, v44
	v_subrev_u32_e32 v44, 28, v47
	v_lshlrev_b64 v[44:45], v44, v[2:3]
	v_lshrrev_b32_e32 v46, 3, v16
	v_sub_u32_e32 v45, 29, v47
	v_cmp_gt_u32_e64 s[0:1], 8, v16
	v_lshlrev_b32_e32 v2, 8, v2
	v_and_b32_e32 v44, 7, v44
	v_cndmask_b32_e64 v16, v46, v45, s[0:1]
	v_lshl_add_u32 v16, v16, 10, v26
	v_and_or_b32 v2, v2, s62, v16
	v_cndmask_b32_e64 v42, v42, v44, s[0:1]
	v_lshlrev_b32_e32 v2, 16, v2
	v_lshl_or_b32 v42, v42, 23, v2
.LBB259_88:                             ;   in Loop: Header=BB259_13 Depth=1
	s_or_b64 exec, exec, s[52:53]
.LBB259_89:                             ;   in Loop: Header=BB259_13 Depth=1
	s_or_b64 exec, exec, s[50:51]
.LBB259_90:                             ;   in Loop: Header=BB259_13 Depth=1
	s_or_b64 exec, exec, s[48:49]
	global_load_dword v16, v[14:15], off offset:520
	v_mov_b32_e32 v44, 0
	v_mov_b32_e32 v45, 0
	s_waitcnt vmcnt(0)
	v_cmp_ne_u16_sdwa s[0:1], v16, v3 src0_sel:BYTE_0 src1_sel:DWORD
	s_and_saveexec_b64 s[48:49], s[0:1]
	s_cbranch_execz .LBB259_96
; %bb.91:                               ;   in Loop: Header=BB259_13 Depth=1
	v_cmp_ne_u16_sdwa s[0:1], v16, s60 src0_sel:BYTE_0 src1_sel:DWORD
	v_mov_b32_e32 v45, 0x8000
	s_and_saveexec_b64 s[50:51], s[0:1]
	s_cbranch_execz .LBB259_95
; %bb.92:                               ;   in Loop: Header=BB259_13 Depth=1
	v_and_b32_e32 v2, 0x7f, v16
	v_cmp_ne_u32_e64 s[0:1], s61, v2
	v_mov_b32_e32 v45, 0x7c01
	s_and_saveexec_b64 s[52:53], s[0:1]
	s_cbranch_execz .LBB259_94
; %bb.93:                               ;   in Loop: Header=BB259_13 Depth=1
	v_and_b32_e32 v45, 7, v16
	v_ffbh_u32_e32 v46, v45
	v_min_u32_e32 v49, 32, v46
	v_subrev_u32_e32 v46, 28, v49
	v_lshlrev_b64 v[46:47], v46, v[16:17]
	v_lshrrev_b32_e32 v48, 3, v2
	v_sub_u32_e32 v47, 29, v49
	v_cmp_gt_u32_e64 s[0:1], 8, v2
	v_and_b32_e32 v46, 7, v46
	s_nop 0
	v_cndmask_b32_e64 v2, v48, v47, s[0:1]
	v_lshl_add_u32 v2, v2, 10, v26
	v_lshlrev_b32_e32 v47, 8, v16
	v_and_b32_e32 v2, 0xfc00, v2
	v_cndmask_b32_e64 v45, v45, v46, s[0:1]
	v_and_or_b32 v2, v47, s62, v2
	v_lshl_or_b32 v45, v45, 7, v2
.LBB259_94:                             ;   in Loop: Header=BB259_13 Depth=1
	s_or_b64 exec, exec, s[52:53]
.LBB259_95:                             ;   in Loop: Header=BB259_13 Depth=1
	s_or_b64 exec, exec, s[50:51]
.LBB259_96:                             ;   in Loop: Header=BB259_13 Depth=1
	s_or_b64 exec, exec, s[48:49]
	v_lshrrev_b16_e32 v2, 8, v16
	v_cmp_ne_u16_e64 s[0:1], 0, v2
	s_and_saveexec_b64 s[48:49], s[0:1]
	s_cbranch_execz .LBB259_102
; %bb.97:                               ;   in Loop: Header=BB259_13 Depth=1
	v_cmp_ne_u16_e64 s[0:1], s60, v2
	v_bfrev_b32_e32 v44, 1
	s_and_saveexec_b64 s[50:51], s[0:1]
	s_cbranch_execz .LBB259_101
; %bb.98:                               ;   in Loop: Header=BB259_13 Depth=1
	v_and_b32_e32 v46, 0x7f, v2
	v_cmp_ne_u32_e64 s[0:1], s61, v46
	v_mov_b32_e32 v44, 0x7c010000
	s_and_saveexec_b64 s[52:53], s[0:1]
	s_cbranch_execz .LBB259_100
; %bb.99:                               ;   in Loop: Header=BB259_13 Depth=1
	v_and_b32_e32 v44, 7, v2
	v_ffbh_u32_e32 v48, v44
	v_min_u32_e32 v50, 32, v48
	v_subrev_u32_e32 v48, 28, v50
	v_lshlrev_b64 v[48:49], v48, v[2:3]
	v_lshrrev_b32_e32 v47, 3, v46
	v_sub_u32_e32 v49, 29, v50
	v_cmp_gt_u32_e64 s[0:1], 8, v46
	v_lshlrev_b32_e32 v2, 8, v2
	s_nop 0
	v_cndmask_b32_e64 v46, v47, v49, s[0:1]
	v_lshl_add_u32 v46, v46, 10, v26
	v_and_b32_e32 v47, 7, v48
	v_and_or_b32 v2, v2, s62, v46
	v_cndmask_b32_e64 v44, v44, v47, s[0:1]
	v_lshlrev_b32_e32 v2, 16, v2
	v_lshl_or_b32 v44, v44, 23, v2
.LBB259_100:                            ;   in Loop: Header=BB259_13 Depth=1
	s_or_b64 exec, exec, s[52:53]
.LBB259_101:                            ;   in Loop: Header=BB259_13 Depth=1
	s_or_b64 exec, exec, s[50:51]
.LBB259_102:                            ;   in Loop: Header=BB259_13 Depth=1
	s_or_b64 exec, exec, s[48:49]
	v_lshrrev_b32_e32 v2, 16, v16
	v_cmp_ne_u16_sdwa s[0:1], v2, v3 src0_sel:BYTE_0 src1_sel:DWORD
	v_mov_b32_e32 v46, 0
	v_mov_b32_e32 v47, 0
	s_and_saveexec_b64 s[48:49], s[0:1]
	s_cbranch_execz .LBB259_108
; %bb.103:                              ;   in Loop: Header=BB259_13 Depth=1
	v_cmp_ne_u16_sdwa s[0:1], v2, s60 src0_sel:BYTE_0 src1_sel:DWORD
	v_mov_b32_e32 v47, 0x8000
	s_and_saveexec_b64 s[50:51], s[0:1]
	s_cbranch_execz .LBB259_107
; %bb.104:                              ;   in Loop: Header=BB259_13 Depth=1
	v_bfe_u32 v48, v16, 16, 7
	v_cmp_ne_u32_e64 s[0:1], s61, v48
	v_mov_b32_e32 v47, 0x7c01
	s_and_saveexec_b64 s[52:53], s[0:1]
	s_cbranch_execz .LBB259_106
; %bb.105:                              ;   in Loop: Header=BB259_13 Depth=1
	v_and_b32_e32 v47, 7, v2
	v_ffbh_u32_e32 v50, v47
	v_min_u32_e32 v52, 32, v50
	v_subrev_u32_e32 v50, 28, v52
	v_lshlrev_b64 v[50:51], v50, v[2:3]
	v_lshrrev_b32_e32 v49, 3, v48
	v_sub_u32_e32 v51, 29, v52
	v_cmp_gt_u32_e64 s[0:1], 8, v48
	v_lshlrev_b32_e32 v2, 8, v2
	s_nop 0
	v_cndmask_b32_e64 v48, v49, v51, s[0:1]
	v_lshl_add_u32 v48, v48, 10, v26
	v_and_b32_e32 v49, 7, v50
	v_and_b32_e32 v48, 0xfc00, v48
	v_cndmask_b32_e64 v47, v47, v49, s[0:1]
	v_and_or_b32 v2, v2, s62, v48
	v_lshl_or_b32 v47, v47, 7, v2
.LBB259_106:                            ;   in Loop: Header=BB259_13 Depth=1
	s_or_b64 exec, exec, s[52:53]
.LBB259_107:                            ;   in Loop: Header=BB259_13 Depth=1
	s_or_b64 exec, exec, s[50:51]
.LBB259_108:                            ;   in Loop: Header=BB259_13 Depth=1
	s_or_b64 exec, exec, s[48:49]
	v_cmp_lt_u32_e64 s[0:1], s63, v16
	s_and_saveexec_b64 s[48:49], s[0:1]
	s_cbranch_execz .LBB259_114
; %bb.109:                              ;   in Loop: Header=BB259_13 Depth=1
	v_lshrrev_b32_e32 v2, 24, v16
	v_cmp_ne_u32_e64 s[0:1], s60, v2
	v_bfrev_b32_e32 v46, 1
	s_and_saveexec_b64 s[50:51], s[0:1]
	s_cbranch_execz .LBB259_113
; %bb.110:                              ;   in Loop: Header=BB259_13 Depth=1
	v_and_b32_e32 v16, 0x7f, v2
	v_cmp_ne_u32_e64 s[0:1], s61, v16
	v_mov_b32_e32 v46, 0x7c010000
	s_and_saveexec_b64 s[52:53], s[0:1]
	s_cbranch_execz .LBB259_112
; %bb.111:                              ;   in Loop: Header=BB259_13 Depth=1
	v_and_b32_e32 v46, 7, v2
	v_ffbh_u32_e32 v48, v46
	v_min_u32_e32 v51, 32, v48
	v_subrev_u32_e32 v48, 28, v51
	v_lshlrev_b64 v[48:49], v48, v[2:3]
	v_lshrrev_b32_e32 v50, 3, v16
	v_sub_u32_e32 v49, 29, v51
	v_cmp_gt_u32_e64 s[0:1], 8, v16
	v_lshlrev_b32_e32 v2, 8, v2
	v_and_b32_e32 v48, 7, v48
	v_cndmask_b32_e64 v16, v50, v49, s[0:1]
	v_lshl_add_u32 v16, v16, 10, v26
	v_and_or_b32 v2, v2, s62, v16
	v_cndmask_b32_e64 v46, v46, v48, s[0:1]
	v_lshlrev_b32_e32 v2, 16, v2
	v_lshl_or_b32 v46, v46, 23, v2
.LBB259_112:                            ;   in Loop: Header=BB259_13 Depth=1
	s_or_b64 exec, exec, s[52:53]
.LBB259_113:                            ;   in Loop: Header=BB259_13 Depth=1
	s_or_b64 exec, exec, s[50:51]
.LBB259_114:                            ;   in Loop: Header=BB259_13 Depth=1
	s_or_b64 exec, exec, s[48:49]
	global_load_dword v16, v[14:15], off offset:1024
	v_mov_b32_e32 v48, 0
	v_mov_b32_e32 v49, 0
	s_waitcnt vmcnt(0)
	v_cmp_ne_u16_sdwa s[0:1], v16, v3 src0_sel:BYTE_0 src1_sel:DWORD
	s_and_saveexec_b64 s[48:49], s[0:1]
	s_cbranch_execz .LBB259_120
; %bb.115:                              ;   in Loop: Header=BB259_13 Depth=1
	v_cmp_ne_u16_sdwa s[0:1], v16, s60 src0_sel:BYTE_0 src1_sel:DWORD
	v_mov_b32_e32 v49, 0x8000
	s_and_saveexec_b64 s[50:51], s[0:1]
	s_cbranch_execz .LBB259_119
; %bb.116:                              ;   in Loop: Header=BB259_13 Depth=1
	v_and_b32_e32 v2, 0x7f, v16
	v_cmp_ne_u32_e64 s[0:1], s61, v2
	v_mov_b32_e32 v49, 0x7c01
	s_and_saveexec_b64 s[52:53], s[0:1]
	s_cbranch_execz .LBB259_118
; %bb.117:                              ;   in Loop: Header=BB259_13 Depth=1
	v_and_b32_e32 v49, 7, v16
	v_ffbh_u32_e32 v50, v49
	v_min_u32_e32 v53, 32, v50
	v_subrev_u32_e32 v50, 28, v53
	v_lshlrev_b64 v[50:51], v50, v[16:17]
	v_lshrrev_b32_e32 v52, 3, v2
	v_sub_u32_e32 v51, 29, v53
	v_cmp_gt_u32_e64 s[0:1], 8, v2
	v_and_b32_e32 v50, 7, v50
	s_nop 0
	v_cndmask_b32_e64 v2, v52, v51, s[0:1]
	v_lshl_add_u32 v2, v2, 10, v26
	v_lshlrev_b32_e32 v51, 8, v16
	v_and_b32_e32 v2, 0xfc00, v2
	v_cndmask_b32_e64 v49, v49, v50, s[0:1]
	v_and_or_b32 v2, v51, s62, v2
	v_lshl_or_b32 v49, v49, 7, v2
.LBB259_118:                            ;   in Loop: Header=BB259_13 Depth=1
	s_or_b64 exec, exec, s[52:53]
.LBB259_119:                            ;   in Loop: Header=BB259_13 Depth=1
	s_or_b64 exec, exec, s[50:51]
.LBB259_120:                            ;   in Loop: Header=BB259_13 Depth=1
	s_or_b64 exec, exec, s[48:49]
	v_lshrrev_b16_e32 v2, 8, v16
	v_cmp_ne_u16_e64 s[0:1], 0, v2
	s_and_saveexec_b64 s[48:49], s[0:1]
	s_cbranch_execz .LBB259_126
; %bb.121:                              ;   in Loop: Header=BB259_13 Depth=1
	v_cmp_ne_u16_e64 s[0:1], s60, v2
	v_bfrev_b32_e32 v48, 1
	s_and_saveexec_b64 s[50:51], s[0:1]
	s_cbranch_execz .LBB259_125
; %bb.122:                              ;   in Loop: Header=BB259_13 Depth=1
	v_and_b32_e32 v50, 0x7f, v2
	v_cmp_ne_u32_e64 s[0:1], s61, v50
	v_mov_b32_e32 v48, 0x7c010000
	s_and_saveexec_b64 s[52:53], s[0:1]
	s_cbranch_execz .LBB259_124
; %bb.123:                              ;   in Loop: Header=BB259_13 Depth=1
	v_and_b32_e32 v48, 7, v2
	v_ffbh_u32_e32 v52, v48
	v_min_u32_e32 v54, 32, v52
	v_subrev_u32_e32 v52, 28, v54
	v_lshlrev_b64 v[52:53], v52, v[2:3]
	v_lshrrev_b32_e32 v51, 3, v50
	v_sub_u32_e32 v53, 29, v54
	v_cmp_gt_u32_e64 s[0:1], 8, v50
	v_lshlrev_b32_e32 v2, 8, v2
	s_nop 0
	v_cndmask_b32_e64 v50, v51, v53, s[0:1]
	v_lshl_add_u32 v50, v50, 10, v26
	v_and_b32_e32 v51, 7, v52
	v_and_or_b32 v2, v2, s62, v50
	v_cndmask_b32_e64 v48, v48, v51, s[0:1]
	v_lshlrev_b32_e32 v2, 16, v2
	v_lshl_or_b32 v48, v48, 23, v2
.LBB259_124:                            ;   in Loop: Header=BB259_13 Depth=1
	s_or_b64 exec, exec, s[52:53]
.LBB259_125:                            ;   in Loop: Header=BB259_13 Depth=1
	s_or_b64 exec, exec, s[50:51]
.LBB259_126:                            ;   in Loop: Header=BB259_13 Depth=1
	s_or_b64 exec, exec, s[48:49]
	v_lshrrev_b32_e32 v2, 16, v16
	v_cmp_ne_u16_sdwa s[0:1], v2, v3 src0_sel:BYTE_0 src1_sel:DWORD
	v_mov_b32_e32 v50, 0
	v_mov_b32_e32 v51, 0
	s_and_saveexec_b64 s[48:49], s[0:1]
	s_cbranch_execz .LBB259_132
; %bb.127:                              ;   in Loop: Header=BB259_13 Depth=1
	v_cmp_ne_u16_sdwa s[0:1], v2, s60 src0_sel:BYTE_0 src1_sel:DWORD
	v_mov_b32_e32 v51, 0x8000
	s_and_saveexec_b64 s[50:51], s[0:1]
	s_cbranch_execz .LBB259_131
; %bb.128:                              ;   in Loop: Header=BB259_13 Depth=1
	v_bfe_u32 v52, v16, 16, 7
	v_cmp_ne_u32_e64 s[0:1], s61, v52
	v_mov_b32_e32 v51, 0x7c01
	s_and_saveexec_b64 s[52:53], s[0:1]
	s_cbranch_execz .LBB259_130
; %bb.129:                              ;   in Loop: Header=BB259_13 Depth=1
	v_and_b32_e32 v51, 7, v2
	v_ffbh_u32_e32 v54, v51
	v_min_u32_e32 v56, 32, v54
	v_subrev_u32_e32 v54, 28, v56
	v_lshlrev_b64 v[54:55], v54, v[2:3]
	v_lshrrev_b32_e32 v53, 3, v52
	v_sub_u32_e32 v55, 29, v56
	v_cmp_gt_u32_e64 s[0:1], 8, v52
	v_lshlrev_b32_e32 v2, 8, v2
	s_nop 0
	v_cndmask_b32_e64 v52, v53, v55, s[0:1]
	v_lshl_add_u32 v52, v52, 10, v26
	v_and_b32_e32 v53, 7, v54
	v_and_b32_e32 v52, 0xfc00, v52
	v_cndmask_b32_e64 v51, v51, v53, s[0:1]
	v_and_or_b32 v2, v2, s62, v52
	v_lshl_or_b32 v51, v51, 7, v2
.LBB259_130:                            ;   in Loop: Header=BB259_13 Depth=1
	s_or_b64 exec, exec, s[52:53]
.LBB259_131:                            ;   in Loop: Header=BB259_13 Depth=1
	s_or_b64 exec, exec, s[50:51]
.LBB259_132:                            ;   in Loop: Header=BB259_13 Depth=1
	s_or_b64 exec, exec, s[48:49]
	v_cmp_lt_u32_e64 s[0:1], s63, v16
	s_and_saveexec_b64 s[48:49], s[0:1]
	s_cbranch_execz .LBB259_138
; %bb.133:                              ;   in Loop: Header=BB259_13 Depth=1
	v_lshrrev_b32_e32 v2, 24, v16
	v_cmp_ne_u32_e64 s[0:1], s60, v2
	v_bfrev_b32_e32 v50, 1
	s_and_saveexec_b64 s[50:51], s[0:1]
	s_cbranch_execz .LBB259_137
; %bb.134:                              ;   in Loop: Header=BB259_13 Depth=1
	v_and_b32_e32 v16, 0x7f, v2
	v_cmp_ne_u32_e64 s[0:1], s61, v16
	v_mov_b32_e32 v50, 0x7c010000
	s_and_saveexec_b64 s[52:53], s[0:1]
	s_cbranch_execz .LBB259_136
; %bb.135:                              ;   in Loop: Header=BB259_13 Depth=1
	v_and_b32_e32 v50, 7, v2
	v_ffbh_u32_e32 v52, v50
	v_min_u32_e32 v55, 32, v52
	v_subrev_u32_e32 v52, 28, v55
	v_lshlrev_b64 v[52:53], v52, v[2:3]
	v_lshrrev_b32_e32 v54, 3, v16
	v_sub_u32_e32 v53, 29, v55
	v_cmp_gt_u32_e64 s[0:1], 8, v16
	v_lshlrev_b32_e32 v2, 8, v2
	v_and_b32_e32 v52, 7, v52
	v_cndmask_b32_e64 v16, v54, v53, s[0:1]
	v_lshl_add_u32 v16, v16, 10, v26
	v_and_or_b32 v2, v2, s62, v16
	v_cndmask_b32_e64 v50, v50, v52, s[0:1]
	v_lshlrev_b32_e32 v2, 16, v2
	v_lshl_or_b32 v50, v50, 23, v2
.LBB259_136:                            ;   in Loop: Header=BB259_13 Depth=1
	s_or_b64 exec, exec, s[52:53]
.LBB259_137:                            ;   in Loop: Header=BB259_13 Depth=1
	s_or_b64 exec, exec, s[50:51]
.LBB259_138:                            ;   in Loop: Header=BB259_13 Depth=1
	s_or_b64 exec, exec, s[48:49]
	global_load_dword v16, v[14:15], off offset:1032
	v_mov_b32_e32 v52, 0
	v_mov_b32_e32 v53, 0
	s_waitcnt vmcnt(0)
	v_cmp_ne_u16_sdwa s[0:1], v16, v3 src0_sel:BYTE_0 src1_sel:DWORD
	s_and_saveexec_b64 s[48:49], s[0:1]
	s_cbranch_execz .LBB259_144
; %bb.139:                              ;   in Loop: Header=BB259_13 Depth=1
	v_cmp_ne_u16_sdwa s[0:1], v16, s60 src0_sel:BYTE_0 src1_sel:DWORD
	v_mov_b32_e32 v53, 0x8000
	s_and_saveexec_b64 s[50:51], s[0:1]
	s_cbranch_execz .LBB259_143
; %bb.140:                              ;   in Loop: Header=BB259_13 Depth=1
	v_and_b32_e32 v2, 0x7f, v16
	v_cmp_ne_u32_e64 s[0:1], s61, v2
	v_mov_b32_e32 v53, 0x7c01
	s_and_saveexec_b64 s[52:53], s[0:1]
	s_cbranch_execz .LBB259_142
; %bb.141:                              ;   in Loop: Header=BB259_13 Depth=1
	v_and_b32_e32 v53, 7, v16
	v_ffbh_u32_e32 v54, v53
	v_min_u32_e32 v57, 32, v54
	v_subrev_u32_e32 v54, 28, v57
	v_lshlrev_b64 v[54:55], v54, v[16:17]
	v_lshrrev_b32_e32 v56, 3, v2
	v_sub_u32_e32 v55, 29, v57
	v_cmp_gt_u32_e64 s[0:1], 8, v2
	v_and_b32_e32 v54, 7, v54
	s_nop 0
	v_cndmask_b32_e64 v2, v56, v55, s[0:1]
	v_lshl_add_u32 v2, v2, 10, v26
	v_lshlrev_b32_e32 v55, 8, v16
	v_and_b32_e32 v2, 0xfc00, v2
	v_cndmask_b32_e64 v53, v53, v54, s[0:1]
	v_and_or_b32 v2, v55, s62, v2
	v_lshl_or_b32 v53, v53, 7, v2
.LBB259_142:                            ;   in Loop: Header=BB259_13 Depth=1
	s_or_b64 exec, exec, s[52:53]
.LBB259_143:                            ;   in Loop: Header=BB259_13 Depth=1
	s_or_b64 exec, exec, s[50:51]
.LBB259_144:                            ;   in Loop: Header=BB259_13 Depth=1
	s_or_b64 exec, exec, s[48:49]
	v_lshrrev_b16_e32 v2, 8, v16
	v_cmp_ne_u16_e64 s[0:1], 0, v2
	s_and_saveexec_b64 s[48:49], s[0:1]
	s_cbranch_execz .LBB259_150
; %bb.145:                              ;   in Loop: Header=BB259_13 Depth=1
	v_cmp_ne_u16_e64 s[0:1], s60, v2
	v_bfrev_b32_e32 v52, 1
	s_and_saveexec_b64 s[50:51], s[0:1]
	s_cbranch_execz .LBB259_149
; %bb.146:                              ;   in Loop: Header=BB259_13 Depth=1
	v_and_b32_e32 v54, 0x7f, v2
	v_cmp_ne_u32_e64 s[0:1], s61, v54
	v_mov_b32_e32 v52, 0x7c010000
	s_and_saveexec_b64 s[52:53], s[0:1]
	s_cbranch_execz .LBB259_148
; %bb.147:                              ;   in Loop: Header=BB259_13 Depth=1
	v_and_b32_e32 v52, 7, v2
	v_ffbh_u32_e32 v56, v52
	v_min_u32_e32 v58, 32, v56
	v_subrev_u32_e32 v56, 28, v58
	v_lshlrev_b64 v[56:57], v56, v[2:3]
	v_lshrrev_b32_e32 v55, 3, v54
	v_sub_u32_e32 v57, 29, v58
	v_cmp_gt_u32_e64 s[0:1], 8, v54
	v_lshlrev_b32_e32 v2, 8, v2
	s_nop 0
	v_cndmask_b32_e64 v54, v55, v57, s[0:1]
	v_lshl_add_u32 v54, v54, 10, v26
	v_and_b32_e32 v55, 7, v56
	v_and_or_b32 v2, v2, s62, v54
	v_cndmask_b32_e64 v52, v52, v55, s[0:1]
	v_lshlrev_b32_e32 v2, 16, v2
	v_lshl_or_b32 v52, v52, 23, v2
.LBB259_148:                            ;   in Loop: Header=BB259_13 Depth=1
	s_or_b64 exec, exec, s[52:53]
.LBB259_149:                            ;   in Loop: Header=BB259_13 Depth=1
	s_or_b64 exec, exec, s[50:51]
.LBB259_150:                            ;   in Loop: Header=BB259_13 Depth=1
	s_or_b64 exec, exec, s[48:49]
	v_lshrrev_b32_e32 v2, 16, v16
	v_cmp_ne_u16_sdwa s[0:1], v2, v3 src0_sel:BYTE_0 src1_sel:DWORD
	v_mov_b32_e32 v54, 0
	v_mov_b32_e32 v55, 0
	s_and_saveexec_b64 s[48:49], s[0:1]
	s_cbranch_execz .LBB259_156
; %bb.151:                              ;   in Loop: Header=BB259_13 Depth=1
	v_cmp_ne_u16_sdwa s[0:1], v2, s60 src0_sel:BYTE_0 src1_sel:DWORD
	v_mov_b32_e32 v55, 0x8000
	s_and_saveexec_b64 s[50:51], s[0:1]
	s_cbranch_execz .LBB259_155
; %bb.152:                              ;   in Loop: Header=BB259_13 Depth=1
	v_bfe_u32 v56, v16, 16, 7
	v_cmp_ne_u32_e64 s[0:1], s61, v56
	v_mov_b32_e32 v55, 0x7c01
	s_and_saveexec_b64 s[52:53], s[0:1]
	s_cbranch_execz .LBB259_154
; %bb.153:                              ;   in Loop: Header=BB259_13 Depth=1
	v_and_b32_e32 v55, 7, v2
	v_ffbh_u32_e32 v58, v55
	v_min_u32_e32 v60, 32, v58
	v_subrev_u32_e32 v58, 28, v60
	v_lshlrev_b64 v[58:59], v58, v[2:3]
	v_lshrrev_b32_e32 v57, 3, v56
	v_sub_u32_e32 v59, 29, v60
	v_cmp_gt_u32_e64 s[0:1], 8, v56
	v_lshlrev_b32_e32 v2, 8, v2
	s_nop 0
	v_cndmask_b32_e64 v56, v57, v59, s[0:1]
	v_lshl_add_u32 v56, v56, 10, v26
	v_and_b32_e32 v57, 7, v58
	v_and_b32_e32 v56, 0xfc00, v56
	v_cndmask_b32_e64 v55, v55, v57, s[0:1]
	v_and_or_b32 v2, v2, s62, v56
	v_lshl_or_b32 v55, v55, 7, v2
.LBB259_154:                            ;   in Loop: Header=BB259_13 Depth=1
	s_or_b64 exec, exec, s[52:53]
.LBB259_155:                            ;   in Loop: Header=BB259_13 Depth=1
	s_or_b64 exec, exec, s[50:51]
.LBB259_156:                            ;   in Loop: Header=BB259_13 Depth=1
	s_or_b64 exec, exec, s[48:49]
	v_cmp_lt_u32_e64 s[0:1], s63, v16
	s_and_saveexec_b64 s[48:49], s[0:1]
	s_cbranch_execz .LBB259_162
; %bb.157:                              ;   in Loop: Header=BB259_13 Depth=1
	v_lshrrev_b32_e32 v2, 24, v16
	v_cmp_ne_u32_e64 s[0:1], s60, v2
	v_bfrev_b32_e32 v54, 1
	s_and_saveexec_b64 s[50:51], s[0:1]
	s_cbranch_execz .LBB259_161
; %bb.158:                              ;   in Loop: Header=BB259_13 Depth=1
	v_and_b32_e32 v16, 0x7f, v2
	v_cmp_ne_u32_e64 s[0:1], s61, v16
	v_mov_b32_e32 v54, 0x7c010000
	s_and_saveexec_b64 s[52:53], s[0:1]
	s_cbranch_execz .LBB259_160
; %bb.159:                              ;   in Loop: Header=BB259_13 Depth=1
	v_and_b32_e32 v54, 7, v2
	v_ffbh_u32_e32 v56, v54
	v_min_u32_e32 v59, 32, v56
	v_subrev_u32_e32 v56, 28, v59
	v_lshlrev_b64 v[56:57], v56, v[2:3]
	v_lshrrev_b32_e32 v58, 3, v16
	v_sub_u32_e32 v57, 29, v59
	v_cmp_gt_u32_e64 s[0:1], 8, v16
	v_lshlrev_b32_e32 v2, 8, v2
	v_and_b32_e32 v56, 7, v56
	v_cndmask_b32_e64 v16, v58, v57, s[0:1]
	v_lshl_add_u32 v16, v16, 10, v26
	v_and_or_b32 v2, v2, s62, v16
	v_cndmask_b32_e64 v54, v54, v56, s[0:1]
	v_lshlrev_b32_e32 v2, 16, v2
	v_lshl_or_b32 v54, v54, 23, v2
.LBB259_160:                            ;   in Loop: Header=BB259_13 Depth=1
	s_or_b64 exec, exec, s[52:53]
.LBB259_161:                            ;   in Loop: Header=BB259_13 Depth=1
	s_or_b64 exec, exec, s[50:51]
.LBB259_162:                            ;   in Loop: Header=BB259_13 Depth=1
	s_or_b64 exec, exec, s[48:49]
	global_load_dword v16, v[14:15], off offset:1536
	v_mov_b32_e32 v56, 0
	v_mov_b32_e32 v57, 0
	s_waitcnt vmcnt(0)
	v_cmp_ne_u16_sdwa s[0:1], v16, v3 src0_sel:BYTE_0 src1_sel:DWORD
	s_and_saveexec_b64 s[48:49], s[0:1]
	s_cbranch_execz .LBB259_168
; %bb.163:                              ;   in Loop: Header=BB259_13 Depth=1
	v_cmp_ne_u16_sdwa s[0:1], v16, s60 src0_sel:BYTE_0 src1_sel:DWORD
	v_mov_b32_e32 v57, 0x8000
	s_and_saveexec_b64 s[50:51], s[0:1]
	s_cbranch_execz .LBB259_167
; %bb.164:                              ;   in Loop: Header=BB259_13 Depth=1
	v_and_b32_e32 v2, 0x7f, v16
	v_cmp_ne_u32_e64 s[0:1], s61, v2
	v_mov_b32_e32 v57, 0x7c01
	s_and_saveexec_b64 s[52:53], s[0:1]
	s_cbranch_execz .LBB259_166
; %bb.165:                              ;   in Loop: Header=BB259_13 Depth=1
	v_and_b32_e32 v57, 7, v16
	v_ffbh_u32_e32 v58, v57
	v_min_u32_e32 v61, 32, v58
	v_subrev_u32_e32 v58, 28, v61
	v_lshlrev_b64 v[58:59], v58, v[16:17]
	v_lshrrev_b32_e32 v60, 3, v2
	v_sub_u32_e32 v59, 29, v61
	v_cmp_gt_u32_e64 s[0:1], 8, v2
	v_and_b32_e32 v58, 7, v58
	s_nop 0
	v_cndmask_b32_e64 v2, v60, v59, s[0:1]
	v_lshl_add_u32 v2, v2, 10, v26
	v_lshlrev_b32_e32 v59, 8, v16
	v_and_b32_e32 v2, 0xfc00, v2
	v_cndmask_b32_e64 v57, v57, v58, s[0:1]
	v_and_or_b32 v2, v59, s62, v2
	v_lshl_or_b32 v57, v57, 7, v2
.LBB259_166:                            ;   in Loop: Header=BB259_13 Depth=1
	s_or_b64 exec, exec, s[52:53]
.LBB259_167:                            ;   in Loop: Header=BB259_13 Depth=1
	s_or_b64 exec, exec, s[50:51]
.LBB259_168:                            ;   in Loop: Header=BB259_13 Depth=1
	s_or_b64 exec, exec, s[48:49]
	v_lshrrev_b16_e32 v2, 8, v16
	v_cmp_ne_u16_e64 s[0:1], 0, v2
	s_and_saveexec_b64 s[48:49], s[0:1]
	s_cbranch_execz .LBB259_174
; %bb.169:                              ;   in Loop: Header=BB259_13 Depth=1
	v_cmp_ne_u16_e64 s[0:1], s60, v2
	v_bfrev_b32_e32 v56, 1
	s_and_saveexec_b64 s[50:51], s[0:1]
	s_cbranch_execz .LBB259_173
; %bb.170:                              ;   in Loop: Header=BB259_13 Depth=1
	v_and_b32_e32 v58, 0x7f, v2
	v_cmp_ne_u32_e64 s[0:1], s61, v58
	v_mov_b32_e32 v56, 0x7c010000
	s_and_saveexec_b64 s[52:53], s[0:1]
	s_cbranch_execz .LBB259_172
; %bb.171:                              ;   in Loop: Header=BB259_13 Depth=1
	v_and_b32_e32 v56, 7, v2
	v_ffbh_u32_e32 v60, v56
	v_min_u32_e32 v62, 32, v60
	v_subrev_u32_e32 v60, 28, v62
	v_lshlrev_b64 v[60:61], v60, v[2:3]
	v_lshrrev_b32_e32 v59, 3, v58
	v_sub_u32_e32 v61, 29, v62
	v_cmp_gt_u32_e64 s[0:1], 8, v58
	v_lshlrev_b32_e32 v2, 8, v2
	s_nop 0
	v_cndmask_b32_e64 v58, v59, v61, s[0:1]
	v_lshl_add_u32 v58, v58, 10, v26
	v_and_b32_e32 v59, 7, v60
	v_and_or_b32 v2, v2, s62, v58
	v_cndmask_b32_e64 v56, v56, v59, s[0:1]
	v_lshlrev_b32_e32 v2, 16, v2
	v_lshl_or_b32 v56, v56, 23, v2
.LBB259_172:                            ;   in Loop: Header=BB259_13 Depth=1
	s_or_b64 exec, exec, s[52:53]
.LBB259_173:                            ;   in Loop: Header=BB259_13 Depth=1
	s_or_b64 exec, exec, s[50:51]
.LBB259_174:                            ;   in Loop: Header=BB259_13 Depth=1
	s_or_b64 exec, exec, s[48:49]
	v_lshrrev_b32_e32 v2, 16, v16
	v_cmp_ne_u16_sdwa s[0:1], v2, v3 src0_sel:BYTE_0 src1_sel:DWORD
	v_mov_b32_e32 v58, 0
	v_mov_b32_e32 v59, 0
	s_and_saveexec_b64 s[48:49], s[0:1]
	s_cbranch_execz .LBB259_180
; %bb.175:                              ;   in Loop: Header=BB259_13 Depth=1
	v_cmp_ne_u16_sdwa s[0:1], v2, s60 src0_sel:BYTE_0 src1_sel:DWORD
	v_mov_b32_e32 v59, 0x8000
	s_and_saveexec_b64 s[50:51], s[0:1]
	s_cbranch_execz .LBB259_179
; %bb.176:                              ;   in Loop: Header=BB259_13 Depth=1
	v_bfe_u32 v60, v16, 16, 7
	v_cmp_ne_u32_e64 s[0:1], s61, v60
	v_mov_b32_e32 v59, 0x7c01
	s_and_saveexec_b64 s[52:53], s[0:1]
	s_cbranch_execz .LBB259_178
; %bb.177:                              ;   in Loop: Header=BB259_13 Depth=1
	v_and_b32_e32 v59, 7, v2
	v_ffbh_u32_e32 v62, v59
	v_min_u32_e32 v64, 32, v62
	v_subrev_u32_e32 v62, 28, v64
	v_lshlrev_b64 v[62:63], v62, v[2:3]
	v_lshrrev_b32_e32 v61, 3, v60
	v_sub_u32_e32 v63, 29, v64
	v_cmp_gt_u32_e64 s[0:1], 8, v60
	v_lshlrev_b32_e32 v2, 8, v2
	s_nop 0
	v_cndmask_b32_e64 v60, v61, v63, s[0:1]
	v_lshl_add_u32 v60, v60, 10, v26
	v_and_b32_e32 v61, 7, v62
	v_and_b32_e32 v60, 0xfc00, v60
	v_cndmask_b32_e64 v59, v59, v61, s[0:1]
	v_and_or_b32 v2, v2, s62, v60
	v_lshl_or_b32 v59, v59, 7, v2
.LBB259_178:                            ;   in Loop: Header=BB259_13 Depth=1
	s_or_b64 exec, exec, s[52:53]
.LBB259_179:                            ;   in Loop: Header=BB259_13 Depth=1
	s_or_b64 exec, exec, s[50:51]
.LBB259_180:                            ;   in Loop: Header=BB259_13 Depth=1
	s_or_b64 exec, exec, s[48:49]
	v_cmp_lt_u32_e64 s[0:1], s63, v16
	s_and_saveexec_b64 s[48:49], s[0:1]
	s_cbranch_execz .LBB259_186
; %bb.181:                              ;   in Loop: Header=BB259_13 Depth=1
	v_lshrrev_b32_e32 v2, 24, v16
	v_cmp_ne_u32_e64 s[0:1], s60, v2
	v_bfrev_b32_e32 v58, 1
	s_and_saveexec_b64 s[50:51], s[0:1]
	s_cbranch_execz .LBB259_185
; %bb.182:                              ;   in Loop: Header=BB259_13 Depth=1
	v_and_b32_e32 v16, 0x7f, v2
	v_cmp_ne_u32_e64 s[0:1], s61, v16
	v_mov_b32_e32 v58, 0x7c010000
	s_and_saveexec_b64 s[52:53], s[0:1]
	s_cbranch_execz .LBB259_184
; %bb.183:                              ;   in Loop: Header=BB259_13 Depth=1
	v_and_b32_e32 v58, 7, v2
	v_ffbh_u32_e32 v60, v58
	v_min_u32_e32 v63, 32, v60
	v_subrev_u32_e32 v60, 28, v63
	v_lshlrev_b64 v[60:61], v60, v[2:3]
	v_lshrrev_b32_e32 v62, 3, v16
	v_sub_u32_e32 v61, 29, v63
	v_cmp_gt_u32_e64 s[0:1], 8, v16
	v_lshlrev_b32_e32 v2, 8, v2
	v_and_b32_e32 v60, 7, v60
	v_cndmask_b32_e64 v16, v62, v61, s[0:1]
	v_lshl_add_u32 v16, v16, 10, v26
	v_and_or_b32 v2, v2, s62, v16
	v_cndmask_b32_e64 v58, v58, v60, s[0:1]
	v_lshlrev_b32_e32 v2, 16, v2
	v_lshl_or_b32 v58, v58, 23, v2
.LBB259_184:                            ;   in Loop: Header=BB259_13 Depth=1
	s_or_b64 exec, exec, s[52:53]
.LBB259_185:                            ;   in Loop: Header=BB259_13 Depth=1
	s_or_b64 exec, exec, s[50:51]
.LBB259_186:                            ;   in Loop: Header=BB259_13 Depth=1
	s_or_b64 exec, exec, s[48:49]
	global_load_dword v16, v[14:15], off offset:1544
	v_mov_b32_e32 v60, 0
	v_mov_b32_e32 v61, 0
	s_waitcnt vmcnt(0)
	v_cmp_ne_u16_sdwa s[0:1], v16, v3 src0_sel:BYTE_0 src1_sel:DWORD
	s_and_saveexec_b64 s[48:49], s[0:1]
	s_cbranch_execz .LBB259_192
; %bb.187:                              ;   in Loop: Header=BB259_13 Depth=1
	v_cmp_ne_u16_sdwa s[0:1], v16, s60 src0_sel:BYTE_0 src1_sel:DWORD
	v_mov_b32_e32 v61, 0x8000
	s_and_saveexec_b64 s[50:51], s[0:1]
	s_cbranch_execz .LBB259_191
; %bb.188:                              ;   in Loop: Header=BB259_13 Depth=1
	v_and_b32_e32 v2, 0x7f, v16
	v_cmp_ne_u32_e64 s[0:1], s61, v2
	v_mov_b32_e32 v61, 0x7c01
	s_and_saveexec_b64 s[52:53], s[0:1]
	s_cbranch_execz .LBB259_190
; %bb.189:                              ;   in Loop: Header=BB259_13 Depth=1
	v_and_b32_e32 v61, 7, v16
	v_ffbh_u32_e32 v62, v61
	v_min_u32_e32 v65, 32, v62
	v_subrev_u32_e32 v62, 28, v65
	v_lshlrev_b64 v[62:63], v62, v[16:17]
	v_lshrrev_b32_e32 v64, 3, v2
	v_sub_u32_e32 v63, 29, v65
	v_cmp_gt_u32_e64 s[0:1], 8, v2
	v_and_b32_e32 v62, 7, v62
	s_nop 0
	v_cndmask_b32_e64 v2, v64, v63, s[0:1]
	v_lshl_add_u32 v2, v2, 10, v26
	v_lshlrev_b32_e32 v63, 8, v16
	v_and_b32_e32 v2, 0xfc00, v2
	v_cndmask_b32_e64 v61, v61, v62, s[0:1]
	v_and_or_b32 v2, v63, s62, v2
	v_lshl_or_b32 v61, v61, 7, v2
.LBB259_190:                            ;   in Loop: Header=BB259_13 Depth=1
	s_or_b64 exec, exec, s[52:53]
.LBB259_191:                            ;   in Loop: Header=BB259_13 Depth=1
	s_or_b64 exec, exec, s[50:51]
.LBB259_192:                            ;   in Loop: Header=BB259_13 Depth=1
	s_or_b64 exec, exec, s[48:49]
	v_lshrrev_b16_e32 v2, 8, v16
	v_cmp_ne_u16_e64 s[0:1], 0, v2
	s_and_saveexec_b64 s[48:49], s[0:1]
	s_cbranch_execz .LBB259_198
; %bb.193:                              ;   in Loop: Header=BB259_13 Depth=1
	v_cmp_ne_u16_e64 s[0:1], s60, v2
	v_bfrev_b32_e32 v60, 1
	s_and_saveexec_b64 s[50:51], s[0:1]
	s_cbranch_execz .LBB259_197
; %bb.194:                              ;   in Loop: Header=BB259_13 Depth=1
	v_and_b32_e32 v62, 0x7f, v2
	v_cmp_ne_u32_e64 s[0:1], s61, v62
	v_mov_b32_e32 v60, 0x7c010000
	s_and_saveexec_b64 s[52:53], s[0:1]
	s_cbranch_execz .LBB259_196
; %bb.195:                              ;   in Loop: Header=BB259_13 Depth=1
	v_and_b32_e32 v60, 7, v2
	v_ffbh_u32_e32 v64, v60
	v_min_u32_e32 v66, 32, v64
	v_subrev_u32_e32 v64, 28, v66
	v_lshlrev_b64 v[64:65], v64, v[2:3]
	v_lshrrev_b32_e32 v63, 3, v62
	v_sub_u32_e32 v65, 29, v66
	v_cmp_gt_u32_e64 s[0:1], 8, v62
	v_lshlrev_b32_e32 v2, 8, v2
	s_nop 0
	v_cndmask_b32_e64 v62, v63, v65, s[0:1]
	v_lshl_add_u32 v62, v62, 10, v26
	v_and_b32_e32 v63, 7, v64
	v_and_or_b32 v2, v2, s62, v62
	v_cndmask_b32_e64 v60, v60, v63, s[0:1]
	v_lshlrev_b32_e32 v2, 16, v2
	v_lshl_or_b32 v60, v60, 23, v2
.LBB259_196:                            ;   in Loop: Header=BB259_13 Depth=1
	s_or_b64 exec, exec, s[52:53]
.LBB259_197:                            ;   in Loop: Header=BB259_13 Depth=1
	s_or_b64 exec, exec, s[50:51]
.LBB259_198:                            ;   in Loop: Header=BB259_13 Depth=1
	s_or_b64 exec, exec, s[48:49]
	v_lshrrev_b32_e32 v2, 16, v16
	v_cmp_ne_u16_sdwa s[0:1], v2, v3 src0_sel:BYTE_0 src1_sel:DWORD
	v_mov_b32_e32 v62, 0
	v_mov_b32_e32 v63, 0
	s_and_saveexec_b64 s[48:49], s[0:1]
	s_cbranch_execz .LBB259_204
; %bb.199:                              ;   in Loop: Header=BB259_13 Depth=1
	v_cmp_ne_u16_sdwa s[0:1], v2, s60 src0_sel:BYTE_0 src1_sel:DWORD
	v_mov_b32_e32 v63, 0x8000
	s_and_saveexec_b64 s[50:51], s[0:1]
	s_cbranch_execz .LBB259_203
; %bb.200:                              ;   in Loop: Header=BB259_13 Depth=1
	v_bfe_u32 v64, v16, 16, 7
	v_cmp_ne_u32_e64 s[0:1], s61, v64
	v_mov_b32_e32 v63, 0x7c01
	s_and_saveexec_b64 s[52:53], s[0:1]
	s_cbranch_execz .LBB259_202
; %bb.201:                              ;   in Loop: Header=BB259_13 Depth=1
	v_and_b32_e32 v63, 7, v2
	v_ffbh_u32_e32 v66, v63
	v_min_u32_e32 v68, 32, v66
	v_subrev_u32_e32 v66, 28, v68
	v_lshlrev_b64 v[66:67], v66, v[2:3]
	v_lshrrev_b32_e32 v65, 3, v64
	v_sub_u32_e32 v67, 29, v68
	v_cmp_gt_u32_e64 s[0:1], 8, v64
	v_lshlrev_b32_e32 v2, 8, v2
	s_nop 0
	v_cndmask_b32_e64 v64, v65, v67, s[0:1]
	v_lshl_add_u32 v64, v64, 10, v26
	v_and_b32_e32 v65, 7, v66
	v_and_b32_e32 v64, 0xfc00, v64
	v_cndmask_b32_e64 v63, v63, v65, s[0:1]
	v_and_or_b32 v2, v2, s62, v64
	v_lshl_or_b32 v63, v63, 7, v2
.LBB259_202:                            ;   in Loop: Header=BB259_13 Depth=1
	s_or_b64 exec, exec, s[52:53]
.LBB259_203:                            ;   in Loop: Header=BB259_13 Depth=1
	s_or_b64 exec, exec, s[50:51]
.LBB259_204:                            ;   in Loop: Header=BB259_13 Depth=1
	s_or_b64 exec, exec, s[48:49]
	v_cmp_lt_u32_e64 s[0:1], s63, v16
	s_and_saveexec_b64 s[48:49], s[0:1]
	s_cbranch_execz .LBB259_210
; %bb.205:                              ;   in Loop: Header=BB259_13 Depth=1
	v_lshrrev_b32_e32 v2, 24, v16
	v_cmp_ne_u32_e64 s[0:1], s60, v2
	v_bfrev_b32_e32 v62, 1
	s_and_saveexec_b64 s[50:51], s[0:1]
	s_cbranch_execz .LBB259_209
; %bb.206:                              ;   in Loop: Header=BB259_13 Depth=1
	v_and_b32_e32 v16, 0x7f, v2
	v_cmp_ne_u32_e64 s[0:1], s61, v16
	v_mov_b32_e32 v62, 0x7c010000
	s_and_saveexec_b64 s[52:53], s[0:1]
	s_cbranch_execz .LBB259_208
; %bb.207:                              ;   in Loop: Header=BB259_13 Depth=1
	v_and_b32_e32 v62, 7, v2
	v_ffbh_u32_e32 v64, v62
	v_min_u32_e32 v67, 32, v64
	v_subrev_u32_e32 v64, 28, v67
	v_lshlrev_b64 v[64:65], v64, v[2:3]
	v_lshrrev_b32_e32 v66, 3, v16
	v_sub_u32_e32 v65, 29, v67
	v_cmp_gt_u32_e64 s[0:1], 8, v16
	v_lshlrev_b32_e32 v2, 8, v2
	v_and_b32_e32 v64, 7, v64
	v_cndmask_b32_e64 v16, v66, v65, s[0:1]
	v_lshl_add_u32 v16, v16, 10, v26
	v_and_or_b32 v2, v2, s62, v16
	v_cndmask_b32_e64 v62, v62, v64, s[0:1]
	v_lshlrev_b32_e32 v2, 16, v2
	v_lshl_or_b32 v62, v62, 23, v2
.LBB259_208:                            ;   in Loop: Header=BB259_13 Depth=1
	s_or_b64 exec, exec, s[52:53]
.LBB259_209:                            ;   in Loop: Header=BB259_13 Depth=1
	s_or_b64 exec, exec, s[50:51]
.LBB259_210:                            ;   in Loop: Header=BB259_13 Depth=1
	s_or_b64 exec, exec, s[48:49]
	global_load_dword v16, v[14:15], off offset:2048
	v_mov_b32_e32 v64, 0
	v_mov_b32_e32 v65, 0
	s_waitcnt vmcnt(0)
	v_cmp_ne_u16_sdwa s[0:1], v16, v3 src0_sel:BYTE_0 src1_sel:DWORD
	s_and_saveexec_b64 s[48:49], s[0:1]
	s_cbranch_execz .LBB259_216
; %bb.211:                              ;   in Loop: Header=BB259_13 Depth=1
	v_cmp_ne_u16_sdwa s[0:1], v16, s60 src0_sel:BYTE_0 src1_sel:DWORD
	v_mov_b32_e32 v65, 0x8000
	s_and_saveexec_b64 s[50:51], s[0:1]
	s_cbranch_execz .LBB259_215
; %bb.212:                              ;   in Loop: Header=BB259_13 Depth=1
	v_and_b32_e32 v2, 0x7f, v16
	v_cmp_ne_u32_e64 s[0:1], s61, v2
	v_mov_b32_e32 v65, 0x7c01
	s_and_saveexec_b64 s[52:53], s[0:1]
	s_cbranch_execz .LBB259_214
; %bb.213:                              ;   in Loop: Header=BB259_13 Depth=1
	v_and_b32_e32 v65, 7, v16
	v_ffbh_u32_e32 v66, v65
	v_min_u32_e32 v69, 32, v66
	v_subrev_u32_e32 v66, 28, v69
	v_lshlrev_b64 v[66:67], v66, v[16:17]
	v_lshrrev_b32_e32 v68, 3, v2
	v_sub_u32_e32 v67, 29, v69
	v_cmp_gt_u32_e64 s[0:1], 8, v2
	v_and_b32_e32 v66, 7, v66
	s_nop 0
	v_cndmask_b32_e64 v2, v68, v67, s[0:1]
	v_lshl_add_u32 v2, v2, 10, v26
	v_lshlrev_b32_e32 v67, 8, v16
	v_and_b32_e32 v2, 0xfc00, v2
	v_cndmask_b32_e64 v65, v65, v66, s[0:1]
	v_and_or_b32 v2, v67, s62, v2
	v_lshl_or_b32 v65, v65, 7, v2
.LBB259_214:                            ;   in Loop: Header=BB259_13 Depth=1
	s_or_b64 exec, exec, s[52:53]
.LBB259_215:                            ;   in Loop: Header=BB259_13 Depth=1
	s_or_b64 exec, exec, s[50:51]
.LBB259_216:                            ;   in Loop: Header=BB259_13 Depth=1
	s_or_b64 exec, exec, s[48:49]
	v_lshrrev_b16_e32 v2, 8, v16
	v_cmp_ne_u16_e64 s[0:1], 0, v2
	s_and_saveexec_b64 s[48:49], s[0:1]
	s_cbranch_execz .LBB259_222
; %bb.217:                              ;   in Loop: Header=BB259_13 Depth=1
	v_cmp_ne_u16_e64 s[0:1], s60, v2
	v_bfrev_b32_e32 v64, 1
	s_and_saveexec_b64 s[50:51], s[0:1]
	s_cbranch_execz .LBB259_221
; %bb.218:                              ;   in Loop: Header=BB259_13 Depth=1
	v_and_b32_e32 v66, 0x7f, v2
	v_cmp_ne_u32_e64 s[0:1], s61, v66
	v_mov_b32_e32 v64, 0x7c010000
	s_and_saveexec_b64 s[52:53], s[0:1]
	s_cbranch_execz .LBB259_220
; %bb.219:                              ;   in Loop: Header=BB259_13 Depth=1
	v_and_b32_e32 v64, 7, v2
	v_ffbh_u32_e32 v68, v64
	v_min_u32_e32 v70, 32, v68
	v_subrev_u32_e32 v68, 28, v70
	v_lshlrev_b64 v[68:69], v68, v[2:3]
	v_lshrrev_b32_e32 v67, 3, v66
	v_sub_u32_e32 v69, 29, v70
	v_cmp_gt_u32_e64 s[0:1], 8, v66
	v_lshlrev_b32_e32 v2, 8, v2
	s_nop 0
	v_cndmask_b32_e64 v66, v67, v69, s[0:1]
	v_lshl_add_u32 v66, v66, 10, v26
	v_and_b32_e32 v67, 7, v68
	v_and_or_b32 v2, v2, s62, v66
	v_cndmask_b32_e64 v64, v64, v67, s[0:1]
	v_lshlrev_b32_e32 v2, 16, v2
	v_lshl_or_b32 v64, v64, 23, v2
.LBB259_220:                            ;   in Loop: Header=BB259_13 Depth=1
	s_or_b64 exec, exec, s[52:53]
.LBB259_221:                            ;   in Loop: Header=BB259_13 Depth=1
	s_or_b64 exec, exec, s[50:51]
.LBB259_222:                            ;   in Loop: Header=BB259_13 Depth=1
	s_or_b64 exec, exec, s[48:49]
	v_lshrrev_b32_e32 v2, 16, v16
	v_cmp_ne_u16_sdwa s[0:1], v2, v3 src0_sel:BYTE_0 src1_sel:DWORD
	v_mov_b32_e32 v66, 0
	v_mov_b32_e32 v67, 0
	s_and_saveexec_b64 s[48:49], s[0:1]
	s_cbranch_execz .LBB259_228
; %bb.223:                              ;   in Loop: Header=BB259_13 Depth=1
	v_cmp_ne_u16_sdwa s[0:1], v2, s60 src0_sel:BYTE_0 src1_sel:DWORD
	v_mov_b32_e32 v67, 0x8000
	s_and_saveexec_b64 s[50:51], s[0:1]
	s_cbranch_execz .LBB259_227
; %bb.224:                              ;   in Loop: Header=BB259_13 Depth=1
	v_bfe_u32 v68, v16, 16, 7
	v_cmp_ne_u32_e64 s[0:1], s61, v68
	v_mov_b32_e32 v67, 0x7c01
	s_and_saveexec_b64 s[52:53], s[0:1]
	s_cbranch_execz .LBB259_226
; %bb.225:                              ;   in Loop: Header=BB259_13 Depth=1
	v_and_b32_e32 v67, 7, v2
	v_ffbh_u32_e32 v70, v67
	v_min_u32_e32 v72, 32, v70
	v_subrev_u32_e32 v70, 28, v72
	v_lshlrev_b64 v[70:71], v70, v[2:3]
	v_lshrrev_b32_e32 v69, 3, v68
	v_sub_u32_e32 v71, 29, v72
	v_cmp_gt_u32_e64 s[0:1], 8, v68
	v_lshlrev_b32_e32 v2, 8, v2
	s_nop 0
	v_cndmask_b32_e64 v68, v69, v71, s[0:1]
	v_lshl_add_u32 v68, v68, 10, v26
	v_and_b32_e32 v69, 7, v70
	v_and_b32_e32 v68, 0xfc00, v68
	v_cndmask_b32_e64 v67, v67, v69, s[0:1]
	v_and_or_b32 v2, v2, s62, v68
	v_lshl_or_b32 v67, v67, 7, v2
.LBB259_226:                            ;   in Loop: Header=BB259_13 Depth=1
	s_or_b64 exec, exec, s[52:53]
.LBB259_227:                            ;   in Loop: Header=BB259_13 Depth=1
	s_or_b64 exec, exec, s[50:51]
.LBB259_228:                            ;   in Loop: Header=BB259_13 Depth=1
	s_or_b64 exec, exec, s[48:49]
	v_cmp_lt_u32_e64 s[0:1], s63, v16
	s_and_saveexec_b64 s[48:49], s[0:1]
	s_cbranch_execz .LBB259_234
; %bb.229:                              ;   in Loop: Header=BB259_13 Depth=1
	v_lshrrev_b32_e32 v2, 24, v16
	v_cmp_ne_u32_e64 s[0:1], s60, v2
	v_bfrev_b32_e32 v66, 1
	s_and_saveexec_b64 s[50:51], s[0:1]
	s_cbranch_execz .LBB259_233
; %bb.230:                              ;   in Loop: Header=BB259_13 Depth=1
	v_and_b32_e32 v16, 0x7f, v2
	v_cmp_ne_u32_e64 s[0:1], s61, v16
	v_mov_b32_e32 v66, 0x7c010000
	s_and_saveexec_b64 s[52:53], s[0:1]
	s_cbranch_execz .LBB259_232
; %bb.231:                              ;   in Loop: Header=BB259_13 Depth=1
	v_and_b32_e32 v66, 7, v2
	v_ffbh_u32_e32 v68, v66
	v_min_u32_e32 v71, 32, v68
	v_subrev_u32_e32 v68, 28, v71
	v_lshlrev_b64 v[68:69], v68, v[2:3]
	v_lshrrev_b32_e32 v70, 3, v16
	v_sub_u32_e32 v69, 29, v71
	v_cmp_gt_u32_e64 s[0:1], 8, v16
	v_lshlrev_b32_e32 v2, 8, v2
	v_and_b32_e32 v68, 7, v68
	v_cndmask_b32_e64 v16, v70, v69, s[0:1]
	v_lshl_add_u32 v16, v16, 10, v26
	v_and_or_b32 v2, v2, s62, v16
	v_cndmask_b32_e64 v66, v66, v68, s[0:1]
	v_lshlrev_b32_e32 v2, 16, v2
	v_lshl_or_b32 v66, v66, 23, v2
.LBB259_232:                            ;   in Loop: Header=BB259_13 Depth=1
	s_or_b64 exec, exec, s[52:53]
.LBB259_233:                            ;   in Loop: Header=BB259_13 Depth=1
	s_or_b64 exec, exec, s[50:51]
.LBB259_234:                            ;   in Loop: Header=BB259_13 Depth=1
	s_or_b64 exec, exec, s[48:49]
	global_load_dword v16, v[14:15], off offset:2056
	v_mov_b32_e32 v68, 0
	v_mov_b32_e32 v69, 0
	s_waitcnt vmcnt(0)
	v_cmp_ne_u16_sdwa s[0:1], v16, v3 src0_sel:BYTE_0 src1_sel:DWORD
	s_and_saveexec_b64 s[48:49], s[0:1]
	s_cbranch_execz .LBB259_240
; %bb.235:                              ;   in Loop: Header=BB259_13 Depth=1
	v_cmp_ne_u16_sdwa s[0:1], v16, s60 src0_sel:BYTE_0 src1_sel:DWORD
	v_mov_b32_e32 v69, 0x8000
	s_and_saveexec_b64 s[50:51], s[0:1]
	s_cbranch_execz .LBB259_239
; %bb.236:                              ;   in Loop: Header=BB259_13 Depth=1
	v_and_b32_e32 v2, 0x7f, v16
	v_cmp_ne_u32_e64 s[0:1], s61, v2
	v_mov_b32_e32 v69, 0x7c01
	s_and_saveexec_b64 s[52:53], s[0:1]
	s_cbranch_execz .LBB259_238
; %bb.237:                              ;   in Loop: Header=BB259_13 Depth=1
	v_and_b32_e32 v69, 7, v16
	v_ffbh_u32_e32 v70, v69
	v_min_u32_e32 v73, 32, v70
	v_subrev_u32_e32 v70, 28, v73
	v_lshlrev_b64 v[70:71], v70, v[16:17]
	v_lshrrev_b32_e32 v72, 3, v2
	v_sub_u32_e32 v71, 29, v73
	v_cmp_gt_u32_e64 s[0:1], 8, v2
	v_and_b32_e32 v70, 7, v70
	s_nop 0
	v_cndmask_b32_e64 v2, v72, v71, s[0:1]
	v_lshl_add_u32 v2, v2, 10, v26
	v_lshlrev_b32_e32 v71, 8, v16
	v_and_b32_e32 v2, 0xfc00, v2
	v_cndmask_b32_e64 v69, v69, v70, s[0:1]
	v_and_or_b32 v2, v71, s62, v2
	v_lshl_or_b32 v69, v69, 7, v2
.LBB259_238:                            ;   in Loop: Header=BB259_13 Depth=1
	s_or_b64 exec, exec, s[52:53]
.LBB259_239:                            ;   in Loop: Header=BB259_13 Depth=1
	s_or_b64 exec, exec, s[50:51]
.LBB259_240:                            ;   in Loop: Header=BB259_13 Depth=1
	s_or_b64 exec, exec, s[48:49]
	v_lshrrev_b16_e32 v2, 8, v16
	v_cmp_ne_u16_e64 s[0:1], 0, v2
	s_and_saveexec_b64 s[48:49], s[0:1]
	s_cbranch_execz .LBB259_246
; %bb.241:                              ;   in Loop: Header=BB259_13 Depth=1
	v_cmp_ne_u16_e64 s[0:1], s60, v2
	v_bfrev_b32_e32 v68, 1
	s_and_saveexec_b64 s[50:51], s[0:1]
	s_cbranch_execz .LBB259_245
; %bb.242:                              ;   in Loop: Header=BB259_13 Depth=1
	v_and_b32_e32 v70, 0x7f, v2
	v_cmp_ne_u32_e64 s[0:1], s61, v70
	v_mov_b32_e32 v68, 0x7c010000
	s_and_saveexec_b64 s[52:53], s[0:1]
	s_cbranch_execz .LBB259_244
; %bb.243:                              ;   in Loop: Header=BB259_13 Depth=1
	v_and_b32_e32 v68, 7, v2
	v_ffbh_u32_e32 v72, v68
	v_min_u32_e32 v74, 32, v72
	v_subrev_u32_e32 v72, 28, v74
	v_lshlrev_b64 v[72:73], v72, v[2:3]
	v_lshrrev_b32_e32 v71, 3, v70
	v_sub_u32_e32 v73, 29, v74
	v_cmp_gt_u32_e64 s[0:1], 8, v70
	v_lshlrev_b32_e32 v2, 8, v2
	s_nop 0
	v_cndmask_b32_e64 v70, v71, v73, s[0:1]
	v_lshl_add_u32 v70, v70, 10, v26
	v_and_b32_e32 v71, 7, v72
	v_and_or_b32 v2, v2, s62, v70
	v_cndmask_b32_e64 v68, v68, v71, s[0:1]
	v_lshlrev_b32_e32 v2, 16, v2
	v_lshl_or_b32 v68, v68, 23, v2
.LBB259_244:                            ;   in Loop: Header=BB259_13 Depth=1
	s_or_b64 exec, exec, s[52:53]
.LBB259_245:                            ;   in Loop: Header=BB259_13 Depth=1
	s_or_b64 exec, exec, s[50:51]
.LBB259_246:                            ;   in Loop: Header=BB259_13 Depth=1
	s_or_b64 exec, exec, s[48:49]
	v_lshrrev_b32_e32 v2, 16, v16
	v_cmp_ne_u16_sdwa s[0:1], v2, v3 src0_sel:BYTE_0 src1_sel:DWORD
	v_mov_b32_e32 v70, 0
	v_mov_b32_e32 v71, 0
	s_and_saveexec_b64 s[48:49], s[0:1]
	s_cbranch_execz .LBB259_252
; %bb.247:                              ;   in Loop: Header=BB259_13 Depth=1
	v_cmp_ne_u16_sdwa s[0:1], v2, s60 src0_sel:BYTE_0 src1_sel:DWORD
	v_mov_b32_e32 v71, 0x8000
	s_and_saveexec_b64 s[50:51], s[0:1]
	s_cbranch_execz .LBB259_251
; %bb.248:                              ;   in Loop: Header=BB259_13 Depth=1
	v_bfe_u32 v72, v16, 16, 7
	v_cmp_ne_u32_e64 s[0:1], s61, v72
	v_mov_b32_e32 v71, 0x7c01
	s_and_saveexec_b64 s[52:53], s[0:1]
	s_cbranch_execz .LBB259_250
; %bb.249:                              ;   in Loop: Header=BB259_13 Depth=1
	v_and_b32_e32 v71, 7, v2
	v_ffbh_u32_e32 v74, v71
	v_min_u32_e32 v76, 32, v74
	v_subrev_u32_e32 v74, 28, v76
	v_lshlrev_b64 v[74:75], v74, v[2:3]
	v_lshrrev_b32_e32 v73, 3, v72
	v_sub_u32_e32 v75, 29, v76
	v_cmp_gt_u32_e64 s[0:1], 8, v72
	v_lshlrev_b32_e32 v2, 8, v2
	s_nop 0
	v_cndmask_b32_e64 v72, v73, v75, s[0:1]
	v_lshl_add_u32 v72, v72, 10, v26
	v_and_b32_e32 v73, 7, v74
	v_and_b32_e32 v72, 0xfc00, v72
	v_cndmask_b32_e64 v71, v71, v73, s[0:1]
	v_and_or_b32 v2, v2, s62, v72
	v_lshl_or_b32 v71, v71, 7, v2
.LBB259_250:                            ;   in Loop: Header=BB259_13 Depth=1
	s_or_b64 exec, exec, s[52:53]
.LBB259_251:                            ;   in Loop: Header=BB259_13 Depth=1
	s_or_b64 exec, exec, s[50:51]
.LBB259_252:                            ;   in Loop: Header=BB259_13 Depth=1
	s_or_b64 exec, exec, s[48:49]
	v_cmp_lt_u32_e64 s[0:1], s63, v16
	s_and_saveexec_b64 s[48:49], s[0:1]
	s_cbranch_execz .LBB259_258
; %bb.253:                              ;   in Loop: Header=BB259_13 Depth=1
	v_lshrrev_b32_e32 v2, 24, v16
	v_cmp_ne_u32_e64 s[0:1], s60, v2
	v_bfrev_b32_e32 v70, 1
	s_and_saveexec_b64 s[50:51], s[0:1]
	s_cbranch_execz .LBB259_257
; %bb.254:                              ;   in Loop: Header=BB259_13 Depth=1
	v_and_b32_e32 v16, 0x7f, v2
	v_cmp_ne_u32_e64 s[0:1], s61, v16
	v_mov_b32_e32 v70, 0x7c010000
	s_and_saveexec_b64 s[52:53], s[0:1]
	s_cbranch_execz .LBB259_256
; %bb.255:                              ;   in Loop: Header=BB259_13 Depth=1
	v_and_b32_e32 v70, 7, v2
	v_ffbh_u32_e32 v72, v70
	v_min_u32_e32 v75, 32, v72
	v_subrev_u32_e32 v72, 28, v75
	v_lshlrev_b64 v[72:73], v72, v[2:3]
	v_lshrrev_b32_e32 v74, 3, v16
	v_sub_u32_e32 v73, 29, v75
	v_cmp_gt_u32_e64 s[0:1], 8, v16
	v_lshlrev_b32_e32 v2, 8, v2
	v_and_b32_e32 v72, 7, v72
	v_cndmask_b32_e64 v16, v74, v73, s[0:1]
	v_lshl_add_u32 v16, v16, 10, v26
	v_and_or_b32 v2, v2, s62, v16
	v_cndmask_b32_e64 v70, v70, v72, s[0:1]
	v_lshlrev_b32_e32 v2, 16, v2
	v_lshl_or_b32 v70, v70, 23, v2
.LBB259_256:                            ;   in Loop: Header=BB259_13 Depth=1
	s_or_b64 exec, exec, s[52:53]
.LBB259_257:                            ;   in Loop: Header=BB259_13 Depth=1
	s_or_b64 exec, exec, s[50:51]
.LBB259_258:                            ;   in Loop: Header=BB259_13 Depth=1
	s_or_b64 exec, exec, s[48:49]
	global_load_dword v16, v[14:15], off offset:2560
	v_mov_b32_e32 v72, 0
	v_mov_b32_e32 v73, 0
	s_waitcnt vmcnt(0)
	v_cmp_ne_u16_sdwa s[0:1], v16, v3 src0_sel:BYTE_0 src1_sel:DWORD
	s_and_saveexec_b64 s[48:49], s[0:1]
	s_cbranch_execz .LBB259_264
; %bb.259:                              ;   in Loop: Header=BB259_13 Depth=1
	v_cmp_ne_u16_sdwa s[0:1], v16, s60 src0_sel:BYTE_0 src1_sel:DWORD
	v_mov_b32_e32 v73, 0x8000
	s_and_saveexec_b64 s[50:51], s[0:1]
	s_cbranch_execz .LBB259_263
; %bb.260:                              ;   in Loop: Header=BB259_13 Depth=1
	v_and_b32_e32 v2, 0x7f, v16
	v_cmp_ne_u32_e64 s[0:1], s61, v2
	v_mov_b32_e32 v73, 0x7c01
	s_and_saveexec_b64 s[52:53], s[0:1]
	s_cbranch_execz .LBB259_262
; %bb.261:                              ;   in Loop: Header=BB259_13 Depth=1
	v_and_b32_e32 v73, 7, v16
	v_ffbh_u32_e32 v74, v73
	v_min_u32_e32 v77, 32, v74
	v_subrev_u32_e32 v74, 28, v77
	v_lshlrev_b64 v[74:75], v74, v[16:17]
	v_lshrrev_b32_e32 v76, 3, v2
	v_sub_u32_e32 v75, 29, v77
	v_cmp_gt_u32_e64 s[0:1], 8, v2
	v_and_b32_e32 v74, 7, v74
	s_nop 0
	v_cndmask_b32_e64 v2, v76, v75, s[0:1]
	v_lshl_add_u32 v2, v2, 10, v26
	v_lshlrev_b32_e32 v75, 8, v16
	v_and_b32_e32 v2, 0xfc00, v2
	v_cndmask_b32_e64 v73, v73, v74, s[0:1]
	v_and_or_b32 v2, v75, s62, v2
	v_lshl_or_b32 v73, v73, 7, v2
.LBB259_262:                            ;   in Loop: Header=BB259_13 Depth=1
	s_or_b64 exec, exec, s[52:53]
.LBB259_263:                            ;   in Loop: Header=BB259_13 Depth=1
	s_or_b64 exec, exec, s[50:51]
.LBB259_264:                            ;   in Loop: Header=BB259_13 Depth=1
	s_or_b64 exec, exec, s[48:49]
	v_lshrrev_b16_e32 v2, 8, v16
	v_cmp_ne_u16_e64 s[0:1], 0, v2
	s_and_saveexec_b64 s[48:49], s[0:1]
	s_cbranch_execz .LBB259_270
; %bb.265:                              ;   in Loop: Header=BB259_13 Depth=1
	v_cmp_ne_u16_e64 s[0:1], s60, v2
	v_bfrev_b32_e32 v72, 1
	s_and_saveexec_b64 s[50:51], s[0:1]
	s_cbranch_execz .LBB259_269
; %bb.266:                              ;   in Loop: Header=BB259_13 Depth=1
	v_and_b32_e32 v74, 0x7f, v2
	v_cmp_ne_u32_e64 s[0:1], s61, v74
	v_mov_b32_e32 v72, 0x7c010000
	s_and_saveexec_b64 s[52:53], s[0:1]
	s_cbranch_execz .LBB259_268
; %bb.267:                              ;   in Loop: Header=BB259_13 Depth=1
	v_and_b32_e32 v72, 7, v2
	v_ffbh_u32_e32 v76, v72
	v_min_u32_e32 v78, 32, v76
	v_subrev_u32_e32 v76, 28, v78
	v_lshlrev_b64 v[76:77], v76, v[2:3]
	v_lshrrev_b32_e32 v75, 3, v74
	v_sub_u32_e32 v77, 29, v78
	v_cmp_gt_u32_e64 s[0:1], 8, v74
	v_lshlrev_b32_e32 v2, 8, v2
	s_nop 0
	v_cndmask_b32_e64 v74, v75, v77, s[0:1]
	v_lshl_add_u32 v74, v74, 10, v26
	v_and_b32_e32 v75, 7, v76
	v_and_or_b32 v2, v2, s62, v74
	v_cndmask_b32_e64 v72, v72, v75, s[0:1]
	v_lshlrev_b32_e32 v2, 16, v2
	v_lshl_or_b32 v72, v72, 23, v2
.LBB259_268:                            ;   in Loop: Header=BB259_13 Depth=1
	s_or_b64 exec, exec, s[52:53]
.LBB259_269:                            ;   in Loop: Header=BB259_13 Depth=1
	s_or_b64 exec, exec, s[50:51]
.LBB259_270:                            ;   in Loop: Header=BB259_13 Depth=1
	s_or_b64 exec, exec, s[48:49]
	v_lshrrev_b32_e32 v2, 16, v16
	v_cmp_ne_u16_sdwa s[0:1], v2, v3 src0_sel:BYTE_0 src1_sel:DWORD
	v_mov_b32_e32 v74, 0
	v_mov_b32_e32 v75, 0
	s_and_saveexec_b64 s[48:49], s[0:1]
	s_cbranch_execz .LBB259_276
; %bb.271:                              ;   in Loop: Header=BB259_13 Depth=1
	v_cmp_ne_u16_sdwa s[0:1], v2, s60 src0_sel:BYTE_0 src1_sel:DWORD
	v_mov_b32_e32 v75, 0x8000
	s_and_saveexec_b64 s[50:51], s[0:1]
	s_cbranch_execz .LBB259_275
; %bb.272:                              ;   in Loop: Header=BB259_13 Depth=1
	v_bfe_u32 v76, v16, 16, 7
	v_cmp_ne_u32_e64 s[0:1], s61, v76
	v_mov_b32_e32 v75, 0x7c01
	s_and_saveexec_b64 s[52:53], s[0:1]
	s_cbranch_execz .LBB259_274
; %bb.273:                              ;   in Loop: Header=BB259_13 Depth=1
	v_and_b32_e32 v75, 7, v2
	v_ffbh_u32_e32 v78, v75
	v_min_u32_e32 v80, 32, v78
	v_subrev_u32_e32 v78, 28, v80
	v_lshlrev_b64 v[78:79], v78, v[2:3]
	v_lshrrev_b32_e32 v77, 3, v76
	v_sub_u32_e32 v79, 29, v80
	v_cmp_gt_u32_e64 s[0:1], 8, v76
	v_lshlrev_b32_e32 v2, 8, v2
	s_nop 0
	v_cndmask_b32_e64 v76, v77, v79, s[0:1]
	v_lshl_add_u32 v76, v76, 10, v26
	v_and_b32_e32 v77, 7, v78
	v_and_b32_e32 v76, 0xfc00, v76
	v_cndmask_b32_e64 v75, v75, v77, s[0:1]
	v_and_or_b32 v2, v2, s62, v76
	v_lshl_or_b32 v75, v75, 7, v2
.LBB259_274:                            ;   in Loop: Header=BB259_13 Depth=1
	s_or_b64 exec, exec, s[52:53]
.LBB259_275:                            ;   in Loop: Header=BB259_13 Depth=1
	s_or_b64 exec, exec, s[50:51]
.LBB259_276:                            ;   in Loop: Header=BB259_13 Depth=1
	s_or_b64 exec, exec, s[48:49]
	v_cmp_lt_u32_e64 s[0:1], s63, v16
	s_and_saveexec_b64 s[48:49], s[0:1]
	s_cbranch_execz .LBB259_282
; %bb.277:                              ;   in Loop: Header=BB259_13 Depth=1
	v_lshrrev_b32_e32 v2, 24, v16
	v_cmp_ne_u32_e64 s[0:1], s60, v2
	v_bfrev_b32_e32 v74, 1
	s_and_saveexec_b64 s[50:51], s[0:1]
	s_cbranch_execz .LBB259_281
; %bb.278:                              ;   in Loop: Header=BB259_13 Depth=1
	v_and_b32_e32 v16, 0x7f, v2
	v_cmp_ne_u32_e64 s[0:1], s61, v16
	v_mov_b32_e32 v74, 0x7c010000
	s_and_saveexec_b64 s[52:53], s[0:1]
	s_cbranch_execz .LBB259_280
; %bb.279:                              ;   in Loop: Header=BB259_13 Depth=1
	v_and_b32_e32 v74, 7, v2
	v_ffbh_u32_e32 v76, v74
	v_min_u32_e32 v79, 32, v76
	v_subrev_u32_e32 v76, 28, v79
	v_lshlrev_b64 v[76:77], v76, v[2:3]
	v_lshrrev_b32_e32 v78, 3, v16
	v_sub_u32_e32 v77, 29, v79
	v_cmp_gt_u32_e64 s[0:1], 8, v16
	v_lshlrev_b32_e32 v2, 8, v2
	v_and_b32_e32 v76, 7, v76
	v_cndmask_b32_e64 v16, v78, v77, s[0:1]
	v_lshl_add_u32 v16, v16, 10, v26
	v_and_or_b32 v2, v2, s62, v16
	v_cndmask_b32_e64 v74, v74, v76, s[0:1]
	v_lshlrev_b32_e32 v2, 16, v2
	v_lshl_or_b32 v74, v74, 23, v2
.LBB259_280:                            ;   in Loop: Header=BB259_13 Depth=1
	s_or_b64 exec, exec, s[52:53]
.LBB259_281:                            ;   in Loop: Header=BB259_13 Depth=1
	s_or_b64 exec, exec, s[50:51]
.LBB259_282:                            ;   in Loop: Header=BB259_13 Depth=1
	s_or_b64 exec, exec, s[48:49]
	global_load_dword v16, v[14:15], off offset:2568
	v_mov_b32_e32 v76, 0
	v_mov_b32_e32 v77, 0
	s_waitcnt vmcnt(0)
	v_cmp_ne_u16_sdwa s[0:1], v16, v3 src0_sel:BYTE_0 src1_sel:DWORD
	s_and_saveexec_b64 s[48:49], s[0:1]
	s_cbranch_execz .LBB259_288
; %bb.283:                              ;   in Loop: Header=BB259_13 Depth=1
	v_cmp_ne_u16_sdwa s[0:1], v16, s60 src0_sel:BYTE_0 src1_sel:DWORD
	v_mov_b32_e32 v77, 0x8000
	s_and_saveexec_b64 s[50:51], s[0:1]
	s_cbranch_execz .LBB259_287
; %bb.284:                              ;   in Loop: Header=BB259_13 Depth=1
	v_and_b32_e32 v2, 0x7f, v16
	v_cmp_ne_u32_e64 s[0:1], s61, v2
	v_mov_b32_e32 v77, 0x7c01
	s_and_saveexec_b64 s[52:53], s[0:1]
	s_cbranch_execz .LBB259_286
; %bb.285:                              ;   in Loop: Header=BB259_13 Depth=1
	v_and_b32_e32 v77, 7, v16
	v_ffbh_u32_e32 v78, v77
	v_min_u32_e32 v81, 32, v78
	v_subrev_u32_e32 v78, 28, v81
	v_lshlrev_b64 v[78:79], v78, v[16:17]
	v_lshrrev_b32_e32 v80, 3, v2
	v_sub_u32_e32 v79, 29, v81
	v_cmp_gt_u32_e64 s[0:1], 8, v2
	v_and_b32_e32 v78, 7, v78
	s_nop 0
	v_cndmask_b32_e64 v2, v80, v79, s[0:1]
	v_lshl_add_u32 v2, v2, 10, v26
	v_lshlrev_b32_e32 v79, 8, v16
	v_and_b32_e32 v2, 0xfc00, v2
	v_cndmask_b32_e64 v77, v77, v78, s[0:1]
	v_and_or_b32 v2, v79, s62, v2
	v_lshl_or_b32 v77, v77, 7, v2
.LBB259_286:                            ;   in Loop: Header=BB259_13 Depth=1
	s_or_b64 exec, exec, s[52:53]
.LBB259_287:                            ;   in Loop: Header=BB259_13 Depth=1
	s_or_b64 exec, exec, s[50:51]
.LBB259_288:                            ;   in Loop: Header=BB259_13 Depth=1
	s_or_b64 exec, exec, s[48:49]
	v_lshrrev_b16_e32 v2, 8, v16
	v_cmp_ne_u16_e64 s[0:1], 0, v2
	s_and_saveexec_b64 s[48:49], s[0:1]
	s_cbranch_execz .LBB259_294
; %bb.289:                              ;   in Loop: Header=BB259_13 Depth=1
	v_cmp_ne_u16_e64 s[0:1], s60, v2
	v_bfrev_b32_e32 v76, 1
	s_and_saveexec_b64 s[50:51], s[0:1]
	s_cbranch_execz .LBB259_293
; %bb.290:                              ;   in Loop: Header=BB259_13 Depth=1
	v_and_b32_e32 v78, 0x7f, v2
	v_cmp_ne_u32_e64 s[0:1], s61, v78
	v_mov_b32_e32 v76, 0x7c010000
	s_and_saveexec_b64 s[52:53], s[0:1]
	s_cbranch_execz .LBB259_292
; %bb.291:                              ;   in Loop: Header=BB259_13 Depth=1
	v_and_b32_e32 v76, 7, v2
	v_ffbh_u32_e32 v80, v76
	v_min_u32_e32 v82, 32, v80
	v_subrev_u32_e32 v80, 28, v82
	v_lshlrev_b64 v[80:81], v80, v[2:3]
	v_lshrrev_b32_e32 v79, 3, v78
	v_sub_u32_e32 v81, 29, v82
	v_cmp_gt_u32_e64 s[0:1], 8, v78
	v_lshlrev_b32_e32 v2, 8, v2
	s_nop 0
	v_cndmask_b32_e64 v78, v79, v81, s[0:1]
	v_lshl_add_u32 v78, v78, 10, v26
	v_and_b32_e32 v79, 7, v80
	v_and_or_b32 v2, v2, s62, v78
	v_cndmask_b32_e64 v76, v76, v79, s[0:1]
	v_lshlrev_b32_e32 v2, 16, v2
	v_lshl_or_b32 v76, v76, 23, v2
.LBB259_292:                            ;   in Loop: Header=BB259_13 Depth=1
	s_or_b64 exec, exec, s[52:53]
.LBB259_293:                            ;   in Loop: Header=BB259_13 Depth=1
	s_or_b64 exec, exec, s[50:51]
.LBB259_294:                            ;   in Loop: Header=BB259_13 Depth=1
	s_or_b64 exec, exec, s[48:49]
	v_lshrrev_b32_e32 v2, 16, v16
	v_cmp_ne_u16_sdwa s[0:1], v2, v3 src0_sel:BYTE_0 src1_sel:DWORD
	v_mov_b32_e32 v78, 0
	v_mov_b32_e32 v79, 0
	s_and_saveexec_b64 s[48:49], s[0:1]
	s_cbranch_execz .LBB259_300
; %bb.295:                              ;   in Loop: Header=BB259_13 Depth=1
	v_cmp_ne_u16_sdwa s[0:1], v2, s60 src0_sel:BYTE_0 src1_sel:DWORD
	v_mov_b32_e32 v79, 0x8000
	s_and_saveexec_b64 s[50:51], s[0:1]
	s_cbranch_execz .LBB259_299
; %bb.296:                              ;   in Loop: Header=BB259_13 Depth=1
	v_bfe_u32 v80, v16, 16, 7
	v_cmp_ne_u32_e64 s[0:1], s61, v80
	v_mov_b32_e32 v79, 0x7c01
	s_and_saveexec_b64 s[52:53], s[0:1]
	s_cbranch_execz .LBB259_298
; %bb.297:                              ;   in Loop: Header=BB259_13 Depth=1
	v_and_b32_e32 v79, 7, v2
	v_ffbh_u32_e32 v82, v79
	v_min_u32_e32 v84, 32, v82
	v_subrev_u32_e32 v82, 28, v84
	v_lshlrev_b64 v[82:83], v82, v[2:3]
	v_lshrrev_b32_e32 v81, 3, v80
	v_sub_u32_e32 v83, 29, v84
	v_cmp_gt_u32_e64 s[0:1], 8, v80
	v_lshlrev_b32_e32 v2, 8, v2
	s_nop 0
	v_cndmask_b32_e64 v80, v81, v83, s[0:1]
	v_lshl_add_u32 v80, v80, 10, v26
	v_and_b32_e32 v81, 7, v82
	v_and_b32_e32 v80, 0xfc00, v80
	v_cndmask_b32_e64 v79, v79, v81, s[0:1]
	v_and_or_b32 v2, v2, s62, v80
	v_lshl_or_b32 v79, v79, 7, v2
.LBB259_298:                            ;   in Loop: Header=BB259_13 Depth=1
	s_or_b64 exec, exec, s[52:53]
.LBB259_299:                            ;   in Loop: Header=BB259_13 Depth=1
	s_or_b64 exec, exec, s[50:51]
.LBB259_300:                            ;   in Loop: Header=BB259_13 Depth=1
	s_or_b64 exec, exec, s[48:49]
	v_cmp_lt_u32_e64 s[0:1], s63, v16
	s_and_saveexec_b64 s[48:49], s[0:1]
	s_cbranch_execz .LBB259_306
; %bb.301:                              ;   in Loop: Header=BB259_13 Depth=1
	v_lshrrev_b32_e32 v2, 24, v16
	v_cmp_ne_u32_e64 s[0:1], s60, v2
	v_bfrev_b32_e32 v78, 1
	s_and_saveexec_b64 s[50:51], s[0:1]
	s_cbranch_execz .LBB259_305
; %bb.302:                              ;   in Loop: Header=BB259_13 Depth=1
	v_and_b32_e32 v16, 0x7f, v2
	v_cmp_ne_u32_e64 s[0:1], s61, v16
	v_mov_b32_e32 v78, 0x7c010000
	s_and_saveexec_b64 s[52:53], s[0:1]
	s_cbranch_execz .LBB259_304
; %bb.303:                              ;   in Loop: Header=BB259_13 Depth=1
	v_and_b32_e32 v78, 7, v2
	v_ffbh_u32_e32 v80, v78
	v_min_u32_e32 v83, 32, v80
	v_subrev_u32_e32 v80, 28, v83
	v_lshlrev_b64 v[80:81], v80, v[2:3]
	v_lshrrev_b32_e32 v82, 3, v16
	v_sub_u32_e32 v81, 29, v83
	v_cmp_gt_u32_e64 s[0:1], 8, v16
	v_lshlrev_b32_e32 v2, 8, v2
	v_and_b32_e32 v80, 7, v80
	v_cndmask_b32_e64 v16, v82, v81, s[0:1]
	v_lshl_add_u32 v16, v16, 10, v26
	v_and_or_b32 v2, v2, s62, v16
	v_cndmask_b32_e64 v78, v78, v80, s[0:1]
	v_lshlrev_b32_e32 v2, 16, v2
	v_lshl_or_b32 v78, v78, 23, v2
.LBB259_304:                            ;   in Loop: Header=BB259_13 Depth=1
	s_or_b64 exec, exec, s[52:53]
.LBB259_305:                            ;   in Loop: Header=BB259_13 Depth=1
	s_or_b64 exec, exec, s[50:51]
.LBB259_306:                            ;   in Loop: Header=BB259_13 Depth=1
	s_or_b64 exec, exec, s[48:49]
	global_load_dword v16, v[14:15], off offset:3072
	v_mov_b32_e32 v80, 0
	v_mov_b32_e32 v81, 0
	s_waitcnt vmcnt(0)
	v_cmp_ne_u16_sdwa s[0:1], v16, v3 src0_sel:BYTE_0 src1_sel:DWORD
	s_and_saveexec_b64 s[48:49], s[0:1]
	s_cbranch_execz .LBB259_312
; %bb.307:                              ;   in Loop: Header=BB259_13 Depth=1
	v_cmp_ne_u16_sdwa s[0:1], v16, s60 src0_sel:BYTE_0 src1_sel:DWORD
	v_mov_b32_e32 v81, 0x8000
	s_and_saveexec_b64 s[50:51], s[0:1]
	s_cbranch_execz .LBB259_311
; %bb.308:                              ;   in Loop: Header=BB259_13 Depth=1
	v_and_b32_e32 v2, 0x7f, v16
	v_cmp_ne_u32_e64 s[0:1], s61, v2
	v_mov_b32_e32 v81, 0x7c01
	s_and_saveexec_b64 s[52:53], s[0:1]
	s_cbranch_execz .LBB259_310
; %bb.309:                              ;   in Loop: Header=BB259_13 Depth=1
	v_and_b32_e32 v81, 7, v16
	v_ffbh_u32_e32 v82, v81
	v_min_u32_e32 v85, 32, v82
	v_subrev_u32_e32 v82, 28, v85
	v_lshlrev_b64 v[82:83], v82, v[16:17]
	v_lshrrev_b32_e32 v84, 3, v2
	v_sub_u32_e32 v83, 29, v85
	v_cmp_gt_u32_e64 s[0:1], 8, v2
	v_and_b32_e32 v82, 7, v82
	s_nop 0
	v_cndmask_b32_e64 v2, v84, v83, s[0:1]
	v_lshl_add_u32 v2, v2, 10, v26
	v_lshlrev_b32_e32 v83, 8, v16
	v_and_b32_e32 v2, 0xfc00, v2
	v_cndmask_b32_e64 v81, v81, v82, s[0:1]
	v_and_or_b32 v2, v83, s62, v2
	v_lshl_or_b32 v81, v81, 7, v2
.LBB259_310:                            ;   in Loop: Header=BB259_13 Depth=1
	s_or_b64 exec, exec, s[52:53]
.LBB259_311:                            ;   in Loop: Header=BB259_13 Depth=1
	s_or_b64 exec, exec, s[50:51]
.LBB259_312:                            ;   in Loop: Header=BB259_13 Depth=1
	s_or_b64 exec, exec, s[48:49]
	v_lshrrev_b16_e32 v2, 8, v16
	v_cmp_ne_u16_e64 s[0:1], 0, v2
	s_and_saveexec_b64 s[48:49], s[0:1]
	s_cbranch_execz .LBB259_318
; %bb.313:                              ;   in Loop: Header=BB259_13 Depth=1
	v_cmp_ne_u16_e64 s[0:1], s60, v2
	v_bfrev_b32_e32 v80, 1
	s_and_saveexec_b64 s[50:51], s[0:1]
	s_cbranch_execz .LBB259_317
; %bb.314:                              ;   in Loop: Header=BB259_13 Depth=1
	v_and_b32_e32 v82, 0x7f, v2
	v_cmp_ne_u32_e64 s[0:1], s61, v82
	v_mov_b32_e32 v80, 0x7c010000
	s_and_saveexec_b64 s[52:53], s[0:1]
	s_cbranch_execz .LBB259_316
; %bb.315:                              ;   in Loop: Header=BB259_13 Depth=1
	v_and_b32_e32 v80, 7, v2
	v_ffbh_u32_e32 v84, v80
	v_min_u32_e32 v86, 32, v84
	v_subrev_u32_e32 v84, 28, v86
	v_lshlrev_b64 v[84:85], v84, v[2:3]
	v_lshrrev_b32_e32 v83, 3, v82
	v_sub_u32_e32 v85, 29, v86
	v_cmp_gt_u32_e64 s[0:1], 8, v82
	v_lshlrev_b32_e32 v2, 8, v2
	s_nop 0
	v_cndmask_b32_e64 v82, v83, v85, s[0:1]
	v_lshl_add_u32 v82, v82, 10, v26
	v_and_b32_e32 v83, 7, v84
	v_and_or_b32 v2, v2, s62, v82
	v_cndmask_b32_e64 v80, v80, v83, s[0:1]
	v_lshlrev_b32_e32 v2, 16, v2
	v_lshl_or_b32 v80, v80, 23, v2
.LBB259_316:                            ;   in Loop: Header=BB259_13 Depth=1
	s_or_b64 exec, exec, s[52:53]
.LBB259_317:                            ;   in Loop: Header=BB259_13 Depth=1
	s_or_b64 exec, exec, s[50:51]
.LBB259_318:                            ;   in Loop: Header=BB259_13 Depth=1
	s_or_b64 exec, exec, s[48:49]
	v_lshrrev_b32_e32 v2, 16, v16
	v_cmp_ne_u16_sdwa s[0:1], v2, v3 src0_sel:BYTE_0 src1_sel:DWORD
	v_mov_b32_e32 v82, 0
	v_mov_b32_e32 v83, 0
	s_and_saveexec_b64 s[48:49], s[0:1]
	s_cbranch_execz .LBB259_324
; %bb.319:                              ;   in Loop: Header=BB259_13 Depth=1
	v_cmp_ne_u16_sdwa s[0:1], v2, s60 src0_sel:BYTE_0 src1_sel:DWORD
	v_mov_b32_e32 v83, 0x8000
	s_and_saveexec_b64 s[50:51], s[0:1]
	s_cbranch_execz .LBB259_323
; %bb.320:                              ;   in Loop: Header=BB259_13 Depth=1
	v_bfe_u32 v84, v16, 16, 7
	v_cmp_ne_u32_e64 s[0:1], s61, v84
	v_mov_b32_e32 v83, 0x7c01
	s_and_saveexec_b64 s[52:53], s[0:1]
	s_cbranch_execz .LBB259_322
; %bb.321:                              ;   in Loop: Header=BB259_13 Depth=1
	v_and_b32_e32 v83, 7, v2
	v_ffbh_u32_e32 v86, v83
	v_min_u32_e32 v88, 32, v86
	v_subrev_u32_e32 v86, 28, v88
	v_lshlrev_b64 v[86:87], v86, v[2:3]
	v_lshrrev_b32_e32 v85, 3, v84
	v_sub_u32_e32 v87, 29, v88
	v_cmp_gt_u32_e64 s[0:1], 8, v84
	v_lshlrev_b32_e32 v2, 8, v2
	s_nop 0
	v_cndmask_b32_e64 v84, v85, v87, s[0:1]
	v_lshl_add_u32 v84, v84, 10, v26
	v_and_b32_e32 v85, 7, v86
	v_and_b32_e32 v84, 0xfc00, v84
	v_cndmask_b32_e64 v83, v83, v85, s[0:1]
	v_and_or_b32 v2, v2, s62, v84
	v_lshl_or_b32 v83, v83, 7, v2
.LBB259_322:                            ;   in Loop: Header=BB259_13 Depth=1
	s_or_b64 exec, exec, s[52:53]
.LBB259_323:                            ;   in Loop: Header=BB259_13 Depth=1
	s_or_b64 exec, exec, s[50:51]
.LBB259_324:                            ;   in Loop: Header=BB259_13 Depth=1
	s_or_b64 exec, exec, s[48:49]
	v_cmp_lt_u32_e64 s[0:1], s63, v16
	s_and_saveexec_b64 s[48:49], s[0:1]
	s_cbranch_execz .LBB259_330
; %bb.325:                              ;   in Loop: Header=BB259_13 Depth=1
	v_lshrrev_b32_e32 v2, 24, v16
	v_cmp_ne_u32_e64 s[0:1], s60, v2
	v_bfrev_b32_e32 v82, 1
	s_and_saveexec_b64 s[50:51], s[0:1]
	s_cbranch_execz .LBB259_329
; %bb.326:                              ;   in Loop: Header=BB259_13 Depth=1
	v_and_b32_e32 v16, 0x7f, v2
	v_cmp_ne_u32_e64 s[0:1], s61, v16
	v_mov_b32_e32 v82, 0x7c010000
	s_and_saveexec_b64 s[52:53], s[0:1]
	s_cbranch_execz .LBB259_328
; %bb.327:                              ;   in Loop: Header=BB259_13 Depth=1
	v_and_b32_e32 v82, 7, v2
	v_ffbh_u32_e32 v84, v82
	v_min_u32_e32 v87, 32, v84
	v_subrev_u32_e32 v84, 28, v87
	v_lshlrev_b64 v[84:85], v84, v[2:3]
	v_lshrrev_b32_e32 v86, 3, v16
	v_sub_u32_e32 v85, 29, v87
	v_cmp_gt_u32_e64 s[0:1], 8, v16
	v_lshlrev_b32_e32 v2, 8, v2
	v_and_b32_e32 v84, 7, v84
	v_cndmask_b32_e64 v16, v86, v85, s[0:1]
	v_lshl_add_u32 v16, v16, 10, v26
	v_and_or_b32 v2, v2, s62, v16
	v_cndmask_b32_e64 v82, v82, v84, s[0:1]
	v_lshlrev_b32_e32 v2, 16, v2
	v_lshl_or_b32 v82, v82, 23, v2
.LBB259_328:                            ;   in Loop: Header=BB259_13 Depth=1
	s_or_b64 exec, exec, s[52:53]
.LBB259_329:                            ;   in Loop: Header=BB259_13 Depth=1
	s_or_b64 exec, exec, s[50:51]
.LBB259_330:                            ;   in Loop: Header=BB259_13 Depth=1
	s_or_b64 exec, exec, s[48:49]
	global_load_dword v16, v[14:15], off offset:3080
	v_mov_b32_e32 v84, 0
	v_mov_b32_e32 v85, 0
	s_waitcnt vmcnt(0)
	v_cmp_ne_u16_sdwa s[0:1], v16, v3 src0_sel:BYTE_0 src1_sel:DWORD
	s_and_saveexec_b64 s[48:49], s[0:1]
	s_cbranch_execz .LBB259_336
; %bb.331:                              ;   in Loop: Header=BB259_13 Depth=1
	v_cmp_ne_u16_sdwa s[0:1], v16, s60 src0_sel:BYTE_0 src1_sel:DWORD
	v_mov_b32_e32 v85, 0x8000
	s_and_saveexec_b64 s[50:51], s[0:1]
	s_cbranch_execz .LBB259_335
; %bb.332:                              ;   in Loop: Header=BB259_13 Depth=1
	v_and_b32_e32 v2, 0x7f, v16
	v_cmp_ne_u32_e64 s[0:1], s61, v2
	v_mov_b32_e32 v85, 0x7c01
	s_and_saveexec_b64 s[52:53], s[0:1]
	s_cbranch_execz .LBB259_334
; %bb.333:                              ;   in Loop: Header=BB259_13 Depth=1
	v_and_b32_e32 v85, 7, v16
	v_ffbh_u32_e32 v86, v85
	v_min_u32_e32 v89, 32, v86
	v_subrev_u32_e32 v86, 28, v89
	v_lshlrev_b64 v[86:87], v86, v[16:17]
	v_lshrrev_b32_e32 v88, 3, v2
	v_sub_u32_e32 v87, 29, v89
	v_cmp_gt_u32_e64 s[0:1], 8, v2
	v_and_b32_e32 v86, 7, v86
	s_nop 0
	v_cndmask_b32_e64 v2, v88, v87, s[0:1]
	v_lshl_add_u32 v2, v2, 10, v26
	v_lshlrev_b32_e32 v87, 8, v16
	v_and_b32_e32 v2, 0xfc00, v2
	v_cndmask_b32_e64 v85, v85, v86, s[0:1]
	v_and_or_b32 v2, v87, s62, v2
	v_lshl_or_b32 v85, v85, 7, v2
.LBB259_334:                            ;   in Loop: Header=BB259_13 Depth=1
	s_or_b64 exec, exec, s[52:53]
.LBB259_335:                            ;   in Loop: Header=BB259_13 Depth=1
	s_or_b64 exec, exec, s[50:51]
.LBB259_336:                            ;   in Loop: Header=BB259_13 Depth=1
	s_or_b64 exec, exec, s[48:49]
	v_lshrrev_b16_e32 v2, 8, v16
	v_cmp_ne_u16_e64 s[0:1], 0, v2
	s_and_saveexec_b64 s[48:49], s[0:1]
	s_cbranch_execz .LBB259_342
; %bb.337:                              ;   in Loop: Header=BB259_13 Depth=1
	v_cmp_ne_u16_e64 s[0:1], s60, v2
	v_bfrev_b32_e32 v84, 1
	s_and_saveexec_b64 s[50:51], s[0:1]
	s_cbranch_execz .LBB259_341
; %bb.338:                              ;   in Loop: Header=BB259_13 Depth=1
	v_and_b32_e32 v86, 0x7f, v2
	v_cmp_ne_u32_e64 s[0:1], s61, v86
	v_mov_b32_e32 v84, 0x7c010000
	s_and_saveexec_b64 s[52:53], s[0:1]
	s_cbranch_execz .LBB259_340
; %bb.339:                              ;   in Loop: Header=BB259_13 Depth=1
	v_and_b32_e32 v84, 7, v2
	v_ffbh_u32_e32 v88, v84
	v_min_u32_e32 v90, 32, v88
	v_subrev_u32_e32 v88, 28, v90
	v_lshlrev_b64 v[88:89], v88, v[2:3]
	v_lshrrev_b32_e32 v87, 3, v86
	v_sub_u32_e32 v89, 29, v90
	v_cmp_gt_u32_e64 s[0:1], 8, v86
	v_lshlrev_b32_e32 v2, 8, v2
	s_nop 0
	v_cndmask_b32_e64 v86, v87, v89, s[0:1]
	v_lshl_add_u32 v86, v86, 10, v26
	v_and_b32_e32 v87, 7, v88
	v_and_or_b32 v2, v2, s62, v86
	v_cndmask_b32_e64 v84, v84, v87, s[0:1]
	v_lshlrev_b32_e32 v2, 16, v2
	v_lshl_or_b32 v84, v84, 23, v2
.LBB259_340:                            ;   in Loop: Header=BB259_13 Depth=1
	s_or_b64 exec, exec, s[52:53]
.LBB259_341:                            ;   in Loop: Header=BB259_13 Depth=1
	s_or_b64 exec, exec, s[50:51]
.LBB259_342:                            ;   in Loop: Header=BB259_13 Depth=1
	s_or_b64 exec, exec, s[48:49]
	v_lshrrev_b32_e32 v2, 16, v16
	v_cmp_ne_u16_sdwa s[0:1], v2, v3 src0_sel:BYTE_0 src1_sel:DWORD
	v_mov_b32_e32 v86, 0
	v_mov_b32_e32 v87, 0
	s_and_saveexec_b64 s[48:49], s[0:1]
	s_cbranch_execz .LBB259_348
; %bb.343:                              ;   in Loop: Header=BB259_13 Depth=1
	v_cmp_ne_u16_sdwa s[0:1], v2, s60 src0_sel:BYTE_0 src1_sel:DWORD
	v_mov_b32_e32 v87, 0x8000
	s_and_saveexec_b64 s[50:51], s[0:1]
	s_cbranch_execz .LBB259_347
; %bb.344:                              ;   in Loop: Header=BB259_13 Depth=1
	v_bfe_u32 v88, v16, 16, 7
	v_cmp_ne_u32_e64 s[0:1], s61, v88
	v_mov_b32_e32 v87, 0x7c01
	s_and_saveexec_b64 s[52:53], s[0:1]
	s_cbranch_execz .LBB259_346
; %bb.345:                              ;   in Loop: Header=BB259_13 Depth=1
	v_and_b32_e32 v87, 7, v2
	v_ffbh_u32_e32 v90, v87
	v_min_u32_e32 v92, 32, v90
	v_subrev_u32_e32 v90, 28, v92
	v_lshlrev_b64 v[90:91], v90, v[2:3]
	v_lshrrev_b32_e32 v89, 3, v88
	v_sub_u32_e32 v91, 29, v92
	v_cmp_gt_u32_e64 s[0:1], 8, v88
	v_lshlrev_b32_e32 v2, 8, v2
	s_nop 0
	v_cndmask_b32_e64 v88, v89, v91, s[0:1]
	v_lshl_add_u32 v88, v88, 10, v26
	v_and_b32_e32 v89, 7, v90
	v_and_b32_e32 v88, 0xfc00, v88
	v_cndmask_b32_e64 v87, v87, v89, s[0:1]
	v_and_or_b32 v2, v2, s62, v88
	v_lshl_or_b32 v87, v87, 7, v2
.LBB259_346:                            ;   in Loop: Header=BB259_13 Depth=1
	s_or_b64 exec, exec, s[52:53]
.LBB259_347:                            ;   in Loop: Header=BB259_13 Depth=1
	s_or_b64 exec, exec, s[50:51]
.LBB259_348:                            ;   in Loop: Header=BB259_13 Depth=1
	s_or_b64 exec, exec, s[48:49]
	v_cmp_lt_u32_e64 s[0:1], s63, v16
	s_and_saveexec_b64 s[48:49], s[0:1]
	s_cbranch_execz .LBB259_354
; %bb.349:                              ;   in Loop: Header=BB259_13 Depth=1
	v_lshrrev_b32_e32 v2, 24, v16
	v_cmp_ne_u32_e64 s[0:1], s60, v2
	v_bfrev_b32_e32 v86, 1
	s_and_saveexec_b64 s[50:51], s[0:1]
	s_cbranch_execz .LBB259_353
; %bb.350:                              ;   in Loop: Header=BB259_13 Depth=1
	v_and_b32_e32 v16, 0x7f, v2
	v_cmp_ne_u32_e64 s[0:1], s61, v16
	v_mov_b32_e32 v86, 0x7c010000
	s_and_saveexec_b64 s[52:53], s[0:1]
	s_cbranch_execz .LBB259_352
; %bb.351:                              ;   in Loop: Header=BB259_13 Depth=1
	v_and_b32_e32 v86, 7, v2
	v_ffbh_u32_e32 v88, v86
	v_min_u32_e32 v91, 32, v88
	v_subrev_u32_e32 v88, 28, v91
	v_lshlrev_b64 v[88:89], v88, v[2:3]
	v_lshrrev_b32_e32 v90, 3, v16
	v_sub_u32_e32 v89, 29, v91
	v_cmp_gt_u32_e64 s[0:1], 8, v16
	v_lshlrev_b32_e32 v2, 8, v2
	v_and_b32_e32 v88, 7, v88
	v_cndmask_b32_e64 v16, v90, v89, s[0:1]
	v_lshl_add_u32 v16, v16, 10, v26
	v_and_or_b32 v2, v2, s62, v16
	v_cndmask_b32_e64 v86, v86, v88, s[0:1]
	v_lshlrev_b32_e32 v2, 16, v2
	v_lshl_or_b32 v86, v86, 23, v2
.LBB259_352:                            ;   in Loop: Header=BB259_13 Depth=1
	s_or_b64 exec, exec, s[52:53]
.LBB259_353:                            ;   in Loop: Header=BB259_13 Depth=1
	s_or_b64 exec, exec, s[50:51]
.LBB259_354:                            ;   in Loop: Header=BB259_13 Depth=1
	s_or_b64 exec, exec, s[48:49]
	global_load_dword v16, v[14:15], off offset:3584
	v_mov_b32_e32 v88, 0
	v_mov_b32_e32 v89, 0
	s_waitcnt vmcnt(0)
	v_cmp_ne_u16_sdwa s[0:1], v16, v3 src0_sel:BYTE_0 src1_sel:DWORD
	s_and_saveexec_b64 s[48:49], s[0:1]
	s_cbranch_execz .LBB259_360
; %bb.355:                              ;   in Loop: Header=BB259_13 Depth=1
	v_cmp_ne_u16_sdwa s[0:1], v16, s60 src0_sel:BYTE_0 src1_sel:DWORD
	v_mov_b32_e32 v89, 0x8000
	s_and_saveexec_b64 s[50:51], s[0:1]
	s_cbranch_execz .LBB259_359
; %bb.356:                              ;   in Loop: Header=BB259_13 Depth=1
	v_and_b32_e32 v2, 0x7f, v16
	v_cmp_ne_u32_e64 s[0:1], s61, v2
	v_mov_b32_e32 v89, 0x7c01
	s_and_saveexec_b64 s[52:53], s[0:1]
	s_cbranch_execz .LBB259_358
; %bb.357:                              ;   in Loop: Header=BB259_13 Depth=1
	v_and_b32_e32 v89, 7, v16
	v_ffbh_u32_e32 v90, v89
	v_min_u32_e32 v93, 32, v90
	v_subrev_u32_e32 v90, 28, v93
	v_lshlrev_b64 v[90:91], v90, v[16:17]
	v_lshrrev_b32_e32 v92, 3, v2
	v_sub_u32_e32 v91, 29, v93
	v_cmp_gt_u32_e64 s[0:1], 8, v2
	v_and_b32_e32 v90, 7, v90
	s_nop 0
	v_cndmask_b32_e64 v2, v92, v91, s[0:1]
	v_lshl_add_u32 v2, v2, 10, v26
	v_lshlrev_b32_e32 v91, 8, v16
	v_and_b32_e32 v2, 0xfc00, v2
	v_cndmask_b32_e64 v89, v89, v90, s[0:1]
	v_and_or_b32 v2, v91, s62, v2
	v_lshl_or_b32 v89, v89, 7, v2
.LBB259_358:                            ;   in Loop: Header=BB259_13 Depth=1
	s_or_b64 exec, exec, s[52:53]
.LBB259_359:                            ;   in Loop: Header=BB259_13 Depth=1
	s_or_b64 exec, exec, s[50:51]
.LBB259_360:                            ;   in Loop: Header=BB259_13 Depth=1
	s_or_b64 exec, exec, s[48:49]
	v_lshrrev_b16_e32 v2, 8, v16
	v_cmp_ne_u16_e64 s[0:1], 0, v2
	s_and_saveexec_b64 s[48:49], s[0:1]
	s_cbranch_execz .LBB259_366
; %bb.361:                              ;   in Loop: Header=BB259_13 Depth=1
	v_cmp_ne_u16_e64 s[0:1], s60, v2
	v_bfrev_b32_e32 v88, 1
	s_and_saveexec_b64 s[50:51], s[0:1]
	s_cbranch_execz .LBB259_365
; %bb.362:                              ;   in Loop: Header=BB259_13 Depth=1
	v_and_b32_e32 v90, 0x7f, v2
	v_cmp_ne_u32_e64 s[0:1], s61, v90
	v_mov_b32_e32 v88, 0x7c010000
	s_and_saveexec_b64 s[52:53], s[0:1]
	s_cbranch_execz .LBB259_364
; %bb.363:                              ;   in Loop: Header=BB259_13 Depth=1
	v_and_b32_e32 v88, 7, v2
	v_ffbh_u32_e32 v92, v88
	v_min_u32_e32 v94, 32, v92
	v_subrev_u32_e32 v92, 28, v94
	v_lshlrev_b64 v[92:93], v92, v[2:3]
	v_lshrrev_b32_e32 v91, 3, v90
	v_sub_u32_e32 v93, 29, v94
	v_cmp_gt_u32_e64 s[0:1], 8, v90
	v_lshlrev_b32_e32 v2, 8, v2
	s_nop 0
	v_cndmask_b32_e64 v90, v91, v93, s[0:1]
	v_lshl_add_u32 v90, v90, 10, v26
	v_and_b32_e32 v91, 7, v92
	v_and_or_b32 v2, v2, s62, v90
	v_cndmask_b32_e64 v88, v88, v91, s[0:1]
	v_lshlrev_b32_e32 v2, 16, v2
	v_lshl_or_b32 v88, v88, 23, v2
.LBB259_364:                            ;   in Loop: Header=BB259_13 Depth=1
	s_or_b64 exec, exec, s[52:53]
.LBB259_365:                            ;   in Loop: Header=BB259_13 Depth=1
	s_or_b64 exec, exec, s[50:51]
.LBB259_366:                            ;   in Loop: Header=BB259_13 Depth=1
	s_or_b64 exec, exec, s[48:49]
	v_lshrrev_b32_e32 v2, 16, v16
	v_cmp_ne_u16_sdwa s[0:1], v2, v3 src0_sel:BYTE_0 src1_sel:DWORD
	v_mov_b32_e32 v90, 0
	v_mov_b32_e32 v91, 0
	s_and_saveexec_b64 s[48:49], s[0:1]
	s_cbranch_execz .LBB259_372
; %bb.367:                              ;   in Loop: Header=BB259_13 Depth=1
	v_cmp_ne_u16_sdwa s[0:1], v2, s60 src0_sel:BYTE_0 src1_sel:DWORD
	v_mov_b32_e32 v91, 0x8000
	s_and_saveexec_b64 s[50:51], s[0:1]
	s_cbranch_execz .LBB259_371
; %bb.368:                              ;   in Loop: Header=BB259_13 Depth=1
	v_bfe_u32 v92, v16, 16, 7
	v_cmp_ne_u32_e64 s[0:1], s61, v92
	v_mov_b32_e32 v91, 0x7c01
	s_and_saveexec_b64 s[52:53], s[0:1]
	s_cbranch_execz .LBB259_370
; %bb.369:                              ;   in Loop: Header=BB259_13 Depth=1
	v_and_b32_e32 v91, 7, v2
	v_ffbh_u32_e32 v94, v91
	v_min_u32_e32 v96, 32, v94
	v_subrev_u32_e32 v94, 28, v96
	v_lshlrev_b64 v[94:95], v94, v[2:3]
	v_lshrrev_b32_e32 v93, 3, v92
	v_sub_u32_e32 v95, 29, v96
	v_cmp_gt_u32_e64 s[0:1], 8, v92
	v_lshlrev_b32_e32 v2, 8, v2
	s_nop 0
	v_cndmask_b32_e64 v92, v93, v95, s[0:1]
	v_lshl_add_u32 v92, v92, 10, v26
	v_and_b32_e32 v93, 7, v94
	v_and_b32_e32 v92, 0xfc00, v92
	v_cndmask_b32_e64 v91, v91, v93, s[0:1]
	v_and_or_b32 v2, v2, s62, v92
	v_lshl_or_b32 v91, v91, 7, v2
.LBB259_370:                            ;   in Loop: Header=BB259_13 Depth=1
	s_or_b64 exec, exec, s[52:53]
.LBB259_371:                            ;   in Loop: Header=BB259_13 Depth=1
	s_or_b64 exec, exec, s[50:51]
.LBB259_372:                            ;   in Loop: Header=BB259_13 Depth=1
	s_or_b64 exec, exec, s[48:49]
	v_cmp_lt_u32_e64 s[0:1], s63, v16
	s_and_saveexec_b64 s[48:49], s[0:1]
	s_cbranch_execz .LBB259_378
; %bb.373:                              ;   in Loop: Header=BB259_13 Depth=1
	v_lshrrev_b32_e32 v2, 24, v16
	v_cmp_ne_u32_e64 s[0:1], s60, v2
	v_bfrev_b32_e32 v90, 1
	s_and_saveexec_b64 s[50:51], s[0:1]
	s_cbranch_execz .LBB259_377
; %bb.374:                              ;   in Loop: Header=BB259_13 Depth=1
	v_and_b32_e32 v16, 0x7f, v2
	v_cmp_ne_u32_e64 s[0:1], s61, v16
	v_mov_b32_e32 v90, 0x7c010000
	s_and_saveexec_b64 s[52:53], s[0:1]
	s_cbranch_execz .LBB259_376
; %bb.375:                              ;   in Loop: Header=BB259_13 Depth=1
	v_and_b32_e32 v90, 7, v2
	v_ffbh_u32_e32 v92, v90
	v_min_u32_e32 v95, 32, v92
	v_subrev_u32_e32 v92, 28, v95
	v_lshlrev_b64 v[92:93], v92, v[2:3]
	v_lshrrev_b32_e32 v94, 3, v16
	v_sub_u32_e32 v93, 29, v95
	v_cmp_gt_u32_e64 s[0:1], 8, v16
	v_lshlrev_b32_e32 v2, 8, v2
	v_and_b32_e32 v92, 7, v92
	v_cndmask_b32_e64 v16, v94, v93, s[0:1]
	v_lshl_add_u32 v16, v16, 10, v26
	v_and_or_b32 v2, v2, s62, v16
	v_cndmask_b32_e64 v90, v90, v92, s[0:1]
	v_lshlrev_b32_e32 v2, 16, v2
	v_lshl_or_b32 v90, v90, 23, v2
.LBB259_376:                            ;   in Loop: Header=BB259_13 Depth=1
	s_or_b64 exec, exec, s[52:53]
.LBB259_377:                            ;   in Loop: Header=BB259_13 Depth=1
	s_or_b64 exec, exec, s[50:51]
.LBB259_378:                            ;   in Loop: Header=BB259_13 Depth=1
	s_or_b64 exec, exec, s[48:49]
	global_load_dword v14, v[14:15], off offset:3592
	v_mov_b32_e32 v92, 0
	v_mov_b32_e32 v93, 0
	s_waitcnt vmcnt(0)
	v_cmp_ne_u16_sdwa s[0:1], v14, v3 src0_sel:BYTE_0 src1_sel:DWORD
	s_and_saveexec_b64 s[48:49], s[0:1]
	s_cbranch_execz .LBB259_384
; %bb.379:                              ;   in Loop: Header=BB259_13 Depth=1
	v_cmp_ne_u16_sdwa s[0:1], v14, s60 src0_sel:BYTE_0 src1_sel:DWORD
	v_mov_b32_e32 v93, 0x8000
	s_and_saveexec_b64 s[50:51], s[0:1]
	s_cbranch_execz .LBB259_383
; %bb.380:                              ;   in Loop: Header=BB259_13 Depth=1
	v_and_b32_e32 v2, 0x7f, v14
	v_cmp_ne_u32_e64 s[0:1], s61, v2
	v_mov_b32_e32 v93, 0x7c01
	s_and_saveexec_b64 s[52:53], s[0:1]
	s_cbranch_execz .LBB259_382
; %bb.381:                              ;   in Loop: Header=BB259_13 Depth=1
	v_and_b32_e32 v15, 7, v14
	v_ffbh_u32_e32 v93, v15
	v_min_u32_e32 v93, 32, v93
	v_lshrrev_b32_e32 v16, 3, v2
	v_subrev_u32_e32 v94, 28, v93
	v_sub_u32_e32 v93, 29, v93
	v_cmp_gt_u32_e64 s[0:1], 8, v2
	v_lshlrev_b64 v[94:95], v94, v[14:15]
	s_nop 0
	v_cndmask_b32_e64 v2, v16, v93, s[0:1]
	v_lshl_add_u32 v2, v2, 10, v26
	v_lshlrev_b32_e32 v16, 8, v14
	v_and_b32_e32 v93, 7, v94
	v_and_b32_e32 v2, 0xfc00, v2
	v_cndmask_b32_e64 v15, v15, v93, s[0:1]
	v_and_or_b32 v2, v16, s62, v2
	v_lshl_or_b32 v93, v15, 7, v2
.LBB259_382:                            ;   in Loop: Header=BB259_13 Depth=1
	s_or_b64 exec, exec, s[52:53]
.LBB259_383:                            ;   in Loop: Header=BB259_13 Depth=1
	s_or_b64 exec, exec, s[50:51]
.LBB259_384:                            ;   in Loop: Header=BB259_13 Depth=1
	s_or_b64 exec, exec, s[48:49]
	v_lshrrev_b16_e32 v2, 8, v14
	v_cmp_ne_u16_e64 s[0:1], 0, v2
	s_and_saveexec_b64 s[48:49], s[0:1]
	s_cbranch_execz .LBB259_390
; %bb.385:                              ;   in Loop: Header=BB259_13 Depth=1
	v_cmp_ne_u16_e64 s[0:1], s60, v2
	v_bfrev_b32_e32 v92, 1
	s_and_saveexec_b64 s[50:51], s[0:1]
	s_cbranch_execz .LBB259_389
; %bb.386:                              ;   in Loop: Header=BB259_13 Depth=1
	v_and_b32_e32 v15, 0x7f, v2
	v_cmp_ne_u32_e64 s[0:1], s61, v15
	v_mov_b32_e32 v92, 0x7c010000
	s_and_saveexec_b64 s[52:53], s[0:1]
	s_cbranch_execz .LBB259_388
; %bb.387:                              ;   in Loop: Header=BB259_13 Depth=1
	v_and_b32_e32 v16, 7, v2
	v_ffbh_u32_e32 v94, v16
	v_min_u32_e32 v96, 32, v94
	v_subrev_u32_e32 v94, 28, v96
	v_lshlrev_b64 v[94:95], v94, v[2:3]
	v_lshrrev_b32_e32 v92, 3, v15
	v_sub_u32_e32 v95, 29, v96
	v_cmp_gt_u32_e64 s[0:1], 8, v15
	v_lshlrev_b32_e32 v2, 8, v2
	s_nop 0
	v_cndmask_b32_e64 v15, v92, v95, s[0:1]
	v_lshl_add_u32 v15, v15, 10, v26
	v_and_b32_e32 v92, 7, v94
	v_and_or_b32 v2, v2, s62, v15
	v_cndmask_b32_e64 v16, v16, v92, s[0:1]
	v_lshlrev_b32_e32 v2, 16, v2
	v_lshl_or_b32 v92, v16, 23, v2
.LBB259_388:                            ;   in Loop: Header=BB259_13 Depth=1
	s_or_b64 exec, exec, s[52:53]
.LBB259_389:                            ;   in Loop: Header=BB259_13 Depth=1
	s_or_b64 exec, exec, s[50:51]
.LBB259_390:                            ;   in Loop: Header=BB259_13 Depth=1
	s_or_b64 exec, exec, s[48:49]
	v_lshrrev_b32_e32 v2, 16, v14
	v_cmp_ne_u16_sdwa s[0:1], v2, v3 src0_sel:BYTE_0 src1_sel:DWORD
	v_mov_b32_e32 v94, 0
	v_mov_b32_e32 v95, 0
	s_and_saveexec_b64 s[48:49], s[0:1]
	s_cbranch_execz .LBB259_396
; %bb.391:                              ;   in Loop: Header=BB259_13 Depth=1
	v_cmp_ne_u16_sdwa s[0:1], v2, s60 src0_sel:BYTE_0 src1_sel:DWORD
	v_mov_b32_e32 v95, 0x8000
	s_and_saveexec_b64 s[50:51], s[0:1]
	s_cbranch_execz .LBB259_395
; %bb.392:                              ;   in Loop: Header=BB259_13 Depth=1
	v_bfe_u32 v15, v14, 16, 7
	v_cmp_ne_u32_e64 s[0:1], s61, v15
	v_mov_b32_e32 v95, 0x7c01
	s_and_saveexec_b64 s[52:53], s[0:1]
	s_cbranch_execz .LBB259_394
; %bb.393:                              ;   in Loop: Header=BB259_13 Depth=1
	v_and_b32_e32 v16, 7, v2
	v_ffbh_u32_e32 v96, v16
	v_min_u32_e32 v98, 32, v96
	v_subrev_u32_e32 v96, 28, v98
	v_lshlrev_b64 v[96:97], v96, v[2:3]
	v_lshrrev_b32_e32 v95, 3, v15
	v_sub_u32_e32 v97, 29, v98
	v_cmp_gt_u32_e64 s[0:1], 8, v15
	v_lshlrev_b32_e32 v2, 8, v2
	s_nop 0
	v_cndmask_b32_e64 v15, v95, v97, s[0:1]
	v_lshl_add_u32 v15, v15, 10, v26
	v_and_b32_e32 v95, 7, v96
	v_and_b32_e32 v15, 0xfc00, v15
	v_cndmask_b32_e64 v16, v16, v95, s[0:1]
	v_and_or_b32 v2, v2, s62, v15
	v_lshl_or_b32 v95, v16, 7, v2
.LBB259_394:                            ;   in Loop: Header=BB259_13 Depth=1
	s_or_b64 exec, exec, s[52:53]
.LBB259_395:                            ;   in Loop: Header=BB259_13 Depth=1
	s_or_b64 exec, exec, s[50:51]
.LBB259_396:                            ;   in Loop: Header=BB259_13 Depth=1
	s_or_b64 exec, exec, s[48:49]
	v_cmp_lt_u32_e64 s[0:1], s63, v14
	s_and_saveexec_b64 s[48:49], s[0:1]
	s_cbranch_execz .LBB259_402
; %bb.397:                              ;   in Loop: Header=BB259_13 Depth=1
	v_lshrrev_b32_e32 v2, 24, v14
	v_cmp_ne_u32_e64 s[0:1], s60, v2
	v_bfrev_b32_e32 v94, 1
	s_and_saveexec_b64 s[50:51], s[0:1]
	s_cbranch_execz .LBB259_401
; %bb.398:                              ;   in Loop: Header=BB259_13 Depth=1
	v_and_b32_e32 v14, 0x7f, v2
	v_cmp_ne_u32_e64 s[0:1], s61, v14
	v_mov_b32_e32 v94, 0x7c010000
	s_and_saveexec_b64 s[52:53], s[0:1]
	s_cbranch_execz .LBB259_400
; %bb.399:                              ;   in Loop: Header=BB259_13 Depth=1
	v_and_b32_e32 v15, 7, v2
	v_ffbh_u32_e32 v94, v15
	v_min_u32_e32 v94, 32, v94
	v_lshrrev_b32_e32 v16, 3, v14
	v_subrev_u32_e32 v96, 28, v94
	v_sub_u32_e32 v94, 29, v94
	v_cmp_gt_u32_e64 s[0:1], 8, v14
	v_lshlrev_b64 v[96:97], v96, v[2:3]
	v_lshlrev_b32_e32 v2, 8, v2
	v_cndmask_b32_e64 v14, v16, v94, s[0:1]
	v_lshl_add_u32 v14, v14, 10, v26
	v_and_b32_e32 v16, 7, v96
	v_and_or_b32 v2, v2, s62, v14
	v_cndmask_b32_e64 v15, v15, v16, s[0:1]
	v_lshlrev_b32_e32 v2, 16, v2
	v_lshl_or_b32 v94, v15, 23, v2
.LBB259_400:                            ;   in Loop: Header=BB259_13 Depth=1
	s_or_b64 exec, exec, s[52:53]
.LBB259_401:                            ;   in Loop: Header=BB259_13 Depth=1
	s_or_b64 exec, exec, s[50:51]
.LBB259_402:                            ;   in Loop: Header=BB259_13 Depth=1
	s_or_b64 exec, exec, s[48:49]
	v_lshl_add_u64 v[14:15], v[12:13], 0, s[40:41]
	v_lshl_add_u64 v[96:97], v[14:15], 0, v[6:7]
	global_load_dword v16, v[96:97], off
	v_mov_b32_e32 v96, 0
	v_mov_b32_e32 v97, 0
	s_waitcnt vmcnt(0)
	v_cmp_ne_u16_sdwa s[0:1], v16, v3 src0_sel:BYTE_0 src1_sel:DWORD
	s_and_saveexec_b64 s[48:49], s[0:1]
	s_cbranch_execz .LBB259_408
; %bb.403:                              ;   in Loop: Header=BB259_13 Depth=1
	v_cmp_ne_u16_sdwa s[0:1], v16, s60 src0_sel:BYTE_0 src1_sel:DWORD
	v_mov_b32_e32 v97, 0x8000
	s_and_saveexec_b64 s[50:51], s[0:1]
	s_cbranch_execz .LBB259_407
; %bb.404:                              ;   in Loop: Header=BB259_13 Depth=1
	v_and_b32_e32 v2, 0x7f, v16
	v_cmp_ne_u32_e64 s[0:1], s61, v2
	v_mov_b32_e32 v97, 0x7c01
	s_and_saveexec_b64 s[52:53], s[0:1]
	s_cbranch_execz .LBB259_406
; %bb.405:                              ;   in Loop: Header=BB259_13 Depth=1
	v_and_b32_e32 v97, 7, v16
	v_ffbh_u32_e32 v98, v97
	v_min_u32_e32 v101, 32, v98
	v_subrev_u32_e32 v98, 28, v101
	v_lshlrev_b64 v[98:99], v98, v[16:17]
	v_lshrrev_b32_e32 v100, 3, v2
	v_sub_u32_e32 v99, 29, v101
	v_cmp_gt_u32_e64 s[0:1], 8, v2
	v_and_b32_e32 v98, 7, v98
	s_nop 0
	v_cndmask_b32_e64 v2, v100, v99, s[0:1]
	v_lshl_add_u32 v2, v2, 10, v26
	v_lshlrev_b32_e32 v99, 8, v16
	v_and_b32_e32 v2, 0xfc00, v2
	v_cndmask_b32_e64 v97, v97, v98, s[0:1]
	v_and_or_b32 v2, v99, s62, v2
	v_lshl_or_b32 v97, v97, 7, v2
.LBB259_406:                            ;   in Loop: Header=BB259_13 Depth=1
	s_or_b64 exec, exec, s[52:53]
.LBB259_407:                            ;   in Loop: Header=BB259_13 Depth=1
	s_or_b64 exec, exec, s[50:51]
.LBB259_408:                            ;   in Loop: Header=BB259_13 Depth=1
	s_or_b64 exec, exec, s[48:49]
	v_lshrrev_b16_e32 v2, 8, v16
	v_cmp_ne_u16_e64 s[0:1], 0, v2
	s_and_saveexec_b64 s[48:49], s[0:1]
	s_cbranch_execz .LBB259_414
; %bb.409:                              ;   in Loop: Header=BB259_13 Depth=1
	v_cmp_ne_u16_e64 s[0:1], s60, v2
	v_bfrev_b32_e32 v96, 1
	s_and_saveexec_b64 s[50:51], s[0:1]
	s_cbranch_execz .LBB259_413
; %bb.410:                              ;   in Loop: Header=BB259_13 Depth=1
	v_and_b32_e32 v98, 0x7f, v2
	v_cmp_ne_u32_e64 s[0:1], s61, v98
	v_mov_b32_e32 v96, 0x7c010000
	s_and_saveexec_b64 s[52:53], s[0:1]
	s_cbranch_execz .LBB259_412
; %bb.411:                              ;   in Loop: Header=BB259_13 Depth=1
	v_and_b32_e32 v96, 7, v2
	v_ffbh_u32_e32 v100, v96
	v_min_u32_e32 v102, 32, v100
	v_subrev_u32_e32 v100, 28, v102
	v_lshlrev_b64 v[100:101], v100, v[2:3]
	v_lshrrev_b32_e32 v99, 3, v98
	v_sub_u32_e32 v101, 29, v102
	v_cmp_gt_u32_e64 s[0:1], 8, v98
	v_lshlrev_b32_e32 v2, 8, v2
	s_nop 0
	v_cndmask_b32_e64 v98, v99, v101, s[0:1]
	v_lshl_add_u32 v98, v98, 10, v26
	v_and_b32_e32 v99, 7, v100
	v_and_or_b32 v2, v2, s62, v98
	v_cndmask_b32_e64 v96, v96, v99, s[0:1]
	v_lshlrev_b32_e32 v2, 16, v2
	v_lshl_or_b32 v96, v96, 23, v2
.LBB259_412:                            ;   in Loop: Header=BB259_13 Depth=1
	s_or_b64 exec, exec, s[52:53]
.LBB259_413:                            ;   in Loop: Header=BB259_13 Depth=1
	s_or_b64 exec, exec, s[50:51]
.LBB259_414:                            ;   in Loop: Header=BB259_13 Depth=1
	s_or_b64 exec, exec, s[48:49]
	v_lshrrev_b32_e32 v2, 16, v16
	v_cmp_ne_u16_sdwa s[0:1], v2, v3 src0_sel:BYTE_0 src1_sel:DWORD
	v_mov_b32_e32 v98, 0
	v_mov_b32_e32 v99, 0
	s_and_saveexec_b64 s[48:49], s[0:1]
	s_cbranch_execz .LBB259_420
; %bb.415:                              ;   in Loop: Header=BB259_13 Depth=1
	v_cmp_ne_u16_sdwa s[0:1], v2, s60 src0_sel:BYTE_0 src1_sel:DWORD
	v_mov_b32_e32 v99, 0x8000
	s_and_saveexec_b64 s[50:51], s[0:1]
	s_cbranch_execz .LBB259_419
; %bb.416:                              ;   in Loop: Header=BB259_13 Depth=1
	v_bfe_u32 v100, v16, 16, 7
	v_cmp_ne_u32_e64 s[0:1], s61, v100
	v_mov_b32_e32 v99, 0x7c01
	s_and_saveexec_b64 s[52:53], s[0:1]
	s_cbranch_execz .LBB259_418
; %bb.417:                              ;   in Loop: Header=BB259_13 Depth=1
	v_and_b32_e32 v99, 7, v2
	v_ffbh_u32_e32 v102, v99
	v_min_u32_e32 v104, 32, v102
	v_subrev_u32_e32 v102, 28, v104
	v_lshlrev_b64 v[102:103], v102, v[2:3]
	v_lshrrev_b32_e32 v101, 3, v100
	v_sub_u32_e32 v103, 29, v104
	v_cmp_gt_u32_e64 s[0:1], 8, v100
	v_lshlrev_b32_e32 v2, 8, v2
	s_nop 0
	v_cndmask_b32_e64 v100, v101, v103, s[0:1]
	v_lshl_add_u32 v100, v100, 10, v26
	v_and_b32_e32 v101, 7, v102
	v_and_b32_e32 v100, 0xfc00, v100
	v_cndmask_b32_e64 v99, v99, v101, s[0:1]
	v_and_or_b32 v2, v2, s62, v100
	v_lshl_or_b32 v99, v99, 7, v2
.LBB259_418:                            ;   in Loop: Header=BB259_13 Depth=1
	s_or_b64 exec, exec, s[52:53]
.LBB259_419:                            ;   in Loop: Header=BB259_13 Depth=1
	s_or_b64 exec, exec, s[50:51]
.LBB259_420:                            ;   in Loop: Header=BB259_13 Depth=1
	s_or_b64 exec, exec, s[48:49]
	v_cmp_lt_u32_e64 s[0:1], s63, v16
	s_and_saveexec_b64 s[48:49], s[0:1]
	s_cbranch_execz .LBB259_426
; %bb.421:                              ;   in Loop: Header=BB259_13 Depth=1
	v_lshrrev_b32_e32 v2, 24, v16
	v_cmp_ne_u32_e64 s[0:1], s60, v2
	v_bfrev_b32_e32 v98, 1
	s_and_saveexec_b64 s[50:51], s[0:1]
	s_cbranch_execz .LBB259_425
; %bb.422:                              ;   in Loop: Header=BB259_13 Depth=1
	v_and_b32_e32 v16, 0x7f, v2
	v_cmp_ne_u32_e64 s[0:1], s61, v16
	v_mov_b32_e32 v98, 0x7c010000
	s_and_saveexec_b64 s[52:53], s[0:1]
	s_cbranch_execz .LBB259_424
; %bb.423:                              ;   in Loop: Header=BB259_13 Depth=1
	v_and_b32_e32 v98, 7, v2
	v_ffbh_u32_e32 v100, v98
	v_min_u32_e32 v103, 32, v100
	v_subrev_u32_e32 v100, 28, v103
	v_lshlrev_b64 v[100:101], v100, v[2:3]
	v_lshrrev_b32_e32 v102, 3, v16
	v_sub_u32_e32 v101, 29, v103
	v_cmp_gt_u32_e64 s[0:1], 8, v16
	v_lshlrev_b32_e32 v2, 8, v2
	v_and_b32_e32 v100, 7, v100
	v_cndmask_b32_e64 v16, v102, v101, s[0:1]
	v_lshl_add_u32 v16, v16, 10, v26
	v_and_or_b32 v2, v2, s62, v16
	v_cndmask_b32_e64 v98, v98, v100, s[0:1]
	v_lshlrev_b32_e32 v2, 16, v2
	v_lshl_or_b32 v98, v98, 23, v2
.LBB259_424:                            ;   in Loop: Header=BB259_13 Depth=1
	s_or_b64 exec, exec, s[52:53]
.LBB259_425:                            ;   in Loop: Header=BB259_13 Depth=1
	s_or_b64 exec, exec, s[50:51]
.LBB259_426:                            ;   in Loop: Header=BB259_13 Depth=1
	s_or_b64 exec, exec, s[48:49]
	v_lshl_add_u64 v[14:15], v[14:15], 0, v[8:9]
	global_load_dword v14, v[14:15], off
	v_mov_b32_e32 v100, 0
	v_mov_b32_e32 v101, 0
	s_waitcnt vmcnt(0)
	v_cmp_ne_u16_sdwa s[0:1], v14, v3 src0_sel:BYTE_0 src1_sel:DWORD
	s_and_saveexec_b64 s[48:49], s[0:1]
	s_cbranch_execz .LBB259_432
; %bb.427:                              ;   in Loop: Header=BB259_13 Depth=1
	v_cmp_ne_u16_sdwa s[0:1], v14, s60 src0_sel:BYTE_0 src1_sel:DWORD
	v_mov_b32_e32 v101, 0x8000
	s_and_saveexec_b64 s[50:51], s[0:1]
	s_cbranch_execz .LBB259_431
; %bb.428:                              ;   in Loop: Header=BB259_13 Depth=1
	v_and_b32_e32 v2, 0x7f, v14
	v_cmp_ne_u32_e64 s[0:1], s61, v2
	v_mov_b32_e32 v101, 0x7c01
	s_and_saveexec_b64 s[52:53], s[0:1]
	s_cbranch_execz .LBB259_430
; %bb.429:                              ;   in Loop: Header=BB259_13 Depth=1
	v_and_b32_e32 v15, 7, v14
	v_ffbh_u32_e32 v101, v15
	v_min_u32_e32 v101, 32, v101
	v_lshrrev_b32_e32 v16, 3, v2
	v_subrev_u32_e32 v102, 28, v101
	v_sub_u32_e32 v101, 29, v101
	v_cmp_gt_u32_e64 s[0:1], 8, v2
	v_lshlrev_b64 v[102:103], v102, v[14:15]
	s_nop 0
	v_cndmask_b32_e64 v2, v16, v101, s[0:1]
	v_lshl_add_u32 v2, v2, 10, v26
	v_lshlrev_b32_e32 v16, 8, v14
	v_and_b32_e32 v101, 7, v102
	v_and_b32_e32 v2, 0xfc00, v2
	v_cndmask_b32_e64 v15, v15, v101, s[0:1]
	v_and_or_b32 v2, v16, s62, v2
	v_lshl_or_b32 v101, v15, 7, v2
.LBB259_430:                            ;   in Loop: Header=BB259_13 Depth=1
	s_or_b64 exec, exec, s[52:53]
.LBB259_431:                            ;   in Loop: Header=BB259_13 Depth=1
	s_or_b64 exec, exec, s[50:51]
.LBB259_432:                            ;   in Loop: Header=BB259_13 Depth=1
	s_or_b64 exec, exec, s[48:49]
	v_lshrrev_b16_e32 v2, 8, v14
	v_cmp_ne_u16_e64 s[0:1], 0, v2
	s_and_saveexec_b64 s[48:49], s[0:1]
	s_cbranch_execz .LBB259_438
; %bb.433:                              ;   in Loop: Header=BB259_13 Depth=1
	v_cmp_ne_u16_e64 s[0:1], s60, v2
	v_bfrev_b32_e32 v100, 1
	s_and_saveexec_b64 s[50:51], s[0:1]
	s_cbranch_execz .LBB259_437
; %bb.434:                              ;   in Loop: Header=BB259_13 Depth=1
	v_and_b32_e32 v15, 0x7f, v2
	v_cmp_ne_u32_e64 s[0:1], s61, v15
	v_mov_b32_e32 v100, 0x7c010000
	s_and_saveexec_b64 s[52:53], s[0:1]
	s_cbranch_execz .LBB259_436
; %bb.435:                              ;   in Loop: Header=BB259_13 Depth=1
	v_and_b32_e32 v16, 7, v2
	v_ffbh_u32_e32 v102, v16
	v_min_u32_e32 v104, 32, v102
	v_subrev_u32_e32 v102, 28, v104
	v_lshlrev_b64 v[102:103], v102, v[2:3]
	v_lshrrev_b32_e32 v100, 3, v15
	v_sub_u32_e32 v103, 29, v104
	v_cmp_gt_u32_e64 s[0:1], 8, v15
	v_lshlrev_b32_e32 v2, 8, v2
	s_nop 0
	v_cndmask_b32_e64 v15, v100, v103, s[0:1]
	v_lshl_add_u32 v15, v15, 10, v26
	v_and_b32_e32 v100, 7, v102
	v_and_or_b32 v2, v2, s62, v15
	v_cndmask_b32_e64 v16, v16, v100, s[0:1]
	v_lshlrev_b32_e32 v2, 16, v2
	v_lshl_or_b32 v100, v16, 23, v2
.LBB259_436:                            ;   in Loop: Header=BB259_13 Depth=1
	s_or_b64 exec, exec, s[52:53]
.LBB259_437:                            ;   in Loop: Header=BB259_13 Depth=1
	s_or_b64 exec, exec, s[50:51]
.LBB259_438:                            ;   in Loop: Header=BB259_13 Depth=1
	s_or_b64 exec, exec, s[48:49]
	v_lshrrev_b32_e32 v2, 16, v14
	v_cmp_ne_u16_sdwa s[0:1], v2, v3 src0_sel:BYTE_0 src1_sel:DWORD
	v_mov_b32_e32 v102, 0
	v_mov_b32_e32 v103, 0
	s_and_saveexec_b64 s[48:49], s[0:1]
	s_cbranch_execz .LBB259_444
; %bb.439:                              ;   in Loop: Header=BB259_13 Depth=1
	v_cmp_ne_u16_sdwa s[0:1], v2, s60 src0_sel:BYTE_0 src1_sel:DWORD
	v_mov_b32_e32 v103, 0x8000
	s_and_saveexec_b64 s[50:51], s[0:1]
	s_cbranch_execz .LBB259_443
; %bb.440:                              ;   in Loop: Header=BB259_13 Depth=1
	v_bfe_u32 v15, v14, 16, 7
	v_cmp_ne_u32_e64 s[0:1], s61, v15
	v_mov_b32_e32 v103, 0x7c01
	s_and_saveexec_b64 s[52:53], s[0:1]
	s_cbranch_execz .LBB259_442
; %bb.441:                              ;   in Loop: Header=BB259_13 Depth=1
	v_and_b32_e32 v16, 7, v2
	v_ffbh_u32_e32 v104, v16
	v_min_u32_e32 v106, 32, v104
	v_subrev_u32_e32 v104, 28, v106
	v_lshlrev_b64 v[104:105], v104, v[2:3]
	v_lshrrev_b32_e32 v103, 3, v15
	v_sub_u32_e32 v105, 29, v106
	v_cmp_gt_u32_e64 s[0:1], 8, v15
	v_lshlrev_b32_e32 v2, 8, v2
	s_nop 0
	v_cndmask_b32_e64 v15, v103, v105, s[0:1]
	v_lshl_add_u32 v15, v15, 10, v26
	v_and_b32_e32 v103, 7, v104
	v_and_b32_e32 v15, 0xfc00, v15
	v_cndmask_b32_e64 v16, v16, v103, s[0:1]
	v_and_or_b32 v2, v2, s62, v15
	v_lshl_or_b32 v103, v16, 7, v2
.LBB259_442:                            ;   in Loop: Header=BB259_13 Depth=1
	s_or_b64 exec, exec, s[52:53]
.LBB259_443:                            ;   in Loop: Header=BB259_13 Depth=1
	s_or_b64 exec, exec, s[50:51]
.LBB259_444:                            ;   in Loop: Header=BB259_13 Depth=1
	s_or_b64 exec, exec, s[48:49]
	v_cmp_lt_u32_e64 s[0:1], s63, v14
	s_and_saveexec_b64 s[48:49], s[0:1]
	s_cbranch_execz .LBB259_450
; %bb.445:                              ;   in Loop: Header=BB259_13 Depth=1
	v_lshrrev_b32_e32 v2, 24, v14
	v_cmp_ne_u32_e64 s[0:1], s60, v2
	v_bfrev_b32_e32 v102, 1
	s_and_saveexec_b64 s[50:51], s[0:1]
	s_cbranch_execz .LBB259_449
; %bb.446:                              ;   in Loop: Header=BB259_13 Depth=1
	v_and_b32_e32 v14, 0x7f, v2
	v_cmp_ne_u32_e64 s[0:1], s61, v14
	v_mov_b32_e32 v102, 0x7c010000
	s_and_saveexec_b64 s[52:53], s[0:1]
	s_cbranch_execz .LBB259_448
; %bb.447:                              ;   in Loop: Header=BB259_13 Depth=1
	v_and_b32_e32 v15, 7, v2
	v_ffbh_u32_e32 v102, v15
	v_min_u32_e32 v102, 32, v102
	v_lshrrev_b32_e32 v16, 3, v14
	v_subrev_u32_e32 v104, 28, v102
	v_sub_u32_e32 v102, 29, v102
	v_cmp_gt_u32_e64 s[0:1], 8, v14
	v_lshlrev_b64 v[104:105], v104, v[2:3]
	v_lshlrev_b32_e32 v2, 8, v2
	v_cndmask_b32_e64 v14, v16, v102, s[0:1]
	v_lshl_add_u32 v14, v14, 10, v26
	v_and_b32_e32 v16, 7, v104
	v_and_or_b32 v2, v2, s62, v14
	v_cndmask_b32_e64 v15, v15, v16, s[0:1]
	v_lshlrev_b32_e32 v2, 16, v2
	v_lshl_or_b32 v102, v15, 23, v2
.LBB259_448:                            ;   in Loop: Header=BB259_13 Depth=1
	s_or_b64 exec, exec, s[52:53]
.LBB259_449:                            ;   in Loop: Header=BB259_13 Depth=1
	s_or_b64 exec, exec, s[50:51]
.LBB259_450:                            ;   in Loop: Header=BB259_13 Depth=1
	s_or_b64 exec, exec, s[48:49]
	v_lshl_add_u64 v[14:15], v[12:13], 0, s[42:43]
	v_lshl_add_u64 v[104:105], v[14:15], 0, v[6:7]
	global_load_dword v16, v[104:105], off
	v_mov_b32_e32 v104, 0
	v_mov_b32_e32 v105, 0
	s_waitcnt vmcnt(0)
	v_cmp_ne_u16_sdwa s[0:1], v16, v3 src0_sel:BYTE_0 src1_sel:DWORD
	s_and_saveexec_b64 s[48:49], s[0:1]
	s_cbranch_execz .LBB259_456
; %bb.451:                              ;   in Loop: Header=BB259_13 Depth=1
	v_cmp_ne_u16_sdwa s[0:1], v16, s60 src0_sel:BYTE_0 src1_sel:DWORD
	v_mov_b32_e32 v105, 0x8000
	s_and_saveexec_b64 s[50:51], s[0:1]
	s_cbranch_execz .LBB259_455
; %bb.452:                              ;   in Loop: Header=BB259_13 Depth=1
	v_and_b32_e32 v2, 0x7f, v16
	v_cmp_ne_u32_e64 s[0:1], s61, v2
	v_mov_b32_e32 v105, 0x7c01
	s_and_saveexec_b64 s[52:53], s[0:1]
	s_cbranch_execz .LBB259_454
; %bb.453:                              ;   in Loop: Header=BB259_13 Depth=1
	v_and_b32_e32 v105, 7, v16
	v_ffbh_u32_e32 v106, v105
	v_min_u32_e32 v109, 32, v106
	v_subrev_u32_e32 v106, 28, v109
	v_lshlrev_b64 v[106:107], v106, v[16:17]
	v_lshrrev_b32_e32 v108, 3, v2
	v_sub_u32_e32 v107, 29, v109
	v_cmp_gt_u32_e64 s[0:1], 8, v2
	v_and_b32_e32 v106, 7, v106
	s_nop 0
	v_cndmask_b32_e64 v2, v108, v107, s[0:1]
	v_lshl_add_u32 v2, v2, 10, v26
	v_lshlrev_b32_e32 v107, 8, v16
	v_and_b32_e32 v2, 0xfc00, v2
	v_cndmask_b32_e64 v105, v105, v106, s[0:1]
	v_and_or_b32 v2, v107, s62, v2
	v_lshl_or_b32 v105, v105, 7, v2
.LBB259_454:                            ;   in Loop: Header=BB259_13 Depth=1
	s_or_b64 exec, exec, s[52:53]
.LBB259_455:                            ;   in Loop: Header=BB259_13 Depth=1
	s_or_b64 exec, exec, s[50:51]
.LBB259_456:                            ;   in Loop: Header=BB259_13 Depth=1
	s_or_b64 exec, exec, s[48:49]
	v_lshrrev_b16_e32 v2, 8, v16
	v_cmp_ne_u16_e64 s[0:1], 0, v2
	s_and_saveexec_b64 s[48:49], s[0:1]
	s_cbranch_execz .LBB259_462
; %bb.457:                              ;   in Loop: Header=BB259_13 Depth=1
	v_cmp_ne_u16_e64 s[0:1], s60, v2
	v_bfrev_b32_e32 v104, 1
	s_and_saveexec_b64 s[50:51], s[0:1]
	s_cbranch_execz .LBB259_461
; %bb.458:                              ;   in Loop: Header=BB259_13 Depth=1
	v_and_b32_e32 v106, 0x7f, v2
	v_cmp_ne_u32_e64 s[0:1], s61, v106
	v_mov_b32_e32 v104, 0x7c010000
	s_and_saveexec_b64 s[52:53], s[0:1]
	s_cbranch_execz .LBB259_460
; %bb.459:                              ;   in Loop: Header=BB259_13 Depth=1
	v_and_b32_e32 v104, 7, v2
	v_ffbh_u32_e32 v108, v104
	v_min_u32_e32 v110, 32, v108
	v_subrev_u32_e32 v108, 28, v110
	v_lshlrev_b64 v[108:109], v108, v[2:3]
	v_lshrrev_b32_e32 v107, 3, v106
	v_sub_u32_e32 v109, 29, v110
	v_cmp_gt_u32_e64 s[0:1], 8, v106
	v_lshlrev_b32_e32 v2, 8, v2
	s_nop 0
	v_cndmask_b32_e64 v106, v107, v109, s[0:1]
	v_lshl_add_u32 v106, v106, 10, v26
	v_and_b32_e32 v107, 7, v108
	v_and_or_b32 v2, v2, s62, v106
	v_cndmask_b32_e64 v104, v104, v107, s[0:1]
	v_lshlrev_b32_e32 v2, 16, v2
	v_lshl_or_b32 v104, v104, 23, v2
.LBB259_460:                            ;   in Loop: Header=BB259_13 Depth=1
	s_or_b64 exec, exec, s[52:53]
.LBB259_461:                            ;   in Loop: Header=BB259_13 Depth=1
	s_or_b64 exec, exec, s[50:51]
.LBB259_462:                            ;   in Loop: Header=BB259_13 Depth=1
	s_or_b64 exec, exec, s[48:49]
	v_lshrrev_b32_e32 v2, 16, v16
	v_cmp_ne_u16_sdwa s[0:1], v2, v3 src0_sel:BYTE_0 src1_sel:DWORD
	v_mov_b32_e32 v106, 0
	v_mov_b32_e32 v107, 0
	s_and_saveexec_b64 s[48:49], s[0:1]
	s_cbranch_execz .LBB259_468
; %bb.463:                              ;   in Loop: Header=BB259_13 Depth=1
	v_cmp_ne_u16_sdwa s[0:1], v2, s60 src0_sel:BYTE_0 src1_sel:DWORD
	v_mov_b32_e32 v107, 0x8000
	s_and_saveexec_b64 s[50:51], s[0:1]
	s_cbranch_execz .LBB259_467
; %bb.464:                              ;   in Loop: Header=BB259_13 Depth=1
	v_bfe_u32 v108, v16, 16, 7
	v_cmp_ne_u32_e64 s[0:1], s61, v108
	v_mov_b32_e32 v107, 0x7c01
	s_and_saveexec_b64 s[52:53], s[0:1]
	s_cbranch_execz .LBB259_466
; %bb.465:                              ;   in Loop: Header=BB259_13 Depth=1
	v_and_b32_e32 v107, 7, v2
	v_ffbh_u32_e32 v110, v107
	v_min_u32_e32 v112, 32, v110
	v_subrev_u32_e32 v110, 28, v112
	v_lshlrev_b64 v[110:111], v110, v[2:3]
	v_lshrrev_b32_e32 v109, 3, v108
	v_sub_u32_e32 v111, 29, v112
	v_cmp_gt_u32_e64 s[0:1], 8, v108
	v_lshlrev_b32_e32 v2, 8, v2
	s_nop 0
	v_cndmask_b32_e64 v108, v109, v111, s[0:1]
	v_lshl_add_u32 v108, v108, 10, v26
	v_and_b32_e32 v109, 7, v110
	v_and_b32_e32 v108, 0xfc00, v108
	v_cndmask_b32_e64 v107, v107, v109, s[0:1]
	v_and_or_b32 v2, v2, s62, v108
	v_lshl_or_b32 v107, v107, 7, v2
.LBB259_466:                            ;   in Loop: Header=BB259_13 Depth=1
	s_or_b64 exec, exec, s[52:53]
.LBB259_467:                            ;   in Loop: Header=BB259_13 Depth=1
	s_or_b64 exec, exec, s[50:51]
.LBB259_468:                            ;   in Loop: Header=BB259_13 Depth=1
	s_or_b64 exec, exec, s[48:49]
	v_cmp_lt_u32_e64 s[0:1], s63, v16
	s_and_saveexec_b64 s[48:49], s[0:1]
	s_cbranch_execz .LBB259_474
; %bb.469:                              ;   in Loop: Header=BB259_13 Depth=1
	v_lshrrev_b32_e32 v2, 24, v16
	v_cmp_ne_u32_e64 s[0:1], s60, v2
	v_bfrev_b32_e32 v106, 1
	s_and_saveexec_b64 s[50:51], s[0:1]
	s_cbranch_execz .LBB259_473
; %bb.470:                              ;   in Loop: Header=BB259_13 Depth=1
	v_and_b32_e32 v16, 0x7f, v2
	v_cmp_ne_u32_e64 s[0:1], s61, v16
	v_mov_b32_e32 v106, 0x7c010000
	s_and_saveexec_b64 s[52:53], s[0:1]
	s_cbranch_execz .LBB259_472
; %bb.471:                              ;   in Loop: Header=BB259_13 Depth=1
	v_and_b32_e32 v106, 7, v2
	v_ffbh_u32_e32 v108, v106
	v_min_u32_e32 v111, 32, v108
	v_subrev_u32_e32 v108, 28, v111
	v_lshlrev_b64 v[108:109], v108, v[2:3]
	v_lshrrev_b32_e32 v110, 3, v16
	v_sub_u32_e32 v109, 29, v111
	v_cmp_gt_u32_e64 s[0:1], 8, v16
	v_lshlrev_b32_e32 v2, 8, v2
	v_and_b32_e32 v108, 7, v108
	v_cndmask_b32_e64 v16, v110, v109, s[0:1]
	v_lshl_add_u32 v16, v16, 10, v26
	v_and_or_b32 v2, v2, s62, v16
	v_cndmask_b32_e64 v106, v106, v108, s[0:1]
	v_lshlrev_b32_e32 v2, 16, v2
	v_lshl_or_b32 v106, v106, 23, v2
.LBB259_472:                            ;   in Loop: Header=BB259_13 Depth=1
	s_or_b64 exec, exec, s[52:53]
.LBB259_473:                            ;   in Loop: Header=BB259_13 Depth=1
	s_or_b64 exec, exec, s[50:51]
.LBB259_474:                            ;   in Loop: Header=BB259_13 Depth=1
	s_or_b64 exec, exec, s[48:49]
	v_lshl_add_u64 v[14:15], v[14:15], 0, v[8:9]
	global_load_dword v14, v[14:15], off
	v_mov_b32_e32 v108, 0
	v_mov_b32_e32 v109, 0
	s_waitcnt vmcnt(0)
	v_cmp_ne_u16_sdwa s[0:1], v14, v3 src0_sel:BYTE_0 src1_sel:DWORD
	s_and_saveexec_b64 s[48:49], s[0:1]
	s_cbranch_execz .LBB259_480
; %bb.475:                              ;   in Loop: Header=BB259_13 Depth=1
	v_cmp_ne_u16_sdwa s[0:1], v14, s60 src0_sel:BYTE_0 src1_sel:DWORD
	v_mov_b32_e32 v109, 0x8000
	s_and_saveexec_b64 s[50:51], s[0:1]
	s_cbranch_execz .LBB259_479
; %bb.476:                              ;   in Loop: Header=BB259_13 Depth=1
	v_and_b32_e32 v2, 0x7f, v14
	v_cmp_ne_u32_e64 s[0:1], s61, v2
	v_mov_b32_e32 v109, 0x7c01
	s_and_saveexec_b64 s[52:53], s[0:1]
	s_cbranch_execz .LBB259_478
; %bb.477:                              ;   in Loop: Header=BB259_13 Depth=1
	v_and_b32_e32 v15, 7, v14
	v_ffbh_u32_e32 v109, v15
	v_min_u32_e32 v109, 32, v109
	v_lshrrev_b32_e32 v16, 3, v2
	v_subrev_u32_e32 v110, 28, v109
	v_sub_u32_e32 v109, 29, v109
	v_cmp_gt_u32_e64 s[0:1], 8, v2
	v_lshlrev_b64 v[110:111], v110, v[14:15]
	s_nop 0
	v_cndmask_b32_e64 v2, v16, v109, s[0:1]
	v_lshl_add_u32 v2, v2, 10, v26
	v_lshlrev_b32_e32 v16, 8, v14
	v_and_b32_e32 v109, 7, v110
	v_and_b32_e32 v2, 0xfc00, v2
	v_cndmask_b32_e64 v15, v15, v109, s[0:1]
	v_and_or_b32 v2, v16, s62, v2
	v_lshl_or_b32 v109, v15, 7, v2
.LBB259_478:                            ;   in Loop: Header=BB259_13 Depth=1
	s_or_b64 exec, exec, s[52:53]
.LBB259_479:                            ;   in Loop: Header=BB259_13 Depth=1
	s_or_b64 exec, exec, s[50:51]
.LBB259_480:                            ;   in Loop: Header=BB259_13 Depth=1
	s_or_b64 exec, exec, s[48:49]
	v_lshrrev_b16_e32 v2, 8, v14
	v_cmp_ne_u16_e64 s[0:1], 0, v2
	s_and_saveexec_b64 s[48:49], s[0:1]
	s_cbranch_execz .LBB259_486
; %bb.481:                              ;   in Loop: Header=BB259_13 Depth=1
	v_cmp_ne_u16_e64 s[0:1], s60, v2
	v_bfrev_b32_e32 v108, 1
	s_and_saveexec_b64 s[50:51], s[0:1]
	s_cbranch_execz .LBB259_485
; %bb.482:                              ;   in Loop: Header=BB259_13 Depth=1
	v_and_b32_e32 v15, 0x7f, v2
	v_cmp_ne_u32_e64 s[0:1], s61, v15
	v_mov_b32_e32 v108, 0x7c010000
	s_and_saveexec_b64 s[52:53], s[0:1]
	s_cbranch_execz .LBB259_484
; %bb.483:                              ;   in Loop: Header=BB259_13 Depth=1
	v_and_b32_e32 v16, 7, v2
	v_ffbh_u32_e32 v110, v16
	v_min_u32_e32 v112, 32, v110
	v_subrev_u32_e32 v110, 28, v112
	v_lshlrev_b64 v[110:111], v110, v[2:3]
	v_lshrrev_b32_e32 v108, 3, v15
	v_sub_u32_e32 v111, 29, v112
	v_cmp_gt_u32_e64 s[0:1], 8, v15
	v_lshlrev_b32_e32 v2, 8, v2
	s_nop 0
	v_cndmask_b32_e64 v15, v108, v111, s[0:1]
	v_lshl_add_u32 v15, v15, 10, v26
	v_and_b32_e32 v108, 7, v110
	v_and_or_b32 v2, v2, s62, v15
	v_cndmask_b32_e64 v16, v16, v108, s[0:1]
	v_lshlrev_b32_e32 v2, 16, v2
	v_lshl_or_b32 v108, v16, 23, v2
.LBB259_484:                            ;   in Loop: Header=BB259_13 Depth=1
	s_or_b64 exec, exec, s[52:53]
.LBB259_485:                            ;   in Loop: Header=BB259_13 Depth=1
	s_or_b64 exec, exec, s[50:51]
.LBB259_486:                            ;   in Loop: Header=BB259_13 Depth=1
	s_or_b64 exec, exec, s[48:49]
	v_lshrrev_b32_e32 v2, 16, v14
	v_cmp_ne_u16_sdwa s[0:1], v2, v3 src0_sel:BYTE_0 src1_sel:DWORD
	v_mov_b32_e32 v110, 0
	v_mov_b32_e32 v111, 0
	s_and_saveexec_b64 s[48:49], s[0:1]
	s_cbranch_execz .LBB259_492
; %bb.487:                              ;   in Loop: Header=BB259_13 Depth=1
	v_cmp_ne_u16_sdwa s[0:1], v2, s60 src0_sel:BYTE_0 src1_sel:DWORD
	v_mov_b32_e32 v111, 0x8000
	s_and_saveexec_b64 s[50:51], s[0:1]
	s_cbranch_execz .LBB259_491
; %bb.488:                              ;   in Loop: Header=BB259_13 Depth=1
	v_bfe_u32 v15, v14, 16, 7
	v_cmp_ne_u32_e64 s[0:1], s61, v15
	v_mov_b32_e32 v111, 0x7c01
	s_and_saveexec_b64 s[52:53], s[0:1]
	s_cbranch_execz .LBB259_490
; %bb.489:                              ;   in Loop: Header=BB259_13 Depth=1
	v_and_b32_e32 v16, 7, v2
	v_ffbh_u32_e32 v112, v16
	v_min_u32_e32 v114, 32, v112
	v_subrev_u32_e32 v112, 28, v114
	v_lshlrev_b64 v[112:113], v112, v[2:3]
	v_lshrrev_b32_e32 v111, 3, v15
	v_sub_u32_e32 v113, 29, v114
	v_cmp_gt_u32_e64 s[0:1], 8, v15
	v_lshlrev_b32_e32 v2, 8, v2
	s_nop 0
	v_cndmask_b32_e64 v15, v111, v113, s[0:1]
	v_lshl_add_u32 v15, v15, 10, v26
	v_and_b32_e32 v111, 7, v112
	v_and_b32_e32 v15, 0xfc00, v15
	v_cndmask_b32_e64 v16, v16, v111, s[0:1]
	v_and_or_b32 v2, v2, s62, v15
	v_lshl_or_b32 v111, v16, 7, v2
.LBB259_490:                            ;   in Loop: Header=BB259_13 Depth=1
	s_or_b64 exec, exec, s[52:53]
.LBB259_491:                            ;   in Loop: Header=BB259_13 Depth=1
	s_or_b64 exec, exec, s[50:51]
.LBB259_492:                            ;   in Loop: Header=BB259_13 Depth=1
	s_or_b64 exec, exec, s[48:49]
	v_cmp_lt_u32_e64 s[0:1], s63, v14
	s_and_saveexec_b64 s[48:49], s[0:1]
	s_cbranch_execz .LBB259_498
; %bb.493:                              ;   in Loop: Header=BB259_13 Depth=1
	v_lshrrev_b32_e32 v2, 24, v14
	v_cmp_ne_u32_e64 s[0:1], s60, v2
	v_bfrev_b32_e32 v110, 1
	s_and_saveexec_b64 s[50:51], s[0:1]
	s_cbranch_execz .LBB259_497
; %bb.494:                              ;   in Loop: Header=BB259_13 Depth=1
	v_and_b32_e32 v14, 0x7f, v2
	v_cmp_ne_u32_e64 s[0:1], s61, v14
	v_mov_b32_e32 v110, 0x7c010000
	s_and_saveexec_b64 s[52:53], s[0:1]
	s_cbranch_execz .LBB259_496
; %bb.495:                              ;   in Loop: Header=BB259_13 Depth=1
	v_and_b32_e32 v15, 7, v2
	v_ffbh_u32_e32 v110, v15
	v_min_u32_e32 v110, 32, v110
	v_lshrrev_b32_e32 v16, 3, v14
	v_subrev_u32_e32 v112, 28, v110
	v_sub_u32_e32 v110, 29, v110
	v_cmp_gt_u32_e64 s[0:1], 8, v14
	v_lshlrev_b64 v[112:113], v112, v[2:3]
	v_lshlrev_b32_e32 v2, 8, v2
	v_cndmask_b32_e64 v14, v16, v110, s[0:1]
	v_lshl_add_u32 v14, v14, 10, v26
	v_and_b32_e32 v16, 7, v112
	v_and_or_b32 v2, v2, s62, v14
	v_cndmask_b32_e64 v15, v15, v16, s[0:1]
	v_lshlrev_b32_e32 v2, 16, v2
	v_lshl_or_b32 v110, v15, 23, v2
.LBB259_496:                            ;   in Loop: Header=BB259_13 Depth=1
	s_or_b64 exec, exec, s[52:53]
.LBB259_497:                            ;   in Loop: Header=BB259_13 Depth=1
	s_or_b64 exec, exec, s[50:51]
.LBB259_498:                            ;   in Loop: Header=BB259_13 Depth=1
	s_or_b64 exec, exec, s[48:49]
	v_lshl_add_u64 v[14:15], v[12:13], 0, s[44:45]
	v_lshl_add_u64 v[112:113], v[14:15], 0, v[6:7]
	global_load_dword v16, v[112:113], off
	v_mov_b32_e32 v112, 0
	v_mov_b32_e32 v113, 0
	s_waitcnt vmcnt(0)
	v_cmp_ne_u16_sdwa s[0:1], v16, v3 src0_sel:BYTE_0 src1_sel:DWORD
	s_and_saveexec_b64 s[48:49], s[0:1]
	s_cbranch_execz .LBB259_504
; %bb.499:                              ;   in Loop: Header=BB259_13 Depth=1
	v_cmp_ne_u16_sdwa s[0:1], v16, s60 src0_sel:BYTE_0 src1_sel:DWORD
	v_mov_b32_e32 v113, 0x8000
	s_and_saveexec_b64 s[50:51], s[0:1]
	s_cbranch_execz .LBB259_503
; %bb.500:                              ;   in Loop: Header=BB259_13 Depth=1
	v_and_b32_e32 v2, 0x7f, v16
	v_cmp_ne_u32_e64 s[0:1], s61, v2
	v_mov_b32_e32 v113, 0x7c01
	s_and_saveexec_b64 s[52:53], s[0:1]
	s_cbranch_execz .LBB259_502
; %bb.501:                              ;   in Loop: Header=BB259_13 Depth=1
	v_and_b32_e32 v113, 7, v16
	v_ffbh_u32_e32 v114, v113
	v_min_u32_e32 v117, 32, v114
	v_subrev_u32_e32 v114, 28, v117
	v_lshlrev_b64 v[114:115], v114, v[16:17]
	v_lshrrev_b32_e32 v116, 3, v2
	v_sub_u32_e32 v115, 29, v117
	v_cmp_gt_u32_e64 s[0:1], 8, v2
	v_and_b32_e32 v114, 7, v114
	s_nop 0
	v_cndmask_b32_e64 v2, v116, v115, s[0:1]
	v_lshl_add_u32 v2, v2, 10, v26
	v_lshlrev_b32_e32 v115, 8, v16
	v_and_b32_e32 v2, 0xfc00, v2
	v_cndmask_b32_e64 v113, v113, v114, s[0:1]
	v_and_or_b32 v2, v115, s62, v2
	v_lshl_or_b32 v113, v113, 7, v2
.LBB259_502:                            ;   in Loop: Header=BB259_13 Depth=1
	s_or_b64 exec, exec, s[52:53]
.LBB259_503:                            ;   in Loop: Header=BB259_13 Depth=1
	s_or_b64 exec, exec, s[50:51]
.LBB259_504:                            ;   in Loop: Header=BB259_13 Depth=1
	s_or_b64 exec, exec, s[48:49]
	v_lshrrev_b16_e32 v2, 8, v16
	v_cmp_ne_u16_e64 s[0:1], 0, v2
	s_and_saveexec_b64 s[48:49], s[0:1]
	s_cbranch_execz .LBB259_510
; %bb.505:                              ;   in Loop: Header=BB259_13 Depth=1
	v_cmp_ne_u16_e64 s[0:1], s60, v2
	v_bfrev_b32_e32 v112, 1
	s_and_saveexec_b64 s[50:51], s[0:1]
	s_cbranch_execz .LBB259_509
; %bb.506:                              ;   in Loop: Header=BB259_13 Depth=1
	v_and_b32_e32 v114, 0x7f, v2
	v_cmp_ne_u32_e64 s[0:1], s61, v114
	v_mov_b32_e32 v112, 0x7c010000
	s_and_saveexec_b64 s[52:53], s[0:1]
	s_cbranch_execz .LBB259_508
; %bb.507:                              ;   in Loop: Header=BB259_13 Depth=1
	v_and_b32_e32 v112, 7, v2
	v_ffbh_u32_e32 v116, v112
	v_min_u32_e32 v118, 32, v116
	v_subrev_u32_e32 v116, 28, v118
	v_lshlrev_b64 v[116:117], v116, v[2:3]
	v_lshrrev_b32_e32 v115, 3, v114
	v_sub_u32_e32 v117, 29, v118
	v_cmp_gt_u32_e64 s[0:1], 8, v114
	v_lshlrev_b32_e32 v2, 8, v2
	s_nop 0
	v_cndmask_b32_e64 v114, v115, v117, s[0:1]
	v_lshl_add_u32 v114, v114, 10, v26
	v_and_b32_e32 v115, 7, v116
	v_and_or_b32 v2, v2, s62, v114
	v_cndmask_b32_e64 v112, v112, v115, s[0:1]
	v_lshlrev_b32_e32 v2, 16, v2
	v_lshl_or_b32 v112, v112, 23, v2
.LBB259_508:                            ;   in Loop: Header=BB259_13 Depth=1
	s_or_b64 exec, exec, s[52:53]
.LBB259_509:                            ;   in Loop: Header=BB259_13 Depth=1
	s_or_b64 exec, exec, s[50:51]
.LBB259_510:                            ;   in Loop: Header=BB259_13 Depth=1
	s_or_b64 exec, exec, s[48:49]
	v_lshrrev_b32_e32 v2, 16, v16
	v_cmp_ne_u16_sdwa s[0:1], v2, v3 src0_sel:BYTE_0 src1_sel:DWORD
	v_mov_b32_e32 v118, 0
	v_mov_b32_e32 v119, 0
	s_and_saveexec_b64 s[48:49], s[0:1]
	s_cbranch_execz .LBB259_516
; %bb.511:                              ;   in Loop: Header=BB259_13 Depth=1
	v_cmp_ne_u16_sdwa s[0:1], v2, s60 src0_sel:BYTE_0 src1_sel:DWORD
	v_mov_b32_e32 v119, 0x8000
	s_and_saveexec_b64 s[50:51], s[0:1]
	s_cbranch_execz .LBB259_515
; %bb.512:                              ;   in Loop: Header=BB259_13 Depth=1
	v_bfe_u32 v114, v16, 16, 7
	v_cmp_ne_u32_e64 s[0:1], s61, v114
	v_mov_b32_e32 v119, 0x7c01
	s_and_saveexec_b64 s[52:53], s[0:1]
	s_cbranch_execz .LBB259_514
; %bb.513:                              ;   in Loop: Header=BB259_13 Depth=1
	v_and_b32_e32 v115, 7, v2
	v_ffbh_u32_e32 v116, v115
	v_min_u32_e32 v120, 32, v116
	v_subrev_u32_e32 v116, 28, v120
	v_lshlrev_b64 v[116:117], v116, v[2:3]
	v_lshrrev_b32_e32 v119, 3, v114
	v_sub_u32_e32 v117, 29, v120
	v_cmp_gt_u32_e64 s[0:1], 8, v114
	v_lshlrev_b32_e32 v2, 8, v2
	v_and_b32_e32 v116, 7, v116
	v_cndmask_b32_e64 v114, v119, v117, s[0:1]
	v_lshl_add_u32 v114, v114, 10, v26
	v_and_b32_e32 v114, 0xfc00, v114
	v_cndmask_b32_e64 v115, v115, v116, s[0:1]
	v_and_or_b32 v2, v2, s62, v114
	v_lshl_or_b32 v119, v115, 7, v2
.LBB259_514:                            ;   in Loop: Header=BB259_13 Depth=1
	s_or_b64 exec, exec, s[52:53]
.LBB259_515:                            ;   in Loop: Header=BB259_13 Depth=1
	s_or_b64 exec, exec, s[50:51]
.LBB259_516:                            ;   in Loop: Header=BB259_13 Depth=1
	s_or_b64 exec, exec, s[48:49]
	v_cmp_lt_u32_e64 s[0:1], s63, v16
	s_and_saveexec_b64 s[48:49], s[0:1]
	s_cbranch_execz .LBB259_522
; %bb.517:                              ;   in Loop: Header=BB259_13 Depth=1
	v_lshrrev_b32_e32 v2, 24, v16
	v_cmp_ne_u32_e64 s[0:1], s60, v2
	v_bfrev_b32_e32 v118, 1
	s_and_saveexec_b64 s[50:51], s[0:1]
	s_cbranch_execz .LBB259_521
; %bb.518:                              ;   in Loop: Header=BB259_13 Depth=1
	v_and_b32_e32 v16, 0x7f, v2
	v_cmp_ne_u32_e64 s[0:1], s61, v16
	v_mov_b32_e32 v118, 0x7c010000
	s_and_saveexec_b64 s[52:53], s[0:1]
	s_cbranch_execz .LBB259_520
; %bb.519:                              ;   in Loop: Header=BB259_13 Depth=1
	v_and_b32_e32 v116, 7, v2
	v_ffbh_u32_e32 v114, v116
	v_min_u32_e32 v118, 32, v114
	v_subrev_u32_e32 v114, 28, v118
	v_lshlrev_b64 v[114:115], v114, v[2:3]
	v_lshrrev_b32_e32 v117, 3, v16
	v_sub_u32_e32 v115, 29, v118
	v_cmp_gt_u32_e64 s[0:1], 8, v16
	v_lshlrev_b32_e32 v2, 8, v2
	v_and_b32_e32 v114, 7, v114
	v_cndmask_b32_e64 v16, v117, v115, s[0:1]
	v_lshl_add_u32 v16, v16, 10, v26
	v_and_or_b32 v2, v2, s62, v16
	v_cndmask_b32_e64 v114, v116, v114, s[0:1]
	v_lshlrev_b32_e32 v2, 16, v2
	v_lshl_or_b32 v118, v114, 23, v2
.LBB259_520:                            ;   in Loop: Header=BB259_13 Depth=1
	s_or_b64 exec, exec, s[52:53]
.LBB259_521:                            ;   in Loop: Header=BB259_13 Depth=1
	s_or_b64 exec, exec, s[50:51]
.LBB259_522:                            ;   in Loop: Header=BB259_13 Depth=1
	s_or_b64 exec, exec, s[48:49]
	v_lshl_add_u64 v[14:15], v[14:15], 0, v[8:9]
	global_load_dword v14, v[14:15], off
	v_mov_b32_e32 v15, 0
	v_mov_b32_e32 v16, 0
	s_waitcnt vmcnt(0)
	v_cmp_ne_u16_sdwa s[0:1], v14, v3 src0_sel:BYTE_0 src1_sel:DWORD
	s_and_saveexec_b64 s[48:49], s[0:1]
	s_cbranch_execz .LBB259_528
; %bb.523:                              ;   in Loop: Header=BB259_13 Depth=1
	v_cmp_ne_u16_sdwa s[0:1], v14, s60 src0_sel:BYTE_0 src1_sel:DWORD
	v_mov_b32_e32 v16, 0x8000
	s_and_saveexec_b64 s[50:51], s[0:1]
	s_cbranch_execz .LBB259_527
; %bb.524:                              ;   in Loop: Header=BB259_13 Depth=1
	v_and_b32_e32 v2, 0x7f, v14
	v_cmp_ne_u32_e64 s[0:1], s61, v2
	v_mov_b32_e32 v16, 0x7c01
	s_and_saveexec_b64 s[52:53], s[0:1]
	s_cbranch_execz .LBB259_526
; %bb.525:                              ;   in Loop: Header=BB259_13 Depth=1
	v_and_b32_e32 v16, 7, v14
	v_ffbh_u32_e32 v114, v16
	v_min_u32_e32 v117, 32, v114
	v_subrev_u32_e32 v114, 28, v117
	v_lshlrev_b64 v[114:115], v114, v[14:15]
	v_lshrrev_b32_e32 v116, 3, v2
	v_sub_u32_e32 v115, 29, v117
	v_cmp_gt_u32_e64 s[0:1], 8, v2
	v_and_b32_e32 v114, 7, v114
	s_nop 0
	v_cndmask_b32_e64 v2, v116, v115, s[0:1]
	v_lshl_add_u32 v2, v2, 10, v26
	v_lshlrev_b32_e32 v115, 8, v14
	v_and_b32_e32 v2, 0xfc00, v2
	v_cndmask_b32_e64 v16, v16, v114, s[0:1]
	v_and_or_b32 v2, v115, s62, v2
	v_lshl_or_b32 v16, v16, 7, v2
.LBB259_526:                            ;   in Loop: Header=BB259_13 Depth=1
	s_or_b64 exec, exec, s[52:53]
.LBB259_527:                            ;   in Loop: Header=BB259_13 Depth=1
	s_or_b64 exec, exec, s[50:51]
.LBB259_528:                            ;   in Loop: Header=BB259_13 Depth=1
	s_or_b64 exec, exec, s[48:49]
	v_lshrrev_b16_e32 v2, 8, v14
	v_cmp_ne_u16_e64 s[0:1], 0, v2
	s_and_saveexec_b64 s[48:49], s[0:1]
	s_cbranch_execz .LBB259_534
; %bb.529:                              ;   in Loop: Header=BB259_13 Depth=1
	v_cmp_ne_u16_e64 s[0:1], s60, v2
	v_bfrev_b32_e32 v15, 1
	s_and_saveexec_b64 s[50:51], s[0:1]
	s_cbranch_execz .LBB259_533
; %bb.530:                              ;   in Loop: Header=BB259_13 Depth=1
	v_and_b32_e32 v114, 0x7f, v2
	v_cmp_ne_u32_e64 s[0:1], s61, v114
	v_mov_b32_e32 v15, 0x7c010000
	s_and_saveexec_b64 s[52:53], s[0:1]
	s_cbranch_execz .LBB259_532
; %bb.531:                              ;   in Loop: Header=BB259_13 Depth=1
	v_and_b32_e32 v15, 7, v2
	v_ffbh_u32_e32 v116, v15
	v_min_u32_e32 v120, 32, v116
	v_subrev_u32_e32 v116, 28, v120
	v_lshlrev_b64 v[116:117], v116, v[2:3]
	v_lshrrev_b32_e32 v115, 3, v114
	v_sub_u32_e32 v117, 29, v120
	v_cmp_gt_u32_e64 s[0:1], 8, v114
	v_lshlrev_b32_e32 v2, 8, v2
	s_nop 0
	v_cndmask_b32_e64 v114, v115, v117, s[0:1]
	v_lshl_add_u32 v114, v114, 10, v26
	v_and_b32_e32 v115, 7, v116
	v_and_or_b32 v2, v2, s62, v114
	v_cndmask_b32_e64 v15, v15, v115, s[0:1]
	v_lshlrev_b32_e32 v2, 16, v2
	v_lshl_or_b32 v15, v15, 23, v2
.LBB259_532:                            ;   in Loop: Header=BB259_13 Depth=1
	s_or_b64 exec, exec, s[52:53]
.LBB259_533:                            ;   in Loop: Header=BB259_13 Depth=1
	s_or_b64 exec, exec, s[50:51]
.LBB259_534:                            ;   in Loop: Header=BB259_13 Depth=1
	s_or_b64 exec, exec, s[48:49]
	v_lshrrev_b32_e32 v2, 16, v14
	v_cmp_ne_u16_sdwa s[0:1], v2, v3 src0_sel:BYTE_0 src1_sel:DWORD
	v_mov_b32_e32 v116, 0
	v_mov_b32_e32 v117, 0
	s_and_saveexec_b64 s[48:49], s[0:1]
	s_cbranch_execz .LBB259_540
; %bb.535:                              ;   in Loop: Header=BB259_13 Depth=1
	v_cmp_ne_u16_sdwa s[0:1], v2, s60 src0_sel:BYTE_0 src1_sel:DWORD
	v_mov_b32_e32 v117, 0x8000
	s_and_saveexec_b64 s[50:51], s[0:1]
	s_cbranch_execz .LBB259_539
; %bb.536:                              ;   in Loop: Header=BB259_13 Depth=1
	v_bfe_u32 v114, v14, 16, 7
	v_cmp_ne_u32_e64 s[0:1], s61, v114
	v_mov_b32_e32 v117, 0x7c01
	s_and_saveexec_b64 s[52:53], s[0:1]
	s_cbranch_execz .LBB259_538
; %bb.537:                              ;   in Loop: Header=BB259_13 Depth=1
	v_and_b32_e32 v115, 7, v2
	v_ffbh_u32_e32 v120, v115
	v_min_u32_e32 v122, 32, v120
	v_subrev_u32_e32 v120, 28, v122
	v_lshlrev_b64 v[120:121], v120, v[2:3]
	v_lshrrev_b32_e32 v117, 3, v114
	v_sub_u32_e32 v121, 29, v122
	v_cmp_gt_u32_e64 s[0:1], 8, v114
	v_lshlrev_b32_e32 v2, 8, v2
	s_nop 0
	v_cndmask_b32_e64 v114, v117, v121, s[0:1]
	v_lshl_add_u32 v114, v114, 10, v26
	v_and_b32_e32 v117, 7, v120
	v_and_b32_e32 v114, 0xfc00, v114
	v_cndmask_b32_e64 v115, v115, v117, s[0:1]
	v_and_or_b32 v2, v2, s62, v114
	v_lshl_or_b32 v117, v115, 7, v2
.LBB259_538:                            ;   in Loop: Header=BB259_13 Depth=1
	s_or_b64 exec, exec, s[52:53]
.LBB259_539:                            ;   in Loop: Header=BB259_13 Depth=1
	s_or_b64 exec, exec, s[50:51]
.LBB259_540:                            ;   in Loop: Header=BB259_13 Depth=1
	s_or_b64 exec, exec, s[48:49]
	v_cmp_lt_u32_e64 s[0:1], s63, v14
	s_and_saveexec_b64 s[48:49], s[0:1]
	s_cbranch_execz .LBB259_546
; %bb.541:                              ;   in Loop: Header=BB259_13 Depth=1
	v_lshrrev_b32_e32 v2, 24, v14
	v_cmp_ne_u32_e64 s[0:1], s60, v2
	v_bfrev_b32_e32 v116, 1
	s_and_saveexec_b64 s[50:51], s[0:1]
	s_cbranch_execz .LBB259_545
; %bb.542:                              ;   in Loop: Header=BB259_13 Depth=1
	v_and_b32_e32 v14, 0x7f, v2
	v_cmp_ne_u32_e64 s[0:1], s61, v14
	v_mov_b32_e32 v116, 0x7c010000
	s_and_saveexec_b64 s[52:53], s[0:1]
	s_cbranch_execz .LBB259_544
; %bb.543:                              ;   in Loop: Header=BB259_13 Depth=1
	v_and_b32_e32 v116, 7, v2
	v_ffbh_u32_e32 v114, v116
	v_min_u32_e32 v121, 32, v114
	v_subrev_u32_e32 v114, 28, v121
	v_lshlrev_b64 v[114:115], v114, v[2:3]
	v_lshrrev_b32_e32 v120, 3, v14
	v_sub_u32_e32 v115, 29, v121
	v_cmp_gt_u32_e64 s[0:1], 8, v14
	v_lshlrev_b32_e32 v2, 8, v2
	v_and_b32_e32 v114, 7, v114
	v_cndmask_b32_e64 v14, v120, v115, s[0:1]
	v_lshl_add_u32 v14, v14, 10, v26
	v_and_or_b32 v2, v2, s62, v14
	v_cndmask_b32_e64 v114, v116, v114, s[0:1]
	v_lshlrev_b32_e32 v2, 16, v2
	v_lshl_or_b32 v116, v114, 23, v2
.LBB259_544:                            ;   in Loop: Header=BB259_13 Depth=1
	s_or_b64 exec, exec, s[52:53]
.LBB259_545:                            ;   in Loop: Header=BB259_13 Depth=1
	s_or_b64 exec, exec, s[50:51]
.LBB259_546:                            ;   in Loop: Header=BB259_13 Depth=1
	s_or_b64 exec, exec, s[48:49]
	v_lshl_add_u64 v[12:13], v[12:13], 0, s[46:47]
	v_lshl_add_u64 v[114:115], v[12:13], 0, v[6:7]
	global_load_dword v14, v[114:115], off
	v_mov_b32_e32 v114, 0
	v_mov_b32_e32 v115, 0
	s_waitcnt vmcnt(0)
	v_cmp_ne_u16_sdwa s[0:1], v14, v3 src0_sel:BYTE_0 src1_sel:DWORD
	s_and_saveexec_b64 s[48:49], s[0:1]
	s_cbranch_execz .LBB259_552
; %bb.547:                              ;   in Loop: Header=BB259_13 Depth=1
	v_cmp_ne_u16_sdwa s[0:1], v14, s60 src0_sel:BYTE_0 src1_sel:DWORD
	v_mov_b32_e32 v115, 0x8000
	s_and_saveexec_b64 s[50:51], s[0:1]
	s_cbranch_execz .LBB259_551
; %bb.548:                              ;   in Loop: Header=BB259_13 Depth=1
	v_and_b32_e32 v2, 0x7f, v14
	v_cmp_ne_u32_e64 s[0:1], s61, v2
	v_mov_b32_e32 v115, 0x7c01
	s_and_saveexec_b64 s[52:53], s[0:1]
	s_cbranch_execz .LBB259_550
; %bb.549:                              ;   in Loop: Header=BB259_13 Depth=1
	v_and_b32_e32 v115, 7, v14
	v_ffbh_u32_e32 v120, v115
	v_min_u32_e32 v123, 32, v120
	v_subrev_u32_e32 v120, 28, v123
	v_lshlrev_b64 v[120:121], v120, v[14:15]
	v_lshrrev_b32_e32 v122, 3, v2
	v_sub_u32_e32 v121, 29, v123
	v_cmp_gt_u32_e64 s[0:1], 8, v2
	v_and_b32_e32 v120, 7, v120
	s_nop 0
	v_cndmask_b32_e64 v2, v122, v121, s[0:1]
	v_lshl_add_u32 v2, v2, 10, v26
	v_lshlrev_b32_e32 v121, 8, v14
	v_and_b32_e32 v2, 0xfc00, v2
	v_cndmask_b32_e64 v115, v115, v120, s[0:1]
	v_and_or_b32 v2, v121, s62, v2
	v_lshl_or_b32 v115, v115, 7, v2
.LBB259_550:                            ;   in Loop: Header=BB259_13 Depth=1
	s_or_b64 exec, exec, s[52:53]
.LBB259_551:                            ;   in Loop: Header=BB259_13 Depth=1
	s_or_b64 exec, exec, s[50:51]
.LBB259_552:                            ;   in Loop: Header=BB259_13 Depth=1
	s_or_b64 exec, exec, s[48:49]
	v_lshrrev_b16_e32 v2, 8, v14
	v_cmp_ne_u16_e64 s[0:1], 0, v2
	s_and_saveexec_b64 s[48:49], s[0:1]
	s_cbranch_execz .LBB259_558
; %bb.553:                              ;   in Loop: Header=BB259_13 Depth=1
	v_cmp_ne_u16_e64 s[0:1], s60, v2
	v_bfrev_b32_e32 v114, 1
	s_and_saveexec_b64 s[50:51], s[0:1]
	s_cbranch_execz .LBB259_557
; %bb.554:                              ;   in Loop: Header=BB259_13 Depth=1
	v_and_b32_e32 v120, 0x7f, v2
	v_cmp_ne_u32_e64 s[0:1], s61, v120
	v_mov_b32_e32 v114, 0x7c010000
	s_and_saveexec_b64 s[52:53], s[0:1]
	s_cbranch_execz .LBB259_556
; %bb.555:                              ;   in Loop: Header=BB259_13 Depth=1
	v_and_b32_e32 v114, 7, v2
	v_ffbh_u32_e32 v122, v114
	v_min_u32_e32 v124, 32, v122
	v_subrev_u32_e32 v122, 28, v124
	v_lshlrev_b64 v[122:123], v122, v[2:3]
	v_lshrrev_b32_e32 v121, 3, v120
	v_sub_u32_e32 v123, 29, v124
	v_cmp_gt_u32_e64 s[0:1], 8, v120
	v_lshlrev_b32_e32 v2, 8, v2
	s_nop 0
	v_cndmask_b32_e64 v120, v121, v123, s[0:1]
	v_lshl_add_u32 v120, v120, 10, v26
	v_and_b32_e32 v121, 7, v122
	v_and_or_b32 v2, v2, s62, v120
	v_cndmask_b32_e64 v114, v114, v121, s[0:1]
	v_lshlrev_b32_e32 v2, 16, v2
	v_lshl_or_b32 v114, v114, 23, v2
.LBB259_556:                            ;   in Loop: Header=BB259_13 Depth=1
	s_or_b64 exec, exec, s[52:53]
.LBB259_557:                            ;   in Loop: Header=BB259_13 Depth=1
	s_or_b64 exec, exec, s[50:51]
.LBB259_558:                            ;   in Loop: Header=BB259_13 Depth=1
	s_or_b64 exec, exec, s[48:49]
	v_lshrrev_b32_e32 v2, 16, v14
	v_cmp_ne_u16_sdwa s[0:1], v2, v3 src0_sel:BYTE_0 src1_sel:DWORD
	v_mov_b32_e32 v122, 0
	v_mov_b32_e32 v123, 0
	s_and_saveexec_b64 s[48:49], s[0:1]
	s_cbranch_execz .LBB259_564
; %bb.559:                              ;   in Loop: Header=BB259_13 Depth=1
	v_cmp_ne_u16_sdwa s[0:1], v2, s60 src0_sel:BYTE_0 src1_sel:DWORD
	v_mov_b32_e32 v123, 0x8000
	s_and_saveexec_b64 s[50:51], s[0:1]
	s_cbranch_execz .LBB259_563
; %bb.560:                              ;   in Loop: Header=BB259_13 Depth=1
	v_bfe_u32 v120, v14, 16, 7
	v_cmp_ne_u32_e64 s[0:1], s61, v120
	v_mov_b32_e32 v123, 0x7c01
	s_and_saveexec_b64 s[52:53], s[0:1]
	s_cbranch_execz .LBB259_562
; %bb.561:                              ;   in Loop: Header=BB259_13 Depth=1
	v_and_b32_e32 v123, 7, v2
	v_lshrrev_b32_e32 v124, 3, v120
	v_cmp_gt_u32_e64 s[0:1], 8, v120
	v_ffbh_u32_e32 v120, v123
	v_min_u32_e32 v125, 32, v120
	v_subrev_u32_e32 v120, 28, v125
	v_lshlrev_b64 v[120:121], v120, v[2:3]
	v_sub_u32_e32 v121, 29, v125
	v_cndmask_b32_e64 v121, v124, v121, s[0:1]
	v_lshl_add_u32 v121, v121, 10, v26
	v_lshlrev_b32_e32 v2, 8, v2
	v_and_b32_e32 v120, 7, v120
	v_and_b32_e32 v121, 0xfc00, v121
	v_cndmask_b32_e64 v120, v123, v120, s[0:1]
	v_and_or_b32 v2, v2, s62, v121
	v_lshl_or_b32 v123, v120, 7, v2
.LBB259_562:                            ;   in Loop: Header=BB259_13 Depth=1
	s_or_b64 exec, exec, s[52:53]
.LBB259_563:                            ;   in Loop: Header=BB259_13 Depth=1
	s_or_b64 exec, exec, s[50:51]
.LBB259_564:                            ;   in Loop: Header=BB259_13 Depth=1
	s_or_b64 exec, exec, s[48:49]
	v_cmp_lt_u32_e64 s[0:1], s63, v14
	s_and_saveexec_b64 s[48:49], s[0:1]
	s_cbranch_execz .LBB259_570
; %bb.565:                              ;   in Loop: Header=BB259_13 Depth=1
	v_lshrrev_b32_e32 v2, 24, v14
	v_cmp_ne_u32_e64 s[0:1], s60, v2
	v_bfrev_b32_e32 v122, 1
	s_and_saveexec_b64 s[50:51], s[0:1]
	s_cbranch_execz .LBB259_569
; %bb.566:                              ;   in Loop: Header=BB259_13 Depth=1
	v_and_b32_e32 v14, 0x7f, v2
	v_cmp_ne_u32_e64 s[0:1], s61, v14
	v_mov_b32_e32 v122, 0x7c010000
	s_and_saveexec_b64 s[52:53], s[0:1]
	s_cbranch_execz .LBB259_568
; %bb.567:                              ;   in Loop: Header=BB259_13 Depth=1
	v_and_b32_e32 v122, 7, v2
	v_ffbh_u32_e32 v120, v122
	v_min_u32_e32 v125, 32, v120
	v_subrev_u32_e32 v120, 28, v125
	v_lshlrev_b64 v[120:121], v120, v[2:3]
	v_lshrrev_b32_e32 v124, 3, v14
	v_sub_u32_e32 v121, 29, v125
	v_cmp_gt_u32_e64 s[0:1], 8, v14
	v_lshlrev_b32_e32 v2, 8, v2
	v_and_b32_e32 v120, 7, v120
	v_cndmask_b32_e64 v14, v124, v121, s[0:1]
	v_lshl_add_u32 v14, v14, 10, v26
	v_and_or_b32 v2, v2, s62, v14
	v_cndmask_b32_e64 v120, v122, v120, s[0:1]
	v_lshlrev_b32_e32 v2, 16, v2
	v_lshl_or_b32 v122, v120, 23, v2
.LBB259_568:                            ;   in Loop: Header=BB259_13 Depth=1
	s_or_b64 exec, exec, s[52:53]
.LBB259_569:                            ;   in Loop: Header=BB259_13 Depth=1
	s_or_b64 exec, exec, s[50:51]
.LBB259_570:                            ;   in Loop: Header=BB259_13 Depth=1
	s_or_b64 exec, exec, s[48:49]
	v_lshl_add_u64 v[12:13], v[12:13], 0, v[8:9]
	global_load_dword v12, v[12:13], off
	v_mov_b32_e32 v121, 0
	v_mov_b32_e32 v120, 0
	s_waitcnt vmcnt(0)
	v_cmp_ne_u16_sdwa s[0:1], v12, v3 src0_sel:BYTE_0 src1_sel:DWORD
	s_and_saveexec_b64 s[48:49], s[0:1]
	s_cbranch_execz .LBB259_576
; %bb.571:                              ;   in Loop: Header=BB259_13 Depth=1
	v_cmp_ne_u16_sdwa s[0:1], v12, s60 src0_sel:BYTE_0 src1_sel:DWORD
	v_mov_b32_e32 v120, 0x8000
	s_and_saveexec_b64 s[50:51], s[0:1]
	s_cbranch_execz .LBB259_575
; %bb.572:                              ;   in Loop: Header=BB259_13 Depth=1
	v_and_b32_e32 v2, 0x7f, v12
	v_cmp_ne_u32_e64 s[0:1], s61, v2
	v_mov_b32_e32 v120, 0x7c01
	s_and_saveexec_b64 s[52:53], s[0:1]
	s_cbranch_execz .LBB259_574
; %bb.573:                              ;   in Loop: Header=BB259_13 Depth=1
	v_and_b32_e32 v13, 7, v12
	v_ffbh_u32_e32 v120, v13
	v_min_u32_e32 v120, 32, v120
	v_lshrrev_b32_e32 v14, 3, v2
	v_subrev_u32_e32 v124, 28, v120
	v_sub_u32_e32 v120, 29, v120
	v_cmp_gt_u32_e64 s[0:1], 8, v2
	v_lshlrev_b64 v[124:125], v124, v[12:13]
	s_nop 0
	v_cndmask_b32_e64 v2, v14, v120, s[0:1]
	v_lshl_add_u32 v2, v2, 10, v26
	v_lshlrev_b32_e32 v14, 8, v12
	v_and_b32_e32 v120, 7, v124
	v_and_b32_e32 v2, 0xfc00, v2
	v_cndmask_b32_e64 v13, v13, v120, s[0:1]
	v_and_or_b32 v2, v14, s62, v2
	v_lshl_or_b32 v120, v13, 7, v2
.LBB259_574:                            ;   in Loop: Header=BB259_13 Depth=1
	s_or_b64 exec, exec, s[52:53]
.LBB259_575:                            ;   in Loop: Header=BB259_13 Depth=1
	s_or_b64 exec, exec, s[50:51]
.LBB259_576:                            ;   in Loop: Header=BB259_13 Depth=1
	s_or_b64 exec, exec, s[48:49]
	v_lshrrev_b16_e32 v2, 8, v12
	v_cmp_ne_u16_e64 s[0:1], 0, v2
	s_and_saveexec_b64 s[48:49], s[0:1]
	s_cbranch_execz .LBB259_582
; %bb.577:                              ;   in Loop: Header=BB259_13 Depth=1
	v_cmp_ne_u16_e64 s[0:1], s60, v2
	v_bfrev_b32_e32 v121, 1
	s_and_saveexec_b64 s[50:51], s[0:1]
	s_cbranch_execz .LBB259_581
; %bb.578:                              ;   in Loop: Header=BB259_13 Depth=1
	v_and_b32_e32 v13, 0x7f, v2
	v_cmp_ne_u32_e64 s[0:1], s61, v13
	v_mov_b32_e32 v121, 0x7c010000
	s_and_saveexec_b64 s[52:53], s[0:1]
	s_cbranch_execz .LBB259_580
; %bb.579:                              ;   in Loop: Header=BB259_13 Depth=1
	v_and_b32_e32 v14, 7, v2
	v_lshrrev_b32_e32 v121, 3, v13
	v_cmp_gt_u32_e64 s[0:1], 8, v13
	v_ffbh_u32_e32 v13, v14
	v_min_u32_e32 v13, 32, v13
	v_subrev_u32_e32 v124, 28, v13
	v_sub_u32_e32 v13, 29, v13
	v_cndmask_b32_e64 v13, v121, v13, s[0:1]
	v_lshlrev_b64 v[124:125], v124, v[2:3]
	v_lshlrev_b32_e32 v2, 8, v2
	v_lshl_add_u32 v13, v13, 10, v26
	v_and_b32_e32 v121, 7, v124
	v_and_or_b32 v2, v2, s62, v13
	v_cndmask_b32_e64 v14, v14, v121, s[0:1]
	v_lshlrev_b32_e32 v2, 16, v2
	v_lshl_or_b32 v121, v14, 23, v2
.LBB259_580:                            ;   in Loop: Header=BB259_13 Depth=1
	s_or_b64 exec, exec, s[52:53]
.LBB259_581:                            ;   in Loop: Header=BB259_13 Depth=1
	s_or_b64 exec, exec, s[50:51]
.LBB259_582:                            ;   in Loop: Header=BB259_13 Depth=1
	s_or_b64 exec, exec, s[48:49]
	v_lshrrev_b32_e32 v2, 16, v12
	v_cmp_ne_u16_sdwa s[0:1], v2, v3 src0_sel:BYTE_0 src1_sel:DWORD
	v_mov_b32_e32 v124, 0
	v_mov_b32_e32 v125, 0
	s_and_saveexec_b64 s[48:49], s[0:1]
	s_cbranch_execz .LBB259_588
; %bb.583:                              ;   in Loop: Header=BB259_13 Depth=1
	v_cmp_ne_u16_sdwa s[0:1], v2, s60 src0_sel:BYTE_0 src1_sel:DWORD
	v_mov_b32_e32 v125, 0x8000
	s_and_saveexec_b64 s[50:51], s[0:1]
	s_cbranch_execz .LBB259_587
; %bb.584:                              ;   in Loop: Header=BB259_13 Depth=1
	v_bfe_u32 v13, v12, 16, 7
	v_cmp_ne_u32_e64 s[0:1], s61, v13
	v_mov_b32_e32 v125, 0x7c01
	s_and_saveexec_b64 s[52:53], s[0:1]
	s_cbranch_execz .LBB259_586
; %bb.585:                              ;   in Loop: Header=BB259_13 Depth=1
	v_and_b32_e32 v14, 7, v2
	v_lshrrev_b32_e32 v125, 3, v13
	v_cmp_gt_u32_e64 s[0:1], 8, v13
	v_ffbh_u32_e32 v13, v14
	v_min_u32_e32 v13, 32, v13
	v_subrev_u32_e32 v126, 28, v13
	v_sub_u32_e32 v13, 29, v13
	v_cndmask_b32_e64 v13, v125, v13, s[0:1]
	v_lshlrev_b64 v[126:127], v126, v[2:3]
	v_lshl_add_u32 v13, v13, 10, v26
	v_lshlrev_b32_e32 v2, 8, v2
	v_and_b32_e32 v125, 7, v126
	v_and_b32_e32 v13, 0xfc00, v13
	v_cndmask_b32_e64 v14, v14, v125, s[0:1]
	v_and_or_b32 v2, v2, s62, v13
	v_lshl_or_b32 v125, v14, 7, v2
.LBB259_586:                            ;   in Loop: Header=BB259_13 Depth=1
	s_or_b64 exec, exec, s[52:53]
.LBB259_587:                            ;   in Loop: Header=BB259_13 Depth=1
	s_or_b64 exec, exec, s[50:51]
.LBB259_588:                            ;   in Loop: Header=BB259_13 Depth=1
	s_or_b64 exec, exec, s[48:49]
	v_cmp_lt_u32_e64 s[0:1], s63, v12
	s_and_saveexec_b64 s[48:49], s[0:1]
	s_cbranch_execz .LBB259_594
; %bb.589:                              ;   in Loop: Header=BB259_13 Depth=1
	v_lshrrev_b32_e32 v2, 24, v12
	v_cmp_ne_u32_e64 s[0:1], s60, v2
	v_bfrev_b32_e32 v124, 1
	s_and_saveexec_b64 s[50:51], s[0:1]
	s_cbranch_execz .LBB259_593
; %bb.590:                              ;   in Loop: Header=BB259_13 Depth=1
	v_and_b32_e32 v12, 0x7f, v2
	v_cmp_ne_u32_e64 s[0:1], s61, v12
	v_mov_b32_e32 v124, 0x7c010000
	s_and_saveexec_b64 s[52:53], s[0:1]
	s_cbranch_execz .LBB259_592
; %bb.591:                              ;   in Loop: Header=BB259_13 Depth=1
	v_and_b32_e32 v14, 7, v2
	v_lshrrev_b32_e32 v124, 3, v12
	v_cmp_gt_u32_e64 s[0:1], 8, v12
	v_ffbh_u32_e32 v12, v14
	v_min_u32_e32 v126, 32, v12
	v_subrev_u32_e32 v12, 28, v126
	v_lshlrev_b64 v[12:13], v12, v[2:3]
	v_sub_u32_e32 v13, 29, v126
	v_cndmask_b32_e64 v13, v124, v13, s[0:1]
	v_lshlrev_b32_e32 v2, 8, v2
	v_lshl_add_u32 v13, v13, 10, v26
	v_and_b32_e32 v12, 7, v12
	v_and_or_b32 v2, v2, s62, v13
	v_cndmask_b32_e64 v12, v14, v12, s[0:1]
	v_lshlrev_b32_e32 v2, 16, v2
	v_lshl_or_b32 v124, v12, 23, v2
.LBB259_592:                            ;   in Loop: Header=BB259_13 Depth=1
	s_or_b64 exec, exec, s[52:53]
.LBB259_593:                            ;   in Loop: Header=BB259_13 Depth=1
	s_or_b64 exec, exec, s[50:51]
.LBB259_594:                            ;   in Loop: Header=BB259_13 Depth=1
	s_or_b64 exec, exec, s[48:49]
	v_or_b32_e32 v2, v114, v115
	v_fma_mixlo_f16 v13, v29, v114, 0 op_sel:[0,1,0] op_sel_hi:[0,1,0]
	v_or_b32_e32 v16, v15, v16
	v_fma_mixlo_f16 v114, v29, v15, 0 op_sel:[0,1,0] op_sel_hi:[0,1,0]
	v_or_b32_e32 v15, v116, v117
	v_fma_mixlo_f16 v115, v29, v16, 0 op_sel_hi:[0,1,0]
	v_fma_mixlo_f16 v16, v29, v15, 0 op_sel_hi:[0,1,0]
	v_fma_mixlo_f16 v15, v29, v116, 0 op_sel:[0,1,0] op_sel_hi:[0,1,0]
	v_or_b32_e32 v113, v112, v113
	v_fma_mixlo_f16 v116, v29, v112, 0 op_sel:[0,1,0] op_sel_hi:[0,1,0]
	v_or_b32_e32 v112, v118, v119
	v_fma_mixlo_f16 v117, v29, v113, 0 op_sel_hi:[0,1,0]
	v_fma_mixlo_f16 v113, v29, v112, 0 op_sel_hi:[0,1,0]
	;; [unrolled: 6-line block ×16, first 2 shown]
	v_fma_mixlo_f16 v56, v29, v58, 0 op_sel:[0,1,0] op_sel_hi:[0,1,0]
	v_or_b32_e32 v41, v40, v41
	v_fma_mixlo_f16 v58, v29, v40, 0 op_sel:[0,1,0] op_sel_hi:[0,1,0]
	v_or_b32_e32 v40, v42, v43
	v_fma_mixlo_f16 v14, v29, v2, 0 op_sel_hi:[0,1,0]
	v_or_b32_e32 v2, v122, v123
	v_fma_mixlo_f16 v43, v29, v40, 0 op_sel_hi:[0,1,0]
	v_or_b32_e32 v37, v36, v37
	v_fma_mixlo_f16 v40, v29, v36, 0 op_sel:[0,1,0] op_sel_hi:[0,1,0]
	v_or_b32_e32 v36, v38, v39
	v_fma_mixlo_f16 v12, v29, v2, 0 op_sel_hi:[0,1,0]
	v_fma_mixlo_f16 v2, v29, v122, 0 op_sel:[0,1,0] op_sel_hi:[0,1,0]
	v_fma_mixlo_f16 v59, v29, v41, 0 op_sel_hi:[0,1,0]
	v_fma_mixlo_f16 v41, v29, v37, 0 op_sel_hi:[0,1,0]
	;; [unrolled: 1-line block ×3, first 2 shown]
	ds_read_b64 v[36:37], v20
	v_or_b32_e32 v31, v30, v31
	v_fma_mixlo_f16 v123, v29, v38, 0 op_sel:[0,1,0] op_sel_hi:[0,1,0]
	v_fma_mixlo_f16 v38, v29, v30, 0 op_sel:[0,1,0] op_sel_hi:[0,1,0]
	v_fma_mixlo_f16 v31, v29, v31, 0 op_sel_hi:[0,1,0]
	v_or_b32_e32 v30, v34, v35
	s_waitcnt lgkmcnt(0)
	v_lshrrev_b32_e32 v1, 16, v36
	v_fma_mixlo_f16 v35, v29, v30, 0 op_sel_hi:[0,1,0]
	v_or_b32_e32 v120, v121, v120
	v_fma_mixlo_f16 v30, v29, v121, 0 op_sel:[0,1,0] op_sel_hi:[0,1,0]
	v_and_b32_e32 v17, 0xffff, v36
	;;#ASMSTART
	v_cvt_f32_f16 v121, v17;
	;;#ASMEND
	;;#ASMSTART
	v_cvt_f32_f16 v126, v1;
	;;#ASMEND
	v_and_b32_e32 v1, 0xffff, v31
	v_fma_mixlo_f16 v34, v29, v34, 0 op_sel:[0,1,0] op_sel_hi:[0,1,0]
	;;#ASMSTART
	v_cvt_f32_f16 v127, v1;
	;;#ASMEND
	v_and_b32_e32 v1, 0xffff, v38
	;;#ASMSTART
	v_cvt_f32_f16 v18, v1;
	;;#ASMEND
	v_lshrrev_b32_e32 v17, 16, v37
	v_and_b32_e32 v1, 0xffff, v37
	v_and_b32_e32 v19, 0xffff, v35
	;; [unrolled: 1-line block ×3, first 2 shown]
	;;#ASMSTART
	v_cvt_f32_f16 v1, v1;
	;;#ASMEND
	;;#ASMSTART
	v_cvt_f32_f16 v17, v17;
	;;#ASMEND
	;; [unrolled: 3-line block ×4, first 2 shown]
	ds_read_b64 v[38:39], v20 offset:8
	v_and_b32_e32 v37, 0xffff, v41
	v_fma_mixlo_f16 v42, v29, v42, 0 op_sel:[0,1,0] op_sel_hi:[0,1,0]
	v_or_b32_e32 v45, v44, v45
	v_or_b32_e32 v47, v46, v47
	s_waitcnt lgkmcnt(0)
	v_lshrrev_b32_e32 v35, 16, v38
	v_and_b32_e32 v34, 0xffff, v38
	;;#ASMSTART
	v_cvt_f32_f16 v34, v34;
	;;#ASMEND
	;;#ASMSTART
	v_cvt_f32_f16 v35, v35;
	;;#ASMEND
	v_and_b32_e32 v38, 0xffff, v40
	;;#ASMSTART
	v_cvt_f32_f16 v37, v37;
	;;#ASMEND
	;;#ASMSTART
	v_cvt_f32_f16 v38, v38;
	;;#ASMEND
	v_fma_mixlo_f16 v44, v29, v44, 0 op_sel:[0,1,0] op_sel_hi:[0,1,0]
	v_mul_f32_e32 v35, v35, v38
	v_mul_f32_e32 v34, v34, v37
	v_fmac_f32_e32 v35, v126, v18
	v_lshrrev_b32_e32 v37, 16, v39
	v_and_b32_e32 v18, 0xffff, v39
	;;#ASMSTART
	v_cvt_f32_f16 v18, v18;
	;;#ASMEND
	;;#ASMSTART
	v_cvt_f32_f16 v38, v37;
	;;#ASMEND
	v_and_b32_e32 v37, 0xffff, v122
	v_and_b32_e32 v39, 0xffff, v123
	;;#ASMSTART
	v_cvt_f32_f16 v37, v37;
	;;#ASMEND
	;;#ASMSTART
	v_cvt_f32_f16 v39, v39;
	;;#ASMEND
	ds_read_b64 v[40:41], v20 offset:16
	v_mul_f32_e32 v37, v18, v37
	v_mul_f32_e32 v38, v38, v39
	v_fmac_f32_e32 v37, v1, v19
	v_fmac_f32_e32 v38, v17, v24
	s_waitcnt lgkmcnt(0)
	v_lshrrev_b32_e32 v17, 16, v40
	v_and_b32_e32 v1, 0xffff, v40
	v_and_b32_e32 v18, 0xffff, v59
	;; [unrolled: 1-line block ×3, first 2 shown]
	v_lshrrev_b32_e32 v39, 16, v41
	v_and_b32_e32 v24, 0xffff, v41
	v_and_b32_e32 v40, 0xffff, v43
	;;#ASMSTART
	v_cvt_f32_f16 v1, v1;
	;;#ASMEND
	;;#ASMSTART
	v_cvt_f32_f16 v17, v17;
	;;#ASMEND
	;; [unrolled: 3-line block ×7, first 2 shown]
	v_and_b32_e32 v40, 0xffff, v42
	;;#ASMSTART
	v_cvt_f32_f16 v42, v40;
	;;#ASMEND
	ds_read_b64 v[40:41], v20 offset:24
	v_fma_mixlo_f16 v45, v29, v45, 0 op_sel_hi:[0,1,0]
	v_fma_mixlo_f16 v47, v29, v47, 0 op_sel_hi:[0,1,0]
	v_fmac_f32_e32 v34, v121, v127
	v_fma_mixlo_f16 v46, v29, v46, 0 op_sel:[0,1,0] op_sel_hi:[0,1,0]
	v_fmac_f32_e32 v34, v1, v18
	v_fmac_f32_e32 v35, v17, v19
	;; [unrolled: 1-line block ×4, first 2 shown]
	s_waitcnt lgkmcnt(0)
	v_lshrrev_b32_e32 v17, 16, v40
	v_and_b32_e32 v1, 0xffff, v40
	v_and_b32_e32 v18, 0xffff, v45
	v_and_b32_e32 v19, 0xffff, v44
	v_lshrrev_b32_e32 v39, 16, v41
	v_and_b32_e32 v24, 0xffff, v41
	v_and_b32_e32 v40, 0xffff, v47
	;;#ASMSTART
	v_cvt_f32_f16 v1, v1;
	;;#ASMEND
	;;#ASMSTART
	v_cvt_f32_f16 v17, v17;
	;;#ASMEND
	;; [unrolled: 3-line block ×7, first 2 shown]
	v_and_b32_e32 v40, 0xffff, v46
	;;#ASMSTART
	v_cvt_f32_f16 v43, v40;
	;;#ASMEND
	ds_read_b64 v[40:41], v20 offset:32
	v_or_b32_e32 v49, v48, v49
	v_or_b32_e32 v51, v50, v51
	v_fma_mixlo_f16 v48, v29, v48, 0 op_sel:[0,1,0] op_sel_hi:[0,1,0]
	v_fma_mixlo_f16 v49, v29, v49, 0 op_sel_hi:[0,1,0]
	v_fma_mixlo_f16 v51, v29, v51, 0 op_sel_hi:[0,1,0]
	v_fma_mixlo_f16 v50, v29, v50, 0 op_sel:[0,1,0] op_sel_hi:[0,1,0]
	v_fmac_f32_e32 v34, v1, v18
	v_fmac_f32_e32 v35, v17, v19
	;; [unrolled: 1-line block ×4, first 2 shown]
	s_waitcnt lgkmcnt(0)
	v_lshrrev_b32_e32 v17, 16, v40
	v_and_b32_e32 v1, 0xffff, v40
	v_and_b32_e32 v18, 0xffff, v49
	;; [unrolled: 1-line block ×3, first 2 shown]
	v_lshrrev_b32_e32 v39, 16, v41
	v_and_b32_e32 v24, 0xffff, v41
	v_and_b32_e32 v40, 0xffff, v51
	;;#ASMSTART
	v_cvt_f32_f16 v1, v1;
	;;#ASMEND
	;;#ASMSTART
	v_cvt_f32_f16 v17, v17;
	;;#ASMEND
	;; [unrolled: 3-line block ×7, first 2 shown]
	v_and_b32_e32 v40, 0xffff, v50
	;;#ASMSTART
	v_cvt_f32_f16 v43, v40;
	;;#ASMEND
	ds_read_b64 v[40:41], v20 offset:40
	v_or_b32_e32 v53, v52, v53
	v_or_b32_e32 v55, v54, v55
	v_fma_mixlo_f16 v52, v29, v52, 0 op_sel:[0,1,0] op_sel_hi:[0,1,0]
	v_fma_mixlo_f16 v53, v29, v53, 0 op_sel_hi:[0,1,0]
	v_fma_mixlo_f16 v55, v29, v55, 0 op_sel_hi:[0,1,0]
	v_fma_mixlo_f16 v54, v29, v54, 0 op_sel:[0,1,0] op_sel_hi:[0,1,0]
	v_fmac_f32_e32 v34, v1, v18
	v_fmac_f32_e32 v35, v17, v19
	v_fmac_f32_e32 v37, v24, v42
	v_fmac_f32_e32 v38, v39, v43
	s_waitcnt lgkmcnt(0)
	v_lshrrev_b32_e32 v17, 16, v40
	v_and_b32_e32 v1, 0xffff, v40
	v_and_b32_e32 v18, 0xffff, v53
	v_and_b32_e32 v19, 0xffff, v52
	v_lshrrev_b32_e32 v39, 16, v41
	v_and_b32_e32 v24, 0xffff, v41
	v_and_b32_e32 v40, 0xffff, v55
	;;#ASMSTART
	v_cvt_f32_f16 v1, v1;
	;;#ASMEND
	;;#ASMSTART
	v_cvt_f32_f16 v17, v17;
	;;#ASMEND
	;;#ASMSTART
	v_cvt_f32_f16 v18, v18;
	;;#ASMEND
	;;#ASMSTART
	v_cvt_f32_f16 v19, v19;
	;;#ASMEND
	;;#ASMSTART
	v_cvt_f32_f16 v24, v24;
	;;#ASMEND
	;;#ASMSTART
	v_cvt_f32_f16 v39, v39;
	;;#ASMEND
	;;#ASMSTART
	v_cvt_f32_f16 v42, v40;
	;;#ASMEND
	v_and_b32_e32 v40, 0xffff, v54
	;;#ASMSTART
	v_cvt_f32_f16 v43, v40;
	;;#ASMEND
	ds_read_b64 v[40:41], v20 offset:48
	v_fmac_f32_e32 v34, v1, v18
	v_fmac_f32_e32 v35, v17, v19
	v_fmac_f32_e32 v37, v24, v42
	v_fmac_f32_e32 v38, v39, v43
	s_waitcnt lgkmcnt(0)
	v_lshrrev_b32_e32 v17, 16, v40
	v_and_b32_e32 v1, 0xffff, v40
	v_and_b32_e32 v18, 0xffff, v63
	v_and_b32_e32 v19, 0xffff, v62
	v_lshrrev_b32_e32 v39, 16, v41
	v_and_b32_e32 v24, 0xffff, v41
	v_and_b32_e32 v40, 0xffff, v57
	;;#ASMSTART
	v_cvt_f32_f16 v1, v1;
	;;#ASMEND
	;;#ASMSTART
	v_cvt_f32_f16 v17, v17;
	;;#ASMEND
	;;#ASMSTART
	v_cvt_f32_f16 v18, v18;
	;;#ASMEND
	;;#ASMSTART
	v_cvt_f32_f16 v19, v19;
	;;#ASMEND
	;;#ASMSTART
	v_cvt_f32_f16 v24, v24;
	;;#ASMEND
	;;#ASMSTART
	v_cvt_f32_f16 v39, v39;
	;;#ASMEND
	;;#ASMSTART
	v_cvt_f32_f16 v42, v40;
	;;#ASMEND
	v_and_b32_e32 v40, 0xffff, v56
	;;#ASMSTART
	v_cvt_f32_f16 v43, v40;
	;;#ASMEND
	ds_read_b64 v[40:41], v20 offset:56
	;; [unrolled: 38-line block ×16, first 2 shown]
	v_fmac_f32_e32 v34, v1, v18
	v_fmac_f32_e32 v35, v17, v19
	;; [unrolled: 1-line block ×4, first 2 shown]
	s_waitcnt lgkmcnt(0)
	v_lshrrev_b32_e32 v17, 16, v40
	v_and_b32_e32 v1, 0xffff, v40
	v_and_b32_e32 v18, 0xffff, v115
	;; [unrolled: 1-line block ×3, first 2 shown]
	v_lshrrev_b32_e32 v39, 16, v41
	v_and_b32_e32 v24, 0xffff, v41
	v_and_b32_e32 v16, 0xffff, v16
	;; [unrolled: 1-line block ×3, first 2 shown]
	;;#ASMSTART
	v_cvt_f32_f16 v1, v1;
	;;#ASMEND
	;;#ASMSTART
	v_cvt_f32_f16 v17, v17;
	;;#ASMEND
	;; [unrolled: 3-line block ×8, first 2 shown]
	ds_read_b64 v[40:41], v20 offset:176
	v_fmac_f32_e32 v34, v1, v18
	v_fmac_f32_e32 v38, v39, v15
	v_and_b32_e32 v14, 0xffff, v14
	v_and_b32_e32 v13, 0xffff, v13
	s_waitcnt lgkmcnt(0)
	v_lshrrev_b32_e32 v15, 16, v40
	v_and_b32_e32 v1, 0xffff, v40
	v_fmac_f32_e32 v35, v17, v19
	v_fmac_f32_e32 v37, v24, v16
	;;#ASMSTART
	v_cvt_f32_f16 v1, v1;
	;;#ASMEND
	;;#ASMSTART
	v_cvt_f32_f16 v15, v15;
	;;#ASMEND
	;; [unrolled: 3-line block ×4, first 2 shown]
	v_lshrrev_b32_e32 v13, 16, v41
	v_and_b32_e32 v17, 0xffff, v41
	v_and_b32_e32 v12, 0xffff, v12
	;; [unrolled: 1-line block ×3, first 2 shown]
	;;#ASMSTART
	v_cvt_f32_f16 v17, v17;
	;;#ASMEND
	;;#ASMSTART
	v_cvt_f32_f16 v18, v13;
	;;#ASMEND
	;;#ASMSTART
	v_cvt_f32_f16 v19, v12;
	;;#ASMEND
	;;#ASMSTART
	v_cvt_f32_f16 v2, v2;
	;;#ASMEND
	ds_read_b64 v[12:13], v20 offset:184
	v_fma_mixlo_f16 v36, v29, v120, 0 op_sel_hi:[0,1,0]
	v_fmac_f32_e32 v34, v1, v14
	v_or_b32_e32 v31, v124, v125
	v_fmac_f32_e32 v38, v18, v2
	s_waitcnt lgkmcnt(0)
	v_and_b32_e32 v1, 0xffff, v12
	v_lshrrev_b32_e32 v2, 16, v12
	;;#ASMSTART
	v_cvt_f32_f16 v1, v1;
	;;#ASMEND
	v_and_b32_e32 v12, 0xffff, v36
	v_fma_mixlo_f16 v31, v29, v31, 0 op_sel_hi:[0,1,0]
	v_fmac_f32_e32 v35, v15, v16
	;;#ASMSTART
	v_cvt_f32_f16 v2, v2;
	;;#ASMEND
	;;#ASMSTART
	v_cvt_f32_f16 v12, v12;
	;;#ASMEND
	v_and_b32_e32 v14, 0xffff, v30
	v_fmac_f32_e32 v34, v1, v12
	v_and_b32_e32 v1, 0xffff, v13
	v_fma_mixlo_f16 v29, v29, v124, 0 op_sel:[0,1,0] op_sel_hi:[0,1,0]
	v_fmac_f32_e32 v37, v17, v19
	;;#ASMSTART
	v_cvt_f32_f16 v14, v14;
	;;#ASMEND
	;;#ASMSTART
	v_cvt_f32_f16 v1, v1;
	;;#ASMEND
	v_and_b32_e32 v12, 0xffff, v31
	v_fmac_f32_e32 v35, v2, v14
	v_lshrrev_b32_e32 v2, 16, v13
	;;#ASMSTART
	v_cvt_f32_f16 v2, v2;
	;;#ASMEND
	;;#ASMSTART
	v_cvt_f32_f16 v12, v12;
	;;#ASMEND
	v_and_b32_e32 v13, 0xffff, v29
	v_fmac_f32_e32 v37, v1, v12
	v_add_f32_e32 v1, v34, v35
	;;#ASMSTART
	v_cvt_f32_f16 v13, v13;
	;;#ASMEND
	v_add_f32_e32 v1, v1, v37
	v_fmac_f32_e32 v38, v2, v13
	v_and_b32_e32 v12, 64, v27
	v_add_f32_e32 v2, v38, v1
	v_xor_b32_e32 v1, 1, v27
	v_add_u32_e32 v12, 64, v12
	v_cmp_lt_i32_e64 s[0:1], v1, v12
	s_nop 1
	v_cndmask_b32_e64 v1, v27, v1, s[0:1]
	v_lshlrev_b32_e32 v1, 2, v1
	ds_bpermute_b32 v12, v1, v2
	s_and_saveexec_b64 s[48:49], vcc
	s_cbranch_execz .LBB259_11
; %bb.595:                              ;   in Loop: Header=BB259_13 Depth=1
	scratch_load_dword v1, off, off         ; 4-byte Folded Reload
	v_bfe_u32 v13, v0, 1, 5
	v_add_u32_e32 v13, v13, v23
	s_waitcnt lgkmcnt(0)
	v_add_f32_e32 v2, v2, v12
	v_cmp_gt_i32_e64 s[0:1], s33, v13
	s_waitcnt vmcnt(0)
	v_add_u32_e32 v1, v1, v23
	v_cvt_f32_i32_e32 v1, v1
	v_mul_f32_e32 v1, s56, v1
	v_cndmask_b32_e64 v1, 0, v1, s[2:3]
	v_fmac_f32_e32 v1, s37, v2
	v_cndmask_b32_e64 v2, 0, v1, s[0:1]
	ds_write_b32 v25, v2
	v_max_f32_e32 v2, v22, v22
	v_max_f32_e32 v1, v2, v1
	v_cndmask_b32_e64 v22, v22, v1, s[0:1]
	s_branch .LBB259_11
.LBB259_596:
	s_or_b64 exec, exec, s[38:39]
	v_lshlrev_b32_e32 v16, 3, v0
	v_lshrrev_b32_e32 v18, 4, v0
	v_mbcnt_lo_u32_b32 v1, -1, 0
.LBB259_597:
	s_or_b64 exec, exec, s[18:19]
	v_mbcnt_hi_u32_b32 v2, -1, v1
	v_and_b32_e32 v9, 64, v2
	v_add_u32_e32 v10, 64, v9
	v_xor_b32_e32 v3, 32, v2
	v_cmp_lt_i32_e32 vcc, v3, v10
	v_xor_b32_e32 v6, 16, v2
	v_max_f32_e32 v5, v22, v22
	v_cndmask_b32_e32 v3, v2, v3, vcc
	v_lshlrev_b32_e32 v3, 2, v3
	ds_bpermute_b32 v4, v3, v22
	v_cmp_lt_i32_e32 vcc, v6, v10
	v_xor_b32_e32 v7, 8, v2
	v_xor_b32_e32 v8, 4, v2
	;; [unrolled: 1-line block ×3, first 2 shown]
	s_waitcnt lgkmcnt(0)
	v_max_f32_e32 v4, v4, v4
	v_max_f32_e32 v5, v5, v4
	v_cndmask_b32_e32 v4, v2, v6, vcc
	v_lshlrev_b32_e32 v4, 2, v4
	ds_bpermute_b32 v6, v4, v5
	v_cmp_lt_i32_e32 vcc, v7, v10
	v_and_b32_e32 v34, 63, v0
	s_waitcnt lgkmcnt(0)
	v_max_f32_e32 v6, v6, v6
	v_max_f32_e32 v6, v5, v6
	v_cndmask_b32_e32 v5, v2, v7, vcc
	v_lshlrev_b32_e32 v5, 2, v5
	ds_bpermute_b32 v7, v5, v6
	v_cmp_lt_i32_e32 vcc, v8, v10
	s_waitcnt lgkmcnt(0)
	v_max_f32_e32 v7, v7, v7
	v_max_f32_e32 v7, v6, v7
	v_cndmask_b32_e32 v6, v2, v8, vcc
	v_lshlrev_b32_e32 v6, 2, v6
	ds_bpermute_b32 v8, v6, v7
	v_cmp_lt_i32_e32 vcc, v11, v10
	s_waitcnt lgkmcnt(0)
	v_max_f32_e32 v8, v8, v8
	v_max_f32_e32 v8, v7, v8
	v_cndmask_b32_e32 v7, v2, v11, vcc
	v_lshlrev_b32_e32 v35, 2, v7
	ds_bpermute_b32 v11, v35, v8
	v_cmp_eq_u32_e32 vcc, 0, v34
	v_lshlrev_b32_e32 v7, 2, v32
	s_and_saveexec_b64 s[0:1], vcc
	s_cbranch_execz .LBB259_599
; %bb.598:
	s_waitcnt lgkmcnt(0)
	v_max_f32_e32 v1, v11, v11
	v_max_f32_e32 v8, v8, v8
	;; [unrolled: 1-line block ×3, first 2 shown]
	ds_write_b32 v7, v1 offset:384
.LBB259_599:
	s_or_b64 exec, exec, s[0:1]
	v_cmp_gt_u32_e64 s[0:1], 2, v34
	s_waitcnt lgkmcnt(0)
	v_mov_b32_e32 v11, 0xff7fffff
	v_lshlrev_b32_e32 v8, 2, v34
	s_barrier
	s_and_saveexec_b64 s[2:3], s[0:1]
; %bb.600:
	ds_read_b32 v11, v8 offset:384
; %bb.601:
	s_or_b64 exec, exec, s[2:3]
	v_xor_b32_e32 v1, 1, v2
	v_cmp_lt_i32_e64 s[2:3], v1, v10
	s_waitcnt lgkmcnt(0)
	v_max_f32_e32 v10, v11, v11
	v_lshlrev_b32_e32 v9, 2, v9
	v_cndmask_b32_e64 v1, v2, v1, s[2:3]
	v_lshlrev_b32_e32 v36, 2, v1
	ds_bpermute_b32 v1, v36, v11
	s_lshl_b32 s2, s55, 5
	s_min_i32 s37, s2, s33
	v_cmp_gt_i32_e64 s[2:3], s37, v0
	s_waitcnt lgkmcnt(0)
	v_max_f32_e32 v1, v1, v1
	v_max_f32_e32 v1, v10, v1
	ds_bpermute_b32 v10, v9, v1
	v_mov_b32_e32 v9, 0
	s_and_saveexec_b64 s[12:13], s[2:3]
	s_cbranch_execz .LBB259_605
; %bb.602:
	v_mov_b32_e32 v1, 0x190
	v_lshl_add_u32 v11, v0, 2, v1
	v_mov_b32_e32 v9, 0
	s_mov_b64 s[18:19], 0
	v_mov_b32_e32 v12, v0
.LBB259_603:                            ; =>This Inner Loop Header: Depth=1
	ds_read_b32 v1, v11
	v_add_u32_e32 v12, 0x80, v12
	v_cmp_le_i32_e64 s[8:9], s37, v12
	s_or_b64 s[18:19], s[8:9], s[18:19]
	s_waitcnt lgkmcnt(0)
	v_sub_f32_e32 v1, v1, v10
	v_mul_f32_e32 v1, 0x3fb8aa3b, v1
	v_exp_f32_e32 v1, v1
	ds_write_b32 v11, v1
	v_add_f32_e32 v9, v9, v1
	v_add_u32_e32 v11, 0x200, v11
	s_andn2_b64 exec, exec, s[18:19]
	s_cbranch_execnz .LBB259_603
; %bb.604:
	s_or_b64 exec, exec, s[18:19]
.LBB259_605:
	s_or_b64 exec, exec, s[12:13]
	ds_bpermute_b32 v1, v3, v9
	s_waitcnt lgkmcnt(0)
	v_add_f32_e32 v1, v9, v1
	ds_bpermute_b32 v3, v4, v1
	s_waitcnt lgkmcnt(0)
	v_add_f32_e32 v1, v1, v3
	;; [unrolled: 3-line block ×6, first 2 shown]
	s_and_saveexec_b64 s[8:9], vcc
; %bb.606:
	ds_write_b32 v7, v3 offset:392
; %bb.607:
	s_or_b64 exec, exec, s[8:9]
	s_waitcnt lgkmcnt(0)
	s_barrier
	s_and_saveexec_b64 s[8:9], s[0:1]
; %bb.608:
	ds_read_b32 v3, v8 offset:392
; %bb.609:
	s_or_b64 exec, exec, s[8:9]
	s_waitcnt lgkmcnt(0)
	ds_bpermute_b32 v1, v36, v3
	v_lshlrev_b32_e32 v2, 2, v2
	v_and_b32_e32 v2, 0x100, v2
	s_waitcnt lgkmcnt(0)
	v_add_f32_e32 v1, v3, v1
	ds_bpermute_b32 v2, v2, v1
	s_and_saveexec_b64 s[0:1], s[2:3]
	s_cbranch_execz .LBB259_622
; %bb.610:
	s_waitcnt lgkmcnt(0)
	v_add_f32_e32 v1, 0x358637bd, v2
	v_div_scale_f32 v2, s[2:3], v1, v1, 1.0
	v_rcp_f32_e32 v3, v2
	v_div_scale_f32 v4, vcc, 1.0, v1, 1.0
	s_movk_i32 s2, 0x7f
	v_fma_f32 v5, -v2, v3, 1.0
	v_fmac_f32_e32 v3, v5, v3
	v_mul_f32_e32 v5, v4, v3
	v_fma_f32 v6, -v2, v5, v4
	v_fmac_f32_e32 v5, v6, v3
	v_fma_f32 v2, -v2, v5, v4
	v_div_fmas_f32 v2, v2, v3, v5
	v_xad_u32 v4, v0, -1, s37
	v_div_fixup_f32 v2, v2, v1, 1.0
	v_cmp_lt_u32_e32 vcc, s2, v4
	s_mov_b64 s[8:9], -1
	v_mov_b32_e32 v3, v0
	s_and_saveexec_b64 s[2:3], vcc
	s_cbranch_execz .LBB259_619
; %bb.611:
	v_lshrrev_b32_e32 v4, 7, v4
	v_add_u32_e32 v1, -1, v4
	v_lshrrev_b32_e32 v5, 1, v1
	v_mov_b32_e32 v3, v2
	v_add_u32_e32 v5, 1, v5
	v_cmp_lt_u32_e32 vcc, 13, v1
	v_mov_b32_e32 v8, 0
	s_and_saveexec_b64 s[8:9], vcc
	s_cbranch_execz .LBB259_615
; %bb.612:
	v_mov_b32_e32 v1, 0x190
	v_and_b32_e32 v6, -8, v5
	v_lshl_add_u32 v7, v0, 2, v1
	s_mov_b32 s18, 0
	s_mov_b64 s[12:13], 0
.LBB259_613:                            ; =>This Inner Loop Header: Depth=1
	ds_read2st64_b32 v[8:9], v7 offset1:2
	ds_read2st64_b32 v[10:11], v7 offset0:4 offset1:6
	ds_read2st64_b32 v[12:13], v7 offset0:8 offset1:10
	;; [unrolled: 1-line block ×3, first 2 shown]
	v_add_u32_e32 v6, -8, v6
	s_waitcnt lgkmcnt(3)
	v_pk_mul_f32 v[8:9], v[2:3], v[8:9]
	s_waitcnt lgkmcnt(2)
	v_pk_mul_f32 v[10:11], v[2:3], v[10:11]
	ds_write2st64_b32 v7, v8, v9 offset1:2
	ds_write2st64_b32 v7, v10, v11 offset0:4 offset1:6
	ds_read2st64_b32 v[10:11], v7 offset0:16 offset1:18
	s_waitcnt lgkmcnt(4)
	v_pk_mul_f32 v[8:9], v[2:3], v[12:13]
	ds_write2st64_b32 v7, v8, v9 offset0:8 offset1:10
	s_waitcnt lgkmcnt(4)
	v_pk_mul_f32 v[8:9], v[2:3], v[14:15]
	ds_write2st64_b32 v7, v8, v9 offset0:12 offset1:14
	ds_read2st64_b32 v[8:9], v7 offset0:20 offset1:22
	s_waitcnt lgkmcnt(3)
	v_pk_mul_f32 v[10:11], v[2:3], v[10:11]
	ds_read2st64_b32 v[12:13], v7 offset0:24 offset1:26
	ds_write2st64_b32 v7, v10, v11 offset0:16 offset1:18
	ds_read2st64_b32 v[10:11], v7 offset0:28 offset1:30
	s_waitcnt lgkmcnt(3)
	v_pk_mul_f32 v[8:9], v[2:3], v[8:9]
	ds_write2st64_b32 v7, v8, v9 offset0:20 offset1:22
	s_waitcnt lgkmcnt(3)
	v_pk_mul_f32 v[8:9], v[2:3], v[12:13]
	ds_write2st64_b32 v7, v8, v9 offset0:24 offset1:26
	s_waitcnt lgkmcnt(2)
	v_pk_mul_f32 v[8:9], v[2:3], v[10:11]
	s_add_i32 s18, s18, 16
	v_cmp_eq_u32_e32 vcc, 0, v6
	ds_write2st64_b32 v7, v8, v9 offset0:28 offset1:30
	v_add_u32_e32 v7, 0x2000, v7
	s_or_b64 s[12:13], vcc, s[12:13]
	v_mov_b32_e32 v8, s18
	s_andn2_b64 exec, exec, s[12:13]
	s_cbranch_execnz .LBB259_613
; %bb.614:
	s_or_b64 exec, exec, s[12:13]
.LBB259_615:
	s_or_b64 exec, exec, s[8:9]
	v_and_b32_e32 v5, 7, v5
	v_cmp_ne_u32_e32 vcc, 0, v5
	s_and_saveexec_b64 s[8:9], vcc
	s_cbranch_execz .LBB259_618
; %bb.616:
	v_lshlrev_b32_e32 v1, 9, v8
	v_lshlrev_b32_e32 v6, 2, v0
	s_movk_i32 s12, 0x190
	v_add3_u32 v6, v1, v6, s12
	s_mov_b64 s[12:13], 0
.LBB259_617:                            ; =>This Inner Loop Header: Depth=1
	ds_read2st64_b32 v[8:9], v6 offset1:2
	v_add_u32_e32 v5, -1, v5
	v_cmp_eq_u32_e32 vcc, 0, v5
	s_or_b64 s[12:13], vcc, s[12:13]
	s_waitcnt lgkmcnt(0)
	v_pk_mul_f32 v[8:9], v[2:3], v[8:9]
	ds_write2st64_b32 v6, v8, v9 offset1:2
	v_add_u32_e32 v6, 0x400, v6
	s_andn2_b64 exec, exec, s[12:13]
	s_cbranch_execnz .LBB259_617
.LBB259_618:
	s_or_b64 exec, exec, s[8:9]
	v_add_u32_e32 v1, 1, v4
	v_and_b32_e32 v4, 0x3fffffe, v1
	v_cmp_ne_u32_e32 vcc, v1, v4
	v_lshl_add_u32 v3, v4, 7, v0
	s_orn2_b64 s[8:9], vcc, exec
.LBB259_619:
	s_or_b64 exec, exec, s[2:3]
	s_and_b64 exec, exec, s[8:9]
	s_cbranch_execz .LBB259_622
; %bb.620:
	v_mov_b32_e32 v1, 0x190
	v_lshl_add_u32 v4, v3, 2, v1
	s_mov_b64 s[2:3], 0
.LBB259_621:                            ; =>This Inner Loop Header: Depth=1
	ds_read_b32 v1, v4
	v_add_u32_e32 v3, 0x80, v3
	v_cmp_le_i32_e32 vcc, s37, v3
	s_or_b64 s[2:3], vcc, s[2:3]
	s_waitcnt lgkmcnt(0)
	v_mul_f32_e32 v1, v2, v1
	ds_write_b32 v4, v1
	v_add_u32_e32 v4, 0x200, v4
	s_andn2_b64 exec, exec, s[2:3]
	s_cbranch_execnz .LBB259_621
.LBB259_622:
	s_or_b64 exec, exec, s[0:1]
	v_mov_b32_e32 v3, 0
	v_and_b32_e32 v37, 3, v0
	s_waitcnt lgkmcnt(0)
	v_mov_b32_e32 v2, 0
	v_mov_b32_e32 v5, 0
	;; [unrolled: 1-line block ×11, first 2 shown]
	s_barrier
	s_and_saveexec_b64 s[2:3], s[6:7]
	s_cbranch_execz .LBB259_1228
; %bb.623:
	s_sub_i32 s37, s16, s21
	s_ashr_i32 s1, s20, 31
	s_add_u32 s0, s34, s20
	s_addc_u32 s1, s35, s1
	s_abs_i32 s22, s22
	v_cvt_f32_u32_e32 v1, s22
	v_and_b32_e32 v14, 0x1f8, v16
	v_mov_b32_e32 v15, 0
	v_and_b32_e32 v38, 24, v16
	v_rcp_iflag_f32_e32 v1, v1
	v_lshl_add_u64 v[16:17], s[0:1], 0, v[14:15]
	s_sub_i32 s0, 0, s22
	s_add_i32 s35, s55, -1
	v_mul_f32_e32 v1, 0x4f7ffffe, v1
	v_cvt_u32_f32_e32 v1, v1
	s_mov_b32 s6, -1
	v_and_b32_e32 v14, 60, v18
	s_mov_b32 s34, s17
	v_mul_lo_u32 v2, s0, v1
	v_mul_hi_u32 v2, v1, v2
	s_lshl_b64 s[0:1], s[30:31], 2
	v_add_u32_e32 v39, v1, v2
	s_add_u32 s0, s28, s0
	v_lshlrev_b32_e32 v1, 5, v37
	s_addc_u32 s1, s29, s1
	v_lshl_or_b32 v1, v32, 7, v1
	s_mov_b32 s7, 0xffffff
	s_mov_b32 s38, s33
	v_lshl_add_u64 v[18:19], s[0:1], 0, v[14:15]
	v_add_u32_e32 v40, 0x190, v1
	s_mov_b64 s[8:9], 0
	s_movk_i32 s28, 0x80
	s_movk_i32 s29, 0x7f
	s_mov_b32 s30, 0x8000
	v_mov_b32_e32 v41, 0x2000
	v_mov_b32_e32 v12, 0
	;; [unrolled: 1-line block ×13, first 2 shown]
	s_branch .LBB259_626
.LBB259_624:                            ;   in Loop: Header=BB259_626 Depth=1
	s_or_b64 exec, exec, s[16:17]
	v_add_f32_e32 v21, v30, v31
	v_add_f32_e32 v2, v2, v21
	;; [unrolled: 1-line block ×21, first 2 shown]
	;;#ASMSTART
	v_pk_mul_f16 v1, v50, v1;

	;;#ASMEND
	v_add_f32_e32 v12, v12, v21
	;;#ASMSTART
	v_pk_mul_f16 v14, v49, v14;

	;;#ASMEND
	;;#ASMSTART
	v_pk_mul_f16 v21, v48, v23;

	;;#ASMEND
	;; [unrolled: 4-line block ×3, first 2 shown]
	s_nop 0
	;;#ASMSTART
	v_pk_add_f16 v1, v1, v14;

	;;#ASMEND
	s_nop 0
	;;#ASMSTART
	v_pk_add_f16 v1, v1, v21;

	;;#ASMEND
	;; [unrolled: 5-line block ×3, first 2 shown]
	s_nop 0
	v_lshrrev_b32_e32 v14, 16, v1
	v_and_b32_e32 v1, 0xffff, v1
	;;#ASMSTART
	v_cvt_f32_f16 v1, v1;
	;;#ASMEND
	;;#ASMSTART
	v_cvt_f32_f16 v14, v14;
	;;#ASMEND
	s_nop 0
	v_add_f32_e32 v1, v1, v14
	v_add_f32_e32 v3, v3, v1
.LBB259_625:                            ;   in Loop: Header=BB259_626 Depth=1
	s_or_b64 exec, exec, s[12:13]
	v_add_u32_e32 v32, 2, v32
	v_cmp_le_i32_e32 vcc, s55, v32
	v_lshl_add_u64 v[18:19], v[18:19], 0, 8
	v_add_u32_e32 v33, 64, v33
	s_or_b64 s[8:9], vcc, s[8:9]
	v_add_u32_e32 v40, 0x100, v40
	s_andn2_b64 exec, exec, s[8:9]
	s_cbranch_execz .LBB259_1227
.LBB259_626:                            ; =>This Inner Loop Header: Depth=1
	v_mul_hi_u32 v1, v33, s54
	v_mul_lo_u32 v14, v1, s25
	v_sub_u32_e32 v14, v33, v14
	v_add_u32_e32 v20, 1, v1
	v_cmp_le_u32_e32 vcc, s25, v14
	s_nop 1
	v_cndmask_b32_e32 v1, v1, v20, vcc
	v_subrev_u32_e32 v20, s25, v14
	v_cndmask_b32_e32 v14, v14, v20, vcc
	v_add_u32_e32 v20, 1, v1
	v_cmp_le_u32_e32 vcc, s25, v14
	s_nop 1
	v_cndmask_b32_e32 v1, v1, v20, vcc
	v_xor_b32_e32 v1, s23, v1
	v_subrev_u32_e32 v1, s23, v1
	v_add_u32_e32 v14, s36, v1
	v_sub_u32_e32 v21, 0, v14
	v_ashrrev_i32_e32 v20, 31, v14
	v_max_i32_e32 v14, v14, v21
	v_mul_hi_u32 v21, v14, v39
	v_mul_lo_u32 v21, v21, s22
	v_sub_u32_e32 v14, v14, v21
	v_subrev_u32_e32 v21, s22, v14
	v_cmp_le_u32_e32 vcc, s22, v14
	v_cmp_lt_i32_e64 s[0:1], s37, v1
	s_nop 0
	v_cndmask_b32_e32 v14, v14, v21, vcc
	v_subrev_u32_e32 v21, s22, v14
	v_cmp_le_u32_e32 vcc, s22, v14
	s_nop 1
	v_cndmask_b32_e32 v14, v14, v21, vcc
	v_xor_b32_e32 v14, v14, v20
	v_sub_u32_e32 v14, v14, v20
	v_cmp_eq_u32_e32 vcc, 0, v14
	s_or_b64 s[0:1], vcc, s[0:1]
	s_and_saveexec_b64 s[12:13], s[0:1]
	s_cbranch_execz .LBB259_625
; %bb.627:                              ;   in Loop: Header=BB259_626 Depth=1
	global_load_dword v1, v[18:19], off
	ds_read2_b64 v[20:23], v40 offset1:1
	ds_read2_b64 v[24:27], v40 offset0:2 offset1:3
	s_waitcnt lgkmcnt(1)
	;;#ASMSTART
	v_cvt_f16_f32 v47, v20;

	;;#ASMEND
	;;#ASMSTART
	v_cvt_f16_f32 v48, v21;

	;;#ASMEND
	;; [unrolled: 4-line block ×4, first 2 shown]
	s_waitcnt lgkmcnt(0)
	;;#ASMSTART
	v_cvt_f16_f32 v55, v24;

	;;#ASMEND
	;;#ASMSTART
	v_cvt_f16_f32 v56, v25;

	;;#ASMEND
	;; [unrolled: 4-line block ×4, first 2 shown]
	v_mov_b32_e32 v23, 0
	s_waitcnt vmcnt(0)
	v_mad_i64_i32 v[20:21], s[0:1], v1, s34, v[16:17]
	global_load_dwordx2 v[24:25], v[20:21], off
	v_mov_b32_e32 v1, 0
	global_load_dword v22, v1, s[14:15]
	s_waitcnt vmcnt(1)
	v_cmp_ne_u16_sdwa s[16:17], v24, v15 src0_sel:BYTE_0 src1_sel:DWORD
	s_and_saveexec_b64 s[0:1], s[16:17]
	s_cbranch_execz .LBB259_633
; %bb.628:                              ;   in Loop: Header=BB259_626 Depth=1
	v_cmp_ne_u16_sdwa s[18:19], v24, s28 src0_sel:BYTE_0 src1_sel:DWORD
	v_mov_b32_e32 v23, 0x8000
	s_and_saveexec_b64 s[16:17], s[18:19]
	s_cbranch_execz .LBB259_632
; %bb.629:                              ;   in Loop: Header=BB259_626 Depth=1
	v_and_b32_e32 v14, 0x7f, v24
	v_cmp_ne_u32_e32 vcc, s29, v14
	v_mov_b32_e32 v23, 0x7c01
	s_and_saveexec_b64 s[18:19], vcc
	s_cbranch_execz .LBB259_631
; %bb.630:                              ;   in Loop: Header=BB259_626 Depth=1
	v_and_b32_e32 v23, 7, v24
	v_ffbh_u32_e32 v26, v23
	v_min_u32_e32 v29, 32, v26
	v_subrev_u32_e32 v26, 28, v29
	v_lshlrev_b64 v[26:27], v26, v[24:25]
	v_lshrrev_b32_e32 v28, 3, v14
	v_sub_u32_e32 v27, 29, v29
	v_cmp_gt_u32_e32 vcc, 8, v14
	v_and_b32_e32 v26, 7, v26
	s_nop 0
	v_cndmask_b32_e32 v14, v28, v27, vcc
	v_lshl_add_u32 v14, v14, 10, v41
	v_lshlrev_b32_e32 v27, 8, v24
	v_and_b32_e32 v14, 0xfc00, v14
	v_cndmask_b32_e32 v23, v23, v26, vcc
	v_and_or_b32 v14, v27, s30, v14
	v_lshl_or_b32 v23, v23, 7, v14
.LBB259_631:                            ;   in Loop: Header=BB259_626 Depth=1
	s_or_b64 exec, exec, s[18:19]
.LBB259_632:                            ;   in Loop: Header=BB259_626 Depth=1
	s_or_b64 exec, exec, s[16:17]
.LBB259_633:                            ;   in Loop: Header=BB259_626 Depth=1
	s_or_b64 exec, exec, s[0:1]
	v_lshrrev_b16_e32 v14, 8, v24
	v_cmp_ne_u16_e32 vcc, 0, v14
	s_and_saveexec_b64 s[0:1], vcc
	s_cbranch_execz .LBB259_639
; %bb.634:                              ;   in Loop: Header=BB259_626 Depth=1
	v_cmp_ne_u16_e32 vcc, s28, v14
	v_bfrev_b32_e32 v1, 1
	s_and_saveexec_b64 s[16:17], vcc
	s_cbranch_execz .LBB259_638
; %bb.635:                              ;   in Loop: Header=BB259_626 Depth=1
	v_and_b32_e32 v26, 0x7f, v14
	v_cmp_ne_u32_e32 vcc, s29, v26
	v_mov_b32_e32 v1, 0x7c010000
	s_and_saveexec_b64 s[18:19], vcc
	s_cbranch_execz .LBB259_637
; %bb.636:                              ;   in Loop: Header=BB259_626 Depth=1
	v_and_b32_e32 v1, 7, v14
	v_ffbh_u32_e32 v28, v1
	v_min_u32_e32 v30, 32, v28
	v_subrev_u32_e32 v28, 28, v30
	v_lshlrev_b64 v[28:29], v28, v[14:15]
	v_lshrrev_b32_e32 v27, 3, v26
	v_sub_u32_e32 v29, 29, v30
	v_cmp_gt_u32_e32 vcc, 8, v26
	v_lshlrev_b32_e32 v14, 8, v14
	s_nop 0
	v_cndmask_b32_e32 v26, v27, v29, vcc
	v_lshl_add_u32 v26, v26, 10, v41
	v_and_b32_e32 v27, 7, v28
	v_and_or_b32 v14, v14, s30, v26
	v_cndmask_b32_e32 v1, v1, v27, vcc
	v_lshlrev_b32_e32 v14, 16, v14
	v_lshl_or_b32 v1, v1, 23, v14
.LBB259_637:                            ;   in Loop: Header=BB259_626 Depth=1
	s_or_b64 exec, exec, s[18:19]
.LBB259_638:                            ;   in Loop: Header=BB259_626 Depth=1
	s_or_b64 exec, exec, s[16:17]
.LBB259_639:                            ;   in Loop: Header=BB259_626 Depth=1
	s_or_b64 exec, exec, s[0:1]
	v_lshrrev_b32_e32 v14, 16, v24
	v_cmp_ne_u16_sdwa s[16:17], v14, v15 src0_sel:BYTE_0 src1_sel:DWORD
	v_mov_b32_e32 v27, 0
	v_mov_b32_e32 v26, 0
	s_and_saveexec_b64 s[0:1], s[16:17]
	s_cbranch_execz .LBB259_645
; %bb.640:                              ;   in Loop: Header=BB259_626 Depth=1
	v_cmp_ne_u16_sdwa s[18:19], v14, s28 src0_sel:BYTE_0 src1_sel:DWORD
	v_mov_b32_e32 v26, 0x8000
	s_and_saveexec_b64 s[16:17], s[18:19]
	s_cbranch_execz .LBB259_644
; %bb.641:                              ;   in Loop: Header=BB259_626 Depth=1
	v_bfe_u32 v28, v24, 16, 7
	v_cmp_ne_u32_e32 vcc, s29, v28
	v_mov_b32_e32 v26, 0x7c01
	s_and_saveexec_b64 s[18:19], vcc
	s_cbranch_execz .LBB259_643
; %bb.642:                              ;   in Loop: Header=BB259_626 Depth=1
	v_and_b32_e32 v26, 7, v14
	v_ffbh_u32_e32 v30, v26
	v_min_u32_e32 v42, 32, v30
	v_subrev_u32_e32 v30, 28, v42
	v_lshlrev_b64 v[30:31], v30, v[14:15]
	v_lshrrev_b32_e32 v29, 3, v28
	v_sub_u32_e32 v31, 29, v42
	v_cmp_gt_u32_e32 vcc, 8, v28
	v_lshlrev_b32_e32 v14, 8, v14
	s_nop 0
	v_cndmask_b32_e32 v28, v29, v31, vcc
	v_lshl_add_u32 v28, v28, 10, v41
	v_and_b32_e32 v29, 7, v30
	v_and_b32_e32 v28, 0xfc00, v28
	v_cndmask_b32_e32 v26, v26, v29, vcc
	v_and_or_b32 v14, v14, s30, v28
	v_lshl_or_b32 v26, v26, 7, v14
.LBB259_643:                            ;   in Loop: Header=BB259_626 Depth=1
	s_or_b64 exec, exec, s[18:19]
.LBB259_644:                            ;   in Loop: Header=BB259_626 Depth=1
	s_or_b64 exec, exec, s[16:17]
.LBB259_645:                            ;   in Loop: Header=BB259_626 Depth=1
	s_or_b64 exec, exec, s[0:1]
	v_cmp_lt_u32_e32 vcc, s7, v24
	s_and_saveexec_b64 s[0:1], vcc
	s_cbranch_execz .LBB259_651
; %bb.646:                              ;   in Loop: Header=BB259_626 Depth=1
	v_lshrrev_b32_e32 v14, 24, v24
	v_cmp_ne_u32_e32 vcc, s28, v14
	v_bfrev_b32_e32 v27, 1
	s_and_saveexec_b64 s[16:17], vcc
	s_cbranch_execz .LBB259_650
; %bb.647:                              ;   in Loop: Header=BB259_626 Depth=1
	v_and_b32_e32 v28, 0x7f, v14
	v_cmp_ne_u32_e32 vcc, s29, v28
	v_mov_b32_e32 v27, 0x7c010000
	s_and_saveexec_b64 s[18:19], vcc
	s_cbranch_execz .LBB259_649
; %bb.648:                              ;   in Loop: Header=BB259_626 Depth=1
	v_and_b32_e32 v27, 7, v14
	v_ffbh_u32_e32 v30, v27
	v_min_u32_e32 v42, 32, v30
	v_subrev_u32_e32 v30, 28, v42
	v_lshlrev_b64 v[30:31], v30, v[14:15]
	v_lshrrev_b32_e32 v29, 3, v28
	v_sub_u32_e32 v31, 29, v42
	v_cmp_gt_u32_e32 vcc, 8, v28
	v_lshlrev_b32_e32 v14, 8, v14
	s_nop 0
	v_cndmask_b32_e32 v28, v29, v31, vcc
	v_lshl_add_u32 v28, v28, 10, v41
	v_and_b32_e32 v29, 7, v30
	v_and_or_b32 v14, v14, s30, v28
	v_cndmask_b32_e32 v27, v27, v29, vcc
	v_lshlrev_b32_e32 v14, 16, v14
	v_lshl_or_b32 v27, v27, 23, v14
.LBB259_649:                            ;   in Loop: Header=BB259_626 Depth=1
	s_or_b64 exec, exec, s[18:19]
.LBB259_650:                            ;   in Loop: Header=BB259_626 Depth=1
	s_or_b64 exec, exec, s[16:17]
.LBB259_651:                            ;   in Loop: Header=BB259_626 Depth=1
	s_or_b64 exec, exec, s[0:1]
	v_mov_b32_e32 v14, v25
	v_cmp_ne_u16_sdwa s[16:17], v25, v15 src0_sel:BYTE_0 src1_sel:DWORD
	v_mov_b32_e32 v28, 0
	v_mov_b32_e32 v29, 0
	s_and_saveexec_b64 s[0:1], s[16:17]
	s_cbranch_execz .LBB259_657
; %bb.652:                              ;   in Loop: Header=BB259_626 Depth=1
	v_cmp_ne_u16_sdwa s[18:19], v25, s28 src0_sel:BYTE_0 src1_sel:DWORD
	v_mov_b32_e32 v29, 0x8000
	s_and_saveexec_b64 s[16:17], s[18:19]
	s_cbranch_execz .LBB259_656
; %bb.653:                              ;   in Loop: Header=BB259_626 Depth=1
	v_and_b32_e32 v30, 0x7f, v25
	v_cmp_ne_u32_e32 vcc, s29, v30
	v_mov_b32_e32 v29, 0x7c01
	s_and_saveexec_b64 s[18:19], vcc
	s_cbranch_execz .LBB259_655
; %bb.654:                              ;   in Loop: Header=BB259_626 Depth=1
	v_and_b32_e32 v29, 7, v25
	v_ffbh_u32_e32 v42, v29
	v_min_u32_e32 v44, 32, v42
	v_subrev_u32_e32 v42, 28, v44
	v_lshlrev_b64 v[42:43], v42, v[14:15]
	v_lshrrev_b32_e32 v31, 3, v30
	v_sub_u32_e32 v43, 29, v44
	v_cmp_gt_u32_e32 vcc, 8, v30
	v_and_b32_e32 v42, 7, v42
	s_nop 0
	v_cndmask_b32_e32 v30, v31, v43, vcc
	v_lshl_add_u32 v30, v30, 10, v41
	v_lshlrev_b32_e32 v31, 8, v25
	v_and_b32_e32 v30, 0xfc00, v30
	v_cndmask_b32_e32 v29, v29, v42, vcc
	v_and_or_b32 v30, v31, s30, v30
	v_lshl_or_b32 v29, v29, 7, v30
.LBB259_655:                            ;   in Loop: Header=BB259_626 Depth=1
	s_or_b64 exec, exec, s[18:19]
.LBB259_656:                            ;   in Loop: Header=BB259_626 Depth=1
	s_or_b64 exec, exec, s[16:17]
.LBB259_657:                            ;   in Loop: Header=BB259_626 Depth=1
	s_or_b64 exec, exec, s[0:1]
	v_lshrrev_b16_e32 v14, 8, v14
	v_cmp_ne_u16_e32 vcc, 0, v14
	v_mov_b32_e32 v30, 0
	s_and_saveexec_b64 s[0:1], vcc
	s_cbranch_execz .LBB259_663
; %bb.658:                              ;   in Loop: Header=BB259_626 Depth=1
	v_cmp_ne_u16_e32 vcc, s28, v14
	v_bfrev_b32_e32 v30, 1
	s_and_saveexec_b64 s[16:17], vcc
	s_cbranch_execz .LBB259_662
; %bb.659:                              ;   in Loop: Header=BB259_626 Depth=1
	v_and_b32_e32 v31, 0x7f, v14
	v_cmp_ne_u32_e32 vcc, s29, v31
	v_mov_b32_e32 v30, 0x7c010000
	s_and_saveexec_b64 s[18:19], vcc
	s_cbranch_execz .LBB259_661
; %bb.660:                              ;   in Loop: Header=BB259_626 Depth=1
	v_and_b32_e32 v30, 7, v14
	v_ffbh_u32_e32 v42, v30
	v_min_u32_e32 v45, 32, v42
	v_subrev_u32_e32 v42, 28, v45
	v_lshlrev_b64 v[42:43], v42, v[14:15]
	v_lshrrev_b32_e32 v44, 3, v31
	v_sub_u32_e32 v43, 29, v45
	v_cmp_gt_u32_e32 vcc, 8, v31
	v_lshlrev_b32_e32 v14, 8, v14
	v_and_b32_e32 v42, 7, v42
	v_cndmask_b32_e32 v31, v44, v43, vcc
	v_lshl_add_u32 v31, v31, 10, v41
	v_and_or_b32 v14, v14, s30, v31
	v_cndmask_b32_e32 v30, v30, v42, vcc
	v_lshlrev_b32_e32 v14, 16, v14
	v_lshl_or_b32 v30, v30, 23, v14
.LBB259_661:                            ;   in Loop: Header=BB259_626 Depth=1
	s_or_b64 exec, exec, s[18:19]
.LBB259_662:                            ;   in Loop: Header=BB259_626 Depth=1
	s_or_b64 exec, exec, s[16:17]
.LBB259_663:                            ;   in Loop: Header=BB259_626 Depth=1
	s_or_b64 exec, exec, s[0:1]
	v_lshrrev_b32_e32 v14, 16, v25
	v_cmp_ne_u16_sdwa s[16:17], v14, v15 src0_sel:BYTE_0 src1_sel:DWORD
	s_and_saveexec_b64 s[0:1], s[16:17]
	s_cbranch_execz .LBB259_669
; %bb.664:                              ;   in Loop: Header=BB259_626 Depth=1
	v_cmp_ne_u16_sdwa s[18:19], v14, s28 src0_sel:BYTE_0 src1_sel:DWORD
	v_mov_b32_e32 v28, 0x8000
	s_and_saveexec_b64 s[16:17], s[18:19]
	s_cbranch_execz .LBB259_668
; %bb.665:                              ;   in Loop: Header=BB259_626 Depth=1
	v_bfe_u32 v31, v25, 16, 7
	v_cmp_ne_u32_e32 vcc, s29, v31
	v_mov_b32_e32 v28, 0x7c01
	s_and_saveexec_b64 s[18:19], vcc
	s_cbranch_execz .LBB259_667
; %bb.666:                              ;   in Loop: Header=BB259_626 Depth=1
	v_and_b32_e32 v28, 7, v14
	v_ffbh_u32_e32 v42, v28
	v_min_u32_e32 v45, 32, v42
	v_subrev_u32_e32 v42, 28, v45
	v_lshlrev_b64 v[42:43], v42, v[14:15]
	v_lshrrev_b32_e32 v44, 3, v31
	v_sub_u32_e32 v43, 29, v45
	v_cmp_gt_u32_e32 vcc, 8, v31
	v_lshlrev_b32_e32 v14, 8, v14
	v_and_b32_e32 v42, 7, v42
	v_cndmask_b32_e32 v31, v44, v43, vcc
	v_lshl_add_u32 v31, v31, 10, v41
	v_and_b32_e32 v31, 0xfc00, v31
	v_cndmask_b32_e32 v28, v28, v42, vcc
	v_and_or_b32 v14, v14, s30, v31
	v_lshl_or_b32 v28, v28, 7, v14
.LBB259_667:                            ;   in Loop: Header=BB259_626 Depth=1
	s_or_b64 exec, exec, s[18:19]
.LBB259_668:                            ;   in Loop: Header=BB259_626 Depth=1
	s_or_b64 exec, exec, s[16:17]
.LBB259_669:                            ;   in Loop: Header=BB259_626 Depth=1
	s_or_b64 exec, exec, s[0:1]
	v_cmp_lt_u64_e32 vcc, s[6:7], v[24:25]
	v_mov_b32_e32 v31, 0
	s_and_saveexec_b64 s[0:1], vcc
	s_cbranch_execz .LBB259_675
; %bb.670:                              ;   in Loop: Header=BB259_626 Depth=1
	v_lshrrev_b32_e32 v14, 24, v25
	v_cmp_ne_u32_e32 vcc, s28, v14
	v_bfrev_b32_e32 v31, 1
	s_and_saveexec_b64 s[16:17], vcc
	s_cbranch_execz .LBB259_674
; %bb.671:                              ;   in Loop: Header=BB259_626 Depth=1
	v_and_b32_e32 v24, 0x7f, v14
	v_cmp_ne_u32_e32 vcc, s29, v24
	v_mov_b32_e32 v31, 0x7c010000
	s_and_saveexec_b64 s[18:19], vcc
	s_cbranch_execz .LBB259_673
; %bb.672:                              ;   in Loop: Header=BB259_626 Depth=1
	v_and_b32_e32 v25, 7, v14
	v_ffbh_u32_e32 v42, v25
	v_min_u32_e32 v44, 32, v42
	v_subrev_u32_e32 v42, 28, v44
	v_lshlrev_b64 v[42:43], v42, v[14:15]
	v_lshrrev_b32_e32 v31, 3, v24
	v_sub_u32_e32 v43, 29, v44
	v_cmp_gt_u32_e32 vcc, 8, v24
	v_lshlrev_b32_e32 v14, 8, v14
	s_nop 0
	v_cndmask_b32_e32 v24, v31, v43, vcc
	v_lshl_add_u32 v24, v24, 10, v41
	v_and_b32_e32 v31, 7, v42
	v_and_or_b32 v14, v14, s30, v24
	v_cndmask_b32_e32 v25, v25, v31, vcc
	v_lshlrev_b32_e32 v14, 16, v14
	v_lshl_or_b32 v31, v25, 23, v14
.LBB259_673:                            ;   in Loop: Header=BB259_626 Depth=1
	s_or_b64 exec, exec, s[18:19]
.LBB259_674:                            ;   in Loop: Header=BB259_626 Depth=1
	s_or_b64 exec, exec, s[16:17]
.LBB259_675:                            ;   in Loop: Header=BB259_626 Depth=1
	s_or_b64 exec, exec, s[0:1]
	v_cvt_f32_f16_sdwa v25, v1 dst_sel:DWORD dst_unused:UNUSED_PAD src0_sel:WORD_1
	v_cvt_f32_f16_sdwa v24, v27 dst_sel:DWORD dst_unused:UNUSED_PAD src0_sel:WORD_1
	v_or_b32_e32 v1, v1, v23
	v_or_b32_e32 v14, v27, v26
	v_cvt_f32_f16_e32 v26, v14
	v_cvt_f32_f16_e32 v27, v1
	s_waitcnt vmcnt(0)
	v_pk_mul_f32 v[24:25], v[22:23], v[24:25] op_sel_hi:[0,1]
	v_cvt_pk_f16_f32 v1, v24, v25
	v_and_b32_e32 v23, 0xffff0000, v1
	v_pk_mul_f32 v[26:27], v[22:23], v[26:27] op_sel_hi:[0,1]
	v_lshlrev_b32_e32 v24, 16, v1
	v_cvt_pk_f16_f32 v1, v26, v27
	v_or_b32_e32 v14, v30, v29
	v_or_b32_e32 v27, v31, v28
	v_cvt_f32_f16_e32 v28, v27
	v_cvt_f32_f16_e32 v29, v14
	v_cvt_f32_f16_sdwa v45, v30 dst_sel:DWORD dst_unused:UNUSED_PAD src0_sel:WORD_1
	v_cvt_f32_f16_sdwa v44, v31 dst_sel:DWORD dst_unused:UNUSED_PAD src0_sel:WORD_1
	v_add_u32_e32 v42, v38, v33
	v_pk_mul_f32 v[28:29], v[22:23], v[28:29] op_sel_hi:[0,1]
	v_cvt_pk_f16_f32 v30, v28, v29
	v_pk_mul_f32 v[28:29], v[22:23], v[44:45] op_sel_hi:[0,1]
	v_cvt_pk_f16_f32 v22, v28, v29
	v_lshrrev_b32_e32 v25, 16, v1
	v_and_b32_e32 v26, 0xffff, v1
	v_and_b32_e32 v27, 0xffff0000, v22
	v_lshlrev_b32_e32 v22, 16, v22
	v_lshrrev_b32_e32 v31, 16, v30
	v_and_b32_e32 v30, 0xffff, v30
	v_cmp_eq_u32_e64 s[0:1], s35, v32
	v_or_b32_e32 v1, v23, v25
	v_or_b32_e32 v14, v24, v26
	;; [unrolled: 1-line block ×4, first 2 shown]
	v_add_u32_e32 v53, 2, v42
	v_or_b32_e32 v52, 1, v42
	v_or_b32_e32 v51, 3, v42
	;; [unrolled: 1-line block ×6, first 2 shown]
	s_and_saveexec_b64 s[16:17], s[0:1]
	s_cbranch_execz .LBB259_677
; %bb.676:                              ;   in Loop: Header=BB259_626 Depth=1
	v_cmp_gt_i32_e32 vcc, s38, v42
	s_nop 1
	v_cndmask_b32_e32 v1, 0, v25, vcc
	v_cmp_gt_i32_e32 vcc, s33, v53
	s_nop 1
	v_cndmask_b32_e32 v14, 0, v26, vcc
	;; [unrolled: 3-line block ×3, first 2 shown]
	v_cmp_gt_i32_e32 vcc, s33, v51
	v_or_b32_e32 v1, v23, v1
	s_nop 0
	v_cndmask_b32_e32 v24, 0, v24, vcc
	v_cmp_gt_i32_e32 vcc, s38, v46
	v_or_b32_e32 v14, v24, v14
	s_nop 0
	v_cndmask_b32_e32 v23, 0, v31, vcc
	v_cmp_gt_i32_e32 vcc, s33, v45
	s_nop 1
	v_cndmask_b32_e32 v24, 0, v30, vcc
	v_cmp_gt_i32_e32 vcc, s38, v44
	;; [unrolled: 3-line block ×3, first 2 shown]
	v_or_b32_e32 v29, v25, v23
	s_nop 0
	v_cndmask_b32_e32 v22, 0, v22, vcc
	v_or_b32_e32 v28, v22, v24
.LBB259_677:                            ;   in Loop: Header=BB259_626 Depth=1
	s_or_b64 exec, exec, s[16:17]
	v_and_b32_e32 v22, 0xffff, v47
	v_lshl_or_b32 v50, v48, 16, v22
	v_and_b32_e32 v22, 0xffff, v49
	v_lshl_or_b32 v49, v54, 16, v22
	;; [unrolled: 2-line block ×3, first 2 shown]
	v_and_b32_e32 v22, 0xffff, v57
	;;#ASMSTART
	v_pk_mul_f16 v1, v50, v1;

	;;#ASMEND
	v_lshl_or_b32 v47, v58, 16, v22
	;;#ASMSTART
	v_pk_mul_f16 v14, v49, v14;

	;;#ASMEND
	;;#ASMSTART
	v_pk_mul_f16 v22, v48, v29;

	;;#ASMEND
	;;#ASMSTART
	v_pk_mul_f16 v23, v47, v28;

	;;#ASMEND
	s_nop 0
	;;#ASMSTART
	v_pk_add_f16 v1, v1, v14;

	;;#ASMEND
	s_nop 0
	;;#ASMSTART
	v_pk_add_f16 v1, v1, v22;

	;;#ASMEND
	;; [unrolled: 5-line block ×3, first 2 shown]
	v_mov_b32_e32 v23, 0
	v_lshrrev_b32_e32 v14, 16, v1
	v_and_b32_e32 v1, 0xffff, v1
	;;#ASMSTART
	v_cvt_f32_f16 v54, v1;
	;;#ASMEND
	;;#ASMSTART
	v_cvt_f32_f16 v55, v14;
	;;#ASMEND
	global_load_dwordx2 v[24:25], v[20:21], off offset:512
	v_mov_b32_e32 v1, 0
	global_load_dword v22, v1, s[14:15]
	s_waitcnt vmcnt(1)
	v_cmp_ne_u16_sdwa s[18:19], v24, v15 src0_sel:BYTE_0 src1_sel:DWORD
	s_and_saveexec_b64 s[16:17], s[18:19]
	s_cbranch_execz .LBB259_683
; %bb.678:                              ;   in Loop: Header=BB259_626 Depth=1
	v_cmp_ne_u16_sdwa s[20:21], v24, s28 src0_sel:BYTE_0 src1_sel:DWORD
	v_mov_b32_e32 v23, 0x8000
	s_and_saveexec_b64 s[18:19], s[20:21]
	s_cbranch_execz .LBB259_682
; %bb.679:                              ;   in Loop: Header=BB259_626 Depth=1
	v_and_b32_e32 v14, 0x7f, v24
	v_cmp_ne_u32_e32 vcc, s29, v14
	v_mov_b32_e32 v23, 0x7c01
	s_and_saveexec_b64 s[20:21], vcc
	s_cbranch_execz .LBB259_681
; %bb.680:                              ;   in Loop: Header=BB259_626 Depth=1
	v_and_b32_e32 v23, 7, v24
	v_ffbh_u32_e32 v26, v23
	v_min_u32_e32 v29, 32, v26
	v_subrev_u32_e32 v26, 28, v29
	v_lshlrev_b64 v[26:27], v26, v[24:25]
	v_lshrrev_b32_e32 v28, 3, v14
	v_sub_u32_e32 v27, 29, v29
	v_cmp_gt_u32_e32 vcc, 8, v14
	v_and_b32_e32 v26, 7, v26
	s_nop 0
	v_cndmask_b32_e32 v14, v28, v27, vcc
	v_lshl_add_u32 v14, v14, 10, v41
	v_lshlrev_b32_e32 v27, 8, v24
	v_and_b32_e32 v14, 0xfc00, v14
	v_cndmask_b32_e32 v23, v23, v26, vcc
	v_and_or_b32 v14, v27, s30, v14
	v_lshl_or_b32 v23, v23, 7, v14
.LBB259_681:                            ;   in Loop: Header=BB259_626 Depth=1
	s_or_b64 exec, exec, s[20:21]
.LBB259_682:                            ;   in Loop: Header=BB259_626 Depth=1
	s_or_b64 exec, exec, s[18:19]
.LBB259_683:                            ;   in Loop: Header=BB259_626 Depth=1
	s_or_b64 exec, exec, s[16:17]
	v_lshrrev_b16_e32 v14, 8, v24
	v_cmp_ne_u16_e32 vcc, 0, v14
	s_and_saveexec_b64 s[16:17], vcc
	s_cbranch_execz .LBB259_689
; %bb.684:                              ;   in Loop: Header=BB259_626 Depth=1
	v_cmp_ne_u16_e32 vcc, s28, v14
	v_bfrev_b32_e32 v1, 1
	s_and_saveexec_b64 s[18:19], vcc
	s_cbranch_execz .LBB259_688
; %bb.685:                              ;   in Loop: Header=BB259_626 Depth=1
	v_and_b32_e32 v26, 0x7f, v14
	v_cmp_ne_u32_e32 vcc, s29, v26
	v_mov_b32_e32 v1, 0x7c010000
	s_and_saveexec_b64 s[20:21], vcc
	s_cbranch_execz .LBB259_687
; %bb.686:                              ;   in Loop: Header=BB259_626 Depth=1
	v_and_b32_e32 v1, 7, v14
	v_ffbh_u32_e32 v28, v1
	v_min_u32_e32 v30, 32, v28
	v_subrev_u32_e32 v28, 28, v30
	v_lshlrev_b64 v[28:29], v28, v[14:15]
	v_lshrrev_b32_e32 v27, 3, v26
	v_sub_u32_e32 v29, 29, v30
	v_cmp_gt_u32_e32 vcc, 8, v26
	v_lshlrev_b32_e32 v14, 8, v14
	s_nop 0
	v_cndmask_b32_e32 v26, v27, v29, vcc
	v_lshl_add_u32 v26, v26, 10, v41
	v_and_b32_e32 v27, 7, v28
	v_and_or_b32 v14, v14, s30, v26
	v_cndmask_b32_e32 v1, v1, v27, vcc
	v_lshlrev_b32_e32 v14, 16, v14
	v_lshl_or_b32 v1, v1, 23, v14
.LBB259_687:                            ;   in Loop: Header=BB259_626 Depth=1
	s_or_b64 exec, exec, s[20:21]
.LBB259_688:                            ;   in Loop: Header=BB259_626 Depth=1
	s_or_b64 exec, exec, s[18:19]
.LBB259_689:                            ;   in Loop: Header=BB259_626 Depth=1
	s_or_b64 exec, exec, s[16:17]
	v_lshrrev_b32_e32 v14, 16, v24
	v_cmp_ne_u16_sdwa s[18:19], v14, v15 src0_sel:BYTE_0 src1_sel:DWORD
	v_mov_b32_e32 v27, 0
	v_mov_b32_e32 v26, 0
	s_and_saveexec_b64 s[16:17], s[18:19]
	s_cbranch_execz .LBB259_695
; %bb.690:                              ;   in Loop: Header=BB259_626 Depth=1
	v_cmp_ne_u16_sdwa s[20:21], v14, s28 src0_sel:BYTE_0 src1_sel:DWORD
	v_mov_b32_e32 v26, 0x8000
	s_and_saveexec_b64 s[18:19], s[20:21]
	s_cbranch_execz .LBB259_694
; %bb.691:                              ;   in Loop: Header=BB259_626 Depth=1
	v_bfe_u32 v28, v24, 16, 7
	v_cmp_ne_u32_e32 vcc, s29, v28
	v_mov_b32_e32 v26, 0x7c01
	s_and_saveexec_b64 s[20:21], vcc
	s_cbranch_execz .LBB259_693
; %bb.692:                              ;   in Loop: Header=BB259_626 Depth=1
	v_and_b32_e32 v26, 7, v14
	v_ffbh_u32_e32 v30, v26
	v_min_u32_e32 v56, 32, v30
	v_subrev_u32_e32 v30, 28, v56
	v_lshlrev_b64 v[30:31], v30, v[14:15]
	v_lshrrev_b32_e32 v29, 3, v28
	v_sub_u32_e32 v31, 29, v56
	v_cmp_gt_u32_e32 vcc, 8, v28
	v_lshlrev_b32_e32 v14, 8, v14
	s_nop 0
	v_cndmask_b32_e32 v28, v29, v31, vcc
	v_lshl_add_u32 v28, v28, 10, v41
	v_and_b32_e32 v29, 7, v30
	v_and_b32_e32 v28, 0xfc00, v28
	v_cndmask_b32_e32 v26, v26, v29, vcc
	v_and_or_b32 v14, v14, s30, v28
	v_lshl_or_b32 v26, v26, 7, v14
.LBB259_693:                            ;   in Loop: Header=BB259_626 Depth=1
	s_or_b64 exec, exec, s[20:21]
.LBB259_694:                            ;   in Loop: Header=BB259_626 Depth=1
	s_or_b64 exec, exec, s[18:19]
.LBB259_695:                            ;   in Loop: Header=BB259_626 Depth=1
	s_or_b64 exec, exec, s[16:17]
	v_cmp_lt_u32_e32 vcc, s7, v24
	s_and_saveexec_b64 s[16:17], vcc
	s_cbranch_execz .LBB259_701
; %bb.696:                              ;   in Loop: Header=BB259_626 Depth=1
	v_lshrrev_b32_e32 v14, 24, v24
	v_cmp_ne_u32_e32 vcc, s28, v14
	v_bfrev_b32_e32 v27, 1
	s_and_saveexec_b64 s[18:19], vcc
	s_cbranch_execz .LBB259_700
; %bb.697:                              ;   in Loop: Header=BB259_626 Depth=1
	v_and_b32_e32 v28, 0x7f, v14
	v_cmp_ne_u32_e32 vcc, s29, v28
	v_mov_b32_e32 v27, 0x7c010000
	s_and_saveexec_b64 s[20:21], vcc
	s_cbranch_execz .LBB259_699
; %bb.698:                              ;   in Loop: Header=BB259_626 Depth=1
	v_and_b32_e32 v27, 7, v14
	v_ffbh_u32_e32 v30, v27
	v_min_u32_e32 v56, 32, v30
	v_subrev_u32_e32 v30, 28, v56
	v_lshlrev_b64 v[30:31], v30, v[14:15]
	v_lshrrev_b32_e32 v29, 3, v28
	v_sub_u32_e32 v31, 29, v56
	v_cmp_gt_u32_e32 vcc, 8, v28
	v_lshlrev_b32_e32 v14, 8, v14
	s_nop 0
	v_cndmask_b32_e32 v28, v29, v31, vcc
	v_lshl_add_u32 v28, v28, 10, v41
	v_and_b32_e32 v29, 7, v30
	v_and_or_b32 v14, v14, s30, v28
	v_cndmask_b32_e32 v27, v27, v29, vcc
	v_lshlrev_b32_e32 v14, 16, v14
	v_lshl_or_b32 v27, v27, 23, v14
.LBB259_699:                            ;   in Loop: Header=BB259_626 Depth=1
	s_or_b64 exec, exec, s[20:21]
.LBB259_700:                            ;   in Loop: Header=BB259_626 Depth=1
	s_or_b64 exec, exec, s[18:19]
.LBB259_701:                            ;   in Loop: Header=BB259_626 Depth=1
	s_or_b64 exec, exec, s[16:17]
	v_mov_b32_e32 v14, v25
	v_cmp_ne_u16_sdwa s[18:19], v25, v15 src0_sel:BYTE_0 src1_sel:DWORD
	v_mov_b32_e32 v28, 0
	v_mov_b32_e32 v29, 0
	s_and_saveexec_b64 s[16:17], s[18:19]
	s_cbranch_execz .LBB259_707
; %bb.702:                              ;   in Loop: Header=BB259_626 Depth=1
	v_cmp_ne_u16_sdwa s[20:21], v25, s28 src0_sel:BYTE_0 src1_sel:DWORD
	v_mov_b32_e32 v29, 0x8000
	s_and_saveexec_b64 s[18:19], s[20:21]
	s_cbranch_execz .LBB259_706
; %bb.703:                              ;   in Loop: Header=BB259_626 Depth=1
	v_and_b32_e32 v30, 0x7f, v25
	v_cmp_ne_u32_e32 vcc, s29, v30
	v_mov_b32_e32 v29, 0x7c01
	s_and_saveexec_b64 s[20:21], vcc
	s_cbranch_execz .LBB259_705
; %bb.704:                              ;   in Loop: Header=BB259_626 Depth=1
	v_and_b32_e32 v29, 7, v25
	v_ffbh_u32_e32 v56, v29
	v_min_u32_e32 v58, 32, v56
	v_subrev_u32_e32 v56, 28, v58
	v_lshlrev_b64 v[56:57], v56, v[14:15]
	v_lshrrev_b32_e32 v31, 3, v30
	v_sub_u32_e32 v57, 29, v58
	v_cmp_gt_u32_e32 vcc, 8, v30
	v_and_b32_e32 v56, 7, v56
	s_nop 0
	v_cndmask_b32_e32 v30, v31, v57, vcc
	v_lshl_add_u32 v30, v30, 10, v41
	v_lshlrev_b32_e32 v31, 8, v25
	v_and_b32_e32 v30, 0xfc00, v30
	v_cndmask_b32_e32 v29, v29, v56, vcc
	v_and_or_b32 v30, v31, s30, v30
	v_lshl_or_b32 v29, v29, 7, v30
.LBB259_705:                            ;   in Loop: Header=BB259_626 Depth=1
	s_or_b64 exec, exec, s[20:21]
.LBB259_706:                            ;   in Loop: Header=BB259_626 Depth=1
	s_or_b64 exec, exec, s[18:19]
.LBB259_707:                            ;   in Loop: Header=BB259_626 Depth=1
	s_or_b64 exec, exec, s[16:17]
	v_lshrrev_b16_e32 v14, 8, v14
	v_cmp_ne_u16_e32 vcc, 0, v14
	v_mov_b32_e32 v30, 0
	s_and_saveexec_b64 s[16:17], vcc
	s_cbranch_execz .LBB259_713
; %bb.708:                              ;   in Loop: Header=BB259_626 Depth=1
	v_cmp_ne_u16_e32 vcc, s28, v14
	v_bfrev_b32_e32 v30, 1
	s_and_saveexec_b64 s[18:19], vcc
	s_cbranch_execz .LBB259_712
; %bb.709:                              ;   in Loop: Header=BB259_626 Depth=1
	v_and_b32_e32 v31, 0x7f, v14
	v_cmp_ne_u32_e32 vcc, s29, v31
	v_mov_b32_e32 v30, 0x7c010000
	s_and_saveexec_b64 s[20:21], vcc
	s_cbranch_execz .LBB259_711
; %bb.710:                              ;   in Loop: Header=BB259_626 Depth=1
	v_and_b32_e32 v30, 7, v14
	v_ffbh_u32_e32 v56, v30
	v_min_u32_e32 v59, 32, v56
	v_subrev_u32_e32 v56, 28, v59
	v_lshlrev_b64 v[56:57], v56, v[14:15]
	v_lshrrev_b32_e32 v58, 3, v31
	v_sub_u32_e32 v57, 29, v59
	v_cmp_gt_u32_e32 vcc, 8, v31
	v_lshlrev_b32_e32 v14, 8, v14
	v_and_b32_e32 v56, 7, v56
	v_cndmask_b32_e32 v31, v58, v57, vcc
	v_lshl_add_u32 v31, v31, 10, v41
	v_and_or_b32 v14, v14, s30, v31
	v_cndmask_b32_e32 v30, v30, v56, vcc
	v_lshlrev_b32_e32 v14, 16, v14
	v_lshl_or_b32 v30, v30, 23, v14
.LBB259_711:                            ;   in Loop: Header=BB259_626 Depth=1
	s_or_b64 exec, exec, s[20:21]
.LBB259_712:                            ;   in Loop: Header=BB259_626 Depth=1
	s_or_b64 exec, exec, s[18:19]
.LBB259_713:                            ;   in Loop: Header=BB259_626 Depth=1
	s_or_b64 exec, exec, s[16:17]
	v_lshrrev_b32_e32 v14, 16, v25
	v_cmp_ne_u16_sdwa s[18:19], v14, v15 src0_sel:BYTE_0 src1_sel:DWORD
	s_and_saveexec_b64 s[16:17], s[18:19]
	s_cbranch_execz .LBB259_719
; %bb.714:                              ;   in Loop: Header=BB259_626 Depth=1
	v_cmp_ne_u16_sdwa s[20:21], v14, s28 src0_sel:BYTE_0 src1_sel:DWORD
	v_mov_b32_e32 v28, 0x8000
	s_and_saveexec_b64 s[18:19], s[20:21]
	s_cbranch_execz .LBB259_718
; %bb.715:                              ;   in Loop: Header=BB259_626 Depth=1
	v_bfe_u32 v31, v25, 16, 7
	v_cmp_ne_u32_e32 vcc, s29, v31
	v_mov_b32_e32 v28, 0x7c01
	s_and_saveexec_b64 s[20:21], vcc
	s_cbranch_execz .LBB259_717
; %bb.716:                              ;   in Loop: Header=BB259_626 Depth=1
	v_and_b32_e32 v28, 7, v14
	v_ffbh_u32_e32 v56, v28
	v_min_u32_e32 v59, 32, v56
	v_subrev_u32_e32 v56, 28, v59
	v_lshlrev_b64 v[56:57], v56, v[14:15]
	v_lshrrev_b32_e32 v58, 3, v31
	v_sub_u32_e32 v57, 29, v59
	v_cmp_gt_u32_e32 vcc, 8, v31
	v_lshlrev_b32_e32 v14, 8, v14
	v_and_b32_e32 v56, 7, v56
	v_cndmask_b32_e32 v31, v58, v57, vcc
	v_lshl_add_u32 v31, v31, 10, v41
	v_and_b32_e32 v31, 0xfc00, v31
	v_cndmask_b32_e32 v28, v28, v56, vcc
	v_and_or_b32 v14, v14, s30, v31
	v_lshl_or_b32 v28, v28, 7, v14
.LBB259_717:                            ;   in Loop: Header=BB259_626 Depth=1
	s_or_b64 exec, exec, s[20:21]
.LBB259_718:                            ;   in Loop: Header=BB259_626 Depth=1
	s_or_b64 exec, exec, s[18:19]
.LBB259_719:                            ;   in Loop: Header=BB259_626 Depth=1
	s_or_b64 exec, exec, s[16:17]
	v_cmp_lt_u64_e32 vcc, s[6:7], v[24:25]
	v_mov_b32_e32 v24, 0
	s_and_saveexec_b64 s[16:17], vcc
	s_cbranch_execz .LBB259_725
; %bb.720:                              ;   in Loop: Header=BB259_626 Depth=1
	v_lshrrev_b32_e32 v14, 24, v25
	v_cmp_ne_u32_e32 vcc, s28, v14
	v_bfrev_b32_e32 v24, 1
	s_and_saveexec_b64 s[18:19], vcc
	s_cbranch_execz .LBB259_724
; %bb.721:                              ;   in Loop: Header=BB259_626 Depth=1
	v_and_b32_e32 v25, 0x7f, v14
	v_cmp_ne_u32_e32 vcc, s29, v25
	v_mov_b32_e32 v24, 0x7c010000
	s_and_saveexec_b64 s[20:21], vcc
	s_cbranch_execz .LBB259_723
; %bb.722:                              ;   in Loop: Header=BB259_626 Depth=1
	v_and_b32_e32 v24, 7, v14
	v_ffbh_u32_e32 v56, v24
	v_min_u32_e32 v58, 32, v56
	v_subrev_u32_e32 v56, 28, v58
	v_lshlrev_b64 v[56:57], v56, v[14:15]
	v_lshrrev_b32_e32 v31, 3, v25
	v_sub_u32_e32 v57, 29, v58
	v_cmp_gt_u32_e32 vcc, 8, v25
	v_lshlrev_b32_e32 v14, 8, v14
	s_nop 0
	v_cndmask_b32_e32 v25, v31, v57, vcc
	v_lshl_add_u32 v25, v25, 10, v41
	v_and_b32_e32 v31, 7, v56
	v_and_or_b32 v14, v14, s30, v25
	v_cndmask_b32_e32 v24, v24, v31, vcc
	v_lshlrev_b32_e32 v14, 16, v14
	v_lshl_or_b32 v24, v24, 23, v14
.LBB259_723:                            ;   in Loop: Header=BB259_626 Depth=1
	s_or_b64 exec, exec, s[20:21]
.LBB259_724:                            ;   in Loop: Header=BB259_626 Depth=1
	s_or_b64 exec, exec, s[18:19]
.LBB259_725:                            ;   in Loop: Header=BB259_626 Depth=1
	s_or_b64 exec, exec, s[16:17]
	v_cvt_f32_f16_sdwa v57, v1 dst_sel:DWORD dst_unused:UNUSED_PAD src0_sel:WORD_1
	v_cvt_f32_f16_sdwa v56, v27 dst_sel:DWORD dst_unused:UNUSED_PAD src0_sel:WORD_1
	v_or_b32_e32 v1, v1, v23
	v_or_b32_e32 v14, v27, v26
	;; [unrolled: 1-line block ×3, first 2 shown]
	s_waitcnt vmcnt(0)
	v_pk_mul_f32 v[26:27], v[22:23], v[56:57] op_sel_hi:[0,1]
	v_cvt_f32_f16_e32 v56, v14
	v_cvt_f32_f16_e32 v57, v1
	v_cvt_pk_f16_f32 v1, v26, v27
	v_and_b32_e32 v23, 0xffff0000, v1
	v_lshlrev_b32_e32 v14, 16, v1
	v_pk_mul_f32 v[26:27], v[22:23], v[56:57] op_sel_hi:[0,1]
	v_cvt_pk_f16_f32 v1, v26, v27
	v_or_b32_e32 v27, v30, v29
	v_cvt_f32_f16_e32 v28, v28
	v_cvt_f32_f16_e32 v29, v27
	v_cvt_f32_f16_sdwa v31, v30 dst_sel:DWORD dst_unused:UNUSED_PAD src0_sel:WORD_1
	v_cvt_f32_f16_sdwa v30, v24 dst_sel:DWORD dst_unused:UNUSED_PAD src0_sel:WORD_1
	v_lshrrev_b32_e32 v25, 16, v1
	v_pk_mul_f32 v[28:29], v[22:23], v[28:29] op_sel_hi:[0,1]
	v_cvt_pk_f16_f32 v56, v28, v29
	v_pk_mul_f32 v[28:29], v[22:23], v[30:31] op_sel_hi:[0,1]
	v_cvt_pk_f16_f32 v22, v28, v29
	v_and_b32_e32 v26, 0xffff, v1
	v_and_b32_e32 v27, 0xffff0000, v22
	v_lshlrev_b32_e32 v22, 16, v22
	v_lshrrev_b32_e32 v29, 16, v56
	v_and_b32_e32 v28, 0xffff, v56
	v_or_b32_e32 v1, v23, v25
	v_or_b32_e32 v24, v14, v26
	;; [unrolled: 1-line block ×4, first 2 shown]
	s_and_saveexec_b64 s[16:17], s[0:1]
	s_cbranch_execz .LBB259_727
; %bb.726:                              ;   in Loop: Header=BB259_626 Depth=1
	v_cmp_gt_i32_e32 vcc, s38, v42
	s_nop 1
	v_cndmask_b32_e32 v1, 0, v25, vcc
	v_cmp_gt_i32_e32 vcc, s33, v53
	s_nop 1
	v_cndmask_b32_e32 v24, 0, v26, vcc
	;; [unrolled: 3-line block ×3, first 2 shown]
	v_cmp_gt_i32_e32 vcc, s33, v51
	v_or_b32_e32 v1, v23, v1
	s_nop 0
	v_cndmask_b32_e32 v14, 0, v14, vcc
	v_cmp_gt_i32_e32 vcc, s38, v46
	v_or_b32_e32 v24, v14, v24
	s_nop 0
	v_cndmask_b32_e32 v14, 0, v29, vcc
	v_cmp_gt_i32_e32 vcc, s33, v45
	s_nop 1
	v_cndmask_b32_e32 v23, 0, v28, vcc
	v_cmp_gt_i32_e32 vcc, s38, v44
	;; [unrolled: 3-line block ×3, first 2 shown]
	v_or_b32_e32 v31, v25, v14
	s_nop 0
	v_cndmask_b32_e32 v22, 0, v22, vcc
	v_or_b32_e32 v30, v22, v23
.LBB259_727:                            ;   in Loop: Header=BB259_626 Depth=1
	s_or_b64 exec, exec, s[16:17]
	;;#ASMSTART
	v_pk_mul_f16 v1, v50, v1;

	;;#ASMEND
	;;#ASMSTART
	v_pk_mul_f16 v14, v49, v24;

	;;#ASMEND
	;; [unrolled: 4-line block ×4, first 2 shown]
	s_nop 0
	;;#ASMSTART
	v_pk_add_f16 v1, v1, v14;

	;;#ASMEND
	s_nop 0
	;;#ASMSTART
	v_pk_add_f16 v1, v1, v22;

	;;#ASMEND
	;; [unrolled: 5-line block ×3, first 2 shown]
	v_mov_b32_e32 v23, 0
	v_lshrrev_b32_e32 v14, 16, v1
	v_and_b32_e32 v1, 0xffff, v1
	;;#ASMSTART
	v_cvt_f32_f16 v56, v1;
	;;#ASMEND
	;;#ASMSTART
	v_cvt_f32_f16 v57, v14;
	;;#ASMEND
	global_load_dwordx2 v[24:25], v[20:21], off offset:1024
	v_mov_b32_e32 v1, 0
	global_load_dword v22, v1, s[14:15]
	s_waitcnt vmcnt(1)
	v_cmp_ne_u16_sdwa s[18:19], v24, v15 src0_sel:BYTE_0 src1_sel:DWORD
	s_and_saveexec_b64 s[16:17], s[18:19]
	s_cbranch_execz .LBB259_733
; %bb.728:                              ;   in Loop: Header=BB259_626 Depth=1
	v_cmp_ne_u16_sdwa s[20:21], v24, s28 src0_sel:BYTE_0 src1_sel:DWORD
	v_mov_b32_e32 v23, 0x8000
	s_and_saveexec_b64 s[18:19], s[20:21]
	s_cbranch_execz .LBB259_732
; %bb.729:                              ;   in Loop: Header=BB259_626 Depth=1
	v_and_b32_e32 v14, 0x7f, v24
	v_cmp_ne_u32_e32 vcc, s29, v14
	v_mov_b32_e32 v23, 0x7c01
	s_and_saveexec_b64 s[20:21], vcc
	s_cbranch_execz .LBB259_731
; %bb.730:                              ;   in Loop: Header=BB259_626 Depth=1
	v_and_b32_e32 v23, 7, v24
	v_ffbh_u32_e32 v26, v23
	v_min_u32_e32 v29, 32, v26
	v_subrev_u32_e32 v26, 28, v29
	v_lshlrev_b64 v[26:27], v26, v[24:25]
	v_lshrrev_b32_e32 v28, 3, v14
	v_sub_u32_e32 v27, 29, v29
	v_cmp_gt_u32_e32 vcc, 8, v14
	v_and_b32_e32 v26, 7, v26
	s_nop 0
	v_cndmask_b32_e32 v14, v28, v27, vcc
	v_lshl_add_u32 v14, v14, 10, v41
	v_lshlrev_b32_e32 v27, 8, v24
	v_and_b32_e32 v14, 0xfc00, v14
	v_cndmask_b32_e32 v23, v23, v26, vcc
	v_and_or_b32 v14, v27, s30, v14
	v_lshl_or_b32 v23, v23, 7, v14
.LBB259_731:                            ;   in Loop: Header=BB259_626 Depth=1
	s_or_b64 exec, exec, s[20:21]
.LBB259_732:                            ;   in Loop: Header=BB259_626 Depth=1
	s_or_b64 exec, exec, s[18:19]
.LBB259_733:                            ;   in Loop: Header=BB259_626 Depth=1
	s_or_b64 exec, exec, s[16:17]
	v_lshrrev_b16_e32 v14, 8, v24
	v_cmp_ne_u16_e32 vcc, 0, v14
	s_and_saveexec_b64 s[16:17], vcc
	s_cbranch_execz .LBB259_739
; %bb.734:                              ;   in Loop: Header=BB259_626 Depth=1
	v_cmp_ne_u16_e32 vcc, s28, v14
	v_bfrev_b32_e32 v1, 1
	s_and_saveexec_b64 s[18:19], vcc
	s_cbranch_execz .LBB259_738
; %bb.735:                              ;   in Loop: Header=BB259_626 Depth=1
	v_and_b32_e32 v26, 0x7f, v14
	v_cmp_ne_u32_e32 vcc, s29, v26
	v_mov_b32_e32 v1, 0x7c010000
	s_and_saveexec_b64 s[20:21], vcc
	s_cbranch_execz .LBB259_737
; %bb.736:                              ;   in Loop: Header=BB259_626 Depth=1
	v_and_b32_e32 v1, 7, v14
	v_ffbh_u32_e32 v28, v1
	v_min_u32_e32 v30, 32, v28
	v_subrev_u32_e32 v28, 28, v30
	v_lshlrev_b64 v[28:29], v28, v[14:15]
	v_lshrrev_b32_e32 v27, 3, v26
	v_sub_u32_e32 v29, 29, v30
	v_cmp_gt_u32_e32 vcc, 8, v26
	v_lshlrev_b32_e32 v14, 8, v14
	s_nop 0
	v_cndmask_b32_e32 v26, v27, v29, vcc
	v_lshl_add_u32 v26, v26, 10, v41
	v_and_b32_e32 v27, 7, v28
	v_and_or_b32 v14, v14, s30, v26
	v_cndmask_b32_e32 v1, v1, v27, vcc
	v_lshlrev_b32_e32 v14, 16, v14
	v_lshl_or_b32 v1, v1, 23, v14
.LBB259_737:                            ;   in Loop: Header=BB259_626 Depth=1
	s_or_b64 exec, exec, s[20:21]
.LBB259_738:                            ;   in Loop: Header=BB259_626 Depth=1
	s_or_b64 exec, exec, s[18:19]
.LBB259_739:                            ;   in Loop: Header=BB259_626 Depth=1
	s_or_b64 exec, exec, s[16:17]
	v_lshrrev_b32_e32 v14, 16, v24
	v_cmp_ne_u16_sdwa s[18:19], v14, v15 src0_sel:BYTE_0 src1_sel:DWORD
	v_mov_b32_e32 v27, 0
	v_mov_b32_e32 v26, 0
	s_and_saveexec_b64 s[16:17], s[18:19]
	s_cbranch_execz .LBB259_745
; %bb.740:                              ;   in Loop: Header=BB259_626 Depth=1
	v_cmp_ne_u16_sdwa s[20:21], v14, s28 src0_sel:BYTE_0 src1_sel:DWORD
	v_mov_b32_e32 v26, 0x8000
	s_and_saveexec_b64 s[18:19], s[20:21]
	s_cbranch_execz .LBB259_744
; %bb.741:                              ;   in Loop: Header=BB259_626 Depth=1
	v_bfe_u32 v28, v24, 16, 7
	v_cmp_ne_u32_e32 vcc, s29, v28
	v_mov_b32_e32 v26, 0x7c01
	s_and_saveexec_b64 s[20:21], vcc
	s_cbranch_execz .LBB259_743
; %bb.742:                              ;   in Loop: Header=BB259_626 Depth=1
	v_and_b32_e32 v26, 7, v14
	v_ffbh_u32_e32 v30, v26
	v_min_u32_e32 v58, 32, v30
	v_subrev_u32_e32 v30, 28, v58
	v_lshlrev_b64 v[30:31], v30, v[14:15]
	v_lshrrev_b32_e32 v29, 3, v28
	v_sub_u32_e32 v31, 29, v58
	v_cmp_gt_u32_e32 vcc, 8, v28
	v_lshlrev_b32_e32 v14, 8, v14
	s_nop 0
	v_cndmask_b32_e32 v28, v29, v31, vcc
	v_lshl_add_u32 v28, v28, 10, v41
	v_and_b32_e32 v29, 7, v30
	v_and_b32_e32 v28, 0xfc00, v28
	v_cndmask_b32_e32 v26, v26, v29, vcc
	v_and_or_b32 v14, v14, s30, v28
	v_lshl_or_b32 v26, v26, 7, v14
.LBB259_743:                            ;   in Loop: Header=BB259_626 Depth=1
	s_or_b64 exec, exec, s[20:21]
.LBB259_744:                            ;   in Loop: Header=BB259_626 Depth=1
	s_or_b64 exec, exec, s[18:19]
.LBB259_745:                            ;   in Loop: Header=BB259_626 Depth=1
	s_or_b64 exec, exec, s[16:17]
	v_cmp_lt_u32_e32 vcc, s7, v24
	s_and_saveexec_b64 s[16:17], vcc
	s_cbranch_execz .LBB259_751
; %bb.746:                              ;   in Loop: Header=BB259_626 Depth=1
	v_lshrrev_b32_e32 v14, 24, v24
	v_cmp_ne_u32_e32 vcc, s28, v14
	v_bfrev_b32_e32 v27, 1
	s_and_saveexec_b64 s[18:19], vcc
	s_cbranch_execz .LBB259_750
; %bb.747:                              ;   in Loop: Header=BB259_626 Depth=1
	v_and_b32_e32 v28, 0x7f, v14
	v_cmp_ne_u32_e32 vcc, s29, v28
	v_mov_b32_e32 v27, 0x7c010000
	s_and_saveexec_b64 s[20:21], vcc
	s_cbranch_execz .LBB259_749
; %bb.748:                              ;   in Loop: Header=BB259_626 Depth=1
	v_and_b32_e32 v27, 7, v14
	v_ffbh_u32_e32 v30, v27
	v_min_u32_e32 v58, 32, v30
	v_subrev_u32_e32 v30, 28, v58
	v_lshlrev_b64 v[30:31], v30, v[14:15]
	v_lshrrev_b32_e32 v29, 3, v28
	v_sub_u32_e32 v31, 29, v58
	v_cmp_gt_u32_e32 vcc, 8, v28
	v_lshlrev_b32_e32 v14, 8, v14
	s_nop 0
	v_cndmask_b32_e32 v28, v29, v31, vcc
	v_lshl_add_u32 v28, v28, 10, v41
	v_and_b32_e32 v29, 7, v30
	v_and_or_b32 v14, v14, s30, v28
	v_cndmask_b32_e32 v27, v27, v29, vcc
	v_lshlrev_b32_e32 v14, 16, v14
	v_lshl_or_b32 v27, v27, 23, v14
.LBB259_749:                            ;   in Loop: Header=BB259_626 Depth=1
	s_or_b64 exec, exec, s[20:21]
.LBB259_750:                            ;   in Loop: Header=BB259_626 Depth=1
	s_or_b64 exec, exec, s[18:19]
.LBB259_751:                            ;   in Loop: Header=BB259_626 Depth=1
	s_or_b64 exec, exec, s[16:17]
	v_mov_b32_e32 v14, v25
	v_cmp_ne_u16_sdwa s[18:19], v25, v15 src0_sel:BYTE_0 src1_sel:DWORD
	v_mov_b32_e32 v28, 0
	v_mov_b32_e32 v29, 0
	s_and_saveexec_b64 s[16:17], s[18:19]
	s_cbranch_execz .LBB259_757
; %bb.752:                              ;   in Loop: Header=BB259_626 Depth=1
	v_cmp_ne_u16_sdwa s[20:21], v25, s28 src0_sel:BYTE_0 src1_sel:DWORD
	v_mov_b32_e32 v29, 0x8000
	s_and_saveexec_b64 s[18:19], s[20:21]
	s_cbranch_execz .LBB259_756
; %bb.753:                              ;   in Loop: Header=BB259_626 Depth=1
	v_and_b32_e32 v30, 0x7f, v25
	v_cmp_ne_u32_e32 vcc, s29, v30
	v_mov_b32_e32 v29, 0x7c01
	s_and_saveexec_b64 s[20:21], vcc
	s_cbranch_execz .LBB259_755
; %bb.754:                              ;   in Loop: Header=BB259_626 Depth=1
	v_and_b32_e32 v29, 7, v25
	v_ffbh_u32_e32 v58, v29
	v_min_u32_e32 v60, 32, v58
	v_subrev_u32_e32 v58, 28, v60
	v_lshlrev_b64 v[58:59], v58, v[14:15]
	v_lshrrev_b32_e32 v31, 3, v30
	v_sub_u32_e32 v59, 29, v60
	v_cmp_gt_u32_e32 vcc, 8, v30
	v_and_b32_e32 v58, 7, v58
	s_nop 0
	v_cndmask_b32_e32 v30, v31, v59, vcc
	v_lshl_add_u32 v30, v30, 10, v41
	v_lshlrev_b32_e32 v31, 8, v25
	v_and_b32_e32 v30, 0xfc00, v30
	v_cndmask_b32_e32 v29, v29, v58, vcc
	v_and_or_b32 v30, v31, s30, v30
	v_lshl_or_b32 v29, v29, 7, v30
.LBB259_755:                            ;   in Loop: Header=BB259_626 Depth=1
	s_or_b64 exec, exec, s[20:21]
.LBB259_756:                            ;   in Loop: Header=BB259_626 Depth=1
	s_or_b64 exec, exec, s[18:19]
.LBB259_757:                            ;   in Loop: Header=BB259_626 Depth=1
	s_or_b64 exec, exec, s[16:17]
	v_lshrrev_b16_e32 v14, 8, v14
	v_cmp_ne_u16_e32 vcc, 0, v14
	v_mov_b32_e32 v30, 0
	s_and_saveexec_b64 s[16:17], vcc
	s_cbranch_execz .LBB259_763
; %bb.758:                              ;   in Loop: Header=BB259_626 Depth=1
	v_cmp_ne_u16_e32 vcc, s28, v14
	v_bfrev_b32_e32 v30, 1
	s_and_saveexec_b64 s[18:19], vcc
	s_cbranch_execz .LBB259_762
; %bb.759:                              ;   in Loop: Header=BB259_626 Depth=1
	v_and_b32_e32 v31, 0x7f, v14
	v_cmp_ne_u32_e32 vcc, s29, v31
	v_mov_b32_e32 v30, 0x7c010000
	s_and_saveexec_b64 s[20:21], vcc
	s_cbranch_execz .LBB259_761
; %bb.760:                              ;   in Loop: Header=BB259_626 Depth=1
	v_and_b32_e32 v30, 7, v14
	v_ffbh_u32_e32 v58, v30
	v_min_u32_e32 v61, 32, v58
	v_subrev_u32_e32 v58, 28, v61
	v_lshlrev_b64 v[58:59], v58, v[14:15]
	v_lshrrev_b32_e32 v60, 3, v31
	v_sub_u32_e32 v59, 29, v61
	v_cmp_gt_u32_e32 vcc, 8, v31
	v_lshlrev_b32_e32 v14, 8, v14
	v_and_b32_e32 v58, 7, v58
	v_cndmask_b32_e32 v31, v60, v59, vcc
	v_lshl_add_u32 v31, v31, 10, v41
	v_and_or_b32 v14, v14, s30, v31
	v_cndmask_b32_e32 v30, v30, v58, vcc
	v_lshlrev_b32_e32 v14, 16, v14
	v_lshl_or_b32 v30, v30, 23, v14
.LBB259_761:                            ;   in Loop: Header=BB259_626 Depth=1
	s_or_b64 exec, exec, s[20:21]
.LBB259_762:                            ;   in Loop: Header=BB259_626 Depth=1
	s_or_b64 exec, exec, s[18:19]
.LBB259_763:                            ;   in Loop: Header=BB259_626 Depth=1
	s_or_b64 exec, exec, s[16:17]
	v_lshrrev_b32_e32 v14, 16, v25
	v_cmp_ne_u16_sdwa s[18:19], v14, v15 src0_sel:BYTE_0 src1_sel:DWORD
	s_and_saveexec_b64 s[16:17], s[18:19]
	s_cbranch_execz .LBB259_769
; %bb.764:                              ;   in Loop: Header=BB259_626 Depth=1
	v_cmp_ne_u16_sdwa s[20:21], v14, s28 src0_sel:BYTE_0 src1_sel:DWORD
	v_mov_b32_e32 v28, 0x8000
	s_and_saveexec_b64 s[18:19], s[20:21]
	s_cbranch_execz .LBB259_768
; %bb.765:                              ;   in Loop: Header=BB259_626 Depth=1
	v_bfe_u32 v31, v25, 16, 7
	v_cmp_ne_u32_e32 vcc, s29, v31
	v_mov_b32_e32 v28, 0x7c01
	s_and_saveexec_b64 s[20:21], vcc
	s_cbranch_execz .LBB259_767
; %bb.766:                              ;   in Loop: Header=BB259_626 Depth=1
	v_and_b32_e32 v28, 7, v14
	v_ffbh_u32_e32 v58, v28
	v_min_u32_e32 v61, 32, v58
	v_subrev_u32_e32 v58, 28, v61
	v_lshlrev_b64 v[58:59], v58, v[14:15]
	v_lshrrev_b32_e32 v60, 3, v31
	v_sub_u32_e32 v59, 29, v61
	v_cmp_gt_u32_e32 vcc, 8, v31
	v_lshlrev_b32_e32 v14, 8, v14
	v_and_b32_e32 v58, 7, v58
	v_cndmask_b32_e32 v31, v60, v59, vcc
	v_lshl_add_u32 v31, v31, 10, v41
	v_and_b32_e32 v31, 0xfc00, v31
	v_cndmask_b32_e32 v28, v28, v58, vcc
	v_and_or_b32 v14, v14, s30, v31
	v_lshl_or_b32 v28, v28, 7, v14
.LBB259_767:                            ;   in Loop: Header=BB259_626 Depth=1
	s_or_b64 exec, exec, s[20:21]
.LBB259_768:                            ;   in Loop: Header=BB259_626 Depth=1
	s_or_b64 exec, exec, s[18:19]
.LBB259_769:                            ;   in Loop: Header=BB259_626 Depth=1
	s_or_b64 exec, exec, s[16:17]
	v_cmp_lt_u64_e32 vcc, s[6:7], v[24:25]
	v_mov_b32_e32 v24, 0
	s_and_saveexec_b64 s[16:17], vcc
	s_cbranch_execz .LBB259_775
; %bb.770:                              ;   in Loop: Header=BB259_626 Depth=1
	v_lshrrev_b32_e32 v14, 24, v25
	v_cmp_ne_u32_e32 vcc, s28, v14
	v_bfrev_b32_e32 v24, 1
	s_and_saveexec_b64 s[18:19], vcc
	s_cbranch_execz .LBB259_774
; %bb.771:                              ;   in Loop: Header=BB259_626 Depth=1
	v_and_b32_e32 v25, 0x7f, v14
	v_cmp_ne_u32_e32 vcc, s29, v25
	v_mov_b32_e32 v24, 0x7c010000
	s_and_saveexec_b64 s[20:21], vcc
	s_cbranch_execz .LBB259_773
; %bb.772:                              ;   in Loop: Header=BB259_626 Depth=1
	v_and_b32_e32 v24, 7, v14
	v_ffbh_u32_e32 v58, v24
	v_min_u32_e32 v60, 32, v58
	v_subrev_u32_e32 v58, 28, v60
	v_lshlrev_b64 v[58:59], v58, v[14:15]
	v_lshrrev_b32_e32 v31, 3, v25
	v_sub_u32_e32 v59, 29, v60
	v_cmp_gt_u32_e32 vcc, 8, v25
	v_lshlrev_b32_e32 v14, 8, v14
	s_nop 0
	v_cndmask_b32_e32 v25, v31, v59, vcc
	v_lshl_add_u32 v25, v25, 10, v41
	v_and_b32_e32 v31, 7, v58
	v_and_or_b32 v14, v14, s30, v25
	v_cndmask_b32_e32 v24, v24, v31, vcc
	v_lshlrev_b32_e32 v14, 16, v14
	v_lshl_or_b32 v24, v24, 23, v14
.LBB259_773:                            ;   in Loop: Header=BB259_626 Depth=1
	s_or_b64 exec, exec, s[20:21]
.LBB259_774:                            ;   in Loop: Header=BB259_626 Depth=1
	s_or_b64 exec, exec, s[18:19]
.LBB259_775:                            ;   in Loop: Header=BB259_626 Depth=1
	s_or_b64 exec, exec, s[16:17]
	v_cvt_f32_f16_sdwa v59, v1 dst_sel:DWORD dst_unused:UNUSED_PAD src0_sel:WORD_1
	v_cvt_f32_f16_sdwa v58, v27 dst_sel:DWORD dst_unused:UNUSED_PAD src0_sel:WORD_1
	v_or_b32_e32 v1, v1, v23
	v_or_b32_e32 v14, v27, v26
	;; [unrolled: 1-line block ×3, first 2 shown]
	s_waitcnt vmcnt(0)
	v_pk_mul_f32 v[26:27], v[22:23], v[58:59] op_sel_hi:[0,1]
	v_cvt_f32_f16_e32 v58, v14
	v_cvt_f32_f16_e32 v59, v1
	v_cvt_pk_f16_f32 v1, v26, v27
	v_and_b32_e32 v23, 0xffff0000, v1
	v_lshlrev_b32_e32 v14, 16, v1
	v_pk_mul_f32 v[26:27], v[22:23], v[58:59] op_sel_hi:[0,1]
	v_cvt_pk_f16_f32 v1, v26, v27
	v_or_b32_e32 v27, v30, v29
	v_cvt_f32_f16_e32 v28, v28
	v_cvt_f32_f16_e32 v29, v27
	v_cvt_f32_f16_sdwa v31, v30 dst_sel:DWORD dst_unused:UNUSED_PAD src0_sel:WORD_1
	v_cvt_f32_f16_sdwa v30, v24 dst_sel:DWORD dst_unused:UNUSED_PAD src0_sel:WORD_1
	v_lshrrev_b32_e32 v25, 16, v1
	v_pk_mul_f32 v[28:29], v[22:23], v[28:29] op_sel_hi:[0,1]
	v_cvt_pk_f16_f32 v58, v28, v29
	v_pk_mul_f32 v[28:29], v[22:23], v[30:31] op_sel_hi:[0,1]
	v_cvt_pk_f16_f32 v22, v28, v29
	v_and_b32_e32 v26, 0xffff, v1
	v_and_b32_e32 v27, 0xffff0000, v22
	v_lshlrev_b32_e32 v22, 16, v22
	v_lshrrev_b32_e32 v29, 16, v58
	v_and_b32_e32 v28, 0xffff, v58
	v_or_b32_e32 v1, v23, v25
	v_or_b32_e32 v24, v14, v26
	v_or_b32_e32 v31, v27, v29
	v_or_b32_e32 v30, v22, v28
	s_and_saveexec_b64 s[16:17], s[0:1]
	s_cbranch_execz .LBB259_777
; %bb.776:                              ;   in Loop: Header=BB259_626 Depth=1
	v_cmp_gt_i32_e32 vcc, s38, v42
	s_nop 1
	v_cndmask_b32_e32 v1, 0, v25, vcc
	v_cmp_gt_i32_e32 vcc, s33, v53
	s_nop 1
	v_cndmask_b32_e32 v24, 0, v26, vcc
	;; [unrolled: 3-line block ×3, first 2 shown]
	v_cmp_gt_i32_e32 vcc, s33, v51
	v_or_b32_e32 v1, v23, v1
	s_nop 0
	v_cndmask_b32_e32 v14, 0, v14, vcc
	v_cmp_gt_i32_e32 vcc, s38, v46
	v_or_b32_e32 v24, v14, v24
	s_nop 0
	v_cndmask_b32_e32 v14, 0, v29, vcc
	v_cmp_gt_i32_e32 vcc, s33, v45
	s_nop 1
	v_cndmask_b32_e32 v23, 0, v28, vcc
	v_cmp_gt_i32_e32 vcc, s38, v44
	;; [unrolled: 3-line block ×3, first 2 shown]
	v_or_b32_e32 v31, v25, v14
	s_nop 0
	v_cndmask_b32_e32 v22, 0, v22, vcc
	v_or_b32_e32 v30, v22, v23
.LBB259_777:                            ;   in Loop: Header=BB259_626 Depth=1
	s_or_b64 exec, exec, s[16:17]
	;;#ASMSTART
	v_pk_mul_f16 v1, v50, v1;

	;;#ASMEND
	;;#ASMSTART
	v_pk_mul_f16 v14, v49, v24;

	;;#ASMEND
	;; [unrolled: 4-line block ×4, first 2 shown]
	s_nop 0
	;;#ASMSTART
	v_pk_add_f16 v1, v1, v14;

	;;#ASMEND
	s_nop 0
	;;#ASMSTART
	v_pk_add_f16 v1, v1, v22;

	;;#ASMEND
	;; [unrolled: 5-line block ×3, first 2 shown]
	v_mov_b32_e32 v23, 0
	v_lshrrev_b32_e32 v14, 16, v1
	v_and_b32_e32 v1, 0xffff, v1
	;;#ASMSTART
	v_cvt_f32_f16 v58, v1;
	;;#ASMEND
	;;#ASMSTART
	v_cvt_f32_f16 v59, v14;
	;;#ASMEND
	global_load_dwordx2 v[24:25], v[20:21], off offset:1536
	v_mov_b32_e32 v1, 0
	global_load_dword v22, v1, s[14:15]
	s_waitcnt vmcnt(1)
	v_cmp_ne_u16_sdwa s[18:19], v24, v15 src0_sel:BYTE_0 src1_sel:DWORD
	s_and_saveexec_b64 s[16:17], s[18:19]
	s_cbranch_execz .LBB259_783
; %bb.778:                              ;   in Loop: Header=BB259_626 Depth=1
	v_cmp_ne_u16_sdwa s[20:21], v24, s28 src0_sel:BYTE_0 src1_sel:DWORD
	v_mov_b32_e32 v23, 0x8000
	s_and_saveexec_b64 s[18:19], s[20:21]
	s_cbranch_execz .LBB259_782
; %bb.779:                              ;   in Loop: Header=BB259_626 Depth=1
	v_and_b32_e32 v14, 0x7f, v24
	v_cmp_ne_u32_e32 vcc, s29, v14
	v_mov_b32_e32 v23, 0x7c01
	s_and_saveexec_b64 s[20:21], vcc
	s_cbranch_execz .LBB259_781
; %bb.780:                              ;   in Loop: Header=BB259_626 Depth=1
	v_and_b32_e32 v23, 7, v24
	v_ffbh_u32_e32 v26, v23
	v_min_u32_e32 v29, 32, v26
	v_subrev_u32_e32 v26, 28, v29
	v_lshlrev_b64 v[26:27], v26, v[24:25]
	v_lshrrev_b32_e32 v28, 3, v14
	v_sub_u32_e32 v27, 29, v29
	v_cmp_gt_u32_e32 vcc, 8, v14
	v_and_b32_e32 v26, 7, v26
	s_nop 0
	v_cndmask_b32_e32 v14, v28, v27, vcc
	v_lshl_add_u32 v14, v14, 10, v41
	v_lshlrev_b32_e32 v27, 8, v24
	v_and_b32_e32 v14, 0xfc00, v14
	v_cndmask_b32_e32 v23, v23, v26, vcc
	v_and_or_b32 v14, v27, s30, v14
	v_lshl_or_b32 v23, v23, 7, v14
.LBB259_781:                            ;   in Loop: Header=BB259_626 Depth=1
	s_or_b64 exec, exec, s[20:21]
.LBB259_782:                            ;   in Loop: Header=BB259_626 Depth=1
	s_or_b64 exec, exec, s[18:19]
.LBB259_783:                            ;   in Loop: Header=BB259_626 Depth=1
	s_or_b64 exec, exec, s[16:17]
	v_lshrrev_b16_e32 v14, 8, v24
	v_cmp_ne_u16_e32 vcc, 0, v14
	s_and_saveexec_b64 s[16:17], vcc
	s_cbranch_execz .LBB259_789
; %bb.784:                              ;   in Loop: Header=BB259_626 Depth=1
	v_cmp_ne_u16_e32 vcc, s28, v14
	v_bfrev_b32_e32 v1, 1
	s_and_saveexec_b64 s[18:19], vcc
	s_cbranch_execz .LBB259_788
; %bb.785:                              ;   in Loop: Header=BB259_626 Depth=1
	v_and_b32_e32 v26, 0x7f, v14
	v_cmp_ne_u32_e32 vcc, s29, v26
	v_mov_b32_e32 v1, 0x7c010000
	s_and_saveexec_b64 s[20:21], vcc
	s_cbranch_execz .LBB259_787
; %bb.786:                              ;   in Loop: Header=BB259_626 Depth=1
	v_and_b32_e32 v1, 7, v14
	v_ffbh_u32_e32 v28, v1
	v_min_u32_e32 v30, 32, v28
	v_subrev_u32_e32 v28, 28, v30
	v_lshlrev_b64 v[28:29], v28, v[14:15]
	v_lshrrev_b32_e32 v27, 3, v26
	v_sub_u32_e32 v29, 29, v30
	v_cmp_gt_u32_e32 vcc, 8, v26
	v_lshlrev_b32_e32 v14, 8, v14
	s_nop 0
	v_cndmask_b32_e32 v26, v27, v29, vcc
	v_lshl_add_u32 v26, v26, 10, v41
	v_and_b32_e32 v27, 7, v28
	v_and_or_b32 v14, v14, s30, v26
	v_cndmask_b32_e32 v1, v1, v27, vcc
	v_lshlrev_b32_e32 v14, 16, v14
	v_lshl_or_b32 v1, v1, 23, v14
.LBB259_787:                            ;   in Loop: Header=BB259_626 Depth=1
	s_or_b64 exec, exec, s[20:21]
.LBB259_788:                            ;   in Loop: Header=BB259_626 Depth=1
	s_or_b64 exec, exec, s[18:19]
.LBB259_789:                            ;   in Loop: Header=BB259_626 Depth=1
	s_or_b64 exec, exec, s[16:17]
	v_lshrrev_b32_e32 v14, 16, v24
	v_cmp_ne_u16_sdwa s[18:19], v14, v15 src0_sel:BYTE_0 src1_sel:DWORD
	v_mov_b32_e32 v27, 0
	v_mov_b32_e32 v26, 0
	s_and_saveexec_b64 s[16:17], s[18:19]
	s_cbranch_execz .LBB259_795
; %bb.790:                              ;   in Loop: Header=BB259_626 Depth=1
	v_cmp_ne_u16_sdwa s[20:21], v14, s28 src0_sel:BYTE_0 src1_sel:DWORD
	v_mov_b32_e32 v26, 0x8000
	s_and_saveexec_b64 s[18:19], s[20:21]
	s_cbranch_execz .LBB259_794
; %bb.791:                              ;   in Loop: Header=BB259_626 Depth=1
	v_bfe_u32 v28, v24, 16, 7
	v_cmp_ne_u32_e32 vcc, s29, v28
	v_mov_b32_e32 v26, 0x7c01
	s_and_saveexec_b64 s[20:21], vcc
	s_cbranch_execz .LBB259_793
; %bb.792:                              ;   in Loop: Header=BB259_626 Depth=1
	v_and_b32_e32 v26, 7, v14
	v_ffbh_u32_e32 v30, v26
	v_min_u32_e32 v60, 32, v30
	v_subrev_u32_e32 v30, 28, v60
	v_lshlrev_b64 v[30:31], v30, v[14:15]
	v_lshrrev_b32_e32 v29, 3, v28
	v_sub_u32_e32 v31, 29, v60
	v_cmp_gt_u32_e32 vcc, 8, v28
	v_lshlrev_b32_e32 v14, 8, v14
	s_nop 0
	v_cndmask_b32_e32 v28, v29, v31, vcc
	v_lshl_add_u32 v28, v28, 10, v41
	v_and_b32_e32 v29, 7, v30
	v_and_b32_e32 v28, 0xfc00, v28
	v_cndmask_b32_e32 v26, v26, v29, vcc
	v_and_or_b32 v14, v14, s30, v28
	v_lshl_or_b32 v26, v26, 7, v14
.LBB259_793:                            ;   in Loop: Header=BB259_626 Depth=1
	s_or_b64 exec, exec, s[20:21]
.LBB259_794:                            ;   in Loop: Header=BB259_626 Depth=1
	s_or_b64 exec, exec, s[18:19]
.LBB259_795:                            ;   in Loop: Header=BB259_626 Depth=1
	s_or_b64 exec, exec, s[16:17]
	v_cmp_lt_u32_e32 vcc, s7, v24
	s_and_saveexec_b64 s[16:17], vcc
	s_cbranch_execz .LBB259_801
; %bb.796:                              ;   in Loop: Header=BB259_626 Depth=1
	v_lshrrev_b32_e32 v14, 24, v24
	v_cmp_ne_u32_e32 vcc, s28, v14
	v_bfrev_b32_e32 v27, 1
	s_and_saveexec_b64 s[18:19], vcc
	s_cbranch_execz .LBB259_800
; %bb.797:                              ;   in Loop: Header=BB259_626 Depth=1
	v_and_b32_e32 v28, 0x7f, v14
	v_cmp_ne_u32_e32 vcc, s29, v28
	v_mov_b32_e32 v27, 0x7c010000
	s_and_saveexec_b64 s[20:21], vcc
	s_cbranch_execz .LBB259_799
; %bb.798:                              ;   in Loop: Header=BB259_626 Depth=1
	v_and_b32_e32 v27, 7, v14
	v_ffbh_u32_e32 v30, v27
	v_min_u32_e32 v60, 32, v30
	v_subrev_u32_e32 v30, 28, v60
	v_lshlrev_b64 v[30:31], v30, v[14:15]
	v_lshrrev_b32_e32 v29, 3, v28
	v_sub_u32_e32 v31, 29, v60
	v_cmp_gt_u32_e32 vcc, 8, v28
	v_lshlrev_b32_e32 v14, 8, v14
	s_nop 0
	v_cndmask_b32_e32 v28, v29, v31, vcc
	v_lshl_add_u32 v28, v28, 10, v41
	v_and_b32_e32 v29, 7, v30
	v_and_or_b32 v14, v14, s30, v28
	v_cndmask_b32_e32 v27, v27, v29, vcc
	v_lshlrev_b32_e32 v14, 16, v14
	v_lshl_or_b32 v27, v27, 23, v14
.LBB259_799:                            ;   in Loop: Header=BB259_626 Depth=1
	s_or_b64 exec, exec, s[20:21]
.LBB259_800:                            ;   in Loop: Header=BB259_626 Depth=1
	s_or_b64 exec, exec, s[18:19]
.LBB259_801:                            ;   in Loop: Header=BB259_626 Depth=1
	s_or_b64 exec, exec, s[16:17]
	v_mov_b32_e32 v14, v25
	v_cmp_ne_u16_sdwa s[18:19], v25, v15 src0_sel:BYTE_0 src1_sel:DWORD
	v_mov_b32_e32 v28, 0
	v_mov_b32_e32 v29, 0
	s_and_saveexec_b64 s[16:17], s[18:19]
	s_cbranch_execz .LBB259_807
; %bb.802:                              ;   in Loop: Header=BB259_626 Depth=1
	v_cmp_ne_u16_sdwa s[20:21], v25, s28 src0_sel:BYTE_0 src1_sel:DWORD
	v_mov_b32_e32 v29, 0x8000
	s_and_saveexec_b64 s[18:19], s[20:21]
	s_cbranch_execz .LBB259_806
; %bb.803:                              ;   in Loop: Header=BB259_626 Depth=1
	v_and_b32_e32 v30, 0x7f, v25
	v_cmp_ne_u32_e32 vcc, s29, v30
	v_mov_b32_e32 v29, 0x7c01
	s_and_saveexec_b64 s[20:21], vcc
	s_cbranch_execz .LBB259_805
; %bb.804:                              ;   in Loop: Header=BB259_626 Depth=1
	v_and_b32_e32 v29, 7, v25
	v_ffbh_u32_e32 v60, v29
	v_min_u32_e32 v62, 32, v60
	v_subrev_u32_e32 v60, 28, v62
	v_lshlrev_b64 v[60:61], v60, v[14:15]
	v_lshrrev_b32_e32 v31, 3, v30
	v_sub_u32_e32 v61, 29, v62
	v_cmp_gt_u32_e32 vcc, 8, v30
	v_and_b32_e32 v60, 7, v60
	s_nop 0
	v_cndmask_b32_e32 v30, v31, v61, vcc
	v_lshl_add_u32 v30, v30, 10, v41
	v_lshlrev_b32_e32 v31, 8, v25
	v_and_b32_e32 v30, 0xfc00, v30
	v_cndmask_b32_e32 v29, v29, v60, vcc
	v_and_or_b32 v30, v31, s30, v30
	v_lshl_or_b32 v29, v29, 7, v30
.LBB259_805:                            ;   in Loop: Header=BB259_626 Depth=1
	s_or_b64 exec, exec, s[20:21]
.LBB259_806:                            ;   in Loop: Header=BB259_626 Depth=1
	s_or_b64 exec, exec, s[18:19]
.LBB259_807:                            ;   in Loop: Header=BB259_626 Depth=1
	s_or_b64 exec, exec, s[16:17]
	v_lshrrev_b16_e32 v14, 8, v14
	v_cmp_ne_u16_e32 vcc, 0, v14
	v_mov_b32_e32 v30, 0
	s_and_saveexec_b64 s[16:17], vcc
	s_cbranch_execz .LBB259_813
; %bb.808:                              ;   in Loop: Header=BB259_626 Depth=1
	v_cmp_ne_u16_e32 vcc, s28, v14
	v_bfrev_b32_e32 v30, 1
	s_and_saveexec_b64 s[18:19], vcc
	s_cbranch_execz .LBB259_812
; %bb.809:                              ;   in Loop: Header=BB259_626 Depth=1
	v_and_b32_e32 v31, 0x7f, v14
	v_cmp_ne_u32_e32 vcc, s29, v31
	v_mov_b32_e32 v30, 0x7c010000
	s_and_saveexec_b64 s[20:21], vcc
	s_cbranch_execz .LBB259_811
; %bb.810:                              ;   in Loop: Header=BB259_626 Depth=1
	v_and_b32_e32 v30, 7, v14
	v_ffbh_u32_e32 v60, v30
	v_min_u32_e32 v63, 32, v60
	v_subrev_u32_e32 v60, 28, v63
	v_lshlrev_b64 v[60:61], v60, v[14:15]
	v_lshrrev_b32_e32 v62, 3, v31
	v_sub_u32_e32 v61, 29, v63
	v_cmp_gt_u32_e32 vcc, 8, v31
	v_lshlrev_b32_e32 v14, 8, v14
	v_and_b32_e32 v60, 7, v60
	v_cndmask_b32_e32 v31, v62, v61, vcc
	v_lshl_add_u32 v31, v31, 10, v41
	v_and_or_b32 v14, v14, s30, v31
	v_cndmask_b32_e32 v30, v30, v60, vcc
	v_lshlrev_b32_e32 v14, 16, v14
	v_lshl_or_b32 v30, v30, 23, v14
.LBB259_811:                            ;   in Loop: Header=BB259_626 Depth=1
	s_or_b64 exec, exec, s[20:21]
.LBB259_812:                            ;   in Loop: Header=BB259_626 Depth=1
	s_or_b64 exec, exec, s[18:19]
.LBB259_813:                            ;   in Loop: Header=BB259_626 Depth=1
	s_or_b64 exec, exec, s[16:17]
	v_lshrrev_b32_e32 v14, 16, v25
	v_cmp_ne_u16_sdwa s[18:19], v14, v15 src0_sel:BYTE_0 src1_sel:DWORD
	s_and_saveexec_b64 s[16:17], s[18:19]
	s_cbranch_execz .LBB259_819
; %bb.814:                              ;   in Loop: Header=BB259_626 Depth=1
	v_cmp_ne_u16_sdwa s[20:21], v14, s28 src0_sel:BYTE_0 src1_sel:DWORD
	v_mov_b32_e32 v28, 0x8000
	s_and_saveexec_b64 s[18:19], s[20:21]
	s_cbranch_execz .LBB259_818
; %bb.815:                              ;   in Loop: Header=BB259_626 Depth=1
	v_bfe_u32 v31, v25, 16, 7
	v_cmp_ne_u32_e32 vcc, s29, v31
	v_mov_b32_e32 v28, 0x7c01
	s_and_saveexec_b64 s[20:21], vcc
	s_cbranch_execz .LBB259_817
; %bb.816:                              ;   in Loop: Header=BB259_626 Depth=1
	v_and_b32_e32 v28, 7, v14
	v_ffbh_u32_e32 v60, v28
	v_min_u32_e32 v63, 32, v60
	v_subrev_u32_e32 v60, 28, v63
	v_lshlrev_b64 v[60:61], v60, v[14:15]
	v_lshrrev_b32_e32 v62, 3, v31
	v_sub_u32_e32 v61, 29, v63
	v_cmp_gt_u32_e32 vcc, 8, v31
	v_lshlrev_b32_e32 v14, 8, v14
	v_and_b32_e32 v60, 7, v60
	v_cndmask_b32_e32 v31, v62, v61, vcc
	v_lshl_add_u32 v31, v31, 10, v41
	v_and_b32_e32 v31, 0xfc00, v31
	v_cndmask_b32_e32 v28, v28, v60, vcc
	v_and_or_b32 v14, v14, s30, v31
	v_lshl_or_b32 v28, v28, 7, v14
.LBB259_817:                            ;   in Loop: Header=BB259_626 Depth=1
	s_or_b64 exec, exec, s[20:21]
.LBB259_818:                            ;   in Loop: Header=BB259_626 Depth=1
	s_or_b64 exec, exec, s[18:19]
.LBB259_819:                            ;   in Loop: Header=BB259_626 Depth=1
	s_or_b64 exec, exec, s[16:17]
	v_cmp_lt_u64_e32 vcc, s[6:7], v[24:25]
	v_mov_b32_e32 v24, 0
	s_and_saveexec_b64 s[16:17], vcc
	s_cbranch_execz .LBB259_825
; %bb.820:                              ;   in Loop: Header=BB259_626 Depth=1
	v_lshrrev_b32_e32 v14, 24, v25
	v_cmp_ne_u32_e32 vcc, s28, v14
	v_bfrev_b32_e32 v24, 1
	s_and_saveexec_b64 s[18:19], vcc
	s_cbranch_execz .LBB259_824
; %bb.821:                              ;   in Loop: Header=BB259_626 Depth=1
	v_and_b32_e32 v25, 0x7f, v14
	v_cmp_ne_u32_e32 vcc, s29, v25
	v_mov_b32_e32 v24, 0x7c010000
	s_and_saveexec_b64 s[20:21], vcc
	s_cbranch_execz .LBB259_823
; %bb.822:                              ;   in Loop: Header=BB259_626 Depth=1
	v_and_b32_e32 v24, 7, v14
	v_ffbh_u32_e32 v60, v24
	v_min_u32_e32 v62, 32, v60
	v_subrev_u32_e32 v60, 28, v62
	v_lshlrev_b64 v[60:61], v60, v[14:15]
	v_lshrrev_b32_e32 v31, 3, v25
	v_sub_u32_e32 v61, 29, v62
	v_cmp_gt_u32_e32 vcc, 8, v25
	v_lshlrev_b32_e32 v14, 8, v14
	s_nop 0
	v_cndmask_b32_e32 v25, v31, v61, vcc
	v_lshl_add_u32 v25, v25, 10, v41
	v_and_b32_e32 v31, 7, v60
	v_and_or_b32 v14, v14, s30, v25
	v_cndmask_b32_e32 v24, v24, v31, vcc
	v_lshlrev_b32_e32 v14, 16, v14
	v_lshl_or_b32 v24, v24, 23, v14
.LBB259_823:                            ;   in Loop: Header=BB259_626 Depth=1
	s_or_b64 exec, exec, s[20:21]
.LBB259_824:                            ;   in Loop: Header=BB259_626 Depth=1
	s_or_b64 exec, exec, s[18:19]
.LBB259_825:                            ;   in Loop: Header=BB259_626 Depth=1
	s_or_b64 exec, exec, s[16:17]
	v_cvt_f32_f16_sdwa v61, v1 dst_sel:DWORD dst_unused:UNUSED_PAD src0_sel:WORD_1
	v_cvt_f32_f16_sdwa v60, v27 dst_sel:DWORD dst_unused:UNUSED_PAD src0_sel:WORD_1
	v_or_b32_e32 v1, v1, v23
	v_or_b32_e32 v14, v27, v26
	;; [unrolled: 1-line block ×3, first 2 shown]
	s_waitcnt vmcnt(0)
	v_pk_mul_f32 v[26:27], v[22:23], v[60:61] op_sel_hi:[0,1]
	v_cvt_f32_f16_e32 v60, v14
	v_cvt_f32_f16_e32 v61, v1
	v_cvt_pk_f16_f32 v1, v26, v27
	v_and_b32_e32 v23, 0xffff0000, v1
	v_lshlrev_b32_e32 v14, 16, v1
	v_pk_mul_f32 v[26:27], v[22:23], v[60:61] op_sel_hi:[0,1]
	v_cvt_pk_f16_f32 v1, v26, v27
	v_or_b32_e32 v27, v30, v29
	v_cvt_f32_f16_e32 v28, v28
	v_cvt_f32_f16_e32 v29, v27
	v_cvt_f32_f16_sdwa v31, v30 dst_sel:DWORD dst_unused:UNUSED_PAD src0_sel:WORD_1
	v_cvt_f32_f16_sdwa v30, v24 dst_sel:DWORD dst_unused:UNUSED_PAD src0_sel:WORD_1
	v_lshrrev_b32_e32 v25, 16, v1
	v_pk_mul_f32 v[28:29], v[22:23], v[28:29] op_sel_hi:[0,1]
	v_cvt_pk_f16_f32 v60, v28, v29
	v_pk_mul_f32 v[28:29], v[22:23], v[30:31] op_sel_hi:[0,1]
	v_cvt_pk_f16_f32 v22, v28, v29
	v_and_b32_e32 v26, 0xffff, v1
	v_and_b32_e32 v27, 0xffff0000, v22
	v_lshlrev_b32_e32 v22, 16, v22
	v_lshrrev_b32_e32 v29, 16, v60
	v_and_b32_e32 v28, 0xffff, v60
	v_or_b32_e32 v1, v23, v25
	v_or_b32_e32 v24, v14, v26
	;; [unrolled: 1-line block ×4, first 2 shown]
	s_and_saveexec_b64 s[16:17], s[0:1]
	s_cbranch_execz .LBB259_827
; %bb.826:                              ;   in Loop: Header=BB259_626 Depth=1
	v_cmp_gt_i32_e32 vcc, s38, v42
	s_nop 1
	v_cndmask_b32_e32 v1, 0, v25, vcc
	v_cmp_gt_i32_e32 vcc, s33, v53
	s_nop 1
	v_cndmask_b32_e32 v24, 0, v26, vcc
	;; [unrolled: 3-line block ×3, first 2 shown]
	v_cmp_gt_i32_e32 vcc, s33, v51
	v_or_b32_e32 v1, v23, v1
	s_nop 0
	v_cndmask_b32_e32 v14, 0, v14, vcc
	v_cmp_gt_i32_e32 vcc, s38, v46
	v_or_b32_e32 v24, v14, v24
	s_nop 0
	v_cndmask_b32_e32 v14, 0, v29, vcc
	v_cmp_gt_i32_e32 vcc, s33, v45
	s_nop 1
	v_cndmask_b32_e32 v23, 0, v28, vcc
	v_cmp_gt_i32_e32 vcc, s38, v44
	;; [unrolled: 3-line block ×3, first 2 shown]
	v_or_b32_e32 v31, v25, v14
	s_nop 0
	v_cndmask_b32_e32 v22, 0, v22, vcc
	v_or_b32_e32 v30, v22, v23
.LBB259_827:                            ;   in Loop: Header=BB259_626 Depth=1
	s_or_b64 exec, exec, s[16:17]
	;;#ASMSTART
	v_pk_mul_f16 v1, v50, v1;

	;;#ASMEND
	;;#ASMSTART
	v_pk_mul_f16 v14, v49, v24;

	;;#ASMEND
	;; [unrolled: 4-line block ×4, first 2 shown]
	s_nop 0
	;;#ASMSTART
	v_pk_add_f16 v1, v1, v14;

	;;#ASMEND
	s_nop 0
	;;#ASMSTART
	v_pk_add_f16 v1, v1, v22;

	;;#ASMEND
	;; [unrolled: 5-line block ×3, first 2 shown]
	v_mov_b32_e32 v23, 0
	v_lshrrev_b32_e32 v14, 16, v1
	v_and_b32_e32 v1, 0xffff, v1
	;;#ASMSTART
	v_cvt_f32_f16 v60, v1;
	;;#ASMEND
	;;#ASMSTART
	v_cvt_f32_f16 v61, v14;
	;;#ASMEND
	global_load_dwordx2 v[24:25], v[20:21], off offset:2048
	v_mov_b32_e32 v1, 0
	global_load_dword v22, v1, s[14:15]
	s_waitcnt vmcnt(1)
	v_cmp_ne_u16_sdwa s[18:19], v24, v15 src0_sel:BYTE_0 src1_sel:DWORD
	s_and_saveexec_b64 s[16:17], s[18:19]
	s_cbranch_execz .LBB259_833
; %bb.828:                              ;   in Loop: Header=BB259_626 Depth=1
	v_cmp_ne_u16_sdwa s[20:21], v24, s28 src0_sel:BYTE_0 src1_sel:DWORD
	v_mov_b32_e32 v23, 0x8000
	s_and_saveexec_b64 s[18:19], s[20:21]
	s_cbranch_execz .LBB259_832
; %bb.829:                              ;   in Loop: Header=BB259_626 Depth=1
	v_and_b32_e32 v14, 0x7f, v24
	v_cmp_ne_u32_e32 vcc, s29, v14
	v_mov_b32_e32 v23, 0x7c01
	s_and_saveexec_b64 s[20:21], vcc
	s_cbranch_execz .LBB259_831
; %bb.830:                              ;   in Loop: Header=BB259_626 Depth=1
	v_and_b32_e32 v23, 7, v24
	v_ffbh_u32_e32 v26, v23
	v_min_u32_e32 v29, 32, v26
	v_subrev_u32_e32 v26, 28, v29
	v_lshlrev_b64 v[26:27], v26, v[24:25]
	v_lshrrev_b32_e32 v28, 3, v14
	v_sub_u32_e32 v27, 29, v29
	v_cmp_gt_u32_e32 vcc, 8, v14
	v_and_b32_e32 v26, 7, v26
	s_nop 0
	v_cndmask_b32_e32 v14, v28, v27, vcc
	v_lshl_add_u32 v14, v14, 10, v41
	v_lshlrev_b32_e32 v27, 8, v24
	v_and_b32_e32 v14, 0xfc00, v14
	v_cndmask_b32_e32 v23, v23, v26, vcc
	v_and_or_b32 v14, v27, s30, v14
	v_lshl_or_b32 v23, v23, 7, v14
.LBB259_831:                            ;   in Loop: Header=BB259_626 Depth=1
	s_or_b64 exec, exec, s[20:21]
.LBB259_832:                            ;   in Loop: Header=BB259_626 Depth=1
	s_or_b64 exec, exec, s[18:19]
.LBB259_833:                            ;   in Loop: Header=BB259_626 Depth=1
	s_or_b64 exec, exec, s[16:17]
	v_lshrrev_b16_e32 v14, 8, v24
	v_cmp_ne_u16_e32 vcc, 0, v14
	s_and_saveexec_b64 s[16:17], vcc
	s_cbranch_execz .LBB259_839
; %bb.834:                              ;   in Loop: Header=BB259_626 Depth=1
	v_cmp_ne_u16_e32 vcc, s28, v14
	v_bfrev_b32_e32 v1, 1
	s_and_saveexec_b64 s[18:19], vcc
	s_cbranch_execz .LBB259_838
; %bb.835:                              ;   in Loop: Header=BB259_626 Depth=1
	v_and_b32_e32 v26, 0x7f, v14
	v_cmp_ne_u32_e32 vcc, s29, v26
	v_mov_b32_e32 v1, 0x7c010000
	s_and_saveexec_b64 s[20:21], vcc
	s_cbranch_execz .LBB259_837
; %bb.836:                              ;   in Loop: Header=BB259_626 Depth=1
	v_and_b32_e32 v1, 7, v14
	v_ffbh_u32_e32 v28, v1
	v_min_u32_e32 v30, 32, v28
	v_subrev_u32_e32 v28, 28, v30
	v_lshlrev_b64 v[28:29], v28, v[14:15]
	v_lshrrev_b32_e32 v27, 3, v26
	v_sub_u32_e32 v29, 29, v30
	v_cmp_gt_u32_e32 vcc, 8, v26
	v_lshlrev_b32_e32 v14, 8, v14
	s_nop 0
	v_cndmask_b32_e32 v26, v27, v29, vcc
	v_lshl_add_u32 v26, v26, 10, v41
	v_and_b32_e32 v27, 7, v28
	v_and_or_b32 v14, v14, s30, v26
	v_cndmask_b32_e32 v1, v1, v27, vcc
	v_lshlrev_b32_e32 v14, 16, v14
	v_lshl_or_b32 v1, v1, 23, v14
.LBB259_837:                            ;   in Loop: Header=BB259_626 Depth=1
	s_or_b64 exec, exec, s[20:21]
.LBB259_838:                            ;   in Loop: Header=BB259_626 Depth=1
	s_or_b64 exec, exec, s[18:19]
.LBB259_839:                            ;   in Loop: Header=BB259_626 Depth=1
	s_or_b64 exec, exec, s[16:17]
	v_lshrrev_b32_e32 v14, 16, v24
	v_cmp_ne_u16_sdwa s[18:19], v14, v15 src0_sel:BYTE_0 src1_sel:DWORD
	v_mov_b32_e32 v27, 0
	v_mov_b32_e32 v26, 0
	s_and_saveexec_b64 s[16:17], s[18:19]
	s_cbranch_execz .LBB259_845
; %bb.840:                              ;   in Loop: Header=BB259_626 Depth=1
	v_cmp_ne_u16_sdwa s[20:21], v14, s28 src0_sel:BYTE_0 src1_sel:DWORD
	v_mov_b32_e32 v26, 0x8000
	s_and_saveexec_b64 s[18:19], s[20:21]
	s_cbranch_execz .LBB259_844
; %bb.841:                              ;   in Loop: Header=BB259_626 Depth=1
	v_bfe_u32 v28, v24, 16, 7
	v_cmp_ne_u32_e32 vcc, s29, v28
	v_mov_b32_e32 v26, 0x7c01
	s_and_saveexec_b64 s[20:21], vcc
	s_cbranch_execz .LBB259_843
; %bb.842:                              ;   in Loop: Header=BB259_626 Depth=1
	v_and_b32_e32 v26, 7, v14
	v_ffbh_u32_e32 v30, v26
	v_min_u32_e32 v62, 32, v30
	v_subrev_u32_e32 v30, 28, v62
	v_lshlrev_b64 v[30:31], v30, v[14:15]
	v_lshrrev_b32_e32 v29, 3, v28
	v_sub_u32_e32 v31, 29, v62
	v_cmp_gt_u32_e32 vcc, 8, v28
	v_lshlrev_b32_e32 v14, 8, v14
	s_nop 0
	v_cndmask_b32_e32 v28, v29, v31, vcc
	v_lshl_add_u32 v28, v28, 10, v41
	v_and_b32_e32 v29, 7, v30
	v_and_b32_e32 v28, 0xfc00, v28
	v_cndmask_b32_e32 v26, v26, v29, vcc
	v_and_or_b32 v14, v14, s30, v28
	v_lshl_or_b32 v26, v26, 7, v14
.LBB259_843:                            ;   in Loop: Header=BB259_626 Depth=1
	s_or_b64 exec, exec, s[20:21]
.LBB259_844:                            ;   in Loop: Header=BB259_626 Depth=1
	s_or_b64 exec, exec, s[18:19]
.LBB259_845:                            ;   in Loop: Header=BB259_626 Depth=1
	s_or_b64 exec, exec, s[16:17]
	v_cmp_lt_u32_e32 vcc, s7, v24
	s_and_saveexec_b64 s[16:17], vcc
	s_cbranch_execz .LBB259_851
; %bb.846:                              ;   in Loop: Header=BB259_626 Depth=1
	v_lshrrev_b32_e32 v14, 24, v24
	v_cmp_ne_u32_e32 vcc, s28, v14
	v_bfrev_b32_e32 v27, 1
	s_and_saveexec_b64 s[18:19], vcc
	s_cbranch_execz .LBB259_850
; %bb.847:                              ;   in Loop: Header=BB259_626 Depth=1
	v_and_b32_e32 v28, 0x7f, v14
	v_cmp_ne_u32_e32 vcc, s29, v28
	v_mov_b32_e32 v27, 0x7c010000
	s_and_saveexec_b64 s[20:21], vcc
	s_cbranch_execz .LBB259_849
; %bb.848:                              ;   in Loop: Header=BB259_626 Depth=1
	v_and_b32_e32 v27, 7, v14
	v_ffbh_u32_e32 v30, v27
	v_min_u32_e32 v62, 32, v30
	v_subrev_u32_e32 v30, 28, v62
	v_lshlrev_b64 v[30:31], v30, v[14:15]
	v_lshrrev_b32_e32 v29, 3, v28
	v_sub_u32_e32 v31, 29, v62
	v_cmp_gt_u32_e32 vcc, 8, v28
	v_lshlrev_b32_e32 v14, 8, v14
	s_nop 0
	v_cndmask_b32_e32 v28, v29, v31, vcc
	v_lshl_add_u32 v28, v28, 10, v41
	v_and_b32_e32 v29, 7, v30
	v_and_or_b32 v14, v14, s30, v28
	v_cndmask_b32_e32 v27, v27, v29, vcc
	v_lshlrev_b32_e32 v14, 16, v14
	v_lshl_or_b32 v27, v27, 23, v14
.LBB259_849:                            ;   in Loop: Header=BB259_626 Depth=1
	s_or_b64 exec, exec, s[20:21]
.LBB259_850:                            ;   in Loop: Header=BB259_626 Depth=1
	s_or_b64 exec, exec, s[18:19]
.LBB259_851:                            ;   in Loop: Header=BB259_626 Depth=1
	s_or_b64 exec, exec, s[16:17]
	v_mov_b32_e32 v14, v25
	v_cmp_ne_u16_sdwa s[18:19], v25, v15 src0_sel:BYTE_0 src1_sel:DWORD
	v_mov_b32_e32 v28, 0
	v_mov_b32_e32 v29, 0
	s_and_saveexec_b64 s[16:17], s[18:19]
	s_cbranch_execz .LBB259_857
; %bb.852:                              ;   in Loop: Header=BB259_626 Depth=1
	v_cmp_ne_u16_sdwa s[20:21], v25, s28 src0_sel:BYTE_0 src1_sel:DWORD
	v_mov_b32_e32 v29, 0x8000
	s_and_saveexec_b64 s[18:19], s[20:21]
	s_cbranch_execz .LBB259_856
; %bb.853:                              ;   in Loop: Header=BB259_626 Depth=1
	v_and_b32_e32 v30, 0x7f, v25
	v_cmp_ne_u32_e32 vcc, s29, v30
	v_mov_b32_e32 v29, 0x7c01
	s_and_saveexec_b64 s[20:21], vcc
	s_cbranch_execz .LBB259_855
; %bb.854:                              ;   in Loop: Header=BB259_626 Depth=1
	v_and_b32_e32 v29, 7, v25
	v_ffbh_u32_e32 v62, v29
	v_min_u32_e32 v64, 32, v62
	v_subrev_u32_e32 v62, 28, v64
	v_lshlrev_b64 v[62:63], v62, v[14:15]
	v_lshrrev_b32_e32 v31, 3, v30
	v_sub_u32_e32 v63, 29, v64
	v_cmp_gt_u32_e32 vcc, 8, v30
	v_and_b32_e32 v62, 7, v62
	s_nop 0
	v_cndmask_b32_e32 v30, v31, v63, vcc
	v_lshl_add_u32 v30, v30, 10, v41
	v_lshlrev_b32_e32 v31, 8, v25
	v_and_b32_e32 v30, 0xfc00, v30
	v_cndmask_b32_e32 v29, v29, v62, vcc
	v_and_or_b32 v30, v31, s30, v30
	v_lshl_or_b32 v29, v29, 7, v30
.LBB259_855:                            ;   in Loop: Header=BB259_626 Depth=1
	s_or_b64 exec, exec, s[20:21]
.LBB259_856:                            ;   in Loop: Header=BB259_626 Depth=1
	s_or_b64 exec, exec, s[18:19]
.LBB259_857:                            ;   in Loop: Header=BB259_626 Depth=1
	s_or_b64 exec, exec, s[16:17]
	v_lshrrev_b16_e32 v14, 8, v14
	v_cmp_ne_u16_e32 vcc, 0, v14
	v_mov_b32_e32 v30, 0
	s_and_saveexec_b64 s[16:17], vcc
	s_cbranch_execz .LBB259_863
; %bb.858:                              ;   in Loop: Header=BB259_626 Depth=1
	v_cmp_ne_u16_e32 vcc, s28, v14
	v_bfrev_b32_e32 v30, 1
	s_and_saveexec_b64 s[18:19], vcc
	s_cbranch_execz .LBB259_862
; %bb.859:                              ;   in Loop: Header=BB259_626 Depth=1
	v_and_b32_e32 v31, 0x7f, v14
	v_cmp_ne_u32_e32 vcc, s29, v31
	v_mov_b32_e32 v30, 0x7c010000
	s_and_saveexec_b64 s[20:21], vcc
	s_cbranch_execz .LBB259_861
; %bb.860:                              ;   in Loop: Header=BB259_626 Depth=1
	v_and_b32_e32 v30, 7, v14
	v_ffbh_u32_e32 v62, v30
	v_min_u32_e32 v65, 32, v62
	v_subrev_u32_e32 v62, 28, v65
	v_lshlrev_b64 v[62:63], v62, v[14:15]
	v_lshrrev_b32_e32 v64, 3, v31
	v_sub_u32_e32 v63, 29, v65
	v_cmp_gt_u32_e32 vcc, 8, v31
	v_lshlrev_b32_e32 v14, 8, v14
	v_and_b32_e32 v62, 7, v62
	v_cndmask_b32_e32 v31, v64, v63, vcc
	v_lshl_add_u32 v31, v31, 10, v41
	v_and_or_b32 v14, v14, s30, v31
	v_cndmask_b32_e32 v30, v30, v62, vcc
	v_lshlrev_b32_e32 v14, 16, v14
	v_lshl_or_b32 v30, v30, 23, v14
.LBB259_861:                            ;   in Loop: Header=BB259_626 Depth=1
	s_or_b64 exec, exec, s[20:21]
.LBB259_862:                            ;   in Loop: Header=BB259_626 Depth=1
	s_or_b64 exec, exec, s[18:19]
.LBB259_863:                            ;   in Loop: Header=BB259_626 Depth=1
	s_or_b64 exec, exec, s[16:17]
	v_lshrrev_b32_e32 v14, 16, v25
	v_cmp_ne_u16_sdwa s[18:19], v14, v15 src0_sel:BYTE_0 src1_sel:DWORD
	s_and_saveexec_b64 s[16:17], s[18:19]
	s_cbranch_execz .LBB259_869
; %bb.864:                              ;   in Loop: Header=BB259_626 Depth=1
	v_cmp_ne_u16_sdwa s[20:21], v14, s28 src0_sel:BYTE_0 src1_sel:DWORD
	v_mov_b32_e32 v28, 0x8000
	s_and_saveexec_b64 s[18:19], s[20:21]
	s_cbranch_execz .LBB259_868
; %bb.865:                              ;   in Loop: Header=BB259_626 Depth=1
	v_bfe_u32 v31, v25, 16, 7
	v_cmp_ne_u32_e32 vcc, s29, v31
	v_mov_b32_e32 v28, 0x7c01
	s_and_saveexec_b64 s[20:21], vcc
	s_cbranch_execz .LBB259_867
; %bb.866:                              ;   in Loop: Header=BB259_626 Depth=1
	v_and_b32_e32 v28, 7, v14
	v_ffbh_u32_e32 v62, v28
	v_min_u32_e32 v65, 32, v62
	v_subrev_u32_e32 v62, 28, v65
	v_lshlrev_b64 v[62:63], v62, v[14:15]
	v_lshrrev_b32_e32 v64, 3, v31
	v_sub_u32_e32 v63, 29, v65
	v_cmp_gt_u32_e32 vcc, 8, v31
	v_lshlrev_b32_e32 v14, 8, v14
	v_and_b32_e32 v62, 7, v62
	v_cndmask_b32_e32 v31, v64, v63, vcc
	v_lshl_add_u32 v31, v31, 10, v41
	v_and_b32_e32 v31, 0xfc00, v31
	v_cndmask_b32_e32 v28, v28, v62, vcc
	v_and_or_b32 v14, v14, s30, v31
	v_lshl_or_b32 v28, v28, 7, v14
.LBB259_867:                            ;   in Loop: Header=BB259_626 Depth=1
	s_or_b64 exec, exec, s[20:21]
.LBB259_868:                            ;   in Loop: Header=BB259_626 Depth=1
	s_or_b64 exec, exec, s[18:19]
.LBB259_869:                            ;   in Loop: Header=BB259_626 Depth=1
	s_or_b64 exec, exec, s[16:17]
	v_cmp_lt_u64_e32 vcc, s[6:7], v[24:25]
	v_mov_b32_e32 v24, 0
	s_and_saveexec_b64 s[16:17], vcc
	s_cbranch_execz .LBB259_875
; %bb.870:                              ;   in Loop: Header=BB259_626 Depth=1
	v_lshrrev_b32_e32 v14, 24, v25
	v_cmp_ne_u32_e32 vcc, s28, v14
	v_bfrev_b32_e32 v24, 1
	s_and_saveexec_b64 s[18:19], vcc
	s_cbranch_execz .LBB259_874
; %bb.871:                              ;   in Loop: Header=BB259_626 Depth=1
	v_and_b32_e32 v25, 0x7f, v14
	v_cmp_ne_u32_e32 vcc, s29, v25
	v_mov_b32_e32 v24, 0x7c010000
	s_and_saveexec_b64 s[20:21], vcc
	s_cbranch_execz .LBB259_873
; %bb.872:                              ;   in Loop: Header=BB259_626 Depth=1
	v_and_b32_e32 v24, 7, v14
	v_ffbh_u32_e32 v62, v24
	v_min_u32_e32 v64, 32, v62
	v_subrev_u32_e32 v62, 28, v64
	v_lshlrev_b64 v[62:63], v62, v[14:15]
	v_lshrrev_b32_e32 v31, 3, v25
	v_sub_u32_e32 v63, 29, v64
	v_cmp_gt_u32_e32 vcc, 8, v25
	v_lshlrev_b32_e32 v14, 8, v14
	s_nop 0
	v_cndmask_b32_e32 v25, v31, v63, vcc
	v_lshl_add_u32 v25, v25, 10, v41
	v_and_b32_e32 v31, 7, v62
	v_and_or_b32 v14, v14, s30, v25
	v_cndmask_b32_e32 v24, v24, v31, vcc
	v_lshlrev_b32_e32 v14, 16, v14
	v_lshl_or_b32 v24, v24, 23, v14
.LBB259_873:                            ;   in Loop: Header=BB259_626 Depth=1
	s_or_b64 exec, exec, s[20:21]
.LBB259_874:                            ;   in Loop: Header=BB259_626 Depth=1
	s_or_b64 exec, exec, s[18:19]
.LBB259_875:                            ;   in Loop: Header=BB259_626 Depth=1
	s_or_b64 exec, exec, s[16:17]
	v_cvt_f32_f16_sdwa v63, v1 dst_sel:DWORD dst_unused:UNUSED_PAD src0_sel:WORD_1
	v_cvt_f32_f16_sdwa v62, v27 dst_sel:DWORD dst_unused:UNUSED_PAD src0_sel:WORD_1
	v_or_b32_e32 v1, v1, v23
	v_or_b32_e32 v14, v27, v26
	;; [unrolled: 1-line block ×3, first 2 shown]
	s_waitcnt vmcnt(0)
	v_pk_mul_f32 v[26:27], v[22:23], v[62:63] op_sel_hi:[0,1]
	v_cvt_f32_f16_e32 v62, v14
	v_cvt_f32_f16_e32 v63, v1
	v_cvt_pk_f16_f32 v1, v26, v27
	v_and_b32_e32 v23, 0xffff0000, v1
	v_lshlrev_b32_e32 v14, 16, v1
	v_pk_mul_f32 v[26:27], v[22:23], v[62:63] op_sel_hi:[0,1]
	v_cvt_pk_f16_f32 v1, v26, v27
	v_or_b32_e32 v27, v30, v29
	v_cvt_f32_f16_e32 v28, v28
	v_cvt_f32_f16_e32 v29, v27
	v_cvt_f32_f16_sdwa v31, v30 dst_sel:DWORD dst_unused:UNUSED_PAD src0_sel:WORD_1
	v_cvt_f32_f16_sdwa v30, v24 dst_sel:DWORD dst_unused:UNUSED_PAD src0_sel:WORD_1
	v_lshrrev_b32_e32 v25, 16, v1
	v_pk_mul_f32 v[28:29], v[22:23], v[28:29] op_sel_hi:[0,1]
	v_cvt_pk_f16_f32 v62, v28, v29
	v_pk_mul_f32 v[28:29], v[22:23], v[30:31] op_sel_hi:[0,1]
	v_cvt_pk_f16_f32 v22, v28, v29
	v_and_b32_e32 v26, 0xffff, v1
	v_and_b32_e32 v27, 0xffff0000, v22
	v_lshlrev_b32_e32 v22, 16, v22
	v_lshrrev_b32_e32 v29, 16, v62
	v_and_b32_e32 v28, 0xffff, v62
	v_or_b32_e32 v1, v23, v25
	v_or_b32_e32 v24, v14, v26
	v_or_b32_e32 v31, v27, v29
	v_or_b32_e32 v30, v22, v28
	s_and_saveexec_b64 s[16:17], s[0:1]
	s_cbranch_execz .LBB259_877
; %bb.876:                              ;   in Loop: Header=BB259_626 Depth=1
	v_cmp_gt_i32_e32 vcc, s38, v42
	s_nop 1
	v_cndmask_b32_e32 v1, 0, v25, vcc
	v_cmp_gt_i32_e32 vcc, s33, v53
	s_nop 1
	v_cndmask_b32_e32 v24, 0, v26, vcc
	;; [unrolled: 3-line block ×3, first 2 shown]
	v_cmp_gt_i32_e32 vcc, s33, v51
	v_or_b32_e32 v1, v23, v1
	s_nop 0
	v_cndmask_b32_e32 v14, 0, v14, vcc
	v_cmp_gt_i32_e32 vcc, s38, v46
	v_or_b32_e32 v24, v14, v24
	s_nop 0
	v_cndmask_b32_e32 v14, 0, v29, vcc
	v_cmp_gt_i32_e32 vcc, s33, v45
	s_nop 1
	v_cndmask_b32_e32 v23, 0, v28, vcc
	v_cmp_gt_i32_e32 vcc, s38, v44
	;; [unrolled: 3-line block ×3, first 2 shown]
	v_or_b32_e32 v31, v25, v14
	s_nop 0
	v_cndmask_b32_e32 v22, 0, v22, vcc
	v_or_b32_e32 v30, v22, v23
.LBB259_877:                            ;   in Loop: Header=BB259_626 Depth=1
	s_or_b64 exec, exec, s[16:17]
	;;#ASMSTART
	v_pk_mul_f16 v1, v50, v1;

	;;#ASMEND
	;;#ASMSTART
	v_pk_mul_f16 v14, v49, v24;

	;;#ASMEND
	;; [unrolled: 4-line block ×4, first 2 shown]
	s_nop 0
	;;#ASMSTART
	v_pk_add_f16 v1, v1, v14;

	;;#ASMEND
	s_nop 0
	;;#ASMSTART
	v_pk_add_f16 v1, v1, v22;

	;;#ASMEND
	;; [unrolled: 5-line block ×3, first 2 shown]
	v_mov_b32_e32 v23, 0
	v_lshrrev_b32_e32 v14, 16, v1
	v_and_b32_e32 v1, 0xffff, v1
	;;#ASMSTART
	v_cvt_f32_f16 v62, v1;
	;;#ASMEND
	;;#ASMSTART
	v_cvt_f32_f16 v63, v14;
	;;#ASMEND
	global_load_dwordx2 v[24:25], v[20:21], off offset:2560
	v_mov_b32_e32 v1, 0
	global_load_dword v22, v1, s[14:15]
	s_waitcnt vmcnt(1)
	v_cmp_ne_u16_sdwa s[18:19], v24, v15 src0_sel:BYTE_0 src1_sel:DWORD
	s_and_saveexec_b64 s[16:17], s[18:19]
	s_cbranch_execz .LBB259_883
; %bb.878:                              ;   in Loop: Header=BB259_626 Depth=1
	v_cmp_ne_u16_sdwa s[20:21], v24, s28 src0_sel:BYTE_0 src1_sel:DWORD
	v_mov_b32_e32 v23, 0x8000
	s_and_saveexec_b64 s[18:19], s[20:21]
	s_cbranch_execz .LBB259_882
; %bb.879:                              ;   in Loop: Header=BB259_626 Depth=1
	v_and_b32_e32 v14, 0x7f, v24
	v_cmp_ne_u32_e32 vcc, s29, v14
	v_mov_b32_e32 v23, 0x7c01
	s_and_saveexec_b64 s[20:21], vcc
	s_cbranch_execz .LBB259_881
; %bb.880:                              ;   in Loop: Header=BB259_626 Depth=1
	v_and_b32_e32 v23, 7, v24
	v_ffbh_u32_e32 v26, v23
	v_min_u32_e32 v29, 32, v26
	v_subrev_u32_e32 v26, 28, v29
	v_lshlrev_b64 v[26:27], v26, v[24:25]
	v_lshrrev_b32_e32 v28, 3, v14
	v_sub_u32_e32 v27, 29, v29
	v_cmp_gt_u32_e32 vcc, 8, v14
	v_and_b32_e32 v26, 7, v26
	s_nop 0
	v_cndmask_b32_e32 v14, v28, v27, vcc
	v_lshl_add_u32 v14, v14, 10, v41
	v_lshlrev_b32_e32 v27, 8, v24
	v_and_b32_e32 v14, 0xfc00, v14
	v_cndmask_b32_e32 v23, v23, v26, vcc
	v_and_or_b32 v14, v27, s30, v14
	v_lshl_or_b32 v23, v23, 7, v14
.LBB259_881:                            ;   in Loop: Header=BB259_626 Depth=1
	s_or_b64 exec, exec, s[20:21]
.LBB259_882:                            ;   in Loop: Header=BB259_626 Depth=1
	s_or_b64 exec, exec, s[18:19]
.LBB259_883:                            ;   in Loop: Header=BB259_626 Depth=1
	s_or_b64 exec, exec, s[16:17]
	v_lshrrev_b16_e32 v14, 8, v24
	v_cmp_ne_u16_e32 vcc, 0, v14
	s_and_saveexec_b64 s[16:17], vcc
	s_cbranch_execz .LBB259_889
; %bb.884:                              ;   in Loop: Header=BB259_626 Depth=1
	v_cmp_ne_u16_e32 vcc, s28, v14
	v_bfrev_b32_e32 v1, 1
	s_and_saveexec_b64 s[18:19], vcc
	s_cbranch_execz .LBB259_888
; %bb.885:                              ;   in Loop: Header=BB259_626 Depth=1
	v_and_b32_e32 v26, 0x7f, v14
	v_cmp_ne_u32_e32 vcc, s29, v26
	v_mov_b32_e32 v1, 0x7c010000
	s_and_saveexec_b64 s[20:21], vcc
	s_cbranch_execz .LBB259_887
; %bb.886:                              ;   in Loop: Header=BB259_626 Depth=1
	v_and_b32_e32 v1, 7, v14
	v_ffbh_u32_e32 v28, v1
	v_min_u32_e32 v30, 32, v28
	v_subrev_u32_e32 v28, 28, v30
	v_lshlrev_b64 v[28:29], v28, v[14:15]
	v_lshrrev_b32_e32 v27, 3, v26
	v_sub_u32_e32 v29, 29, v30
	v_cmp_gt_u32_e32 vcc, 8, v26
	v_lshlrev_b32_e32 v14, 8, v14
	s_nop 0
	v_cndmask_b32_e32 v26, v27, v29, vcc
	v_lshl_add_u32 v26, v26, 10, v41
	v_and_b32_e32 v27, 7, v28
	v_and_or_b32 v14, v14, s30, v26
	v_cndmask_b32_e32 v1, v1, v27, vcc
	v_lshlrev_b32_e32 v14, 16, v14
	v_lshl_or_b32 v1, v1, 23, v14
.LBB259_887:                            ;   in Loop: Header=BB259_626 Depth=1
	s_or_b64 exec, exec, s[20:21]
.LBB259_888:                            ;   in Loop: Header=BB259_626 Depth=1
	s_or_b64 exec, exec, s[18:19]
.LBB259_889:                            ;   in Loop: Header=BB259_626 Depth=1
	s_or_b64 exec, exec, s[16:17]
	v_lshrrev_b32_e32 v14, 16, v24
	v_cmp_ne_u16_sdwa s[18:19], v14, v15 src0_sel:BYTE_0 src1_sel:DWORD
	v_mov_b32_e32 v27, 0
	v_mov_b32_e32 v26, 0
	s_and_saveexec_b64 s[16:17], s[18:19]
	s_cbranch_execz .LBB259_895
; %bb.890:                              ;   in Loop: Header=BB259_626 Depth=1
	v_cmp_ne_u16_sdwa s[20:21], v14, s28 src0_sel:BYTE_0 src1_sel:DWORD
	v_mov_b32_e32 v26, 0x8000
	s_and_saveexec_b64 s[18:19], s[20:21]
	s_cbranch_execz .LBB259_894
; %bb.891:                              ;   in Loop: Header=BB259_626 Depth=1
	v_bfe_u32 v28, v24, 16, 7
	v_cmp_ne_u32_e32 vcc, s29, v28
	v_mov_b32_e32 v26, 0x7c01
	s_and_saveexec_b64 s[20:21], vcc
	s_cbranch_execz .LBB259_893
; %bb.892:                              ;   in Loop: Header=BB259_626 Depth=1
	v_and_b32_e32 v26, 7, v14
	v_ffbh_u32_e32 v30, v26
	v_min_u32_e32 v64, 32, v30
	v_subrev_u32_e32 v30, 28, v64
	v_lshlrev_b64 v[30:31], v30, v[14:15]
	v_lshrrev_b32_e32 v29, 3, v28
	v_sub_u32_e32 v31, 29, v64
	v_cmp_gt_u32_e32 vcc, 8, v28
	v_lshlrev_b32_e32 v14, 8, v14
	s_nop 0
	v_cndmask_b32_e32 v28, v29, v31, vcc
	v_lshl_add_u32 v28, v28, 10, v41
	v_and_b32_e32 v29, 7, v30
	v_and_b32_e32 v28, 0xfc00, v28
	v_cndmask_b32_e32 v26, v26, v29, vcc
	v_and_or_b32 v14, v14, s30, v28
	v_lshl_or_b32 v26, v26, 7, v14
.LBB259_893:                            ;   in Loop: Header=BB259_626 Depth=1
	s_or_b64 exec, exec, s[20:21]
.LBB259_894:                            ;   in Loop: Header=BB259_626 Depth=1
	s_or_b64 exec, exec, s[18:19]
.LBB259_895:                            ;   in Loop: Header=BB259_626 Depth=1
	s_or_b64 exec, exec, s[16:17]
	v_cmp_lt_u32_e32 vcc, s7, v24
	s_and_saveexec_b64 s[16:17], vcc
	s_cbranch_execz .LBB259_901
; %bb.896:                              ;   in Loop: Header=BB259_626 Depth=1
	v_lshrrev_b32_e32 v14, 24, v24
	v_cmp_ne_u32_e32 vcc, s28, v14
	v_bfrev_b32_e32 v27, 1
	s_and_saveexec_b64 s[18:19], vcc
	s_cbranch_execz .LBB259_900
; %bb.897:                              ;   in Loop: Header=BB259_626 Depth=1
	v_and_b32_e32 v28, 0x7f, v14
	v_cmp_ne_u32_e32 vcc, s29, v28
	v_mov_b32_e32 v27, 0x7c010000
	s_and_saveexec_b64 s[20:21], vcc
	s_cbranch_execz .LBB259_899
; %bb.898:                              ;   in Loop: Header=BB259_626 Depth=1
	v_and_b32_e32 v27, 7, v14
	v_ffbh_u32_e32 v30, v27
	v_min_u32_e32 v64, 32, v30
	v_subrev_u32_e32 v30, 28, v64
	v_lshlrev_b64 v[30:31], v30, v[14:15]
	v_lshrrev_b32_e32 v29, 3, v28
	v_sub_u32_e32 v31, 29, v64
	v_cmp_gt_u32_e32 vcc, 8, v28
	v_lshlrev_b32_e32 v14, 8, v14
	s_nop 0
	v_cndmask_b32_e32 v28, v29, v31, vcc
	v_lshl_add_u32 v28, v28, 10, v41
	v_and_b32_e32 v29, 7, v30
	v_and_or_b32 v14, v14, s30, v28
	v_cndmask_b32_e32 v27, v27, v29, vcc
	v_lshlrev_b32_e32 v14, 16, v14
	v_lshl_or_b32 v27, v27, 23, v14
.LBB259_899:                            ;   in Loop: Header=BB259_626 Depth=1
	s_or_b64 exec, exec, s[20:21]
.LBB259_900:                            ;   in Loop: Header=BB259_626 Depth=1
	s_or_b64 exec, exec, s[18:19]
.LBB259_901:                            ;   in Loop: Header=BB259_626 Depth=1
	s_or_b64 exec, exec, s[16:17]
	v_mov_b32_e32 v14, v25
	v_cmp_ne_u16_sdwa s[18:19], v25, v15 src0_sel:BYTE_0 src1_sel:DWORD
	v_mov_b32_e32 v28, 0
	v_mov_b32_e32 v29, 0
	s_and_saveexec_b64 s[16:17], s[18:19]
	s_cbranch_execz .LBB259_907
; %bb.902:                              ;   in Loop: Header=BB259_626 Depth=1
	v_cmp_ne_u16_sdwa s[20:21], v25, s28 src0_sel:BYTE_0 src1_sel:DWORD
	v_mov_b32_e32 v29, 0x8000
	s_and_saveexec_b64 s[18:19], s[20:21]
	s_cbranch_execz .LBB259_906
; %bb.903:                              ;   in Loop: Header=BB259_626 Depth=1
	v_and_b32_e32 v30, 0x7f, v25
	v_cmp_ne_u32_e32 vcc, s29, v30
	v_mov_b32_e32 v29, 0x7c01
	s_and_saveexec_b64 s[20:21], vcc
	s_cbranch_execz .LBB259_905
; %bb.904:                              ;   in Loop: Header=BB259_626 Depth=1
	v_and_b32_e32 v29, 7, v25
	v_ffbh_u32_e32 v64, v29
	v_min_u32_e32 v66, 32, v64
	v_subrev_u32_e32 v64, 28, v66
	v_lshlrev_b64 v[64:65], v64, v[14:15]
	v_lshrrev_b32_e32 v31, 3, v30
	v_sub_u32_e32 v65, 29, v66
	v_cmp_gt_u32_e32 vcc, 8, v30
	v_and_b32_e32 v64, 7, v64
	s_nop 0
	v_cndmask_b32_e32 v30, v31, v65, vcc
	v_lshl_add_u32 v30, v30, 10, v41
	v_lshlrev_b32_e32 v31, 8, v25
	v_and_b32_e32 v30, 0xfc00, v30
	v_cndmask_b32_e32 v29, v29, v64, vcc
	v_and_or_b32 v30, v31, s30, v30
	v_lshl_or_b32 v29, v29, 7, v30
.LBB259_905:                            ;   in Loop: Header=BB259_626 Depth=1
	s_or_b64 exec, exec, s[20:21]
.LBB259_906:                            ;   in Loop: Header=BB259_626 Depth=1
	s_or_b64 exec, exec, s[18:19]
.LBB259_907:                            ;   in Loop: Header=BB259_626 Depth=1
	s_or_b64 exec, exec, s[16:17]
	v_lshrrev_b16_e32 v14, 8, v14
	v_cmp_ne_u16_e32 vcc, 0, v14
	v_mov_b32_e32 v30, 0
	s_and_saveexec_b64 s[16:17], vcc
	s_cbranch_execz .LBB259_913
; %bb.908:                              ;   in Loop: Header=BB259_626 Depth=1
	v_cmp_ne_u16_e32 vcc, s28, v14
	v_bfrev_b32_e32 v30, 1
	s_and_saveexec_b64 s[18:19], vcc
	s_cbranch_execz .LBB259_912
; %bb.909:                              ;   in Loop: Header=BB259_626 Depth=1
	v_and_b32_e32 v31, 0x7f, v14
	v_cmp_ne_u32_e32 vcc, s29, v31
	v_mov_b32_e32 v30, 0x7c010000
	s_and_saveexec_b64 s[20:21], vcc
	s_cbranch_execz .LBB259_911
; %bb.910:                              ;   in Loop: Header=BB259_626 Depth=1
	v_and_b32_e32 v30, 7, v14
	v_ffbh_u32_e32 v64, v30
	v_min_u32_e32 v67, 32, v64
	v_subrev_u32_e32 v64, 28, v67
	v_lshlrev_b64 v[64:65], v64, v[14:15]
	v_lshrrev_b32_e32 v66, 3, v31
	v_sub_u32_e32 v65, 29, v67
	v_cmp_gt_u32_e32 vcc, 8, v31
	v_lshlrev_b32_e32 v14, 8, v14
	v_and_b32_e32 v64, 7, v64
	v_cndmask_b32_e32 v31, v66, v65, vcc
	v_lshl_add_u32 v31, v31, 10, v41
	v_and_or_b32 v14, v14, s30, v31
	v_cndmask_b32_e32 v30, v30, v64, vcc
	v_lshlrev_b32_e32 v14, 16, v14
	v_lshl_or_b32 v30, v30, 23, v14
.LBB259_911:                            ;   in Loop: Header=BB259_626 Depth=1
	s_or_b64 exec, exec, s[20:21]
.LBB259_912:                            ;   in Loop: Header=BB259_626 Depth=1
	s_or_b64 exec, exec, s[18:19]
.LBB259_913:                            ;   in Loop: Header=BB259_626 Depth=1
	s_or_b64 exec, exec, s[16:17]
	v_lshrrev_b32_e32 v14, 16, v25
	v_cmp_ne_u16_sdwa s[18:19], v14, v15 src0_sel:BYTE_0 src1_sel:DWORD
	s_and_saveexec_b64 s[16:17], s[18:19]
	s_cbranch_execz .LBB259_919
; %bb.914:                              ;   in Loop: Header=BB259_626 Depth=1
	v_cmp_ne_u16_sdwa s[20:21], v14, s28 src0_sel:BYTE_0 src1_sel:DWORD
	v_mov_b32_e32 v28, 0x8000
	s_and_saveexec_b64 s[18:19], s[20:21]
	s_cbranch_execz .LBB259_918
; %bb.915:                              ;   in Loop: Header=BB259_626 Depth=1
	v_bfe_u32 v31, v25, 16, 7
	v_cmp_ne_u32_e32 vcc, s29, v31
	v_mov_b32_e32 v28, 0x7c01
	s_and_saveexec_b64 s[20:21], vcc
	s_cbranch_execz .LBB259_917
; %bb.916:                              ;   in Loop: Header=BB259_626 Depth=1
	v_and_b32_e32 v28, 7, v14
	v_ffbh_u32_e32 v64, v28
	v_min_u32_e32 v67, 32, v64
	v_subrev_u32_e32 v64, 28, v67
	v_lshlrev_b64 v[64:65], v64, v[14:15]
	v_lshrrev_b32_e32 v66, 3, v31
	v_sub_u32_e32 v65, 29, v67
	v_cmp_gt_u32_e32 vcc, 8, v31
	v_lshlrev_b32_e32 v14, 8, v14
	v_and_b32_e32 v64, 7, v64
	v_cndmask_b32_e32 v31, v66, v65, vcc
	v_lshl_add_u32 v31, v31, 10, v41
	v_and_b32_e32 v31, 0xfc00, v31
	v_cndmask_b32_e32 v28, v28, v64, vcc
	v_and_or_b32 v14, v14, s30, v31
	v_lshl_or_b32 v28, v28, 7, v14
.LBB259_917:                            ;   in Loop: Header=BB259_626 Depth=1
	s_or_b64 exec, exec, s[20:21]
.LBB259_918:                            ;   in Loop: Header=BB259_626 Depth=1
	s_or_b64 exec, exec, s[18:19]
.LBB259_919:                            ;   in Loop: Header=BB259_626 Depth=1
	s_or_b64 exec, exec, s[16:17]
	v_cmp_lt_u64_e32 vcc, s[6:7], v[24:25]
	v_mov_b32_e32 v24, 0
	s_and_saveexec_b64 s[16:17], vcc
	s_cbranch_execz .LBB259_925
; %bb.920:                              ;   in Loop: Header=BB259_626 Depth=1
	v_lshrrev_b32_e32 v14, 24, v25
	v_cmp_ne_u32_e32 vcc, s28, v14
	v_bfrev_b32_e32 v24, 1
	s_and_saveexec_b64 s[18:19], vcc
	s_cbranch_execz .LBB259_924
; %bb.921:                              ;   in Loop: Header=BB259_626 Depth=1
	v_and_b32_e32 v25, 0x7f, v14
	v_cmp_ne_u32_e32 vcc, s29, v25
	v_mov_b32_e32 v24, 0x7c010000
	s_and_saveexec_b64 s[20:21], vcc
	s_cbranch_execz .LBB259_923
; %bb.922:                              ;   in Loop: Header=BB259_626 Depth=1
	v_and_b32_e32 v24, 7, v14
	v_ffbh_u32_e32 v64, v24
	v_min_u32_e32 v66, 32, v64
	v_subrev_u32_e32 v64, 28, v66
	v_lshlrev_b64 v[64:65], v64, v[14:15]
	v_lshrrev_b32_e32 v31, 3, v25
	v_sub_u32_e32 v65, 29, v66
	v_cmp_gt_u32_e32 vcc, 8, v25
	v_lshlrev_b32_e32 v14, 8, v14
	s_nop 0
	v_cndmask_b32_e32 v25, v31, v65, vcc
	v_lshl_add_u32 v25, v25, 10, v41
	v_and_b32_e32 v31, 7, v64
	v_and_or_b32 v14, v14, s30, v25
	v_cndmask_b32_e32 v24, v24, v31, vcc
	v_lshlrev_b32_e32 v14, 16, v14
	v_lshl_or_b32 v24, v24, 23, v14
.LBB259_923:                            ;   in Loop: Header=BB259_626 Depth=1
	s_or_b64 exec, exec, s[20:21]
.LBB259_924:                            ;   in Loop: Header=BB259_626 Depth=1
	s_or_b64 exec, exec, s[18:19]
.LBB259_925:                            ;   in Loop: Header=BB259_626 Depth=1
	s_or_b64 exec, exec, s[16:17]
	v_cvt_f32_f16_sdwa v65, v1 dst_sel:DWORD dst_unused:UNUSED_PAD src0_sel:WORD_1
	v_cvt_f32_f16_sdwa v64, v27 dst_sel:DWORD dst_unused:UNUSED_PAD src0_sel:WORD_1
	v_or_b32_e32 v1, v1, v23
	v_or_b32_e32 v14, v27, v26
	v_or_b32_e32 v28, v24, v28
	s_waitcnt vmcnt(0)
	v_pk_mul_f32 v[26:27], v[22:23], v[64:65] op_sel_hi:[0,1]
	v_cvt_f32_f16_e32 v64, v14
	v_cvt_f32_f16_e32 v65, v1
	v_cvt_pk_f16_f32 v1, v26, v27
	v_and_b32_e32 v23, 0xffff0000, v1
	v_lshlrev_b32_e32 v14, 16, v1
	v_pk_mul_f32 v[26:27], v[22:23], v[64:65] op_sel_hi:[0,1]
	v_cvt_pk_f16_f32 v1, v26, v27
	v_or_b32_e32 v27, v30, v29
	v_cvt_f32_f16_e32 v28, v28
	v_cvt_f32_f16_e32 v29, v27
	v_cvt_f32_f16_sdwa v31, v30 dst_sel:DWORD dst_unused:UNUSED_PAD src0_sel:WORD_1
	v_cvt_f32_f16_sdwa v30, v24 dst_sel:DWORD dst_unused:UNUSED_PAD src0_sel:WORD_1
	v_lshrrev_b32_e32 v25, 16, v1
	v_pk_mul_f32 v[28:29], v[22:23], v[28:29] op_sel_hi:[0,1]
	v_cvt_pk_f16_f32 v64, v28, v29
	v_pk_mul_f32 v[28:29], v[22:23], v[30:31] op_sel_hi:[0,1]
	v_cvt_pk_f16_f32 v22, v28, v29
	v_and_b32_e32 v26, 0xffff, v1
	v_and_b32_e32 v27, 0xffff0000, v22
	v_lshlrev_b32_e32 v22, 16, v22
	v_lshrrev_b32_e32 v29, 16, v64
	v_and_b32_e32 v28, 0xffff, v64
	v_or_b32_e32 v1, v23, v25
	v_or_b32_e32 v24, v14, v26
	;; [unrolled: 1-line block ×4, first 2 shown]
	s_and_saveexec_b64 s[16:17], s[0:1]
	s_cbranch_execz .LBB259_927
; %bb.926:                              ;   in Loop: Header=BB259_626 Depth=1
	v_cmp_gt_i32_e32 vcc, s38, v42
	s_nop 1
	v_cndmask_b32_e32 v1, 0, v25, vcc
	v_cmp_gt_i32_e32 vcc, s33, v53
	s_nop 1
	v_cndmask_b32_e32 v24, 0, v26, vcc
	;; [unrolled: 3-line block ×3, first 2 shown]
	v_cmp_gt_i32_e32 vcc, s33, v51
	v_or_b32_e32 v1, v23, v1
	s_nop 0
	v_cndmask_b32_e32 v14, 0, v14, vcc
	v_cmp_gt_i32_e32 vcc, s38, v46
	v_or_b32_e32 v24, v14, v24
	s_nop 0
	v_cndmask_b32_e32 v14, 0, v29, vcc
	v_cmp_gt_i32_e32 vcc, s33, v45
	s_nop 1
	v_cndmask_b32_e32 v23, 0, v28, vcc
	v_cmp_gt_i32_e32 vcc, s38, v44
	s_nop 1
	v_cndmask_b32_e32 v25, 0, v27, vcc
	v_cmp_gt_i32_e32 vcc, s33, v43
	v_or_b32_e32 v31, v25, v14
	s_nop 0
	v_cndmask_b32_e32 v22, 0, v22, vcc
	v_or_b32_e32 v30, v22, v23
.LBB259_927:                            ;   in Loop: Header=BB259_626 Depth=1
	s_or_b64 exec, exec, s[16:17]
	;;#ASMSTART
	v_pk_mul_f16 v1, v50, v1;

	;;#ASMEND
	;;#ASMSTART
	v_pk_mul_f16 v14, v49, v24;

	;;#ASMEND
	;;#ASMSTART
	v_pk_mul_f16 v22, v48, v31;

	;;#ASMEND
	;;#ASMSTART
	v_pk_mul_f16 v23, v47, v30;

	;;#ASMEND
	s_nop 0
	;;#ASMSTART
	v_pk_add_f16 v1, v1, v14;

	;;#ASMEND
	s_nop 0
	;;#ASMSTART
	v_pk_add_f16 v1, v1, v22;

	;;#ASMEND
	s_nop 0
	;;#ASMSTART
	v_pk_add_f16 v1, v1, v23;

	;;#ASMEND
	v_mov_b32_e32 v23, 0
	v_lshrrev_b32_e32 v14, 16, v1
	v_and_b32_e32 v1, 0xffff, v1
	;;#ASMSTART
	v_cvt_f32_f16 v64, v1;
	;;#ASMEND
	;;#ASMSTART
	v_cvt_f32_f16 v65, v14;
	;;#ASMEND
	global_load_dwordx2 v[24:25], v[20:21], off offset:3072
	v_mov_b32_e32 v1, 0
	global_load_dword v22, v1, s[14:15]
	s_waitcnt vmcnt(1)
	v_cmp_ne_u16_sdwa s[18:19], v24, v15 src0_sel:BYTE_0 src1_sel:DWORD
	s_and_saveexec_b64 s[16:17], s[18:19]
	s_cbranch_execz .LBB259_933
; %bb.928:                              ;   in Loop: Header=BB259_626 Depth=1
	v_cmp_ne_u16_sdwa s[20:21], v24, s28 src0_sel:BYTE_0 src1_sel:DWORD
	v_mov_b32_e32 v23, 0x8000
	s_and_saveexec_b64 s[18:19], s[20:21]
	s_cbranch_execz .LBB259_932
; %bb.929:                              ;   in Loop: Header=BB259_626 Depth=1
	v_and_b32_e32 v14, 0x7f, v24
	v_cmp_ne_u32_e32 vcc, s29, v14
	v_mov_b32_e32 v23, 0x7c01
	s_and_saveexec_b64 s[20:21], vcc
	s_cbranch_execz .LBB259_931
; %bb.930:                              ;   in Loop: Header=BB259_626 Depth=1
	v_and_b32_e32 v23, 7, v24
	v_ffbh_u32_e32 v26, v23
	v_min_u32_e32 v29, 32, v26
	v_subrev_u32_e32 v26, 28, v29
	v_lshlrev_b64 v[26:27], v26, v[24:25]
	v_lshrrev_b32_e32 v28, 3, v14
	v_sub_u32_e32 v27, 29, v29
	v_cmp_gt_u32_e32 vcc, 8, v14
	v_and_b32_e32 v26, 7, v26
	s_nop 0
	v_cndmask_b32_e32 v14, v28, v27, vcc
	v_lshl_add_u32 v14, v14, 10, v41
	v_lshlrev_b32_e32 v27, 8, v24
	v_and_b32_e32 v14, 0xfc00, v14
	v_cndmask_b32_e32 v23, v23, v26, vcc
	v_and_or_b32 v14, v27, s30, v14
	v_lshl_or_b32 v23, v23, 7, v14
.LBB259_931:                            ;   in Loop: Header=BB259_626 Depth=1
	s_or_b64 exec, exec, s[20:21]
.LBB259_932:                            ;   in Loop: Header=BB259_626 Depth=1
	s_or_b64 exec, exec, s[18:19]
.LBB259_933:                            ;   in Loop: Header=BB259_626 Depth=1
	s_or_b64 exec, exec, s[16:17]
	v_lshrrev_b16_e32 v14, 8, v24
	v_cmp_ne_u16_e32 vcc, 0, v14
	s_and_saveexec_b64 s[16:17], vcc
	s_cbranch_execz .LBB259_939
; %bb.934:                              ;   in Loop: Header=BB259_626 Depth=1
	v_cmp_ne_u16_e32 vcc, s28, v14
	v_bfrev_b32_e32 v1, 1
	s_and_saveexec_b64 s[18:19], vcc
	s_cbranch_execz .LBB259_938
; %bb.935:                              ;   in Loop: Header=BB259_626 Depth=1
	v_and_b32_e32 v26, 0x7f, v14
	v_cmp_ne_u32_e32 vcc, s29, v26
	v_mov_b32_e32 v1, 0x7c010000
	s_and_saveexec_b64 s[20:21], vcc
	s_cbranch_execz .LBB259_937
; %bb.936:                              ;   in Loop: Header=BB259_626 Depth=1
	v_and_b32_e32 v1, 7, v14
	v_ffbh_u32_e32 v28, v1
	v_min_u32_e32 v30, 32, v28
	v_subrev_u32_e32 v28, 28, v30
	v_lshlrev_b64 v[28:29], v28, v[14:15]
	v_lshrrev_b32_e32 v27, 3, v26
	v_sub_u32_e32 v29, 29, v30
	v_cmp_gt_u32_e32 vcc, 8, v26
	v_lshlrev_b32_e32 v14, 8, v14
	s_nop 0
	v_cndmask_b32_e32 v26, v27, v29, vcc
	v_lshl_add_u32 v26, v26, 10, v41
	v_and_b32_e32 v27, 7, v28
	v_and_or_b32 v14, v14, s30, v26
	v_cndmask_b32_e32 v1, v1, v27, vcc
	v_lshlrev_b32_e32 v14, 16, v14
	v_lshl_or_b32 v1, v1, 23, v14
.LBB259_937:                            ;   in Loop: Header=BB259_626 Depth=1
	s_or_b64 exec, exec, s[20:21]
.LBB259_938:                            ;   in Loop: Header=BB259_626 Depth=1
	s_or_b64 exec, exec, s[18:19]
.LBB259_939:                            ;   in Loop: Header=BB259_626 Depth=1
	s_or_b64 exec, exec, s[16:17]
	v_lshrrev_b32_e32 v14, 16, v24
	v_cmp_ne_u16_sdwa s[18:19], v14, v15 src0_sel:BYTE_0 src1_sel:DWORD
	v_mov_b32_e32 v27, 0
	v_mov_b32_e32 v26, 0
	s_and_saveexec_b64 s[16:17], s[18:19]
	s_cbranch_execz .LBB259_945
; %bb.940:                              ;   in Loop: Header=BB259_626 Depth=1
	v_cmp_ne_u16_sdwa s[20:21], v14, s28 src0_sel:BYTE_0 src1_sel:DWORD
	v_mov_b32_e32 v26, 0x8000
	s_and_saveexec_b64 s[18:19], s[20:21]
	s_cbranch_execz .LBB259_944
; %bb.941:                              ;   in Loop: Header=BB259_626 Depth=1
	v_bfe_u32 v28, v24, 16, 7
	v_cmp_ne_u32_e32 vcc, s29, v28
	v_mov_b32_e32 v26, 0x7c01
	s_and_saveexec_b64 s[20:21], vcc
	s_cbranch_execz .LBB259_943
; %bb.942:                              ;   in Loop: Header=BB259_626 Depth=1
	v_and_b32_e32 v26, 7, v14
	v_ffbh_u32_e32 v30, v26
	v_min_u32_e32 v66, 32, v30
	v_subrev_u32_e32 v30, 28, v66
	v_lshlrev_b64 v[30:31], v30, v[14:15]
	v_lshrrev_b32_e32 v29, 3, v28
	v_sub_u32_e32 v31, 29, v66
	v_cmp_gt_u32_e32 vcc, 8, v28
	v_lshlrev_b32_e32 v14, 8, v14
	s_nop 0
	v_cndmask_b32_e32 v28, v29, v31, vcc
	v_lshl_add_u32 v28, v28, 10, v41
	v_and_b32_e32 v29, 7, v30
	v_and_b32_e32 v28, 0xfc00, v28
	v_cndmask_b32_e32 v26, v26, v29, vcc
	v_and_or_b32 v14, v14, s30, v28
	v_lshl_or_b32 v26, v26, 7, v14
.LBB259_943:                            ;   in Loop: Header=BB259_626 Depth=1
	s_or_b64 exec, exec, s[20:21]
.LBB259_944:                            ;   in Loop: Header=BB259_626 Depth=1
	s_or_b64 exec, exec, s[18:19]
.LBB259_945:                            ;   in Loop: Header=BB259_626 Depth=1
	s_or_b64 exec, exec, s[16:17]
	v_cmp_lt_u32_e32 vcc, s7, v24
	s_and_saveexec_b64 s[16:17], vcc
	s_cbranch_execz .LBB259_951
; %bb.946:                              ;   in Loop: Header=BB259_626 Depth=1
	v_lshrrev_b32_e32 v14, 24, v24
	v_cmp_ne_u32_e32 vcc, s28, v14
	v_bfrev_b32_e32 v27, 1
	s_and_saveexec_b64 s[18:19], vcc
	s_cbranch_execz .LBB259_950
; %bb.947:                              ;   in Loop: Header=BB259_626 Depth=1
	v_and_b32_e32 v28, 0x7f, v14
	v_cmp_ne_u32_e32 vcc, s29, v28
	v_mov_b32_e32 v27, 0x7c010000
	s_and_saveexec_b64 s[20:21], vcc
	s_cbranch_execz .LBB259_949
; %bb.948:                              ;   in Loop: Header=BB259_626 Depth=1
	v_and_b32_e32 v27, 7, v14
	v_ffbh_u32_e32 v30, v27
	v_min_u32_e32 v66, 32, v30
	v_subrev_u32_e32 v30, 28, v66
	v_lshlrev_b64 v[30:31], v30, v[14:15]
	v_lshrrev_b32_e32 v29, 3, v28
	v_sub_u32_e32 v31, 29, v66
	v_cmp_gt_u32_e32 vcc, 8, v28
	v_lshlrev_b32_e32 v14, 8, v14
	s_nop 0
	v_cndmask_b32_e32 v28, v29, v31, vcc
	v_lshl_add_u32 v28, v28, 10, v41
	v_and_b32_e32 v29, 7, v30
	v_and_or_b32 v14, v14, s30, v28
	v_cndmask_b32_e32 v27, v27, v29, vcc
	v_lshlrev_b32_e32 v14, 16, v14
	v_lshl_or_b32 v27, v27, 23, v14
.LBB259_949:                            ;   in Loop: Header=BB259_626 Depth=1
	s_or_b64 exec, exec, s[20:21]
.LBB259_950:                            ;   in Loop: Header=BB259_626 Depth=1
	s_or_b64 exec, exec, s[18:19]
.LBB259_951:                            ;   in Loop: Header=BB259_626 Depth=1
	s_or_b64 exec, exec, s[16:17]
	v_mov_b32_e32 v14, v25
	v_cmp_ne_u16_sdwa s[18:19], v25, v15 src0_sel:BYTE_0 src1_sel:DWORD
	v_mov_b32_e32 v28, 0
	v_mov_b32_e32 v29, 0
	s_and_saveexec_b64 s[16:17], s[18:19]
	s_cbranch_execz .LBB259_957
; %bb.952:                              ;   in Loop: Header=BB259_626 Depth=1
	v_cmp_ne_u16_sdwa s[20:21], v25, s28 src0_sel:BYTE_0 src1_sel:DWORD
	v_mov_b32_e32 v29, 0x8000
	s_and_saveexec_b64 s[18:19], s[20:21]
	s_cbranch_execz .LBB259_956
; %bb.953:                              ;   in Loop: Header=BB259_626 Depth=1
	v_and_b32_e32 v30, 0x7f, v25
	v_cmp_ne_u32_e32 vcc, s29, v30
	v_mov_b32_e32 v29, 0x7c01
	s_and_saveexec_b64 s[20:21], vcc
	s_cbranch_execz .LBB259_955
; %bb.954:                              ;   in Loop: Header=BB259_626 Depth=1
	v_and_b32_e32 v29, 7, v25
	v_ffbh_u32_e32 v66, v29
	v_min_u32_e32 v68, 32, v66
	v_subrev_u32_e32 v66, 28, v68
	v_lshlrev_b64 v[66:67], v66, v[14:15]
	v_lshrrev_b32_e32 v31, 3, v30
	v_sub_u32_e32 v67, 29, v68
	v_cmp_gt_u32_e32 vcc, 8, v30
	v_and_b32_e32 v66, 7, v66
	s_nop 0
	v_cndmask_b32_e32 v30, v31, v67, vcc
	v_lshl_add_u32 v30, v30, 10, v41
	v_lshlrev_b32_e32 v31, 8, v25
	v_and_b32_e32 v30, 0xfc00, v30
	v_cndmask_b32_e32 v29, v29, v66, vcc
	v_and_or_b32 v30, v31, s30, v30
	v_lshl_or_b32 v29, v29, 7, v30
.LBB259_955:                            ;   in Loop: Header=BB259_626 Depth=1
	s_or_b64 exec, exec, s[20:21]
.LBB259_956:                            ;   in Loop: Header=BB259_626 Depth=1
	s_or_b64 exec, exec, s[18:19]
.LBB259_957:                            ;   in Loop: Header=BB259_626 Depth=1
	s_or_b64 exec, exec, s[16:17]
	v_lshrrev_b16_e32 v14, 8, v14
	v_cmp_ne_u16_e32 vcc, 0, v14
	v_mov_b32_e32 v30, 0
	s_and_saveexec_b64 s[16:17], vcc
	s_cbranch_execz .LBB259_963
; %bb.958:                              ;   in Loop: Header=BB259_626 Depth=1
	v_cmp_ne_u16_e32 vcc, s28, v14
	v_bfrev_b32_e32 v30, 1
	s_and_saveexec_b64 s[18:19], vcc
	s_cbranch_execz .LBB259_962
; %bb.959:                              ;   in Loop: Header=BB259_626 Depth=1
	v_and_b32_e32 v31, 0x7f, v14
	v_cmp_ne_u32_e32 vcc, s29, v31
	v_mov_b32_e32 v30, 0x7c010000
	s_and_saveexec_b64 s[20:21], vcc
	s_cbranch_execz .LBB259_961
; %bb.960:                              ;   in Loop: Header=BB259_626 Depth=1
	v_and_b32_e32 v30, 7, v14
	v_ffbh_u32_e32 v66, v30
	v_min_u32_e32 v69, 32, v66
	v_subrev_u32_e32 v66, 28, v69
	v_lshlrev_b64 v[66:67], v66, v[14:15]
	v_lshrrev_b32_e32 v68, 3, v31
	v_sub_u32_e32 v67, 29, v69
	v_cmp_gt_u32_e32 vcc, 8, v31
	v_lshlrev_b32_e32 v14, 8, v14
	v_and_b32_e32 v66, 7, v66
	v_cndmask_b32_e32 v31, v68, v67, vcc
	v_lshl_add_u32 v31, v31, 10, v41
	v_and_or_b32 v14, v14, s30, v31
	v_cndmask_b32_e32 v30, v30, v66, vcc
	v_lshlrev_b32_e32 v14, 16, v14
	v_lshl_or_b32 v30, v30, 23, v14
.LBB259_961:                            ;   in Loop: Header=BB259_626 Depth=1
	s_or_b64 exec, exec, s[20:21]
.LBB259_962:                            ;   in Loop: Header=BB259_626 Depth=1
	s_or_b64 exec, exec, s[18:19]
.LBB259_963:                            ;   in Loop: Header=BB259_626 Depth=1
	s_or_b64 exec, exec, s[16:17]
	v_lshrrev_b32_e32 v14, 16, v25
	v_cmp_ne_u16_sdwa s[18:19], v14, v15 src0_sel:BYTE_0 src1_sel:DWORD
	s_and_saveexec_b64 s[16:17], s[18:19]
	s_cbranch_execz .LBB259_969
; %bb.964:                              ;   in Loop: Header=BB259_626 Depth=1
	v_cmp_ne_u16_sdwa s[20:21], v14, s28 src0_sel:BYTE_0 src1_sel:DWORD
	v_mov_b32_e32 v28, 0x8000
	s_and_saveexec_b64 s[18:19], s[20:21]
	s_cbranch_execz .LBB259_968
; %bb.965:                              ;   in Loop: Header=BB259_626 Depth=1
	v_bfe_u32 v31, v25, 16, 7
	v_cmp_ne_u32_e32 vcc, s29, v31
	v_mov_b32_e32 v28, 0x7c01
	s_and_saveexec_b64 s[20:21], vcc
	s_cbranch_execz .LBB259_967
; %bb.966:                              ;   in Loop: Header=BB259_626 Depth=1
	v_and_b32_e32 v28, 7, v14
	v_ffbh_u32_e32 v66, v28
	v_min_u32_e32 v69, 32, v66
	v_subrev_u32_e32 v66, 28, v69
	v_lshlrev_b64 v[66:67], v66, v[14:15]
	v_lshrrev_b32_e32 v68, 3, v31
	v_sub_u32_e32 v67, 29, v69
	v_cmp_gt_u32_e32 vcc, 8, v31
	v_lshlrev_b32_e32 v14, 8, v14
	v_and_b32_e32 v66, 7, v66
	v_cndmask_b32_e32 v31, v68, v67, vcc
	v_lshl_add_u32 v31, v31, 10, v41
	v_and_b32_e32 v31, 0xfc00, v31
	v_cndmask_b32_e32 v28, v28, v66, vcc
	v_and_or_b32 v14, v14, s30, v31
	v_lshl_or_b32 v28, v28, 7, v14
.LBB259_967:                            ;   in Loop: Header=BB259_626 Depth=1
	s_or_b64 exec, exec, s[20:21]
.LBB259_968:                            ;   in Loop: Header=BB259_626 Depth=1
	s_or_b64 exec, exec, s[18:19]
.LBB259_969:                            ;   in Loop: Header=BB259_626 Depth=1
	s_or_b64 exec, exec, s[16:17]
	v_cmp_lt_u64_e32 vcc, s[6:7], v[24:25]
	v_mov_b32_e32 v24, 0
	s_and_saveexec_b64 s[16:17], vcc
	s_cbranch_execz .LBB259_975
; %bb.970:                              ;   in Loop: Header=BB259_626 Depth=1
	v_lshrrev_b32_e32 v14, 24, v25
	v_cmp_ne_u32_e32 vcc, s28, v14
	v_bfrev_b32_e32 v24, 1
	s_and_saveexec_b64 s[18:19], vcc
	s_cbranch_execz .LBB259_974
; %bb.971:                              ;   in Loop: Header=BB259_626 Depth=1
	v_and_b32_e32 v25, 0x7f, v14
	v_cmp_ne_u32_e32 vcc, s29, v25
	v_mov_b32_e32 v24, 0x7c010000
	s_and_saveexec_b64 s[20:21], vcc
	s_cbranch_execz .LBB259_973
; %bb.972:                              ;   in Loop: Header=BB259_626 Depth=1
	v_and_b32_e32 v24, 7, v14
	v_ffbh_u32_e32 v66, v24
	v_min_u32_e32 v68, 32, v66
	v_subrev_u32_e32 v66, 28, v68
	v_lshlrev_b64 v[66:67], v66, v[14:15]
	v_lshrrev_b32_e32 v31, 3, v25
	v_sub_u32_e32 v67, 29, v68
	v_cmp_gt_u32_e32 vcc, 8, v25
	v_lshlrev_b32_e32 v14, 8, v14
	s_nop 0
	v_cndmask_b32_e32 v25, v31, v67, vcc
	v_lshl_add_u32 v25, v25, 10, v41
	v_and_b32_e32 v31, 7, v66
	v_and_or_b32 v14, v14, s30, v25
	v_cndmask_b32_e32 v24, v24, v31, vcc
	v_lshlrev_b32_e32 v14, 16, v14
	v_lshl_or_b32 v24, v24, 23, v14
.LBB259_973:                            ;   in Loop: Header=BB259_626 Depth=1
	s_or_b64 exec, exec, s[20:21]
.LBB259_974:                            ;   in Loop: Header=BB259_626 Depth=1
	s_or_b64 exec, exec, s[18:19]
.LBB259_975:                            ;   in Loop: Header=BB259_626 Depth=1
	s_or_b64 exec, exec, s[16:17]
	v_cvt_f32_f16_sdwa v67, v1 dst_sel:DWORD dst_unused:UNUSED_PAD src0_sel:WORD_1
	v_cvt_f32_f16_sdwa v66, v27 dst_sel:DWORD dst_unused:UNUSED_PAD src0_sel:WORD_1
	v_or_b32_e32 v1, v1, v23
	v_or_b32_e32 v14, v27, v26
	;; [unrolled: 1-line block ×3, first 2 shown]
	s_waitcnt vmcnt(0)
	v_pk_mul_f32 v[26:27], v[22:23], v[66:67] op_sel_hi:[0,1]
	v_cvt_f32_f16_e32 v66, v14
	v_cvt_f32_f16_e32 v67, v1
	v_cvt_pk_f16_f32 v1, v26, v27
	v_and_b32_e32 v23, 0xffff0000, v1
	v_lshlrev_b32_e32 v14, 16, v1
	v_pk_mul_f32 v[26:27], v[22:23], v[66:67] op_sel_hi:[0,1]
	v_cvt_pk_f16_f32 v1, v26, v27
	v_or_b32_e32 v27, v30, v29
	v_cvt_f32_f16_e32 v28, v28
	v_cvt_f32_f16_e32 v29, v27
	v_cvt_f32_f16_sdwa v31, v30 dst_sel:DWORD dst_unused:UNUSED_PAD src0_sel:WORD_1
	v_cvt_f32_f16_sdwa v30, v24 dst_sel:DWORD dst_unused:UNUSED_PAD src0_sel:WORD_1
	v_lshrrev_b32_e32 v25, 16, v1
	v_pk_mul_f32 v[28:29], v[22:23], v[28:29] op_sel_hi:[0,1]
	v_cvt_pk_f16_f32 v66, v28, v29
	v_pk_mul_f32 v[28:29], v[22:23], v[30:31] op_sel_hi:[0,1]
	v_cvt_pk_f16_f32 v22, v28, v29
	v_and_b32_e32 v26, 0xffff, v1
	v_and_b32_e32 v27, 0xffff0000, v22
	v_lshlrev_b32_e32 v22, 16, v22
	v_lshrrev_b32_e32 v29, 16, v66
	v_and_b32_e32 v28, 0xffff, v66
	v_or_b32_e32 v1, v23, v25
	v_or_b32_e32 v24, v14, v26
	;; [unrolled: 1-line block ×4, first 2 shown]
	s_and_saveexec_b64 s[16:17], s[0:1]
	s_cbranch_execz .LBB259_977
; %bb.976:                              ;   in Loop: Header=BB259_626 Depth=1
	v_cmp_gt_i32_e32 vcc, s38, v42
	s_nop 1
	v_cndmask_b32_e32 v1, 0, v25, vcc
	v_cmp_gt_i32_e32 vcc, s33, v53
	s_nop 1
	v_cndmask_b32_e32 v24, 0, v26, vcc
	;; [unrolled: 3-line block ×3, first 2 shown]
	v_cmp_gt_i32_e32 vcc, s33, v51
	v_or_b32_e32 v1, v23, v1
	s_nop 0
	v_cndmask_b32_e32 v14, 0, v14, vcc
	v_cmp_gt_i32_e32 vcc, s38, v46
	v_or_b32_e32 v24, v14, v24
	s_nop 0
	v_cndmask_b32_e32 v14, 0, v29, vcc
	v_cmp_gt_i32_e32 vcc, s33, v45
	s_nop 1
	v_cndmask_b32_e32 v23, 0, v28, vcc
	v_cmp_gt_i32_e32 vcc, s38, v44
	;; [unrolled: 3-line block ×3, first 2 shown]
	v_or_b32_e32 v31, v25, v14
	s_nop 0
	v_cndmask_b32_e32 v22, 0, v22, vcc
	v_or_b32_e32 v30, v22, v23
.LBB259_977:                            ;   in Loop: Header=BB259_626 Depth=1
	s_or_b64 exec, exec, s[16:17]
	;;#ASMSTART
	v_pk_mul_f16 v1, v50, v1;

	;;#ASMEND
	;;#ASMSTART
	v_pk_mul_f16 v14, v49, v24;

	;;#ASMEND
	;; [unrolled: 4-line block ×4, first 2 shown]
	s_nop 0
	;;#ASMSTART
	v_pk_add_f16 v1, v1, v14;

	;;#ASMEND
	s_nop 0
	;;#ASMSTART
	v_pk_add_f16 v1, v1, v22;

	;;#ASMEND
	;; [unrolled: 5-line block ×3, first 2 shown]
	v_mov_b32_e32 v23, 0
	v_lshrrev_b32_e32 v14, 16, v1
	v_and_b32_e32 v1, 0xffff, v1
	;;#ASMSTART
	v_cvt_f32_f16 v66, v1;
	;;#ASMEND
	;;#ASMSTART
	v_cvt_f32_f16 v67, v14;
	;;#ASMEND
	global_load_dwordx2 v[24:25], v[20:21], off offset:3584
	v_mov_b32_e32 v1, 0
	global_load_dword v22, v1, s[14:15]
	s_waitcnt vmcnt(1)
	v_cmp_ne_u16_sdwa s[18:19], v24, v15 src0_sel:BYTE_0 src1_sel:DWORD
	s_and_saveexec_b64 s[16:17], s[18:19]
	s_cbranch_execz .LBB259_983
; %bb.978:                              ;   in Loop: Header=BB259_626 Depth=1
	v_cmp_ne_u16_sdwa s[20:21], v24, s28 src0_sel:BYTE_0 src1_sel:DWORD
	v_mov_b32_e32 v23, 0x8000
	s_and_saveexec_b64 s[18:19], s[20:21]
	s_cbranch_execz .LBB259_982
; %bb.979:                              ;   in Loop: Header=BB259_626 Depth=1
	v_and_b32_e32 v14, 0x7f, v24
	v_cmp_ne_u32_e32 vcc, s29, v14
	v_mov_b32_e32 v23, 0x7c01
	s_and_saveexec_b64 s[20:21], vcc
	s_cbranch_execz .LBB259_981
; %bb.980:                              ;   in Loop: Header=BB259_626 Depth=1
	v_and_b32_e32 v23, 7, v24
	v_ffbh_u32_e32 v26, v23
	v_min_u32_e32 v29, 32, v26
	v_subrev_u32_e32 v26, 28, v29
	v_lshlrev_b64 v[26:27], v26, v[24:25]
	v_lshrrev_b32_e32 v28, 3, v14
	v_sub_u32_e32 v27, 29, v29
	v_cmp_gt_u32_e32 vcc, 8, v14
	v_and_b32_e32 v26, 7, v26
	s_nop 0
	v_cndmask_b32_e32 v14, v28, v27, vcc
	v_lshl_add_u32 v14, v14, 10, v41
	v_lshlrev_b32_e32 v27, 8, v24
	v_and_b32_e32 v14, 0xfc00, v14
	v_cndmask_b32_e32 v23, v23, v26, vcc
	v_and_or_b32 v14, v27, s30, v14
	v_lshl_or_b32 v23, v23, 7, v14
.LBB259_981:                            ;   in Loop: Header=BB259_626 Depth=1
	s_or_b64 exec, exec, s[20:21]
.LBB259_982:                            ;   in Loop: Header=BB259_626 Depth=1
	s_or_b64 exec, exec, s[18:19]
.LBB259_983:                            ;   in Loop: Header=BB259_626 Depth=1
	s_or_b64 exec, exec, s[16:17]
	v_lshrrev_b16_e32 v14, 8, v24
	v_cmp_ne_u16_e32 vcc, 0, v14
	s_and_saveexec_b64 s[16:17], vcc
	s_cbranch_execz .LBB259_989
; %bb.984:                              ;   in Loop: Header=BB259_626 Depth=1
	v_cmp_ne_u16_e32 vcc, s28, v14
	v_bfrev_b32_e32 v1, 1
	s_and_saveexec_b64 s[18:19], vcc
	s_cbranch_execz .LBB259_988
; %bb.985:                              ;   in Loop: Header=BB259_626 Depth=1
	v_and_b32_e32 v26, 0x7f, v14
	v_cmp_ne_u32_e32 vcc, s29, v26
	v_mov_b32_e32 v1, 0x7c010000
	s_and_saveexec_b64 s[20:21], vcc
	s_cbranch_execz .LBB259_987
; %bb.986:                              ;   in Loop: Header=BB259_626 Depth=1
	v_and_b32_e32 v1, 7, v14
	v_ffbh_u32_e32 v28, v1
	v_min_u32_e32 v30, 32, v28
	v_subrev_u32_e32 v28, 28, v30
	v_lshlrev_b64 v[28:29], v28, v[14:15]
	v_lshrrev_b32_e32 v27, 3, v26
	v_sub_u32_e32 v29, 29, v30
	v_cmp_gt_u32_e32 vcc, 8, v26
	v_lshlrev_b32_e32 v14, 8, v14
	s_nop 0
	v_cndmask_b32_e32 v26, v27, v29, vcc
	v_lshl_add_u32 v26, v26, 10, v41
	v_and_b32_e32 v27, 7, v28
	v_and_or_b32 v14, v14, s30, v26
	v_cndmask_b32_e32 v1, v1, v27, vcc
	v_lshlrev_b32_e32 v14, 16, v14
	v_lshl_or_b32 v1, v1, 23, v14
.LBB259_987:                            ;   in Loop: Header=BB259_626 Depth=1
	s_or_b64 exec, exec, s[20:21]
.LBB259_988:                            ;   in Loop: Header=BB259_626 Depth=1
	s_or_b64 exec, exec, s[18:19]
.LBB259_989:                            ;   in Loop: Header=BB259_626 Depth=1
	s_or_b64 exec, exec, s[16:17]
	v_lshrrev_b32_e32 v14, 16, v24
	v_cmp_ne_u16_sdwa s[18:19], v14, v15 src0_sel:BYTE_0 src1_sel:DWORD
	v_mov_b32_e32 v27, 0
	v_mov_b32_e32 v26, 0
	s_and_saveexec_b64 s[16:17], s[18:19]
	s_cbranch_execz .LBB259_995
; %bb.990:                              ;   in Loop: Header=BB259_626 Depth=1
	v_cmp_ne_u16_sdwa s[20:21], v14, s28 src0_sel:BYTE_0 src1_sel:DWORD
	v_mov_b32_e32 v26, 0x8000
	s_and_saveexec_b64 s[18:19], s[20:21]
	s_cbranch_execz .LBB259_994
; %bb.991:                              ;   in Loop: Header=BB259_626 Depth=1
	v_bfe_u32 v28, v24, 16, 7
	v_cmp_ne_u32_e32 vcc, s29, v28
	v_mov_b32_e32 v26, 0x7c01
	s_and_saveexec_b64 s[20:21], vcc
	s_cbranch_execz .LBB259_993
; %bb.992:                              ;   in Loop: Header=BB259_626 Depth=1
	v_and_b32_e32 v26, 7, v14
	v_ffbh_u32_e32 v30, v26
	v_min_u32_e32 v68, 32, v30
	v_subrev_u32_e32 v30, 28, v68
	v_lshlrev_b64 v[30:31], v30, v[14:15]
	v_lshrrev_b32_e32 v29, 3, v28
	v_sub_u32_e32 v31, 29, v68
	v_cmp_gt_u32_e32 vcc, 8, v28
	v_lshlrev_b32_e32 v14, 8, v14
	s_nop 0
	v_cndmask_b32_e32 v28, v29, v31, vcc
	v_lshl_add_u32 v28, v28, 10, v41
	v_and_b32_e32 v29, 7, v30
	v_and_b32_e32 v28, 0xfc00, v28
	v_cndmask_b32_e32 v26, v26, v29, vcc
	v_and_or_b32 v14, v14, s30, v28
	v_lshl_or_b32 v26, v26, 7, v14
.LBB259_993:                            ;   in Loop: Header=BB259_626 Depth=1
	s_or_b64 exec, exec, s[20:21]
.LBB259_994:                            ;   in Loop: Header=BB259_626 Depth=1
	s_or_b64 exec, exec, s[18:19]
.LBB259_995:                            ;   in Loop: Header=BB259_626 Depth=1
	s_or_b64 exec, exec, s[16:17]
	v_cmp_lt_u32_e32 vcc, s7, v24
	s_and_saveexec_b64 s[16:17], vcc
	s_cbranch_execz .LBB259_1001
; %bb.996:                              ;   in Loop: Header=BB259_626 Depth=1
	v_lshrrev_b32_e32 v14, 24, v24
	v_cmp_ne_u32_e32 vcc, s28, v14
	v_bfrev_b32_e32 v27, 1
	s_and_saveexec_b64 s[18:19], vcc
	s_cbranch_execz .LBB259_1000
; %bb.997:                              ;   in Loop: Header=BB259_626 Depth=1
	v_and_b32_e32 v28, 0x7f, v14
	v_cmp_ne_u32_e32 vcc, s29, v28
	v_mov_b32_e32 v27, 0x7c010000
	s_and_saveexec_b64 s[20:21], vcc
	s_cbranch_execz .LBB259_999
; %bb.998:                              ;   in Loop: Header=BB259_626 Depth=1
	v_and_b32_e32 v27, 7, v14
	v_ffbh_u32_e32 v30, v27
	v_min_u32_e32 v68, 32, v30
	v_subrev_u32_e32 v30, 28, v68
	v_lshlrev_b64 v[30:31], v30, v[14:15]
	v_lshrrev_b32_e32 v29, 3, v28
	v_sub_u32_e32 v31, 29, v68
	v_cmp_gt_u32_e32 vcc, 8, v28
	v_lshlrev_b32_e32 v14, 8, v14
	s_nop 0
	v_cndmask_b32_e32 v28, v29, v31, vcc
	v_lshl_add_u32 v28, v28, 10, v41
	v_and_b32_e32 v29, 7, v30
	v_and_or_b32 v14, v14, s30, v28
	v_cndmask_b32_e32 v27, v27, v29, vcc
	v_lshlrev_b32_e32 v14, 16, v14
	v_lshl_or_b32 v27, v27, 23, v14
.LBB259_999:                            ;   in Loop: Header=BB259_626 Depth=1
	s_or_b64 exec, exec, s[20:21]
.LBB259_1000:                           ;   in Loop: Header=BB259_626 Depth=1
	s_or_b64 exec, exec, s[18:19]
.LBB259_1001:                           ;   in Loop: Header=BB259_626 Depth=1
	s_or_b64 exec, exec, s[16:17]
	v_mov_b32_e32 v14, v25
	v_cmp_ne_u16_sdwa s[18:19], v25, v15 src0_sel:BYTE_0 src1_sel:DWORD
	v_mov_b32_e32 v28, 0
	v_mov_b32_e32 v29, 0
	s_and_saveexec_b64 s[16:17], s[18:19]
	s_cbranch_execz .LBB259_1007
; %bb.1002:                             ;   in Loop: Header=BB259_626 Depth=1
	v_cmp_ne_u16_sdwa s[20:21], v25, s28 src0_sel:BYTE_0 src1_sel:DWORD
	v_mov_b32_e32 v29, 0x8000
	s_and_saveexec_b64 s[18:19], s[20:21]
	s_cbranch_execz .LBB259_1006
; %bb.1003:                             ;   in Loop: Header=BB259_626 Depth=1
	v_and_b32_e32 v30, 0x7f, v25
	v_cmp_ne_u32_e32 vcc, s29, v30
	v_mov_b32_e32 v29, 0x7c01
	s_and_saveexec_b64 s[20:21], vcc
	s_cbranch_execz .LBB259_1005
; %bb.1004:                             ;   in Loop: Header=BB259_626 Depth=1
	v_and_b32_e32 v29, 7, v25
	v_ffbh_u32_e32 v68, v29
	v_min_u32_e32 v70, 32, v68
	v_subrev_u32_e32 v68, 28, v70
	v_lshlrev_b64 v[68:69], v68, v[14:15]
	v_lshrrev_b32_e32 v31, 3, v30
	v_sub_u32_e32 v69, 29, v70
	v_cmp_gt_u32_e32 vcc, 8, v30
	v_and_b32_e32 v68, 7, v68
	s_nop 0
	v_cndmask_b32_e32 v30, v31, v69, vcc
	v_lshl_add_u32 v30, v30, 10, v41
	v_lshlrev_b32_e32 v31, 8, v25
	v_and_b32_e32 v30, 0xfc00, v30
	v_cndmask_b32_e32 v29, v29, v68, vcc
	v_and_or_b32 v30, v31, s30, v30
	v_lshl_or_b32 v29, v29, 7, v30
.LBB259_1005:                           ;   in Loop: Header=BB259_626 Depth=1
	s_or_b64 exec, exec, s[20:21]
.LBB259_1006:                           ;   in Loop: Header=BB259_626 Depth=1
	s_or_b64 exec, exec, s[18:19]
.LBB259_1007:                           ;   in Loop: Header=BB259_626 Depth=1
	s_or_b64 exec, exec, s[16:17]
	v_lshrrev_b16_e32 v14, 8, v14
	v_cmp_ne_u16_e32 vcc, 0, v14
	v_mov_b32_e32 v30, 0
	s_and_saveexec_b64 s[16:17], vcc
	s_cbranch_execz .LBB259_1013
; %bb.1008:                             ;   in Loop: Header=BB259_626 Depth=1
	v_cmp_ne_u16_e32 vcc, s28, v14
	v_bfrev_b32_e32 v30, 1
	s_and_saveexec_b64 s[18:19], vcc
	s_cbranch_execz .LBB259_1012
; %bb.1009:                             ;   in Loop: Header=BB259_626 Depth=1
	v_and_b32_e32 v31, 0x7f, v14
	v_cmp_ne_u32_e32 vcc, s29, v31
	v_mov_b32_e32 v30, 0x7c010000
	s_and_saveexec_b64 s[20:21], vcc
	s_cbranch_execz .LBB259_1011
; %bb.1010:                             ;   in Loop: Header=BB259_626 Depth=1
	v_and_b32_e32 v30, 7, v14
	v_ffbh_u32_e32 v68, v30
	v_min_u32_e32 v71, 32, v68
	v_subrev_u32_e32 v68, 28, v71
	v_lshlrev_b64 v[68:69], v68, v[14:15]
	v_lshrrev_b32_e32 v70, 3, v31
	v_sub_u32_e32 v69, 29, v71
	v_cmp_gt_u32_e32 vcc, 8, v31
	v_lshlrev_b32_e32 v14, 8, v14
	v_and_b32_e32 v68, 7, v68
	v_cndmask_b32_e32 v31, v70, v69, vcc
	v_lshl_add_u32 v31, v31, 10, v41
	v_and_or_b32 v14, v14, s30, v31
	v_cndmask_b32_e32 v30, v30, v68, vcc
	v_lshlrev_b32_e32 v14, 16, v14
	v_lshl_or_b32 v30, v30, 23, v14
.LBB259_1011:                           ;   in Loop: Header=BB259_626 Depth=1
	s_or_b64 exec, exec, s[20:21]
.LBB259_1012:                           ;   in Loop: Header=BB259_626 Depth=1
	s_or_b64 exec, exec, s[18:19]
.LBB259_1013:                           ;   in Loop: Header=BB259_626 Depth=1
	s_or_b64 exec, exec, s[16:17]
	v_lshrrev_b32_e32 v14, 16, v25
	v_cmp_ne_u16_sdwa s[18:19], v14, v15 src0_sel:BYTE_0 src1_sel:DWORD
	s_and_saveexec_b64 s[16:17], s[18:19]
	s_cbranch_execz .LBB259_1019
; %bb.1014:                             ;   in Loop: Header=BB259_626 Depth=1
	v_cmp_ne_u16_sdwa s[20:21], v14, s28 src0_sel:BYTE_0 src1_sel:DWORD
	v_mov_b32_e32 v28, 0x8000
	s_and_saveexec_b64 s[18:19], s[20:21]
	s_cbranch_execz .LBB259_1018
; %bb.1015:                             ;   in Loop: Header=BB259_626 Depth=1
	v_bfe_u32 v31, v25, 16, 7
	v_cmp_ne_u32_e32 vcc, s29, v31
	v_mov_b32_e32 v28, 0x7c01
	s_and_saveexec_b64 s[20:21], vcc
	s_cbranch_execz .LBB259_1017
; %bb.1016:                             ;   in Loop: Header=BB259_626 Depth=1
	v_and_b32_e32 v28, 7, v14
	v_ffbh_u32_e32 v68, v28
	v_min_u32_e32 v71, 32, v68
	v_subrev_u32_e32 v68, 28, v71
	v_lshlrev_b64 v[68:69], v68, v[14:15]
	v_lshrrev_b32_e32 v70, 3, v31
	v_sub_u32_e32 v69, 29, v71
	v_cmp_gt_u32_e32 vcc, 8, v31
	v_lshlrev_b32_e32 v14, 8, v14
	v_and_b32_e32 v68, 7, v68
	v_cndmask_b32_e32 v31, v70, v69, vcc
	v_lshl_add_u32 v31, v31, 10, v41
	v_and_b32_e32 v31, 0xfc00, v31
	v_cndmask_b32_e32 v28, v28, v68, vcc
	v_and_or_b32 v14, v14, s30, v31
	v_lshl_or_b32 v28, v28, 7, v14
.LBB259_1017:                           ;   in Loop: Header=BB259_626 Depth=1
	s_or_b64 exec, exec, s[20:21]
.LBB259_1018:                           ;   in Loop: Header=BB259_626 Depth=1
	s_or_b64 exec, exec, s[18:19]
.LBB259_1019:                           ;   in Loop: Header=BB259_626 Depth=1
	s_or_b64 exec, exec, s[16:17]
	v_cmp_lt_u64_e32 vcc, s[6:7], v[24:25]
	v_mov_b32_e32 v24, 0
	s_and_saveexec_b64 s[16:17], vcc
	s_cbranch_execz .LBB259_1025
; %bb.1020:                             ;   in Loop: Header=BB259_626 Depth=1
	v_lshrrev_b32_e32 v14, 24, v25
	v_cmp_ne_u32_e32 vcc, s28, v14
	v_bfrev_b32_e32 v24, 1
	s_and_saveexec_b64 s[18:19], vcc
	s_cbranch_execz .LBB259_1024
; %bb.1021:                             ;   in Loop: Header=BB259_626 Depth=1
	v_and_b32_e32 v25, 0x7f, v14
	v_cmp_ne_u32_e32 vcc, s29, v25
	v_mov_b32_e32 v24, 0x7c010000
	s_and_saveexec_b64 s[20:21], vcc
	s_cbranch_execz .LBB259_1023
; %bb.1022:                             ;   in Loop: Header=BB259_626 Depth=1
	v_and_b32_e32 v24, 7, v14
	v_ffbh_u32_e32 v68, v24
	v_min_u32_e32 v70, 32, v68
	v_subrev_u32_e32 v68, 28, v70
	v_lshlrev_b64 v[68:69], v68, v[14:15]
	v_lshrrev_b32_e32 v31, 3, v25
	v_sub_u32_e32 v69, 29, v70
	v_cmp_gt_u32_e32 vcc, 8, v25
	v_lshlrev_b32_e32 v14, 8, v14
	s_nop 0
	v_cndmask_b32_e32 v25, v31, v69, vcc
	v_lshl_add_u32 v25, v25, 10, v41
	v_and_b32_e32 v31, 7, v68
	v_and_or_b32 v14, v14, s30, v25
	v_cndmask_b32_e32 v24, v24, v31, vcc
	v_lshlrev_b32_e32 v14, 16, v14
	v_lshl_or_b32 v24, v24, 23, v14
.LBB259_1023:                           ;   in Loop: Header=BB259_626 Depth=1
	s_or_b64 exec, exec, s[20:21]
.LBB259_1024:                           ;   in Loop: Header=BB259_626 Depth=1
	s_or_b64 exec, exec, s[18:19]
.LBB259_1025:                           ;   in Loop: Header=BB259_626 Depth=1
	s_or_b64 exec, exec, s[16:17]
	v_cvt_f32_f16_sdwa v69, v1 dst_sel:DWORD dst_unused:UNUSED_PAD src0_sel:WORD_1
	v_cvt_f32_f16_sdwa v68, v27 dst_sel:DWORD dst_unused:UNUSED_PAD src0_sel:WORD_1
	v_or_b32_e32 v1, v1, v23
	v_or_b32_e32 v14, v27, v26
	;; [unrolled: 1-line block ×3, first 2 shown]
	s_waitcnt vmcnt(0)
	v_pk_mul_f32 v[26:27], v[22:23], v[68:69] op_sel_hi:[0,1]
	v_cvt_f32_f16_e32 v68, v14
	v_cvt_f32_f16_e32 v69, v1
	v_cvt_pk_f16_f32 v1, v26, v27
	v_and_b32_e32 v23, 0xffff0000, v1
	v_lshlrev_b32_e32 v14, 16, v1
	v_pk_mul_f32 v[26:27], v[22:23], v[68:69] op_sel_hi:[0,1]
	v_cvt_pk_f16_f32 v1, v26, v27
	v_or_b32_e32 v27, v30, v29
	v_cvt_f32_f16_e32 v28, v28
	v_cvt_f32_f16_e32 v29, v27
	v_cvt_f32_f16_sdwa v31, v30 dst_sel:DWORD dst_unused:UNUSED_PAD src0_sel:WORD_1
	v_cvt_f32_f16_sdwa v30, v24 dst_sel:DWORD dst_unused:UNUSED_PAD src0_sel:WORD_1
	v_lshrrev_b32_e32 v25, 16, v1
	v_pk_mul_f32 v[28:29], v[22:23], v[28:29] op_sel_hi:[0,1]
	v_cvt_pk_f16_f32 v68, v28, v29
	v_pk_mul_f32 v[28:29], v[22:23], v[30:31] op_sel_hi:[0,1]
	v_cvt_pk_f16_f32 v22, v28, v29
	v_and_b32_e32 v26, 0xffff, v1
	v_and_b32_e32 v27, 0xffff0000, v22
	v_lshlrev_b32_e32 v22, 16, v22
	v_lshrrev_b32_e32 v29, 16, v68
	v_and_b32_e32 v28, 0xffff, v68
	v_or_b32_e32 v1, v23, v25
	v_or_b32_e32 v24, v14, v26
	v_or_b32_e32 v31, v27, v29
	v_or_b32_e32 v30, v22, v28
	s_and_saveexec_b64 s[16:17], s[0:1]
	s_cbranch_execz .LBB259_1027
; %bb.1026:                             ;   in Loop: Header=BB259_626 Depth=1
	v_cmp_gt_i32_e32 vcc, s38, v42
	s_nop 1
	v_cndmask_b32_e32 v1, 0, v25, vcc
	v_cmp_gt_i32_e32 vcc, s33, v53
	s_nop 1
	v_cndmask_b32_e32 v24, 0, v26, vcc
	;; [unrolled: 3-line block ×3, first 2 shown]
	v_cmp_gt_i32_e32 vcc, s33, v51
	v_or_b32_e32 v1, v23, v1
	s_nop 0
	v_cndmask_b32_e32 v14, 0, v14, vcc
	v_cmp_gt_i32_e32 vcc, s38, v46
	v_or_b32_e32 v24, v14, v24
	s_nop 0
	v_cndmask_b32_e32 v14, 0, v29, vcc
	v_cmp_gt_i32_e32 vcc, s33, v45
	s_nop 1
	v_cndmask_b32_e32 v23, 0, v28, vcc
	v_cmp_gt_i32_e32 vcc, s38, v44
	;; [unrolled: 3-line block ×3, first 2 shown]
	v_or_b32_e32 v31, v25, v14
	s_nop 0
	v_cndmask_b32_e32 v22, 0, v22, vcc
	v_or_b32_e32 v30, v22, v23
.LBB259_1027:                           ;   in Loop: Header=BB259_626 Depth=1
	s_or_b64 exec, exec, s[16:17]
	;;#ASMSTART
	v_pk_mul_f16 v1, v50, v1;

	;;#ASMEND
	;;#ASMSTART
	v_pk_mul_f16 v14, v49, v24;

	;;#ASMEND
	;; [unrolled: 4-line block ×4, first 2 shown]
	s_nop 0
	;;#ASMSTART
	v_pk_add_f16 v1, v1, v14;

	;;#ASMEND
	s_nop 0
	;;#ASMSTART
	v_pk_add_f16 v1, v1, v22;

	;;#ASMEND
	v_add_co_u32_e32 v22, vcc, 0x1000, v20
	;;#ASMSTART
	v_pk_add_f16 v1, v1, v23;

	;;#ASMEND
	s_nop 0
	v_lshrrev_b32_e32 v14, 16, v1
	v_and_b32_e32 v1, 0xffff, v1
	v_addc_co_u32_e32 v23, vcc, 0, v21, vcc
	;;#ASMSTART
	v_cvt_f32_f16 v68, v1;
	;;#ASMEND
	;;#ASMSTART
	v_cvt_f32_f16 v69, v14;
	;;#ASMEND
	global_load_dwordx2 v[24:25], v[22:23], off
	v_mov_b32_e32 v1, 0
	global_load_dword v22, v1, s[14:15]
	v_mov_b32_e32 v23, 0
	s_waitcnt vmcnt(1)
	v_cmp_ne_u16_sdwa s[18:19], v24, v15 src0_sel:BYTE_0 src1_sel:DWORD
	s_and_saveexec_b64 s[16:17], s[18:19]
	s_cbranch_execz .LBB259_1033
; %bb.1028:                             ;   in Loop: Header=BB259_626 Depth=1
	v_cmp_ne_u16_sdwa s[20:21], v24, s28 src0_sel:BYTE_0 src1_sel:DWORD
	v_mov_b32_e32 v23, 0x8000
	s_and_saveexec_b64 s[18:19], s[20:21]
	s_cbranch_execz .LBB259_1032
; %bb.1029:                             ;   in Loop: Header=BB259_626 Depth=1
	v_and_b32_e32 v14, 0x7f, v24
	v_cmp_ne_u32_e32 vcc, s29, v14
	v_mov_b32_e32 v23, 0x7c01
	s_and_saveexec_b64 s[20:21], vcc
	s_cbranch_execz .LBB259_1031
; %bb.1030:                             ;   in Loop: Header=BB259_626 Depth=1
	v_and_b32_e32 v23, 7, v24
	v_ffbh_u32_e32 v26, v23
	v_min_u32_e32 v29, 32, v26
	v_subrev_u32_e32 v26, 28, v29
	v_lshlrev_b64 v[26:27], v26, v[24:25]
	v_lshrrev_b32_e32 v28, 3, v14
	v_sub_u32_e32 v27, 29, v29
	v_cmp_gt_u32_e32 vcc, 8, v14
	v_and_b32_e32 v26, 7, v26
	s_nop 0
	v_cndmask_b32_e32 v14, v28, v27, vcc
	v_lshl_add_u32 v14, v14, 10, v41
	v_lshlrev_b32_e32 v27, 8, v24
	v_and_b32_e32 v14, 0xfc00, v14
	v_cndmask_b32_e32 v23, v23, v26, vcc
	v_and_or_b32 v14, v27, s30, v14
	v_lshl_or_b32 v23, v23, 7, v14
.LBB259_1031:                           ;   in Loop: Header=BB259_626 Depth=1
	s_or_b64 exec, exec, s[20:21]
.LBB259_1032:                           ;   in Loop: Header=BB259_626 Depth=1
	s_or_b64 exec, exec, s[18:19]
.LBB259_1033:                           ;   in Loop: Header=BB259_626 Depth=1
	s_or_b64 exec, exec, s[16:17]
	v_lshrrev_b16_e32 v14, 8, v24
	v_cmp_ne_u16_e32 vcc, 0, v14
	s_and_saveexec_b64 s[16:17], vcc
	s_cbranch_execz .LBB259_1039
; %bb.1034:                             ;   in Loop: Header=BB259_626 Depth=1
	v_cmp_ne_u16_e32 vcc, s28, v14
	v_bfrev_b32_e32 v1, 1
	s_and_saveexec_b64 s[18:19], vcc
	s_cbranch_execz .LBB259_1038
; %bb.1035:                             ;   in Loop: Header=BB259_626 Depth=1
	v_and_b32_e32 v26, 0x7f, v14
	v_cmp_ne_u32_e32 vcc, s29, v26
	v_mov_b32_e32 v1, 0x7c010000
	s_and_saveexec_b64 s[20:21], vcc
	s_cbranch_execz .LBB259_1037
; %bb.1036:                             ;   in Loop: Header=BB259_626 Depth=1
	v_and_b32_e32 v1, 7, v14
	v_ffbh_u32_e32 v28, v1
	v_min_u32_e32 v30, 32, v28
	v_subrev_u32_e32 v28, 28, v30
	v_lshlrev_b64 v[28:29], v28, v[14:15]
	v_lshrrev_b32_e32 v27, 3, v26
	v_sub_u32_e32 v29, 29, v30
	v_cmp_gt_u32_e32 vcc, 8, v26
	v_lshlrev_b32_e32 v14, 8, v14
	s_nop 0
	v_cndmask_b32_e32 v26, v27, v29, vcc
	v_lshl_add_u32 v26, v26, 10, v41
	v_and_b32_e32 v27, 7, v28
	v_and_or_b32 v14, v14, s30, v26
	v_cndmask_b32_e32 v1, v1, v27, vcc
	v_lshlrev_b32_e32 v14, 16, v14
	v_lshl_or_b32 v1, v1, 23, v14
.LBB259_1037:                           ;   in Loop: Header=BB259_626 Depth=1
	s_or_b64 exec, exec, s[20:21]
.LBB259_1038:                           ;   in Loop: Header=BB259_626 Depth=1
	s_or_b64 exec, exec, s[18:19]
.LBB259_1039:                           ;   in Loop: Header=BB259_626 Depth=1
	s_or_b64 exec, exec, s[16:17]
	v_lshrrev_b32_e32 v14, 16, v24
	v_cmp_ne_u16_sdwa s[18:19], v14, v15 src0_sel:BYTE_0 src1_sel:DWORD
	v_mov_b32_e32 v27, 0
	v_mov_b32_e32 v26, 0
	s_and_saveexec_b64 s[16:17], s[18:19]
	s_cbranch_execz .LBB259_1045
; %bb.1040:                             ;   in Loop: Header=BB259_626 Depth=1
	v_cmp_ne_u16_sdwa s[20:21], v14, s28 src0_sel:BYTE_0 src1_sel:DWORD
	v_mov_b32_e32 v26, 0x8000
	s_and_saveexec_b64 s[18:19], s[20:21]
	s_cbranch_execz .LBB259_1044
; %bb.1041:                             ;   in Loop: Header=BB259_626 Depth=1
	v_bfe_u32 v28, v24, 16, 7
	v_cmp_ne_u32_e32 vcc, s29, v28
	v_mov_b32_e32 v26, 0x7c01
	s_and_saveexec_b64 s[20:21], vcc
	s_cbranch_execz .LBB259_1043
; %bb.1042:                             ;   in Loop: Header=BB259_626 Depth=1
	v_and_b32_e32 v26, 7, v14
	v_ffbh_u32_e32 v30, v26
	v_min_u32_e32 v70, 32, v30
	v_subrev_u32_e32 v30, 28, v70
	v_lshlrev_b64 v[30:31], v30, v[14:15]
	v_lshrrev_b32_e32 v29, 3, v28
	v_sub_u32_e32 v31, 29, v70
	v_cmp_gt_u32_e32 vcc, 8, v28
	v_lshlrev_b32_e32 v14, 8, v14
	s_nop 0
	v_cndmask_b32_e32 v28, v29, v31, vcc
	v_lshl_add_u32 v28, v28, 10, v41
	v_and_b32_e32 v29, 7, v30
	v_and_b32_e32 v28, 0xfc00, v28
	v_cndmask_b32_e32 v26, v26, v29, vcc
	v_and_or_b32 v14, v14, s30, v28
	v_lshl_or_b32 v26, v26, 7, v14
.LBB259_1043:                           ;   in Loop: Header=BB259_626 Depth=1
	s_or_b64 exec, exec, s[20:21]
.LBB259_1044:                           ;   in Loop: Header=BB259_626 Depth=1
	s_or_b64 exec, exec, s[18:19]
.LBB259_1045:                           ;   in Loop: Header=BB259_626 Depth=1
	s_or_b64 exec, exec, s[16:17]
	v_cmp_lt_u32_e32 vcc, s7, v24
	s_and_saveexec_b64 s[16:17], vcc
	s_cbranch_execz .LBB259_1051
; %bb.1046:                             ;   in Loop: Header=BB259_626 Depth=1
	v_lshrrev_b32_e32 v14, 24, v24
	v_cmp_ne_u32_e32 vcc, s28, v14
	v_bfrev_b32_e32 v27, 1
	s_and_saveexec_b64 s[18:19], vcc
	s_cbranch_execz .LBB259_1050
; %bb.1047:                             ;   in Loop: Header=BB259_626 Depth=1
	v_and_b32_e32 v28, 0x7f, v14
	v_cmp_ne_u32_e32 vcc, s29, v28
	v_mov_b32_e32 v27, 0x7c010000
	s_and_saveexec_b64 s[20:21], vcc
	s_cbranch_execz .LBB259_1049
; %bb.1048:                             ;   in Loop: Header=BB259_626 Depth=1
	v_and_b32_e32 v27, 7, v14
	v_ffbh_u32_e32 v30, v27
	v_min_u32_e32 v70, 32, v30
	v_subrev_u32_e32 v30, 28, v70
	v_lshlrev_b64 v[30:31], v30, v[14:15]
	v_lshrrev_b32_e32 v29, 3, v28
	v_sub_u32_e32 v31, 29, v70
	v_cmp_gt_u32_e32 vcc, 8, v28
	v_lshlrev_b32_e32 v14, 8, v14
	s_nop 0
	v_cndmask_b32_e32 v28, v29, v31, vcc
	v_lshl_add_u32 v28, v28, 10, v41
	v_and_b32_e32 v29, 7, v30
	v_and_or_b32 v14, v14, s30, v28
	v_cndmask_b32_e32 v27, v27, v29, vcc
	v_lshlrev_b32_e32 v14, 16, v14
	v_lshl_or_b32 v27, v27, 23, v14
.LBB259_1049:                           ;   in Loop: Header=BB259_626 Depth=1
	s_or_b64 exec, exec, s[20:21]
.LBB259_1050:                           ;   in Loop: Header=BB259_626 Depth=1
	s_or_b64 exec, exec, s[18:19]
.LBB259_1051:                           ;   in Loop: Header=BB259_626 Depth=1
	s_or_b64 exec, exec, s[16:17]
	v_mov_b32_e32 v14, v25
	v_cmp_ne_u16_sdwa s[18:19], v25, v15 src0_sel:BYTE_0 src1_sel:DWORD
	v_mov_b32_e32 v28, 0
	v_mov_b32_e32 v29, 0
	s_and_saveexec_b64 s[16:17], s[18:19]
	s_cbranch_execz .LBB259_1057
; %bb.1052:                             ;   in Loop: Header=BB259_626 Depth=1
	v_cmp_ne_u16_sdwa s[20:21], v25, s28 src0_sel:BYTE_0 src1_sel:DWORD
	v_mov_b32_e32 v29, 0x8000
	s_and_saveexec_b64 s[18:19], s[20:21]
	s_cbranch_execz .LBB259_1056
; %bb.1053:                             ;   in Loop: Header=BB259_626 Depth=1
	v_and_b32_e32 v30, 0x7f, v25
	v_cmp_ne_u32_e32 vcc, s29, v30
	v_mov_b32_e32 v29, 0x7c01
	s_and_saveexec_b64 s[20:21], vcc
	s_cbranch_execz .LBB259_1055
; %bb.1054:                             ;   in Loop: Header=BB259_626 Depth=1
	v_and_b32_e32 v29, 7, v25
	v_ffbh_u32_e32 v70, v29
	v_min_u32_e32 v72, 32, v70
	v_subrev_u32_e32 v70, 28, v72
	v_lshlrev_b64 v[70:71], v70, v[14:15]
	v_lshrrev_b32_e32 v31, 3, v30
	v_sub_u32_e32 v71, 29, v72
	v_cmp_gt_u32_e32 vcc, 8, v30
	v_and_b32_e32 v70, 7, v70
	s_nop 0
	v_cndmask_b32_e32 v30, v31, v71, vcc
	v_lshl_add_u32 v30, v30, 10, v41
	v_lshlrev_b32_e32 v31, 8, v25
	v_and_b32_e32 v30, 0xfc00, v30
	v_cndmask_b32_e32 v29, v29, v70, vcc
	v_and_or_b32 v30, v31, s30, v30
	v_lshl_or_b32 v29, v29, 7, v30
.LBB259_1055:                           ;   in Loop: Header=BB259_626 Depth=1
	s_or_b64 exec, exec, s[20:21]
.LBB259_1056:                           ;   in Loop: Header=BB259_626 Depth=1
	s_or_b64 exec, exec, s[18:19]
.LBB259_1057:                           ;   in Loop: Header=BB259_626 Depth=1
	s_or_b64 exec, exec, s[16:17]
	v_lshrrev_b16_e32 v14, 8, v14
	v_cmp_ne_u16_e32 vcc, 0, v14
	v_mov_b32_e32 v30, 0
	s_and_saveexec_b64 s[16:17], vcc
	s_cbranch_execz .LBB259_1063
; %bb.1058:                             ;   in Loop: Header=BB259_626 Depth=1
	v_cmp_ne_u16_e32 vcc, s28, v14
	v_bfrev_b32_e32 v30, 1
	s_and_saveexec_b64 s[18:19], vcc
	s_cbranch_execz .LBB259_1062
; %bb.1059:                             ;   in Loop: Header=BB259_626 Depth=1
	v_and_b32_e32 v31, 0x7f, v14
	v_cmp_ne_u32_e32 vcc, s29, v31
	v_mov_b32_e32 v30, 0x7c010000
	s_and_saveexec_b64 s[20:21], vcc
	s_cbranch_execz .LBB259_1061
; %bb.1060:                             ;   in Loop: Header=BB259_626 Depth=1
	v_and_b32_e32 v30, 7, v14
	v_ffbh_u32_e32 v70, v30
	v_min_u32_e32 v73, 32, v70
	v_subrev_u32_e32 v70, 28, v73
	v_lshlrev_b64 v[70:71], v70, v[14:15]
	v_lshrrev_b32_e32 v72, 3, v31
	v_sub_u32_e32 v71, 29, v73
	v_cmp_gt_u32_e32 vcc, 8, v31
	v_lshlrev_b32_e32 v14, 8, v14
	v_and_b32_e32 v70, 7, v70
	v_cndmask_b32_e32 v31, v72, v71, vcc
	v_lshl_add_u32 v31, v31, 10, v41
	v_and_or_b32 v14, v14, s30, v31
	v_cndmask_b32_e32 v30, v30, v70, vcc
	v_lshlrev_b32_e32 v14, 16, v14
	v_lshl_or_b32 v30, v30, 23, v14
.LBB259_1061:                           ;   in Loop: Header=BB259_626 Depth=1
	s_or_b64 exec, exec, s[20:21]
.LBB259_1062:                           ;   in Loop: Header=BB259_626 Depth=1
	s_or_b64 exec, exec, s[18:19]
.LBB259_1063:                           ;   in Loop: Header=BB259_626 Depth=1
	s_or_b64 exec, exec, s[16:17]
	v_lshrrev_b32_e32 v14, 16, v25
	v_cmp_ne_u16_sdwa s[18:19], v14, v15 src0_sel:BYTE_0 src1_sel:DWORD
	s_and_saveexec_b64 s[16:17], s[18:19]
	s_cbranch_execz .LBB259_1069
; %bb.1064:                             ;   in Loop: Header=BB259_626 Depth=1
	v_cmp_ne_u16_sdwa s[20:21], v14, s28 src0_sel:BYTE_0 src1_sel:DWORD
	v_mov_b32_e32 v28, 0x8000
	s_and_saveexec_b64 s[18:19], s[20:21]
	s_cbranch_execz .LBB259_1068
; %bb.1065:                             ;   in Loop: Header=BB259_626 Depth=1
	v_bfe_u32 v31, v25, 16, 7
	v_cmp_ne_u32_e32 vcc, s29, v31
	v_mov_b32_e32 v28, 0x7c01
	s_and_saveexec_b64 s[20:21], vcc
	s_cbranch_execz .LBB259_1067
; %bb.1066:                             ;   in Loop: Header=BB259_626 Depth=1
	v_and_b32_e32 v28, 7, v14
	v_ffbh_u32_e32 v70, v28
	v_min_u32_e32 v73, 32, v70
	v_subrev_u32_e32 v70, 28, v73
	v_lshlrev_b64 v[70:71], v70, v[14:15]
	v_lshrrev_b32_e32 v72, 3, v31
	v_sub_u32_e32 v71, 29, v73
	v_cmp_gt_u32_e32 vcc, 8, v31
	v_lshlrev_b32_e32 v14, 8, v14
	v_and_b32_e32 v70, 7, v70
	v_cndmask_b32_e32 v31, v72, v71, vcc
	v_lshl_add_u32 v31, v31, 10, v41
	v_and_b32_e32 v31, 0xfc00, v31
	v_cndmask_b32_e32 v28, v28, v70, vcc
	v_and_or_b32 v14, v14, s30, v31
	v_lshl_or_b32 v28, v28, 7, v14
.LBB259_1067:                           ;   in Loop: Header=BB259_626 Depth=1
	s_or_b64 exec, exec, s[20:21]
.LBB259_1068:                           ;   in Loop: Header=BB259_626 Depth=1
	s_or_b64 exec, exec, s[18:19]
.LBB259_1069:                           ;   in Loop: Header=BB259_626 Depth=1
	s_or_b64 exec, exec, s[16:17]
	v_cmp_lt_u64_e32 vcc, s[6:7], v[24:25]
	v_mov_b32_e32 v24, 0
	s_and_saveexec_b64 s[16:17], vcc
	s_cbranch_execz .LBB259_1075
; %bb.1070:                             ;   in Loop: Header=BB259_626 Depth=1
	v_lshrrev_b32_e32 v14, 24, v25
	v_cmp_ne_u32_e32 vcc, s28, v14
	v_bfrev_b32_e32 v24, 1
	s_and_saveexec_b64 s[18:19], vcc
	s_cbranch_execz .LBB259_1074
; %bb.1071:                             ;   in Loop: Header=BB259_626 Depth=1
	v_and_b32_e32 v25, 0x7f, v14
	v_cmp_ne_u32_e32 vcc, s29, v25
	v_mov_b32_e32 v24, 0x7c010000
	s_and_saveexec_b64 s[20:21], vcc
	s_cbranch_execz .LBB259_1073
; %bb.1072:                             ;   in Loop: Header=BB259_626 Depth=1
	v_and_b32_e32 v24, 7, v14
	v_ffbh_u32_e32 v70, v24
	v_min_u32_e32 v72, 32, v70
	v_subrev_u32_e32 v70, 28, v72
	v_lshlrev_b64 v[70:71], v70, v[14:15]
	v_lshrrev_b32_e32 v31, 3, v25
	v_sub_u32_e32 v71, 29, v72
	v_cmp_gt_u32_e32 vcc, 8, v25
	v_lshlrev_b32_e32 v14, 8, v14
	s_nop 0
	v_cndmask_b32_e32 v25, v31, v71, vcc
	v_lshl_add_u32 v25, v25, 10, v41
	v_and_b32_e32 v31, 7, v70
	v_and_or_b32 v14, v14, s30, v25
	v_cndmask_b32_e32 v24, v24, v31, vcc
	v_lshlrev_b32_e32 v14, 16, v14
	v_lshl_or_b32 v24, v24, 23, v14
.LBB259_1073:                           ;   in Loop: Header=BB259_626 Depth=1
	s_or_b64 exec, exec, s[20:21]
.LBB259_1074:                           ;   in Loop: Header=BB259_626 Depth=1
	s_or_b64 exec, exec, s[18:19]
.LBB259_1075:                           ;   in Loop: Header=BB259_626 Depth=1
	s_or_b64 exec, exec, s[16:17]
	v_cvt_f32_f16_sdwa v71, v1 dst_sel:DWORD dst_unused:UNUSED_PAD src0_sel:WORD_1
	v_cvt_f32_f16_sdwa v70, v27 dst_sel:DWORD dst_unused:UNUSED_PAD src0_sel:WORD_1
	v_or_b32_e32 v1, v1, v23
	v_or_b32_e32 v14, v27, v26
	;; [unrolled: 1-line block ×3, first 2 shown]
	s_waitcnt vmcnt(0)
	v_pk_mul_f32 v[26:27], v[22:23], v[70:71] op_sel_hi:[0,1]
	v_cvt_f32_f16_e32 v70, v14
	v_cvt_f32_f16_e32 v71, v1
	v_cvt_pk_f16_f32 v1, v26, v27
	v_and_b32_e32 v23, 0xffff0000, v1
	v_lshlrev_b32_e32 v14, 16, v1
	v_pk_mul_f32 v[26:27], v[22:23], v[70:71] op_sel_hi:[0,1]
	v_cvt_pk_f16_f32 v1, v26, v27
	v_or_b32_e32 v27, v30, v29
	v_cvt_f32_f16_e32 v28, v28
	v_cvt_f32_f16_e32 v29, v27
	v_cvt_f32_f16_sdwa v31, v30 dst_sel:DWORD dst_unused:UNUSED_PAD src0_sel:WORD_1
	v_cvt_f32_f16_sdwa v30, v24 dst_sel:DWORD dst_unused:UNUSED_PAD src0_sel:WORD_1
	v_lshrrev_b32_e32 v25, 16, v1
	v_pk_mul_f32 v[28:29], v[22:23], v[28:29] op_sel_hi:[0,1]
	v_cvt_pk_f16_f32 v70, v28, v29
	v_pk_mul_f32 v[28:29], v[22:23], v[30:31] op_sel_hi:[0,1]
	v_cvt_pk_f16_f32 v22, v28, v29
	v_and_b32_e32 v26, 0xffff, v1
	v_and_b32_e32 v27, 0xffff0000, v22
	v_lshlrev_b32_e32 v22, 16, v22
	v_lshrrev_b32_e32 v29, 16, v70
	v_and_b32_e32 v28, 0xffff, v70
	v_or_b32_e32 v1, v23, v25
	v_or_b32_e32 v24, v14, v26
	;; [unrolled: 1-line block ×4, first 2 shown]
	s_and_saveexec_b64 s[16:17], s[0:1]
	s_cbranch_execz .LBB259_1077
; %bb.1076:                             ;   in Loop: Header=BB259_626 Depth=1
	v_cmp_gt_i32_e32 vcc, s38, v42
	s_nop 1
	v_cndmask_b32_e32 v1, 0, v25, vcc
	v_cmp_gt_i32_e32 vcc, s33, v53
	s_nop 1
	v_cndmask_b32_e32 v24, 0, v26, vcc
	;; [unrolled: 3-line block ×3, first 2 shown]
	v_cmp_gt_i32_e32 vcc, s33, v51
	v_or_b32_e32 v1, v23, v1
	s_nop 0
	v_cndmask_b32_e32 v14, 0, v14, vcc
	v_cmp_gt_i32_e32 vcc, s38, v46
	v_or_b32_e32 v24, v14, v24
	s_nop 0
	v_cndmask_b32_e32 v14, 0, v29, vcc
	v_cmp_gt_i32_e32 vcc, s33, v45
	s_nop 1
	v_cndmask_b32_e32 v23, 0, v28, vcc
	v_cmp_gt_i32_e32 vcc, s38, v44
	s_nop 1
	v_cndmask_b32_e32 v25, 0, v27, vcc
	v_cmp_gt_i32_e32 vcc, s33, v43
	v_or_b32_e32 v31, v25, v14
	s_nop 0
	v_cndmask_b32_e32 v22, 0, v22, vcc
	v_or_b32_e32 v30, v22, v23
.LBB259_1077:                           ;   in Loop: Header=BB259_626 Depth=1
	s_or_b64 exec, exec, s[16:17]
	;;#ASMSTART
	v_pk_mul_f16 v1, v50, v1;

	;;#ASMEND
	;;#ASMSTART
	v_pk_mul_f16 v14, v49, v24;

	;;#ASMEND
	;; [unrolled: 4-line block ×4, first 2 shown]
	s_nop 0
	;;#ASMSTART
	v_pk_add_f16 v1, v1, v14;

	;;#ASMEND
	s_nop 0
	;;#ASMSTART
	v_pk_add_f16 v1, v1, v22;

	;;#ASMEND
	v_add_co_u32_e32 v22, vcc, 0x1000, v20
	;;#ASMSTART
	v_pk_add_f16 v1, v1, v23;

	;;#ASMEND
	s_nop 0
	v_lshrrev_b32_e32 v14, 16, v1
	v_and_b32_e32 v1, 0xffff, v1
	v_addc_co_u32_e32 v23, vcc, 0, v21, vcc
	;;#ASMSTART
	v_cvt_f32_f16 v70, v1;
	;;#ASMEND
	;;#ASMSTART
	v_cvt_f32_f16 v71, v14;
	;;#ASMEND
	global_load_dwordx2 v[24:25], v[22:23], off offset:512
	v_mov_b32_e32 v1, 0
	global_load_dword v22, v1, s[14:15]
	v_mov_b32_e32 v23, 0
	s_waitcnt vmcnt(1)
	v_cmp_ne_u16_sdwa s[18:19], v24, v15 src0_sel:BYTE_0 src1_sel:DWORD
	s_and_saveexec_b64 s[16:17], s[18:19]
	s_cbranch_execz .LBB259_1083
; %bb.1078:                             ;   in Loop: Header=BB259_626 Depth=1
	v_cmp_ne_u16_sdwa s[20:21], v24, s28 src0_sel:BYTE_0 src1_sel:DWORD
	v_mov_b32_e32 v23, 0x8000
	s_and_saveexec_b64 s[18:19], s[20:21]
	s_cbranch_execz .LBB259_1082
; %bb.1079:                             ;   in Loop: Header=BB259_626 Depth=1
	v_and_b32_e32 v14, 0x7f, v24
	v_cmp_ne_u32_e32 vcc, s29, v14
	v_mov_b32_e32 v23, 0x7c01
	s_and_saveexec_b64 s[20:21], vcc
	s_cbranch_execz .LBB259_1081
; %bb.1080:                             ;   in Loop: Header=BB259_626 Depth=1
	v_and_b32_e32 v23, 7, v24
	v_ffbh_u32_e32 v26, v23
	v_min_u32_e32 v29, 32, v26
	v_subrev_u32_e32 v26, 28, v29
	v_lshlrev_b64 v[26:27], v26, v[24:25]
	v_lshrrev_b32_e32 v28, 3, v14
	v_sub_u32_e32 v27, 29, v29
	v_cmp_gt_u32_e32 vcc, 8, v14
	v_and_b32_e32 v26, 7, v26
	s_nop 0
	v_cndmask_b32_e32 v14, v28, v27, vcc
	v_lshl_add_u32 v14, v14, 10, v41
	v_lshlrev_b32_e32 v27, 8, v24
	v_and_b32_e32 v14, 0xfc00, v14
	v_cndmask_b32_e32 v23, v23, v26, vcc
	v_and_or_b32 v14, v27, s30, v14
	v_lshl_or_b32 v23, v23, 7, v14
.LBB259_1081:                           ;   in Loop: Header=BB259_626 Depth=1
	s_or_b64 exec, exec, s[20:21]
.LBB259_1082:                           ;   in Loop: Header=BB259_626 Depth=1
	s_or_b64 exec, exec, s[18:19]
.LBB259_1083:                           ;   in Loop: Header=BB259_626 Depth=1
	s_or_b64 exec, exec, s[16:17]
	v_lshrrev_b16_e32 v14, 8, v24
	v_cmp_ne_u16_e32 vcc, 0, v14
	s_and_saveexec_b64 s[16:17], vcc
	s_cbranch_execz .LBB259_1089
; %bb.1084:                             ;   in Loop: Header=BB259_626 Depth=1
	v_cmp_ne_u16_e32 vcc, s28, v14
	v_bfrev_b32_e32 v1, 1
	s_and_saveexec_b64 s[18:19], vcc
	s_cbranch_execz .LBB259_1088
; %bb.1085:                             ;   in Loop: Header=BB259_626 Depth=1
	v_and_b32_e32 v26, 0x7f, v14
	v_cmp_ne_u32_e32 vcc, s29, v26
	v_mov_b32_e32 v1, 0x7c010000
	s_and_saveexec_b64 s[20:21], vcc
	s_cbranch_execz .LBB259_1087
; %bb.1086:                             ;   in Loop: Header=BB259_626 Depth=1
	v_and_b32_e32 v1, 7, v14
	v_ffbh_u32_e32 v28, v1
	v_min_u32_e32 v30, 32, v28
	v_subrev_u32_e32 v28, 28, v30
	v_lshlrev_b64 v[28:29], v28, v[14:15]
	v_lshrrev_b32_e32 v27, 3, v26
	v_sub_u32_e32 v29, 29, v30
	v_cmp_gt_u32_e32 vcc, 8, v26
	v_lshlrev_b32_e32 v14, 8, v14
	s_nop 0
	v_cndmask_b32_e32 v26, v27, v29, vcc
	v_lshl_add_u32 v26, v26, 10, v41
	v_and_b32_e32 v27, 7, v28
	v_and_or_b32 v14, v14, s30, v26
	v_cndmask_b32_e32 v1, v1, v27, vcc
	v_lshlrev_b32_e32 v14, 16, v14
	v_lshl_or_b32 v1, v1, 23, v14
.LBB259_1087:                           ;   in Loop: Header=BB259_626 Depth=1
	s_or_b64 exec, exec, s[20:21]
.LBB259_1088:                           ;   in Loop: Header=BB259_626 Depth=1
	s_or_b64 exec, exec, s[18:19]
.LBB259_1089:                           ;   in Loop: Header=BB259_626 Depth=1
	s_or_b64 exec, exec, s[16:17]
	v_lshrrev_b32_e32 v14, 16, v24
	v_cmp_ne_u16_sdwa s[18:19], v14, v15 src0_sel:BYTE_0 src1_sel:DWORD
	v_mov_b32_e32 v27, 0
	v_mov_b32_e32 v26, 0
	s_and_saveexec_b64 s[16:17], s[18:19]
	s_cbranch_execz .LBB259_1095
; %bb.1090:                             ;   in Loop: Header=BB259_626 Depth=1
	v_cmp_ne_u16_sdwa s[20:21], v14, s28 src0_sel:BYTE_0 src1_sel:DWORD
	v_mov_b32_e32 v26, 0x8000
	s_and_saveexec_b64 s[18:19], s[20:21]
	s_cbranch_execz .LBB259_1094
; %bb.1091:                             ;   in Loop: Header=BB259_626 Depth=1
	v_bfe_u32 v28, v24, 16, 7
	v_cmp_ne_u32_e32 vcc, s29, v28
	v_mov_b32_e32 v26, 0x7c01
	s_and_saveexec_b64 s[20:21], vcc
	s_cbranch_execz .LBB259_1093
; %bb.1092:                             ;   in Loop: Header=BB259_626 Depth=1
	v_and_b32_e32 v26, 7, v14
	v_ffbh_u32_e32 v30, v26
	v_min_u32_e32 v72, 32, v30
	v_subrev_u32_e32 v30, 28, v72
	v_lshlrev_b64 v[30:31], v30, v[14:15]
	v_lshrrev_b32_e32 v29, 3, v28
	v_sub_u32_e32 v31, 29, v72
	v_cmp_gt_u32_e32 vcc, 8, v28
	v_lshlrev_b32_e32 v14, 8, v14
	s_nop 0
	v_cndmask_b32_e32 v28, v29, v31, vcc
	v_lshl_add_u32 v28, v28, 10, v41
	v_and_b32_e32 v29, 7, v30
	v_and_b32_e32 v28, 0xfc00, v28
	v_cndmask_b32_e32 v26, v26, v29, vcc
	v_and_or_b32 v14, v14, s30, v28
	v_lshl_or_b32 v26, v26, 7, v14
.LBB259_1093:                           ;   in Loop: Header=BB259_626 Depth=1
	s_or_b64 exec, exec, s[20:21]
.LBB259_1094:                           ;   in Loop: Header=BB259_626 Depth=1
	s_or_b64 exec, exec, s[18:19]
.LBB259_1095:                           ;   in Loop: Header=BB259_626 Depth=1
	s_or_b64 exec, exec, s[16:17]
	v_cmp_lt_u32_e32 vcc, s7, v24
	s_and_saveexec_b64 s[16:17], vcc
	s_cbranch_execz .LBB259_1101
; %bb.1096:                             ;   in Loop: Header=BB259_626 Depth=1
	v_lshrrev_b32_e32 v14, 24, v24
	v_cmp_ne_u32_e32 vcc, s28, v14
	v_bfrev_b32_e32 v27, 1
	s_and_saveexec_b64 s[18:19], vcc
	s_cbranch_execz .LBB259_1100
; %bb.1097:                             ;   in Loop: Header=BB259_626 Depth=1
	v_and_b32_e32 v28, 0x7f, v14
	v_cmp_ne_u32_e32 vcc, s29, v28
	v_mov_b32_e32 v27, 0x7c010000
	s_and_saveexec_b64 s[20:21], vcc
	s_cbranch_execz .LBB259_1099
; %bb.1098:                             ;   in Loop: Header=BB259_626 Depth=1
	v_and_b32_e32 v27, 7, v14
	v_ffbh_u32_e32 v30, v27
	v_min_u32_e32 v72, 32, v30
	v_subrev_u32_e32 v30, 28, v72
	v_lshlrev_b64 v[30:31], v30, v[14:15]
	v_lshrrev_b32_e32 v29, 3, v28
	v_sub_u32_e32 v31, 29, v72
	v_cmp_gt_u32_e32 vcc, 8, v28
	v_lshlrev_b32_e32 v14, 8, v14
	s_nop 0
	v_cndmask_b32_e32 v28, v29, v31, vcc
	v_lshl_add_u32 v28, v28, 10, v41
	v_and_b32_e32 v29, 7, v30
	v_and_or_b32 v14, v14, s30, v28
	v_cndmask_b32_e32 v27, v27, v29, vcc
	v_lshlrev_b32_e32 v14, 16, v14
	v_lshl_or_b32 v27, v27, 23, v14
.LBB259_1099:                           ;   in Loop: Header=BB259_626 Depth=1
	s_or_b64 exec, exec, s[20:21]
.LBB259_1100:                           ;   in Loop: Header=BB259_626 Depth=1
	s_or_b64 exec, exec, s[18:19]
.LBB259_1101:                           ;   in Loop: Header=BB259_626 Depth=1
	s_or_b64 exec, exec, s[16:17]
	v_mov_b32_e32 v14, v25
	v_cmp_ne_u16_sdwa s[18:19], v25, v15 src0_sel:BYTE_0 src1_sel:DWORD
	v_mov_b32_e32 v28, 0
	v_mov_b32_e32 v29, 0
	s_and_saveexec_b64 s[16:17], s[18:19]
	s_cbranch_execz .LBB259_1107
; %bb.1102:                             ;   in Loop: Header=BB259_626 Depth=1
	v_cmp_ne_u16_sdwa s[20:21], v25, s28 src0_sel:BYTE_0 src1_sel:DWORD
	v_mov_b32_e32 v29, 0x8000
	s_and_saveexec_b64 s[18:19], s[20:21]
	s_cbranch_execz .LBB259_1106
; %bb.1103:                             ;   in Loop: Header=BB259_626 Depth=1
	v_and_b32_e32 v30, 0x7f, v25
	v_cmp_ne_u32_e32 vcc, s29, v30
	v_mov_b32_e32 v29, 0x7c01
	s_and_saveexec_b64 s[20:21], vcc
	s_cbranch_execz .LBB259_1105
; %bb.1104:                             ;   in Loop: Header=BB259_626 Depth=1
	v_and_b32_e32 v29, 7, v25
	v_ffbh_u32_e32 v72, v29
	v_min_u32_e32 v74, 32, v72
	v_subrev_u32_e32 v72, 28, v74
	v_lshlrev_b64 v[72:73], v72, v[14:15]
	v_lshrrev_b32_e32 v31, 3, v30
	v_sub_u32_e32 v73, 29, v74
	v_cmp_gt_u32_e32 vcc, 8, v30
	v_and_b32_e32 v72, 7, v72
	s_nop 0
	v_cndmask_b32_e32 v30, v31, v73, vcc
	v_lshl_add_u32 v30, v30, 10, v41
	v_lshlrev_b32_e32 v31, 8, v25
	v_and_b32_e32 v30, 0xfc00, v30
	v_cndmask_b32_e32 v29, v29, v72, vcc
	v_and_or_b32 v30, v31, s30, v30
	v_lshl_or_b32 v29, v29, 7, v30
.LBB259_1105:                           ;   in Loop: Header=BB259_626 Depth=1
	s_or_b64 exec, exec, s[20:21]
.LBB259_1106:                           ;   in Loop: Header=BB259_626 Depth=1
	s_or_b64 exec, exec, s[18:19]
.LBB259_1107:                           ;   in Loop: Header=BB259_626 Depth=1
	s_or_b64 exec, exec, s[16:17]
	v_lshrrev_b16_e32 v14, 8, v14
	v_cmp_ne_u16_e32 vcc, 0, v14
	v_mov_b32_e32 v30, 0
	s_and_saveexec_b64 s[16:17], vcc
	s_cbranch_execz .LBB259_1113
; %bb.1108:                             ;   in Loop: Header=BB259_626 Depth=1
	v_cmp_ne_u16_e32 vcc, s28, v14
	v_bfrev_b32_e32 v30, 1
	s_and_saveexec_b64 s[18:19], vcc
	s_cbranch_execz .LBB259_1112
; %bb.1109:                             ;   in Loop: Header=BB259_626 Depth=1
	v_and_b32_e32 v31, 0x7f, v14
	v_cmp_ne_u32_e32 vcc, s29, v31
	v_mov_b32_e32 v30, 0x7c010000
	s_and_saveexec_b64 s[20:21], vcc
	s_cbranch_execz .LBB259_1111
; %bb.1110:                             ;   in Loop: Header=BB259_626 Depth=1
	v_and_b32_e32 v30, 7, v14
	v_ffbh_u32_e32 v72, v30
	v_min_u32_e32 v75, 32, v72
	v_subrev_u32_e32 v72, 28, v75
	v_lshlrev_b64 v[72:73], v72, v[14:15]
	v_lshrrev_b32_e32 v74, 3, v31
	v_sub_u32_e32 v73, 29, v75
	v_cmp_gt_u32_e32 vcc, 8, v31
	v_lshlrev_b32_e32 v14, 8, v14
	v_and_b32_e32 v72, 7, v72
	v_cndmask_b32_e32 v31, v74, v73, vcc
	v_lshl_add_u32 v31, v31, 10, v41
	v_and_or_b32 v14, v14, s30, v31
	v_cndmask_b32_e32 v30, v30, v72, vcc
	v_lshlrev_b32_e32 v14, 16, v14
	v_lshl_or_b32 v30, v30, 23, v14
.LBB259_1111:                           ;   in Loop: Header=BB259_626 Depth=1
	s_or_b64 exec, exec, s[20:21]
.LBB259_1112:                           ;   in Loop: Header=BB259_626 Depth=1
	s_or_b64 exec, exec, s[18:19]
.LBB259_1113:                           ;   in Loop: Header=BB259_626 Depth=1
	s_or_b64 exec, exec, s[16:17]
	v_lshrrev_b32_e32 v14, 16, v25
	v_cmp_ne_u16_sdwa s[18:19], v14, v15 src0_sel:BYTE_0 src1_sel:DWORD
	s_and_saveexec_b64 s[16:17], s[18:19]
	s_cbranch_execz .LBB259_1119
; %bb.1114:                             ;   in Loop: Header=BB259_626 Depth=1
	v_cmp_ne_u16_sdwa s[20:21], v14, s28 src0_sel:BYTE_0 src1_sel:DWORD
	v_mov_b32_e32 v28, 0x8000
	s_and_saveexec_b64 s[18:19], s[20:21]
	s_cbranch_execz .LBB259_1118
; %bb.1115:                             ;   in Loop: Header=BB259_626 Depth=1
	v_bfe_u32 v31, v25, 16, 7
	v_cmp_ne_u32_e32 vcc, s29, v31
	v_mov_b32_e32 v28, 0x7c01
	s_and_saveexec_b64 s[20:21], vcc
	s_cbranch_execz .LBB259_1117
; %bb.1116:                             ;   in Loop: Header=BB259_626 Depth=1
	v_and_b32_e32 v28, 7, v14
	v_ffbh_u32_e32 v72, v28
	v_min_u32_e32 v75, 32, v72
	v_subrev_u32_e32 v72, 28, v75
	v_lshlrev_b64 v[72:73], v72, v[14:15]
	v_lshrrev_b32_e32 v74, 3, v31
	v_sub_u32_e32 v73, 29, v75
	v_cmp_gt_u32_e32 vcc, 8, v31
	v_lshlrev_b32_e32 v14, 8, v14
	v_and_b32_e32 v72, 7, v72
	v_cndmask_b32_e32 v31, v74, v73, vcc
	v_lshl_add_u32 v31, v31, 10, v41
	v_and_b32_e32 v31, 0xfc00, v31
	v_cndmask_b32_e32 v28, v28, v72, vcc
	v_and_or_b32 v14, v14, s30, v31
	v_lshl_or_b32 v28, v28, 7, v14
.LBB259_1117:                           ;   in Loop: Header=BB259_626 Depth=1
	s_or_b64 exec, exec, s[20:21]
.LBB259_1118:                           ;   in Loop: Header=BB259_626 Depth=1
	s_or_b64 exec, exec, s[18:19]
.LBB259_1119:                           ;   in Loop: Header=BB259_626 Depth=1
	s_or_b64 exec, exec, s[16:17]
	v_cmp_lt_u64_e32 vcc, s[6:7], v[24:25]
	v_mov_b32_e32 v24, 0
	s_and_saveexec_b64 s[16:17], vcc
	s_cbranch_execz .LBB259_1125
; %bb.1120:                             ;   in Loop: Header=BB259_626 Depth=1
	v_lshrrev_b32_e32 v14, 24, v25
	v_cmp_ne_u32_e32 vcc, s28, v14
	v_bfrev_b32_e32 v24, 1
	s_and_saveexec_b64 s[18:19], vcc
	s_cbranch_execz .LBB259_1124
; %bb.1121:                             ;   in Loop: Header=BB259_626 Depth=1
	v_and_b32_e32 v25, 0x7f, v14
	v_cmp_ne_u32_e32 vcc, s29, v25
	v_mov_b32_e32 v24, 0x7c010000
	s_and_saveexec_b64 s[20:21], vcc
	s_cbranch_execz .LBB259_1123
; %bb.1122:                             ;   in Loop: Header=BB259_626 Depth=1
	v_and_b32_e32 v24, 7, v14
	v_ffbh_u32_e32 v72, v24
	v_min_u32_e32 v74, 32, v72
	v_subrev_u32_e32 v72, 28, v74
	v_lshlrev_b64 v[72:73], v72, v[14:15]
	v_lshrrev_b32_e32 v31, 3, v25
	v_sub_u32_e32 v73, 29, v74
	v_cmp_gt_u32_e32 vcc, 8, v25
	v_lshlrev_b32_e32 v14, 8, v14
	s_nop 0
	v_cndmask_b32_e32 v25, v31, v73, vcc
	v_lshl_add_u32 v25, v25, 10, v41
	v_and_b32_e32 v31, 7, v72
	v_and_or_b32 v14, v14, s30, v25
	v_cndmask_b32_e32 v24, v24, v31, vcc
	v_lshlrev_b32_e32 v14, 16, v14
	v_lshl_or_b32 v24, v24, 23, v14
.LBB259_1123:                           ;   in Loop: Header=BB259_626 Depth=1
	s_or_b64 exec, exec, s[20:21]
.LBB259_1124:                           ;   in Loop: Header=BB259_626 Depth=1
	s_or_b64 exec, exec, s[18:19]
.LBB259_1125:                           ;   in Loop: Header=BB259_626 Depth=1
	s_or_b64 exec, exec, s[16:17]
	v_cvt_f32_f16_sdwa v73, v1 dst_sel:DWORD dst_unused:UNUSED_PAD src0_sel:WORD_1
	v_cvt_f32_f16_sdwa v72, v27 dst_sel:DWORD dst_unused:UNUSED_PAD src0_sel:WORD_1
	v_or_b32_e32 v1, v1, v23
	v_or_b32_e32 v14, v27, v26
	;; [unrolled: 1-line block ×3, first 2 shown]
	s_waitcnt vmcnt(0)
	v_pk_mul_f32 v[26:27], v[22:23], v[72:73] op_sel_hi:[0,1]
	v_cvt_f32_f16_e32 v72, v14
	v_cvt_f32_f16_e32 v73, v1
	v_cvt_pk_f16_f32 v1, v26, v27
	v_and_b32_e32 v23, 0xffff0000, v1
	v_lshlrev_b32_e32 v14, 16, v1
	v_pk_mul_f32 v[26:27], v[22:23], v[72:73] op_sel_hi:[0,1]
	v_cvt_pk_f16_f32 v1, v26, v27
	v_or_b32_e32 v27, v30, v29
	v_cvt_f32_f16_e32 v28, v28
	v_cvt_f32_f16_e32 v29, v27
	v_cvt_f32_f16_sdwa v31, v30 dst_sel:DWORD dst_unused:UNUSED_PAD src0_sel:WORD_1
	v_cvt_f32_f16_sdwa v30, v24 dst_sel:DWORD dst_unused:UNUSED_PAD src0_sel:WORD_1
	v_lshrrev_b32_e32 v25, 16, v1
	v_pk_mul_f32 v[28:29], v[22:23], v[28:29] op_sel_hi:[0,1]
	v_cvt_pk_f16_f32 v72, v28, v29
	v_pk_mul_f32 v[28:29], v[22:23], v[30:31] op_sel_hi:[0,1]
	v_cvt_pk_f16_f32 v22, v28, v29
	v_and_b32_e32 v26, 0xffff, v1
	v_and_b32_e32 v27, 0xffff0000, v22
	v_lshlrev_b32_e32 v22, 16, v22
	v_lshrrev_b32_e32 v29, 16, v72
	v_and_b32_e32 v28, 0xffff, v72
	v_or_b32_e32 v1, v23, v25
	v_or_b32_e32 v24, v14, v26
	;; [unrolled: 1-line block ×4, first 2 shown]
	s_and_saveexec_b64 s[16:17], s[0:1]
	s_cbranch_execz .LBB259_1127
; %bb.1126:                             ;   in Loop: Header=BB259_626 Depth=1
	v_cmp_gt_i32_e32 vcc, s38, v42
	s_nop 1
	v_cndmask_b32_e32 v1, 0, v25, vcc
	v_cmp_gt_i32_e32 vcc, s33, v53
	s_nop 1
	v_cndmask_b32_e32 v24, 0, v26, vcc
	;; [unrolled: 3-line block ×3, first 2 shown]
	v_cmp_gt_i32_e32 vcc, s33, v51
	v_or_b32_e32 v1, v23, v1
	s_nop 0
	v_cndmask_b32_e32 v14, 0, v14, vcc
	v_cmp_gt_i32_e32 vcc, s38, v46
	v_or_b32_e32 v24, v14, v24
	s_nop 0
	v_cndmask_b32_e32 v14, 0, v29, vcc
	v_cmp_gt_i32_e32 vcc, s33, v45
	s_nop 1
	v_cndmask_b32_e32 v23, 0, v28, vcc
	v_cmp_gt_i32_e32 vcc, s38, v44
	;; [unrolled: 3-line block ×3, first 2 shown]
	v_or_b32_e32 v31, v25, v14
	s_nop 0
	v_cndmask_b32_e32 v22, 0, v22, vcc
	v_or_b32_e32 v30, v22, v23
.LBB259_1127:                           ;   in Loop: Header=BB259_626 Depth=1
	s_or_b64 exec, exec, s[16:17]
	;;#ASMSTART
	v_pk_mul_f16 v1, v50, v1;

	;;#ASMEND
	;;#ASMSTART
	v_pk_mul_f16 v14, v49, v24;

	;;#ASMEND
	;;#ASMSTART
	v_pk_mul_f16 v22, v48, v31;

	;;#ASMEND
	;;#ASMSTART
	v_pk_mul_f16 v23, v47, v30;

	;;#ASMEND
	s_nop 0
	;;#ASMSTART
	v_pk_add_f16 v1, v1, v14;

	;;#ASMEND
	s_nop 0
	;;#ASMSTART
	v_pk_add_f16 v1, v1, v22;

	;;#ASMEND
	v_add_co_u32_e32 v22, vcc, 0x1000, v20
	;;#ASMSTART
	v_pk_add_f16 v1, v1, v23;

	;;#ASMEND
	s_nop 0
	v_lshrrev_b32_e32 v14, 16, v1
	v_and_b32_e32 v1, 0xffff, v1
	v_addc_co_u32_e32 v23, vcc, 0, v21, vcc
	;;#ASMSTART
	v_cvt_f32_f16 v72, v1;
	;;#ASMEND
	;;#ASMSTART
	v_cvt_f32_f16 v73, v14;
	;;#ASMEND
	global_load_dwordx2 v[24:25], v[22:23], off offset:1024
	v_mov_b32_e32 v1, 0
	global_load_dword v22, v1, s[14:15]
	v_mov_b32_e32 v23, 0
	s_waitcnt vmcnt(1)
	v_cmp_ne_u16_sdwa s[18:19], v24, v15 src0_sel:BYTE_0 src1_sel:DWORD
	s_and_saveexec_b64 s[16:17], s[18:19]
	s_cbranch_execz .LBB259_1133
; %bb.1128:                             ;   in Loop: Header=BB259_626 Depth=1
	v_cmp_ne_u16_sdwa s[20:21], v24, s28 src0_sel:BYTE_0 src1_sel:DWORD
	v_mov_b32_e32 v23, 0x8000
	s_and_saveexec_b64 s[18:19], s[20:21]
	s_cbranch_execz .LBB259_1132
; %bb.1129:                             ;   in Loop: Header=BB259_626 Depth=1
	v_and_b32_e32 v14, 0x7f, v24
	v_cmp_ne_u32_e32 vcc, s29, v14
	v_mov_b32_e32 v23, 0x7c01
	s_and_saveexec_b64 s[20:21], vcc
	s_cbranch_execz .LBB259_1131
; %bb.1130:                             ;   in Loop: Header=BB259_626 Depth=1
	v_and_b32_e32 v23, 7, v24
	v_ffbh_u32_e32 v26, v23
	v_min_u32_e32 v29, 32, v26
	v_subrev_u32_e32 v26, 28, v29
	v_lshlrev_b64 v[26:27], v26, v[24:25]
	v_lshrrev_b32_e32 v28, 3, v14
	v_sub_u32_e32 v27, 29, v29
	v_cmp_gt_u32_e32 vcc, 8, v14
	v_and_b32_e32 v26, 7, v26
	s_nop 0
	v_cndmask_b32_e32 v14, v28, v27, vcc
	v_lshl_add_u32 v14, v14, 10, v41
	v_lshlrev_b32_e32 v27, 8, v24
	v_and_b32_e32 v14, 0xfc00, v14
	v_cndmask_b32_e32 v23, v23, v26, vcc
	v_and_or_b32 v14, v27, s30, v14
	v_lshl_or_b32 v23, v23, 7, v14
.LBB259_1131:                           ;   in Loop: Header=BB259_626 Depth=1
	s_or_b64 exec, exec, s[20:21]
.LBB259_1132:                           ;   in Loop: Header=BB259_626 Depth=1
	s_or_b64 exec, exec, s[18:19]
.LBB259_1133:                           ;   in Loop: Header=BB259_626 Depth=1
	s_or_b64 exec, exec, s[16:17]
	v_lshrrev_b16_e32 v14, 8, v24
	v_cmp_ne_u16_e32 vcc, 0, v14
	s_and_saveexec_b64 s[16:17], vcc
	s_cbranch_execz .LBB259_1139
; %bb.1134:                             ;   in Loop: Header=BB259_626 Depth=1
	v_cmp_ne_u16_e32 vcc, s28, v14
	v_bfrev_b32_e32 v1, 1
	s_and_saveexec_b64 s[18:19], vcc
	s_cbranch_execz .LBB259_1138
; %bb.1135:                             ;   in Loop: Header=BB259_626 Depth=1
	v_and_b32_e32 v26, 0x7f, v14
	v_cmp_ne_u32_e32 vcc, s29, v26
	v_mov_b32_e32 v1, 0x7c010000
	s_and_saveexec_b64 s[20:21], vcc
	s_cbranch_execz .LBB259_1137
; %bb.1136:                             ;   in Loop: Header=BB259_626 Depth=1
	v_and_b32_e32 v1, 7, v14
	v_ffbh_u32_e32 v28, v1
	v_min_u32_e32 v30, 32, v28
	v_subrev_u32_e32 v28, 28, v30
	v_lshlrev_b64 v[28:29], v28, v[14:15]
	v_lshrrev_b32_e32 v27, 3, v26
	v_sub_u32_e32 v29, 29, v30
	v_cmp_gt_u32_e32 vcc, 8, v26
	v_lshlrev_b32_e32 v14, 8, v14
	s_nop 0
	v_cndmask_b32_e32 v26, v27, v29, vcc
	v_lshl_add_u32 v26, v26, 10, v41
	v_and_b32_e32 v27, 7, v28
	v_and_or_b32 v14, v14, s30, v26
	v_cndmask_b32_e32 v1, v1, v27, vcc
	v_lshlrev_b32_e32 v14, 16, v14
	v_lshl_or_b32 v1, v1, 23, v14
.LBB259_1137:                           ;   in Loop: Header=BB259_626 Depth=1
	s_or_b64 exec, exec, s[20:21]
.LBB259_1138:                           ;   in Loop: Header=BB259_626 Depth=1
	s_or_b64 exec, exec, s[18:19]
.LBB259_1139:                           ;   in Loop: Header=BB259_626 Depth=1
	s_or_b64 exec, exec, s[16:17]
	v_lshrrev_b32_e32 v14, 16, v24
	v_cmp_ne_u16_sdwa s[18:19], v14, v15 src0_sel:BYTE_0 src1_sel:DWORD
	v_mov_b32_e32 v27, 0
	v_mov_b32_e32 v26, 0
	s_and_saveexec_b64 s[16:17], s[18:19]
	s_cbranch_execz .LBB259_1145
; %bb.1140:                             ;   in Loop: Header=BB259_626 Depth=1
	v_cmp_ne_u16_sdwa s[20:21], v14, s28 src0_sel:BYTE_0 src1_sel:DWORD
	v_mov_b32_e32 v26, 0x8000
	s_and_saveexec_b64 s[18:19], s[20:21]
	s_cbranch_execz .LBB259_1144
; %bb.1141:                             ;   in Loop: Header=BB259_626 Depth=1
	v_bfe_u32 v28, v24, 16, 7
	v_cmp_ne_u32_e32 vcc, s29, v28
	v_mov_b32_e32 v26, 0x7c01
	s_and_saveexec_b64 s[20:21], vcc
	s_cbranch_execz .LBB259_1143
; %bb.1142:                             ;   in Loop: Header=BB259_626 Depth=1
	v_and_b32_e32 v26, 7, v14
	v_ffbh_u32_e32 v30, v26
	v_min_u32_e32 v74, 32, v30
	v_subrev_u32_e32 v30, 28, v74
	v_lshlrev_b64 v[30:31], v30, v[14:15]
	v_lshrrev_b32_e32 v29, 3, v28
	v_sub_u32_e32 v31, 29, v74
	v_cmp_gt_u32_e32 vcc, 8, v28
	v_lshlrev_b32_e32 v14, 8, v14
	s_nop 0
	v_cndmask_b32_e32 v28, v29, v31, vcc
	v_lshl_add_u32 v28, v28, 10, v41
	v_and_b32_e32 v29, 7, v30
	v_and_b32_e32 v28, 0xfc00, v28
	v_cndmask_b32_e32 v26, v26, v29, vcc
	v_and_or_b32 v14, v14, s30, v28
	v_lshl_or_b32 v26, v26, 7, v14
.LBB259_1143:                           ;   in Loop: Header=BB259_626 Depth=1
	s_or_b64 exec, exec, s[20:21]
.LBB259_1144:                           ;   in Loop: Header=BB259_626 Depth=1
	s_or_b64 exec, exec, s[18:19]
.LBB259_1145:                           ;   in Loop: Header=BB259_626 Depth=1
	s_or_b64 exec, exec, s[16:17]
	v_cmp_lt_u32_e32 vcc, s7, v24
	s_and_saveexec_b64 s[16:17], vcc
	s_cbranch_execz .LBB259_1151
; %bb.1146:                             ;   in Loop: Header=BB259_626 Depth=1
	v_lshrrev_b32_e32 v14, 24, v24
	v_cmp_ne_u32_e32 vcc, s28, v14
	v_bfrev_b32_e32 v27, 1
	s_and_saveexec_b64 s[18:19], vcc
	s_cbranch_execz .LBB259_1150
; %bb.1147:                             ;   in Loop: Header=BB259_626 Depth=1
	v_and_b32_e32 v28, 0x7f, v14
	v_cmp_ne_u32_e32 vcc, s29, v28
	v_mov_b32_e32 v27, 0x7c010000
	s_and_saveexec_b64 s[20:21], vcc
	s_cbranch_execz .LBB259_1149
; %bb.1148:                             ;   in Loop: Header=BB259_626 Depth=1
	v_and_b32_e32 v27, 7, v14
	v_ffbh_u32_e32 v30, v27
	v_min_u32_e32 v74, 32, v30
	v_subrev_u32_e32 v30, 28, v74
	v_lshlrev_b64 v[30:31], v30, v[14:15]
	v_lshrrev_b32_e32 v29, 3, v28
	v_sub_u32_e32 v31, 29, v74
	v_cmp_gt_u32_e32 vcc, 8, v28
	v_lshlrev_b32_e32 v14, 8, v14
	s_nop 0
	v_cndmask_b32_e32 v28, v29, v31, vcc
	v_lshl_add_u32 v28, v28, 10, v41
	v_and_b32_e32 v29, 7, v30
	v_and_or_b32 v14, v14, s30, v28
	v_cndmask_b32_e32 v27, v27, v29, vcc
	v_lshlrev_b32_e32 v14, 16, v14
	v_lshl_or_b32 v27, v27, 23, v14
.LBB259_1149:                           ;   in Loop: Header=BB259_626 Depth=1
	s_or_b64 exec, exec, s[20:21]
.LBB259_1150:                           ;   in Loop: Header=BB259_626 Depth=1
	s_or_b64 exec, exec, s[18:19]
.LBB259_1151:                           ;   in Loop: Header=BB259_626 Depth=1
	s_or_b64 exec, exec, s[16:17]
	v_mov_b32_e32 v14, v25
	v_cmp_ne_u16_sdwa s[18:19], v25, v15 src0_sel:BYTE_0 src1_sel:DWORD
	v_mov_b32_e32 v28, 0
	v_mov_b32_e32 v29, 0
	s_and_saveexec_b64 s[16:17], s[18:19]
	s_cbranch_execz .LBB259_1157
; %bb.1152:                             ;   in Loop: Header=BB259_626 Depth=1
	v_cmp_ne_u16_sdwa s[20:21], v25, s28 src0_sel:BYTE_0 src1_sel:DWORD
	v_mov_b32_e32 v29, 0x8000
	s_and_saveexec_b64 s[18:19], s[20:21]
	s_cbranch_execz .LBB259_1156
; %bb.1153:                             ;   in Loop: Header=BB259_626 Depth=1
	v_and_b32_e32 v30, 0x7f, v25
	v_cmp_ne_u32_e32 vcc, s29, v30
	v_mov_b32_e32 v29, 0x7c01
	s_and_saveexec_b64 s[20:21], vcc
	s_cbranch_execz .LBB259_1155
; %bb.1154:                             ;   in Loop: Header=BB259_626 Depth=1
	v_and_b32_e32 v29, 7, v25
	v_ffbh_u32_e32 v74, v29
	v_min_u32_e32 v76, 32, v74
	v_subrev_u32_e32 v74, 28, v76
	v_lshlrev_b64 v[74:75], v74, v[14:15]
	v_lshrrev_b32_e32 v31, 3, v30
	v_sub_u32_e32 v75, 29, v76
	v_cmp_gt_u32_e32 vcc, 8, v30
	v_and_b32_e32 v74, 7, v74
	s_nop 0
	v_cndmask_b32_e32 v30, v31, v75, vcc
	v_lshl_add_u32 v30, v30, 10, v41
	v_lshlrev_b32_e32 v31, 8, v25
	v_and_b32_e32 v30, 0xfc00, v30
	v_cndmask_b32_e32 v29, v29, v74, vcc
	v_and_or_b32 v30, v31, s30, v30
	v_lshl_or_b32 v29, v29, 7, v30
.LBB259_1155:                           ;   in Loop: Header=BB259_626 Depth=1
	s_or_b64 exec, exec, s[20:21]
.LBB259_1156:                           ;   in Loop: Header=BB259_626 Depth=1
	s_or_b64 exec, exec, s[18:19]
.LBB259_1157:                           ;   in Loop: Header=BB259_626 Depth=1
	s_or_b64 exec, exec, s[16:17]
	v_lshrrev_b16_e32 v14, 8, v14
	v_cmp_ne_u16_e32 vcc, 0, v14
	v_mov_b32_e32 v30, 0
	s_and_saveexec_b64 s[16:17], vcc
	s_cbranch_execz .LBB259_1163
; %bb.1158:                             ;   in Loop: Header=BB259_626 Depth=1
	v_cmp_ne_u16_e32 vcc, s28, v14
	v_bfrev_b32_e32 v30, 1
	s_and_saveexec_b64 s[18:19], vcc
	s_cbranch_execz .LBB259_1162
; %bb.1159:                             ;   in Loop: Header=BB259_626 Depth=1
	v_and_b32_e32 v31, 0x7f, v14
	v_cmp_ne_u32_e32 vcc, s29, v31
	v_mov_b32_e32 v30, 0x7c010000
	s_and_saveexec_b64 s[20:21], vcc
	s_cbranch_execz .LBB259_1161
; %bb.1160:                             ;   in Loop: Header=BB259_626 Depth=1
	v_and_b32_e32 v30, 7, v14
	v_ffbh_u32_e32 v74, v30
	v_min_u32_e32 v77, 32, v74
	v_subrev_u32_e32 v74, 28, v77
	v_lshlrev_b64 v[74:75], v74, v[14:15]
	v_lshrrev_b32_e32 v76, 3, v31
	v_sub_u32_e32 v75, 29, v77
	v_cmp_gt_u32_e32 vcc, 8, v31
	v_lshlrev_b32_e32 v14, 8, v14
	v_and_b32_e32 v74, 7, v74
	v_cndmask_b32_e32 v31, v76, v75, vcc
	v_lshl_add_u32 v31, v31, 10, v41
	v_and_or_b32 v14, v14, s30, v31
	v_cndmask_b32_e32 v30, v30, v74, vcc
	v_lshlrev_b32_e32 v14, 16, v14
	v_lshl_or_b32 v30, v30, 23, v14
.LBB259_1161:                           ;   in Loop: Header=BB259_626 Depth=1
	s_or_b64 exec, exec, s[20:21]
.LBB259_1162:                           ;   in Loop: Header=BB259_626 Depth=1
	s_or_b64 exec, exec, s[18:19]
.LBB259_1163:                           ;   in Loop: Header=BB259_626 Depth=1
	s_or_b64 exec, exec, s[16:17]
	v_lshrrev_b32_e32 v14, 16, v25
	v_cmp_ne_u16_sdwa s[18:19], v14, v15 src0_sel:BYTE_0 src1_sel:DWORD
	s_and_saveexec_b64 s[16:17], s[18:19]
	s_cbranch_execz .LBB259_1169
; %bb.1164:                             ;   in Loop: Header=BB259_626 Depth=1
	v_cmp_ne_u16_sdwa s[20:21], v14, s28 src0_sel:BYTE_0 src1_sel:DWORD
	v_mov_b32_e32 v28, 0x8000
	s_and_saveexec_b64 s[18:19], s[20:21]
	s_cbranch_execz .LBB259_1168
; %bb.1165:                             ;   in Loop: Header=BB259_626 Depth=1
	v_bfe_u32 v31, v25, 16, 7
	v_cmp_ne_u32_e32 vcc, s29, v31
	v_mov_b32_e32 v28, 0x7c01
	s_and_saveexec_b64 s[20:21], vcc
	s_cbranch_execz .LBB259_1167
; %bb.1166:                             ;   in Loop: Header=BB259_626 Depth=1
	v_and_b32_e32 v28, 7, v14
	v_ffbh_u32_e32 v74, v28
	v_min_u32_e32 v77, 32, v74
	v_subrev_u32_e32 v74, 28, v77
	v_lshlrev_b64 v[74:75], v74, v[14:15]
	v_lshrrev_b32_e32 v76, 3, v31
	v_sub_u32_e32 v75, 29, v77
	v_cmp_gt_u32_e32 vcc, 8, v31
	v_lshlrev_b32_e32 v14, 8, v14
	v_and_b32_e32 v74, 7, v74
	v_cndmask_b32_e32 v31, v76, v75, vcc
	v_lshl_add_u32 v31, v31, 10, v41
	v_and_b32_e32 v31, 0xfc00, v31
	v_cndmask_b32_e32 v28, v28, v74, vcc
	v_and_or_b32 v14, v14, s30, v31
	v_lshl_or_b32 v28, v28, 7, v14
.LBB259_1167:                           ;   in Loop: Header=BB259_626 Depth=1
	s_or_b64 exec, exec, s[20:21]
.LBB259_1168:                           ;   in Loop: Header=BB259_626 Depth=1
	s_or_b64 exec, exec, s[18:19]
.LBB259_1169:                           ;   in Loop: Header=BB259_626 Depth=1
	s_or_b64 exec, exec, s[16:17]
	v_cmp_lt_u64_e32 vcc, s[6:7], v[24:25]
	v_mov_b32_e32 v24, 0
	s_and_saveexec_b64 s[16:17], vcc
	s_cbranch_execz .LBB259_1175
; %bb.1170:                             ;   in Loop: Header=BB259_626 Depth=1
	v_lshrrev_b32_e32 v14, 24, v25
	v_cmp_ne_u32_e32 vcc, s28, v14
	v_bfrev_b32_e32 v24, 1
	s_and_saveexec_b64 s[18:19], vcc
	s_cbranch_execz .LBB259_1174
; %bb.1171:                             ;   in Loop: Header=BB259_626 Depth=1
	v_and_b32_e32 v25, 0x7f, v14
	v_cmp_ne_u32_e32 vcc, s29, v25
	v_mov_b32_e32 v24, 0x7c010000
	s_and_saveexec_b64 s[20:21], vcc
	s_cbranch_execz .LBB259_1173
; %bb.1172:                             ;   in Loop: Header=BB259_626 Depth=1
	v_and_b32_e32 v24, 7, v14
	v_ffbh_u32_e32 v74, v24
	v_min_u32_e32 v76, 32, v74
	v_subrev_u32_e32 v74, 28, v76
	v_lshlrev_b64 v[74:75], v74, v[14:15]
	v_lshrrev_b32_e32 v31, 3, v25
	v_sub_u32_e32 v75, 29, v76
	v_cmp_gt_u32_e32 vcc, 8, v25
	v_lshlrev_b32_e32 v14, 8, v14
	s_nop 0
	v_cndmask_b32_e32 v25, v31, v75, vcc
	v_lshl_add_u32 v25, v25, 10, v41
	v_and_b32_e32 v31, 7, v74
	v_and_or_b32 v14, v14, s30, v25
	v_cndmask_b32_e32 v24, v24, v31, vcc
	v_lshlrev_b32_e32 v14, 16, v14
	v_lshl_or_b32 v24, v24, 23, v14
.LBB259_1173:                           ;   in Loop: Header=BB259_626 Depth=1
	s_or_b64 exec, exec, s[20:21]
.LBB259_1174:                           ;   in Loop: Header=BB259_626 Depth=1
	s_or_b64 exec, exec, s[18:19]
.LBB259_1175:                           ;   in Loop: Header=BB259_626 Depth=1
	s_or_b64 exec, exec, s[16:17]
	v_cvt_f32_f16_sdwa v75, v1 dst_sel:DWORD dst_unused:UNUSED_PAD src0_sel:WORD_1
	v_cvt_f32_f16_sdwa v74, v27 dst_sel:DWORD dst_unused:UNUSED_PAD src0_sel:WORD_1
	v_or_b32_e32 v1, v1, v23
	v_or_b32_e32 v14, v27, v26
	;; [unrolled: 1-line block ×3, first 2 shown]
	s_waitcnt vmcnt(0)
	v_pk_mul_f32 v[26:27], v[22:23], v[74:75] op_sel_hi:[0,1]
	v_cvt_f32_f16_e32 v74, v14
	v_cvt_f32_f16_e32 v75, v1
	v_cvt_pk_f16_f32 v1, v26, v27
	v_and_b32_e32 v23, 0xffff0000, v1
	v_lshlrev_b32_e32 v14, 16, v1
	v_pk_mul_f32 v[26:27], v[22:23], v[74:75] op_sel_hi:[0,1]
	v_cvt_pk_f16_f32 v1, v26, v27
	v_or_b32_e32 v27, v30, v29
	v_cvt_f32_f16_e32 v28, v28
	v_cvt_f32_f16_e32 v29, v27
	v_cvt_f32_f16_sdwa v31, v30 dst_sel:DWORD dst_unused:UNUSED_PAD src0_sel:WORD_1
	v_cvt_f32_f16_sdwa v30, v24 dst_sel:DWORD dst_unused:UNUSED_PAD src0_sel:WORD_1
	v_lshrrev_b32_e32 v25, 16, v1
	v_pk_mul_f32 v[28:29], v[22:23], v[28:29] op_sel_hi:[0,1]
	v_cvt_pk_f16_f32 v74, v28, v29
	v_pk_mul_f32 v[28:29], v[22:23], v[30:31] op_sel_hi:[0,1]
	v_cvt_pk_f16_f32 v22, v28, v29
	v_and_b32_e32 v26, 0xffff, v1
	v_and_b32_e32 v27, 0xffff0000, v22
	v_lshlrev_b32_e32 v22, 16, v22
	v_lshrrev_b32_e32 v29, 16, v74
	v_and_b32_e32 v28, 0xffff, v74
	v_or_b32_e32 v1, v23, v25
	v_or_b32_e32 v24, v14, v26
	;; [unrolled: 1-line block ×4, first 2 shown]
	s_and_saveexec_b64 s[16:17], s[0:1]
	s_cbranch_execz .LBB259_1177
; %bb.1176:                             ;   in Loop: Header=BB259_626 Depth=1
	v_cmp_gt_i32_e32 vcc, s38, v42
	s_nop 1
	v_cndmask_b32_e32 v1, 0, v25, vcc
	v_cmp_gt_i32_e32 vcc, s33, v53
	s_nop 1
	v_cndmask_b32_e32 v24, 0, v26, vcc
	v_cmp_gt_i32_e32 vcc, s38, v52
	s_nop 1
	v_cndmask_b32_e32 v23, 0, v23, vcc
	v_cmp_gt_i32_e32 vcc, s33, v51
	v_or_b32_e32 v1, v23, v1
	s_nop 0
	v_cndmask_b32_e32 v14, 0, v14, vcc
	v_cmp_gt_i32_e32 vcc, s38, v46
	v_or_b32_e32 v24, v14, v24
	s_nop 0
	v_cndmask_b32_e32 v14, 0, v29, vcc
	v_cmp_gt_i32_e32 vcc, s33, v45
	s_nop 1
	v_cndmask_b32_e32 v23, 0, v28, vcc
	v_cmp_gt_i32_e32 vcc, s38, v44
	;; [unrolled: 3-line block ×3, first 2 shown]
	v_or_b32_e32 v31, v25, v14
	s_nop 0
	v_cndmask_b32_e32 v22, 0, v22, vcc
	v_or_b32_e32 v30, v22, v23
.LBB259_1177:                           ;   in Loop: Header=BB259_626 Depth=1
	s_or_b64 exec, exec, s[16:17]
	;;#ASMSTART
	v_pk_mul_f16 v1, v50, v1;

	;;#ASMEND
	;;#ASMSTART
	v_pk_mul_f16 v14, v49, v24;

	;;#ASMEND
	;; [unrolled: 4-line block ×4, first 2 shown]
	v_add_co_u32_e32 v20, vcc, 0x1000, v20
	;;#ASMSTART
	v_pk_add_f16 v1, v1, v14;

	;;#ASMEND
	s_nop 0
	;;#ASMSTART
	v_pk_add_f16 v1, v1, v22;

	;;#ASMEND
	s_nop 0
	v_addc_co_u32_e32 v21, vcc, 0, v21, vcc
	;;#ASMSTART
	v_pk_add_f16 v1, v1, v23;

	;;#ASMEND
	s_nop 0
	v_lshrrev_b32_e32 v14, 16, v1
	v_and_b32_e32 v1, 0xffff, v1
	;;#ASMSTART
	v_cvt_f32_f16 v30, v1;
	;;#ASMEND
	;;#ASMSTART
	v_cvt_f32_f16 v31, v14;
	;;#ASMEND
	global_load_dwordx2 v[22:23], v[20:21], off offset:1536
	v_mov_b32_e32 v1, 0
	global_load_dword v20, v1, s[14:15]
	v_mov_b32_e32 v21, 0
	s_waitcnt vmcnt(1)
	v_cmp_ne_u16_sdwa s[18:19], v22, v15 src0_sel:BYTE_0 src1_sel:DWORD
	s_and_saveexec_b64 s[16:17], s[18:19]
	s_cbranch_execz .LBB259_1183
; %bb.1178:                             ;   in Loop: Header=BB259_626 Depth=1
	v_cmp_ne_u16_sdwa s[20:21], v22, s28 src0_sel:BYTE_0 src1_sel:DWORD
	v_mov_b32_e32 v21, 0x8000
	s_and_saveexec_b64 s[18:19], s[20:21]
	s_cbranch_execz .LBB259_1182
; %bb.1179:                             ;   in Loop: Header=BB259_626 Depth=1
	v_and_b32_e32 v14, 0x7f, v22
	v_cmp_ne_u32_e32 vcc, s29, v14
	v_mov_b32_e32 v21, 0x7c01
	s_and_saveexec_b64 s[20:21], vcc
	s_cbranch_execz .LBB259_1181
; %bb.1180:                             ;   in Loop: Header=BB259_626 Depth=1
	v_and_b32_e32 v21, 7, v22
	v_ffbh_u32_e32 v24, v21
	v_min_u32_e32 v27, 32, v24
	v_subrev_u32_e32 v24, 28, v27
	v_lshlrev_b64 v[24:25], v24, v[22:23]
	v_lshrrev_b32_e32 v26, 3, v14
	v_sub_u32_e32 v25, 29, v27
	v_cmp_gt_u32_e32 vcc, 8, v14
	v_and_b32_e32 v24, 7, v24
	s_nop 0
	v_cndmask_b32_e32 v14, v26, v25, vcc
	v_lshl_add_u32 v14, v14, 10, v41
	v_lshlrev_b32_e32 v25, 8, v22
	v_and_b32_e32 v14, 0xfc00, v14
	v_cndmask_b32_e32 v21, v21, v24, vcc
	v_and_or_b32 v14, v25, s30, v14
	v_lshl_or_b32 v21, v21, 7, v14
.LBB259_1181:                           ;   in Loop: Header=BB259_626 Depth=1
	s_or_b64 exec, exec, s[20:21]
.LBB259_1182:                           ;   in Loop: Header=BB259_626 Depth=1
	s_or_b64 exec, exec, s[18:19]
.LBB259_1183:                           ;   in Loop: Header=BB259_626 Depth=1
	s_or_b64 exec, exec, s[16:17]
	v_lshrrev_b16_e32 v14, 8, v22
	v_cmp_ne_u16_e32 vcc, 0, v14
	s_and_saveexec_b64 s[16:17], vcc
	s_cbranch_execz .LBB259_1189
; %bb.1184:                             ;   in Loop: Header=BB259_626 Depth=1
	v_cmp_ne_u16_e32 vcc, s28, v14
	v_bfrev_b32_e32 v1, 1
	s_and_saveexec_b64 s[18:19], vcc
	s_cbranch_execz .LBB259_1188
; %bb.1185:                             ;   in Loop: Header=BB259_626 Depth=1
	v_and_b32_e32 v24, 0x7f, v14
	v_cmp_ne_u32_e32 vcc, s29, v24
	v_mov_b32_e32 v1, 0x7c010000
	s_and_saveexec_b64 s[20:21], vcc
	s_cbranch_execz .LBB259_1187
; %bb.1186:                             ;   in Loop: Header=BB259_626 Depth=1
	v_and_b32_e32 v1, 7, v14
	v_ffbh_u32_e32 v26, v1
	v_min_u32_e32 v28, 32, v26
	v_subrev_u32_e32 v26, 28, v28
	v_lshlrev_b64 v[26:27], v26, v[14:15]
	v_lshrrev_b32_e32 v25, 3, v24
	v_sub_u32_e32 v27, 29, v28
	v_cmp_gt_u32_e32 vcc, 8, v24
	v_lshlrev_b32_e32 v14, 8, v14
	s_nop 0
	v_cndmask_b32_e32 v24, v25, v27, vcc
	v_lshl_add_u32 v24, v24, 10, v41
	v_and_b32_e32 v25, 7, v26
	v_and_or_b32 v14, v14, s30, v24
	v_cndmask_b32_e32 v1, v1, v25, vcc
	v_lshlrev_b32_e32 v14, 16, v14
	v_lshl_or_b32 v1, v1, 23, v14
.LBB259_1187:                           ;   in Loop: Header=BB259_626 Depth=1
	s_or_b64 exec, exec, s[20:21]
.LBB259_1188:                           ;   in Loop: Header=BB259_626 Depth=1
	s_or_b64 exec, exec, s[18:19]
.LBB259_1189:                           ;   in Loop: Header=BB259_626 Depth=1
	s_or_b64 exec, exec, s[16:17]
	v_lshrrev_b32_e32 v14, 16, v22
	v_cmp_ne_u16_sdwa s[18:19], v14, v15 src0_sel:BYTE_0 src1_sel:DWORD
	v_mov_b32_e32 v25, 0
	v_mov_b32_e32 v24, 0
	s_and_saveexec_b64 s[16:17], s[18:19]
	s_cbranch_execz .LBB259_1195
; %bb.1190:                             ;   in Loop: Header=BB259_626 Depth=1
	v_cmp_ne_u16_sdwa s[20:21], v14, s28 src0_sel:BYTE_0 src1_sel:DWORD
	v_mov_b32_e32 v24, 0x8000
	s_and_saveexec_b64 s[18:19], s[20:21]
	s_cbranch_execz .LBB259_1194
; %bb.1191:                             ;   in Loop: Header=BB259_626 Depth=1
	v_bfe_u32 v26, v22, 16, 7
	v_cmp_ne_u32_e32 vcc, s29, v26
	v_mov_b32_e32 v24, 0x7c01
	s_and_saveexec_b64 s[20:21], vcc
	s_cbranch_execz .LBB259_1193
; %bb.1192:                             ;   in Loop: Header=BB259_626 Depth=1
	v_and_b32_e32 v24, 7, v14
	v_ffbh_u32_e32 v28, v24
	v_min_u32_e32 v74, 32, v28
	v_subrev_u32_e32 v28, 28, v74
	v_lshlrev_b64 v[28:29], v28, v[14:15]
	v_lshrrev_b32_e32 v27, 3, v26
	v_sub_u32_e32 v29, 29, v74
	v_cmp_gt_u32_e32 vcc, 8, v26
	v_lshlrev_b32_e32 v14, 8, v14
	s_nop 0
	v_cndmask_b32_e32 v26, v27, v29, vcc
	v_lshl_add_u32 v26, v26, 10, v41
	v_and_b32_e32 v27, 7, v28
	v_and_b32_e32 v26, 0xfc00, v26
	v_cndmask_b32_e32 v24, v24, v27, vcc
	v_and_or_b32 v14, v14, s30, v26
	v_lshl_or_b32 v24, v24, 7, v14
.LBB259_1193:                           ;   in Loop: Header=BB259_626 Depth=1
	s_or_b64 exec, exec, s[20:21]
.LBB259_1194:                           ;   in Loop: Header=BB259_626 Depth=1
	s_or_b64 exec, exec, s[18:19]
.LBB259_1195:                           ;   in Loop: Header=BB259_626 Depth=1
	s_or_b64 exec, exec, s[16:17]
	v_cmp_lt_u32_e32 vcc, s7, v22
	s_and_saveexec_b64 s[16:17], vcc
	s_cbranch_execz .LBB259_1201
; %bb.1196:                             ;   in Loop: Header=BB259_626 Depth=1
	v_lshrrev_b32_e32 v14, 24, v22
	v_cmp_ne_u32_e32 vcc, s28, v14
	v_bfrev_b32_e32 v25, 1
	s_and_saveexec_b64 s[18:19], vcc
	s_cbranch_execz .LBB259_1200
; %bb.1197:                             ;   in Loop: Header=BB259_626 Depth=1
	v_and_b32_e32 v26, 0x7f, v14
	v_cmp_ne_u32_e32 vcc, s29, v26
	v_mov_b32_e32 v25, 0x7c010000
	s_and_saveexec_b64 s[20:21], vcc
	s_cbranch_execz .LBB259_1199
; %bb.1198:                             ;   in Loop: Header=BB259_626 Depth=1
	v_and_b32_e32 v25, 7, v14
	v_ffbh_u32_e32 v28, v25
	v_min_u32_e32 v74, 32, v28
	v_subrev_u32_e32 v28, 28, v74
	v_lshlrev_b64 v[28:29], v28, v[14:15]
	v_lshrrev_b32_e32 v27, 3, v26
	v_sub_u32_e32 v29, 29, v74
	v_cmp_gt_u32_e32 vcc, 8, v26
	v_lshlrev_b32_e32 v14, 8, v14
	s_nop 0
	v_cndmask_b32_e32 v26, v27, v29, vcc
	v_lshl_add_u32 v26, v26, 10, v41
	v_and_b32_e32 v27, 7, v28
	v_and_or_b32 v14, v14, s30, v26
	v_cndmask_b32_e32 v25, v25, v27, vcc
	v_lshlrev_b32_e32 v14, 16, v14
	v_lshl_or_b32 v25, v25, 23, v14
.LBB259_1199:                           ;   in Loop: Header=BB259_626 Depth=1
	s_or_b64 exec, exec, s[20:21]
.LBB259_1200:                           ;   in Loop: Header=BB259_626 Depth=1
	s_or_b64 exec, exec, s[18:19]
.LBB259_1201:                           ;   in Loop: Header=BB259_626 Depth=1
	s_or_b64 exec, exec, s[16:17]
	v_mov_b32_e32 v14, v23
	v_cmp_ne_u16_sdwa s[18:19], v23, v15 src0_sel:BYTE_0 src1_sel:DWORD
	v_mov_b32_e32 v26, 0
	v_mov_b32_e32 v27, 0
	s_and_saveexec_b64 s[16:17], s[18:19]
	s_cbranch_execz .LBB259_1207
; %bb.1202:                             ;   in Loop: Header=BB259_626 Depth=1
	v_cmp_ne_u16_sdwa s[20:21], v23, s28 src0_sel:BYTE_0 src1_sel:DWORD
	v_mov_b32_e32 v27, 0x8000
	s_and_saveexec_b64 s[18:19], s[20:21]
	s_cbranch_execz .LBB259_1206
; %bb.1203:                             ;   in Loop: Header=BB259_626 Depth=1
	v_and_b32_e32 v28, 0x7f, v23
	v_cmp_ne_u32_e32 vcc, s29, v28
	v_mov_b32_e32 v27, 0x7c01
	s_and_saveexec_b64 s[20:21], vcc
	s_cbranch_execz .LBB259_1205
; %bb.1204:                             ;   in Loop: Header=BB259_626 Depth=1
	v_and_b32_e32 v27, 7, v23
	v_ffbh_u32_e32 v74, v27
	v_min_u32_e32 v76, 32, v74
	v_subrev_u32_e32 v74, 28, v76
	v_lshlrev_b64 v[74:75], v74, v[14:15]
	v_lshrrev_b32_e32 v29, 3, v28
	v_sub_u32_e32 v75, 29, v76
	v_cmp_gt_u32_e32 vcc, 8, v28
	v_and_b32_e32 v74, 7, v74
	s_nop 0
	v_cndmask_b32_e32 v28, v29, v75, vcc
	v_lshl_add_u32 v28, v28, 10, v41
	v_lshlrev_b32_e32 v29, 8, v23
	v_and_b32_e32 v28, 0xfc00, v28
	v_cndmask_b32_e32 v27, v27, v74, vcc
	v_and_or_b32 v28, v29, s30, v28
	v_lshl_or_b32 v27, v27, 7, v28
.LBB259_1205:                           ;   in Loop: Header=BB259_626 Depth=1
	s_or_b64 exec, exec, s[20:21]
.LBB259_1206:                           ;   in Loop: Header=BB259_626 Depth=1
	s_or_b64 exec, exec, s[18:19]
.LBB259_1207:                           ;   in Loop: Header=BB259_626 Depth=1
	s_or_b64 exec, exec, s[16:17]
	v_lshrrev_b16_e32 v14, 8, v14
	v_cmp_ne_u16_e32 vcc, 0, v14
	v_mov_b32_e32 v28, 0
	s_and_saveexec_b64 s[16:17], vcc
	s_cbranch_execz .LBB259_1213
; %bb.1208:                             ;   in Loop: Header=BB259_626 Depth=1
	v_cmp_ne_u16_e32 vcc, s28, v14
	v_bfrev_b32_e32 v28, 1
	s_and_saveexec_b64 s[18:19], vcc
	s_cbranch_execz .LBB259_1212
; %bb.1209:                             ;   in Loop: Header=BB259_626 Depth=1
	v_and_b32_e32 v29, 0x7f, v14
	v_cmp_ne_u32_e32 vcc, s29, v29
	v_mov_b32_e32 v28, 0x7c010000
	s_and_saveexec_b64 s[20:21], vcc
	s_cbranch_execz .LBB259_1211
; %bb.1210:                             ;   in Loop: Header=BB259_626 Depth=1
	v_and_b32_e32 v28, 7, v14
	v_ffbh_u32_e32 v74, v28
	v_min_u32_e32 v77, 32, v74
	v_subrev_u32_e32 v74, 28, v77
	v_lshlrev_b64 v[74:75], v74, v[14:15]
	v_lshrrev_b32_e32 v76, 3, v29
	v_sub_u32_e32 v75, 29, v77
	v_cmp_gt_u32_e32 vcc, 8, v29
	v_lshlrev_b32_e32 v14, 8, v14
	v_and_b32_e32 v74, 7, v74
	v_cndmask_b32_e32 v29, v76, v75, vcc
	v_lshl_add_u32 v29, v29, 10, v41
	v_and_or_b32 v14, v14, s30, v29
	v_cndmask_b32_e32 v28, v28, v74, vcc
	v_lshlrev_b32_e32 v14, 16, v14
	v_lshl_or_b32 v28, v28, 23, v14
.LBB259_1211:                           ;   in Loop: Header=BB259_626 Depth=1
	s_or_b64 exec, exec, s[20:21]
.LBB259_1212:                           ;   in Loop: Header=BB259_626 Depth=1
	s_or_b64 exec, exec, s[18:19]
.LBB259_1213:                           ;   in Loop: Header=BB259_626 Depth=1
	s_or_b64 exec, exec, s[16:17]
	v_lshrrev_b32_e32 v14, 16, v23
	v_cmp_ne_u16_sdwa s[18:19], v14, v15 src0_sel:BYTE_0 src1_sel:DWORD
	s_and_saveexec_b64 s[16:17], s[18:19]
	s_cbranch_execz .LBB259_1219
; %bb.1214:                             ;   in Loop: Header=BB259_626 Depth=1
	v_cmp_ne_u16_sdwa s[20:21], v14, s28 src0_sel:BYTE_0 src1_sel:DWORD
	v_mov_b32_e32 v26, 0x8000
	s_and_saveexec_b64 s[18:19], s[20:21]
	s_cbranch_execz .LBB259_1218
; %bb.1215:                             ;   in Loop: Header=BB259_626 Depth=1
	v_bfe_u32 v29, v23, 16, 7
	v_cmp_ne_u32_e32 vcc, s29, v29
	v_mov_b32_e32 v26, 0x7c01
	s_and_saveexec_b64 s[20:21], vcc
	s_cbranch_execz .LBB259_1217
; %bb.1216:                             ;   in Loop: Header=BB259_626 Depth=1
	v_and_b32_e32 v26, 7, v14
	v_ffbh_u32_e32 v74, v26
	v_min_u32_e32 v77, 32, v74
	v_subrev_u32_e32 v74, 28, v77
	v_lshlrev_b64 v[74:75], v74, v[14:15]
	v_lshrrev_b32_e32 v76, 3, v29
	v_sub_u32_e32 v75, 29, v77
	v_cmp_gt_u32_e32 vcc, 8, v29
	v_lshlrev_b32_e32 v14, 8, v14
	v_and_b32_e32 v74, 7, v74
	v_cndmask_b32_e32 v29, v76, v75, vcc
	v_lshl_add_u32 v29, v29, 10, v41
	v_and_b32_e32 v29, 0xfc00, v29
	v_cndmask_b32_e32 v26, v26, v74, vcc
	v_and_or_b32 v14, v14, s30, v29
	v_lshl_or_b32 v26, v26, 7, v14
.LBB259_1217:                           ;   in Loop: Header=BB259_626 Depth=1
	s_or_b64 exec, exec, s[20:21]
.LBB259_1218:                           ;   in Loop: Header=BB259_626 Depth=1
	s_or_b64 exec, exec, s[18:19]
.LBB259_1219:                           ;   in Loop: Header=BB259_626 Depth=1
	s_or_b64 exec, exec, s[16:17]
	v_cmp_lt_u64_e32 vcc, s[6:7], v[22:23]
	v_mov_b32_e32 v29, 0
	s_and_saveexec_b64 s[16:17], vcc
	s_cbranch_execz .LBB259_1225
; %bb.1220:                             ;   in Loop: Header=BB259_626 Depth=1
	v_lshrrev_b32_e32 v14, 24, v23
	v_cmp_ne_u32_e32 vcc, s28, v14
	v_bfrev_b32_e32 v29, 1
	s_and_saveexec_b64 s[18:19], vcc
	s_cbranch_execz .LBB259_1224
; %bb.1221:                             ;   in Loop: Header=BB259_626 Depth=1
	v_and_b32_e32 v22, 0x7f, v14
	v_cmp_ne_u32_e32 vcc, s29, v22
	v_mov_b32_e32 v29, 0x7c010000
	s_and_saveexec_b64 s[20:21], vcc
	s_cbranch_execz .LBB259_1223
; %bb.1222:                             ;   in Loop: Header=BB259_626 Depth=1
	v_and_b32_e32 v23, 7, v14
	v_ffbh_u32_e32 v74, v23
	v_min_u32_e32 v76, 32, v74
	v_subrev_u32_e32 v74, 28, v76
	v_lshlrev_b64 v[74:75], v74, v[14:15]
	v_lshrrev_b32_e32 v29, 3, v22
	v_sub_u32_e32 v75, 29, v76
	v_cmp_gt_u32_e32 vcc, 8, v22
	v_lshlrev_b32_e32 v14, 8, v14
	s_nop 0
	v_cndmask_b32_e32 v22, v29, v75, vcc
	v_lshl_add_u32 v22, v22, 10, v41
	v_and_b32_e32 v29, 7, v74
	v_and_or_b32 v14, v14, s30, v22
	v_cndmask_b32_e32 v23, v23, v29, vcc
	v_lshlrev_b32_e32 v14, 16, v14
	v_lshl_or_b32 v29, v23, 23, v14
.LBB259_1223:                           ;   in Loop: Header=BB259_626 Depth=1
	s_or_b64 exec, exec, s[20:21]
.LBB259_1224:                           ;   in Loop: Header=BB259_626 Depth=1
	s_or_b64 exec, exec, s[18:19]
.LBB259_1225:                           ;   in Loop: Header=BB259_626 Depth=1
	s_or_b64 exec, exec, s[16:17]
	v_cvt_f32_f16_sdwa v23, v1 dst_sel:DWORD dst_unused:UNUSED_PAD src0_sel:WORD_1
	v_cvt_f32_f16_sdwa v22, v25 dst_sel:DWORD dst_unused:UNUSED_PAD src0_sel:WORD_1
	v_or_b32_e32 v1, v1, v21
	v_or_b32_e32 v14, v25, v24
	v_cvt_f32_f16_e32 v24, v14
	s_waitcnt vmcnt(0)
	v_pk_mul_f32 v[22:23], v[20:21], v[22:23] op_sel_hi:[0,1]
	v_cvt_f32_f16_e32 v25, v1
	v_cvt_pk_f16_f32 v1, v22, v23
	v_or_b32_e32 v14, v28, v27
	v_or_b32_e32 v23, v29, v26
	v_cvt_f32_f16_e32 v26, v23
	v_cvt_f32_f16_e32 v27, v14
	v_cvt_f32_f16_sdwa v75, v28 dst_sel:DWORD dst_unused:UNUSED_PAD src0_sel:WORD_1
	v_cvt_f32_f16_sdwa v74, v29 dst_sel:DWORD dst_unused:UNUSED_PAD src0_sel:WORD_1
	v_and_b32_e32 v21, 0xffff0000, v1
	v_pk_mul_f32 v[26:27], v[20:21], v[26:27] op_sel_hi:[0,1]
	v_pk_mul_f32 v[24:25], v[20:21], v[24:25] op_sel_hi:[0,1]
	v_cvt_pk_f16_f32 v23, v26, v27
	v_pk_mul_f32 v[26:27], v[20:21], v[74:75] op_sel_hi:[0,1]
	v_lshlrev_b32_e32 v22, 16, v1
	v_cvt_pk_f16_f32 v1, v24, v25
	v_cvt_pk_f16_f32 v20, v26, v27
	v_lshrrev_b32_e32 v25, 16, v1
	v_and_b32_e32 v24, 0xffff, v1
	v_and_b32_e32 v27, 0xffff0000, v20
	v_lshlrev_b32_e32 v26, 16, v20
	v_lshrrev_b32_e32 v29, 16, v23
	v_and_b32_e32 v28, 0xffff, v23
	v_or_b32_e32 v1, v21, v25
	v_or_b32_e32 v14, v22, v24
	;; [unrolled: 1-line block ×4, first 2 shown]
	s_and_saveexec_b64 s[16:17], s[0:1]
	s_cbranch_execz .LBB259_624
; %bb.1226:                             ;   in Loop: Header=BB259_626 Depth=1
	v_cmp_gt_i32_e32 vcc, s38, v42
	s_nop 1
	v_cndmask_b32_e32 v1, 0, v25, vcc
	v_cmp_gt_i32_e32 vcc, s33, v53
	s_nop 1
	v_cndmask_b32_e32 v14, 0, v24, vcc
	v_cmp_gt_i32_e32 vcc, s38, v52
	s_nop 1
	v_cndmask_b32_e32 v20, 0, v21, vcc
	v_cmp_gt_i32_e32 vcc, s33, v51
	v_or_b32_e32 v1, v20, v1
	s_nop 0
	v_cndmask_b32_e32 v21, 0, v22, vcc
	v_cmp_gt_i32_e32 vcc, s38, v46
	v_or_b32_e32 v14, v21, v14
	s_nop 0
	v_cndmask_b32_e32 v20, 0, v29, vcc
	v_cmp_gt_i32_e32 vcc, s33, v45
	s_nop 1
	v_cndmask_b32_e32 v21, 0, v28, vcc
	v_cmp_gt_i32_e32 vcc, s38, v44
	;; [unrolled: 3-line block ×3, first 2 shown]
	v_or_b32_e32 v23, v22, v20
	s_nop 0
	v_cndmask_b32_e32 v24, 0, v26, vcc
	v_or_b32_e32 v20, v24, v21
	s_branch .LBB259_624
.LBB259_1227:
	s_or_b64 exec, exec, s[8:9]
.LBB259_1228:
	s_or_b64 exec, exec, s[2:3]
	ds_bpermute_b32 v14, v35, v12
	ds_bpermute_b32 v15, v35, v13
	;; [unrolled: 1-line block ×6, first 2 shown]
	s_waitcnt lgkmcnt(4)
	v_pk_add_f32 v[12:13], v[12:13], v[14:15]
	ds_bpermute_b32 v14, v36, v12
	ds_bpermute_b32 v15, v36, v13
	s_waitcnt lgkmcnt(4)
	v_pk_add_f32 v[16:17], v[10:11], v[16:17]
	s_waitcnt lgkmcnt(2)
	v_pk_add_f32 v[8:9], v[8:9], v[18:19]
	ds_bpermute_b32 v18, v35, v4
	ds_bpermute_b32 v19, v35, v5
	s_waitcnt lgkmcnt(2)
	v_pk_add_f32 v[10:11], v[12:13], v[14:15]
	ds_bpermute_b32 v12, v35, v6
	ds_bpermute_b32 v13, v35, v7
	ds_bpermute_b32 v24, v35, v2
	ds_bpermute_b32 v25, v35, v3
	ds_bpermute_b32 v14, v36, v8
	ds_bpermute_b32 v15, v36, v9
	s_waitcnt lgkmcnt(4)
	v_pk_add_f32 v[6:7], v[6:7], v[12:13]
	v_pk_add_f32 v[4:5], v[4:5], v[18:19]
	ds_bpermute_b32 v20, v36, v16
	ds_bpermute_b32 v21, v36, v17
	;; [unrolled: 1-line block ×6, first 2 shown]
	s_waitcnt lgkmcnt(8)
	v_pk_add_f32 v[2:3], v[2:3], v[24:25]
	s_waitcnt lgkmcnt(6)
	v_pk_add_f32 v[8:9], v[8:9], v[14:15]
	ds_bpermute_b32 v14, v36, v2
	ds_bpermute_b32 v15, v36, v3
	v_and_b32_e32 v1, 0x3c3, v0
	s_waitcnt lgkmcnt(6)
	v_pk_add_f32 v[12:13], v[16:17], v[20:21]
	s_waitcnt lgkmcnt(4)
	v_pk_add_f32 v[6:7], v[6:7], v[22:23]
	;; [unrolled: 2-line block ×3, first 2 shown]
	v_cmp_ne_u32_e32 vcc, 64, v1
	s_waitcnt lgkmcnt(0)
	s_barrier
	s_and_saveexec_b64 s[0:1], vcc
	s_xor_b64 s[0:1], exec, s[0:1]
; %bb.1229:
                                        ; implicit-def: $vgpr34
; %bb.1230:
	s_or_saveexec_b64 s[0:1], s[0:1]
	v_pk_add_f32 v[2:3], v[2:3], v[14:15]
	s_xor_b64 exec, exec, s[0:1]
	s_cbranch_execz .LBB259_1232
; %bb.1231:
	v_add_u32_e32 v14, 0x190, v34
	ds_write2_b32 v14, v10, v11 offset1:16
	ds_write2_b32 v14, v12, v13 offset0:32 offset1:48
	ds_write2_b32 v14, v8, v9 offset0:64 offset1:80
	;; [unrolled: 1-line block ×5, first 2 shown]
.LBB259_1232:
	s_or_b64 exec, exec, s[0:1]
	v_cmp_gt_u32_e32 vcc, 64, v0
	v_lshrrev_b32_e32 v0, 2, v0
	s_waitcnt lgkmcnt(0)
	s_barrier
	s_and_saveexec_b64 s[0:1], vcc
	s_cbranch_execz .LBB259_1247
; %bb.1233:
	v_mov_b32_e32 v14, 0x190
	v_cmp_eq_u32_e32 vcc, 0, v37
	v_lshl_add_u32 v14, v0, 2, v14
	s_and_saveexec_b64 s[2:3], vcc
	s_cbranch_execnz .LBB259_1250
; %bb.1234:
	s_or_b64 exec, exec, s[2:3]
	s_and_saveexec_b64 s[2:3], vcc
	s_cbranch_execnz .LBB259_1251
.LBB259_1235:
	s_or_b64 exec, exec, s[2:3]
	s_and_saveexec_b64 s[2:3], vcc
	s_cbranch_execnz .LBB259_1252
.LBB259_1236:
	s_or_b64 exec, exec, s[2:3]
	s_and_saveexec_b64 s[2:3], vcc
	s_cbranch_execnz .LBB259_1253
.LBB259_1237:
	s_or_b64 exec, exec, s[2:3]
	s_and_saveexec_b64 s[2:3], vcc
	s_cbranch_execnz .LBB259_1254
.LBB259_1238:
	s_or_b64 exec, exec, s[2:3]
	s_and_saveexec_b64 s[2:3], vcc
	s_cbranch_execnz .LBB259_1255
.LBB259_1239:
	s_or_b64 exec, exec, s[2:3]
	s_and_saveexec_b64 s[2:3], vcc
	s_cbranch_execnz .LBB259_1256
.LBB259_1240:
	s_or_b64 exec, exec, s[2:3]
	s_and_saveexec_b64 s[2:3], vcc
	s_cbranch_execnz .LBB259_1257
.LBB259_1241:
	s_or_b64 exec, exec, s[2:3]
	s_and_saveexec_b64 s[2:3], vcc
	s_cbranch_execnz .LBB259_1258
.LBB259_1242:
	s_or_b64 exec, exec, s[2:3]
	s_and_saveexec_b64 s[2:3], vcc
	s_cbranch_execnz .LBB259_1259
.LBB259_1243:
	s_or_b64 exec, exec, s[2:3]
	s_and_saveexec_b64 s[2:3], vcc
	s_cbranch_execnz .LBB259_1260
.LBB259_1244:
	s_or_b64 exec, exec, s[2:3]
	s_and_saveexec_b64 s[2:3], vcc
	s_cbranch_execz .LBB259_1246
.LBB259_1245:
	ds_read_b32 v14, v14 offset:704
	s_waitcnt lgkmcnt(0)
	v_add_f32_e32 v3, v3, v14
.LBB259_1246:
	s_or_b64 exec, exec, s[2:3]
.LBB259_1247:
	s_or_b64 exec, exec, s[0:1]
	v_cmp_eq_u32_e32 vcc, 0, v1
	s_barrier
	s_and_saveexec_b64 s[0:1], vcc
	s_cbranch_execz .LBB259_1249
; %bb.1248:
	s_mul_i32 s0, s10, s11
	s_mul_i32 s0, s0, s5
	s_mulk_i32 s0, 0xc0
	s_ashr_i32 s1, s0, 31
	s_lshl_b64 s[0:1], s[0:1], 1
	s_add_u32 s2, s26, s0
	s_mul_i32 s0, s11, s24
	s_addc_u32 s3, s27, s1
	s_ashr_i32 s1, s0, 31
	s_lshl_b64 s[0:1], s[0:1], 1
	s_add_u32 s2, s2, s0
	s_mul_i32 s0, s4, 0xc0
	s_addc_u32 s3, s3, s1
	s_ashr_i32 s1, s0, 31
	s_lshl_b64 s[0:1], s[0:1], 1
	s_add_u32 s0, s2, s0
	s_addc_u32 s1, s3, s1
	v_lshlrev_b32_e32 v0, 1, v0
	;;#ASMSTART
	v_cvt_f16_f32 v1, v10;

	;;#ASMEND
	global_store_short v0, v1, s[0:1]
	;;#ASMSTART
	v_cvt_f16_f32 v1, v11;

	;;#ASMEND
	global_store_short v0, v1, s[0:1] offset:32
	;;#ASMSTART
	v_cvt_f16_f32 v1, v12;

	;;#ASMEND
	global_store_short v0, v1, s[0:1] offset:64
	;; [unrolled: 5-line block ×11, first 2 shown]
.LBB259_1249:
	s_endpgm
.LBB259_1250:
	ds_read_b32 v15, v14
	s_waitcnt lgkmcnt(0)
	v_add_f32_e32 v10, v10, v15
	s_or_b64 exec, exec, s[2:3]
	s_and_saveexec_b64 s[2:3], vcc
	s_cbranch_execz .LBB259_1235
.LBB259_1251:
	ds_read_b32 v15, v14 offset:64
	s_waitcnt lgkmcnt(0)
	v_add_f32_e32 v11, v11, v15
	s_or_b64 exec, exec, s[2:3]
	s_and_saveexec_b64 s[2:3], vcc
	s_cbranch_execz .LBB259_1236
.LBB259_1252:
	ds_read_b32 v15, v14 offset:128
	s_waitcnt lgkmcnt(0)
	v_add_f32_e32 v12, v12, v15
	s_or_b64 exec, exec, s[2:3]
	s_and_saveexec_b64 s[2:3], vcc
	s_cbranch_execz .LBB259_1237
.LBB259_1253:
	ds_read_b32 v15, v14 offset:192
	s_waitcnt lgkmcnt(0)
	v_add_f32_e32 v13, v13, v15
	s_or_b64 exec, exec, s[2:3]
	s_and_saveexec_b64 s[2:3], vcc
	s_cbranch_execz .LBB259_1238
.LBB259_1254:
	ds_read_b32 v15, v14 offset:256
	s_waitcnt lgkmcnt(0)
	v_add_f32_e32 v8, v8, v15
	s_or_b64 exec, exec, s[2:3]
	s_and_saveexec_b64 s[2:3], vcc
	s_cbranch_execz .LBB259_1239
.LBB259_1255:
	ds_read_b32 v15, v14 offset:320
	s_waitcnt lgkmcnt(0)
	v_add_f32_e32 v9, v9, v15
	s_or_b64 exec, exec, s[2:3]
	s_and_saveexec_b64 s[2:3], vcc
	s_cbranch_execz .LBB259_1240
.LBB259_1256:
	ds_read_b32 v15, v14 offset:384
	s_waitcnt lgkmcnt(0)
	v_add_f32_e32 v6, v6, v15
	s_or_b64 exec, exec, s[2:3]
	s_and_saveexec_b64 s[2:3], vcc
	s_cbranch_execz .LBB259_1241
.LBB259_1257:
	ds_read_b32 v15, v14 offset:448
	s_waitcnt lgkmcnt(0)
	v_add_f32_e32 v7, v7, v15
	s_or_b64 exec, exec, s[2:3]
	s_and_saveexec_b64 s[2:3], vcc
	s_cbranch_execz .LBB259_1242
.LBB259_1258:
	ds_read_b32 v15, v14 offset:512
	s_waitcnt lgkmcnt(0)
	v_add_f32_e32 v4, v4, v15
	s_or_b64 exec, exec, s[2:3]
	s_and_saveexec_b64 s[2:3], vcc
	s_cbranch_execz .LBB259_1243
.LBB259_1259:
	ds_read_b32 v15, v14 offset:576
	s_waitcnt lgkmcnt(0)
	v_add_f32_e32 v5, v5, v15
	s_or_b64 exec, exec, s[2:3]
	s_and_saveexec_b64 s[2:3], vcc
	s_cbranch_execz .LBB259_1244
.LBB259_1260:
	ds_read_b32 v15, v14 offset:640
	s_waitcnt lgkmcnt(0)
	v_add_f32_e32 v2, v2, v15
	s_or_b64 exec, exec, s[2:3]
	s_and_saveexec_b64 s[2:3], vcc
	s_cbranch_execnz .LBB259_1245
	s_branch .LBB259_1246
	.section	.rodata,"a",@progbits
	.p2align	6, 0x0
	.amdhsa_kernel _ZN4vllm25paged_attention_v1_kernelIthLi192ELi32ELi128ELNS_18Fp8KVCacheDataTypeE1ELb1EEEvPT_PKS2_PKT0_S8_ifPKiSA_iPKfiiiSC_SC_iiiii
		.amdhsa_group_segment_fixed_size 400
		.amdhsa_private_segment_fixed_size 8
		.amdhsa_kernarg_size 384
		.amdhsa_user_sgpr_count 2
		.amdhsa_user_sgpr_dispatch_ptr 0
		.amdhsa_user_sgpr_queue_ptr 0
		.amdhsa_user_sgpr_kernarg_segment_ptr 1
		.amdhsa_user_sgpr_dispatch_id 0
		.amdhsa_user_sgpr_kernarg_preload_length 0
		.amdhsa_user_sgpr_kernarg_preload_offset 0
		.amdhsa_user_sgpr_private_segment_size 0
		.amdhsa_uses_dynamic_stack 0
		.amdhsa_enable_private_segment 1
		.amdhsa_system_sgpr_workgroup_id_x 1
		.amdhsa_system_sgpr_workgroup_id_y 1
		.amdhsa_system_sgpr_workgroup_id_z 1
		.amdhsa_system_sgpr_workgroup_info 0
		.amdhsa_system_vgpr_workitem_id 0
		.amdhsa_next_free_vgpr 128
		.amdhsa_next_free_sgpr 64
		.amdhsa_accum_offset 128
		.amdhsa_reserve_vcc 1
		.amdhsa_float_round_mode_32 0
		.amdhsa_float_round_mode_16_64 0
		.amdhsa_float_denorm_mode_32 3
		.amdhsa_float_denorm_mode_16_64 3
		.amdhsa_dx10_clamp 1
		.amdhsa_ieee_mode 1
		.amdhsa_fp16_overflow 0
		.amdhsa_tg_split 0
		.amdhsa_exception_fp_ieee_invalid_op 0
		.amdhsa_exception_fp_denorm_src 0
		.amdhsa_exception_fp_ieee_div_zero 0
		.amdhsa_exception_fp_ieee_overflow 0
		.amdhsa_exception_fp_ieee_underflow 0
		.amdhsa_exception_fp_ieee_inexact 0
		.amdhsa_exception_int_div_zero 0
	.end_amdhsa_kernel
	.section	.text._ZN4vllm25paged_attention_v1_kernelIthLi192ELi32ELi128ELNS_18Fp8KVCacheDataTypeE1ELb1EEEvPT_PKS2_PKT0_S8_ifPKiSA_iPKfiiiSC_SC_iiiii,"axG",@progbits,_ZN4vllm25paged_attention_v1_kernelIthLi192ELi32ELi128ELNS_18Fp8KVCacheDataTypeE1ELb1EEEvPT_PKS2_PKT0_S8_ifPKiSA_iPKfiiiSC_SC_iiiii,comdat
.Lfunc_end259:
	.size	_ZN4vllm25paged_attention_v1_kernelIthLi192ELi32ELi128ELNS_18Fp8KVCacheDataTypeE1ELb1EEEvPT_PKS2_PKT0_S8_ifPKiSA_iPKfiiiSC_SC_iiiii, .Lfunc_end259-_ZN4vllm25paged_attention_v1_kernelIthLi192ELi32ELi128ELNS_18Fp8KVCacheDataTypeE1ELb1EEEvPT_PKS2_PKT0_S8_ifPKiSA_iPKfiiiSC_SC_iiiii
                                        ; -- End function
	.set _ZN4vllm25paged_attention_v1_kernelIthLi192ELi32ELi128ELNS_18Fp8KVCacheDataTypeE1ELb1EEEvPT_PKS2_PKT0_S8_ifPKiSA_iPKfiiiSC_SC_iiiii.num_vgpr, 128
	.set _ZN4vllm25paged_attention_v1_kernelIthLi192ELi32ELi128ELNS_18Fp8KVCacheDataTypeE1ELb1EEEvPT_PKS2_PKT0_S8_ifPKiSA_iPKfiiiSC_SC_iiiii.num_agpr, 0
	.set _ZN4vllm25paged_attention_v1_kernelIthLi192ELi32ELi128ELNS_18Fp8KVCacheDataTypeE1ELb1EEEvPT_PKS2_PKT0_S8_ifPKiSA_iPKfiiiSC_SC_iiiii.numbered_sgpr, 64
	.set _ZN4vllm25paged_attention_v1_kernelIthLi192ELi32ELi128ELNS_18Fp8KVCacheDataTypeE1ELb1EEEvPT_PKS2_PKT0_S8_ifPKiSA_iPKfiiiSC_SC_iiiii.num_named_barrier, 0
	.set _ZN4vllm25paged_attention_v1_kernelIthLi192ELi32ELi128ELNS_18Fp8KVCacheDataTypeE1ELb1EEEvPT_PKS2_PKT0_S8_ifPKiSA_iPKfiiiSC_SC_iiiii.private_seg_size, 8
	.set _ZN4vllm25paged_attention_v1_kernelIthLi192ELi32ELi128ELNS_18Fp8KVCacheDataTypeE1ELb1EEEvPT_PKS2_PKT0_S8_ifPKiSA_iPKfiiiSC_SC_iiiii.uses_vcc, 1
	.set _ZN4vllm25paged_attention_v1_kernelIthLi192ELi32ELi128ELNS_18Fp8KVCacheDataTypeE1ELb1EEEvPT_PKS2_PKT0_S8_ifPKiSA_iPKfiiiSC_SC_iiiii.uses_flat_scratch, 0
	.set _ZN4vllm25paged_attention_v1_kernelIthLi192ELi32ELi128ELNS_18Fp8KVCacheDataTypeE1ELb1EEEvPT_PKS2_PKT0_S8_ifPKiSA_iPKfiiiSC_SC_iiiii.has_dyn_sized_stack, 0
	.set _ZN4vllm25paged_attention_v1_kernelIthLi192ELi32ELi128ELNS_18Fp8KVCacheDataTypeE1ELb1EEEvPT_PKS2_PKT0_S8_ifPKiSA_iPKfiiiSC_SC_iiiii.has_recursion, 0
	.set _ZN4vllm25paged_attention_v1_kernelIthLi192ELi32ELi128ELNS_18Fp8KVCacheDataTypeE1ELb1EEEvPT_PKS2_PKT0_S8_ifPKiSA_iPKfiiiSC_SC_iiiii.has_indirect_call, 0
	.section	.AMDGPU.csdata,"",@progbits
; Kernel info:
; codeLenInByte = 51592
; TotalNumSgprs: 70
; NumVgprs: 128
; NumAgprs: 0
; TotalNumVgprs: 128
; ScratchSize: 8
; MemoryBound: 0
; FloatMode: 240
; IeeeMode: 1
; LDSByteSize: 400 bytes/workgroup (compile time only)
; SGPRBlocks: 8
; VGPRBlocks: 15
; NumSGPRsForWavesPerEU: 70
; NumVGPRsForWavesPerEU: 128
; AccumOffset: 128
; Occupancy: 4
; WaveLimiterHint : 1
; COMPUTE_PGM_RSRC2:SCRATCH_EN: 1
; COMPUTE_PGM_RSRC2:USER_SGPR: 2
; COMPUTE_PGM_RSRC2:TRAP_HANDLER: 0
; COMPUTE_PGM_RSRC2:TGID_X_EN: 1
; COMPUTE_PGM_RSRC2:TGID_Y_EN: 1
; COMPUTE_PGM_RSRC2:TGID_Z_EN: 1
; COMPUTE_PGM_RSRC2:TIDIG_COMP_CNT: 0
; COMPUTE_PGM_RSRC3_GFX90A:ACCUM_OFFSET: 31
; COMPUTE_PGM_RSRC3_GFX90A:TG_SPLIT: 0
	.text
	.p2align	2                               ; -- Begin function _ZN4vllm22paged_attention_kernelIthLi256ELi32ELi128ELNS_18Fp8KVCacheDataTypeE1ELb1ELi0EEEvPfS2_PT_PKS3_PKT0_S9_ifPKiSB_iPKfiiiSD_SD_iiiii
	.type	_ZN4vllm22paged_attention_kernelIthLi256ELi32ELi128ELNS_18Fp8KVCacheDataTypeE1ELb1ELi0EEEvPfS2_PT_PKS3_PKT0_S9_ifPKiSB_iPKfiiiSD_SD_iiiii,@function
_ZN4vllm22paged_attention_kernelIthLi256ELi32ELi128ELNS_18Fp8KVCacheDataTypeE1ELb1ELi0EEEvPfS2_PT_PKS3_PKT0_S9_ifPKiSB_iPKfiiiSD_SD_iiiii: ; @_ZN4vllm22paged_attention_kernelIthLi256ELi32ELi128ELNS_18Fp8KVCacheDataTypeE1ELb1ELi0EEEvPfS2_PT_PKS3_PKT0_S9_ifPKiSB_iPKfiiiSD_SD_iiiii
; %bb.0:
	s_waitcnt vmcnt(0) expcnt(0) lgkmcnt(0)
	scratch_store_dword off, v40, s32 offset:188 ; 4-byte Folded Spill
	scratch_store_dword off, v41, s32 offset:184 ; 4-byte Folded Spill
	;; [unrolled: 1-line block ×47, first 2 shown]
	scratch_store_dword off, v127, s32      ; 4-byte Folded Spill
	s_mov_b32 s10, s13
	s_ashr_i32 s11, s13, 31
	scratch_store_dwordx2 off, v[22:23], s32 offset:192 ; 8-byte Folded Spill
	scratch_store_dwordx2 off, v[20:21], s32 offset:448 ; 8-byte Folded Spill
	;; [unrolled: 1-line block ×4, first 2 shown]
	scratch_store_dword off, v9, s32 offset:476 ; 4-byte Folded Spill
	scratch_store_dwordx2 off, v[0:1], s32 offset:508 ; 8-byte Folded Spill
	v_lshl_add_u64 v[0:1], s[10:11], 2, v[12:13]
	flat_load_dword v12, v[0:1]
	v_sub_u32_e32 v0, 0, v8
	v_max_i32_e32 v0, v8, v0
	v_cvt_f32_u32_e32 v1, v0
	s_load_dword s0, s[8:9], 0x10
	s_load_dword s2, s[8:9], 0x0
	v_mov_b32_e32 v49, v7
	v_sub_u32_e32 v7, 0, v0
	v_rcp_iflag_f32_e32 v1, v1
	s_waitcnt lgkmcnt(0)
	s_lshr_b32 s0, s0, 16
	s_cmp_lg_u32 s0, 0
	s_cselect_b64 s[0:1], -1, 0
	v_mul_f32_e32 v1, 0x4f7ffffe, v1
	v_cvt_u32_f32_e32 v1, v1
	s_cmp_lg_u64 s[0:1], 0
	s_addc_u32 s11, s2, 0
	s_abs_i32 s0, s11
	v_mul_lo_u32 v7, v7, v1
	v_mul_hi_u32 v7, v1, v7
	v_add_u32_e32 v1, v1, v7
	v_mul_hi_u32 v1, s0, v1
	v_mul_lo_u32 v7, v1, v0
	v_sub_u32_e32 v7, s0, v7
	v_add_u32_e32 v9, 1, v1
	v_cmp_ge_u32_e32 vcc, v7, v0
	v_mov_b32_e32 v48, v6
	v_xor_b32_e32 v6, s11, v8
	v_cndmask_b32_e32 v1, v1, v9, vcc
	v_sub_u32_e32 v9, v7, v0
	v_cndmask_b32_e32 v7, v7, v9, vcc
	v_add_u32_e32 v9, 1, v1
	v_cmp_ge_u32_e32 vcc, v7, v0
	v_ashrrev_i32_e32 v6, 31, v6
	v_mov_b32_e32 v33, v16
	v_cndmask_b32_e32 v0, v1, v9, vcc
	v_xor_b32_e32 v0, v0, v6
	v_sub_u32_e32 v0, v0, v6
	v_sub_u32_e32 v1, 0, v0
	v_max_i32_e32 v1, v0, v1
	v_cvt_f32_u32_e32 v6, v1
	v_sub_u32_e32 v7, 0, v1
	v_mov_b32_e32 v32, v15
	s_abs_i32 s4, s12
	v_rcp_iflag_f32_e32 v6, v6
	s_mov_b32 s18, s15
	v_cmp_ne_u64_e32 vcc, 0, v[32:33]
	v_mul_f32_e32 v6, 0x4f7ffffe, v6
	v_cvt_u32_f32_e32 v6, v6
	v_mul_lo_u32 v7, v7, v6
	v_mul_hi_u32 v7, v6, v7
	v_add_u32_e32 v6, v6, v7
	v_mad_u64_u32 v[34:35], s[0:1], s4, v6, 0
	v_mov_b32_e32 v6, 0
	scratch_store_dword off, v6, s32 offset:472 ; 4-byte Folded Spill
	s_and_saveexec_b64 s[0:1], vcc
	s_cbranch_execz .LBB260_2
; %bb.1:
	s_ashr_i32 s13, s12, 31
	v_lshl_add_u64 v[6:7], s[12:13], 2, v[32:33]
	flat_load_dword v6, v[6:7]
	s_waitcnt vmcnt(0) lgkmcnt(0)
	scratch_store_dword off, v6, s32 offset:472 ; 4-byte Folded Spill
.LBB260_2:
	s_or_b64 exec, exec, s[0:1]
	v_and_b32_e32 v18, 0x3ff, v31
	s_ashr_i32 s5, s12, 31
	v_ashrrev_i32_e32 v6, 31, v0
	v_and_b32_e32 v0, 1, v31
	s_lshl_b32 s16, s12, 8
	v_cmp_gt_u32_e64 s[0:1], 64, v18
	v_lshlrev_b32_e32 v50, 3, v18
	s_and_saveexec_b64 s[2:3], s[0:1]
	s_cbranch_execz .LBB260_4
; %bb.3:
	v_mul_lo_u32 v10, v17, s10
	v_ashrrev_i32_e32 v11, 31, v10
	v_lshl_add_u64 v[2:3], v[10:11], 1, v[2:3]
	s_ashr_i32 s17, s16, 31
	v_lshl_add_u64 v[2:3], s[16:17], 1, v[2:3]
	v_mov_b32_e32 v51, 0
	v_lshl_add_u64 v[2:3], v[2:3], 0, v[50:51]
	flat_load_dwordx2 v[2:3], v[2:3]
	v_lshlrev_b32_e32 v7, 2, v18
	v_and_b32_e32 v7, 0xff8, v7
	v_lshl_add_u32 v7, v0, 8, v7
	s_waitcnt vmcnt(0) lgkmcnt(0)
	ds_write_b64 v7, v[2:3]
.LBB260_4:
	s_or_b64 exec, exec, s[2:3]
	v_mul_lo_u32 v3, v35, v1
	v_sub_u32_e32 v3, s4, v3
	v_xor_b32_e32 v2, s5, v6
	v_add_u32_e32 v6, 1, v35
	v_cmp_ge_u32_e32 vcc, v3, v1
	v_sub_u32_e32 v7, v3, v1
	s_waitcnt lgkmcnt(0)
	v_cndmask_b32_e32 v6, v35, v6, vcc
	v_cndmask_b32_e32 v3, v3, v7, vcc
	v_add_u32_e32 v7, 1, v6
	v_cmp_ge_u32_e32 vcc, v3, v1
	v_sub_u32_e32 v3, 0, v27
	s_barrier
	v_cndmask_b32_e32 v1, v6, v7, vcc
	v_max_i32_e32 v6, v27, v3
	v_cvt_f32_u32_e32 v3, v6
	v_xor_b32_e32 v1, v1, v2
	v_sub_u32_e32 v30, v1, v2
	v_rcp_iflag_f32_e32 v1, v3
	scratch_store_dword off, v6, s32 offset:236 ; 4-byte Folded Spill
	v_sub_u32_e32 v6, 0, v6
	s_waitcnt vmcnt(0)
	v_add_u32_e32 v2, -1, v12
	v_mul_f32_e32 v1, 0x4f7ffffe, v1
	v_cvt_u32_f32_e32 v3, v1
	v_sub_u32_e32 v1, 0, v2
	v_max_i32_e32 v1, v2, v1
	v_cmp_gt_i32_e32 vcc, 0, v28
	v_mul_lo_u32 v6, v6, v3
	v_mul_hi_u32 v6, v3, v6
	v_add_u32_e32 v3, v3, v6
	v_mad_u64_u32 v[32:33], s[2:3], v1, v3, 0
	scratch_store_dword off, v3, s32 offset:240 ; 4-byte Folded Spill
                                        ; implicit-def: $vgpr6
	scratch_store_dwordx2 off, v[6:7], s32 offset:220 ; 8-byte Folded Spill
	s_and_saveexec_b64 s[2:3], vcc
	s_xor_b64 s[2:3], exec, s[2:3]
	s_cbranch_execz .LBB260_6
; %bb.5:
	v_mad_u64_u32 v[6:7], s[4:5], v24, v8, v[30:31]
	v_mul_lo_u32 v3, v6, v28
	v_sub_u32_e32 v6, 1, v3
	scratch_store_dwordx2 off, v[6:7], s32 offset:220 ; 8-byte Folded Spill
                                        ; implicit-def: $vgpr24
                                        ; implicit-def: $vgpr28
.LBB260_6:
	s_or_saveexec_b64 s[2:3], s[2:3]
	v_ashrrev_i32_e32 v2, 31, v2
	v_ashrrev_i32_e32 v3, 31, v27
	scratch_store_dword off, v3, s32 offset:232 ; 4-byte Folded Spill
	s_xor_b64 exec, exec, s[2:3]
	s_cbranch_execz .LBB260_8
; %bb.7:
	v_mul_lo_u32 v3, s11, v24
	v_add_u32_e32 v3, s12, v3
	v_mad_u64_u32 v[6:7], s[4:5], v3, v28, 1
	scratch_store_dwordx2 off, v[6:7], s32 offset:220 ; 8-byte Folded Spill
.LBB260_8:
	s_or_b64 exec, exec, s[2:3]
	v_mul_lo_u32 v6, v14, s10
	v_ashrrev_i32_e32 v7, 31, v6
	s_load_dword s17, s[8:9], 0x14
	s_load_dword s15, s[8:9], 0x8
	scratch_store_dwordx2 off, v[6:7], s32 offset:500 ; 8-byte Folded Spill
	scratch_load_dword v3, off, s32 offset:232 ; 4-byte Folded Reload
	v_mul_lo_u32 v52, v30, v19
	scratch_load_dword v7, off, s32 offset:236 ; 4-byte Folded Reload
	v_ashrrev_i32_e32 v53, 31, v52
	v_sub_u32_e32 v24, 0, v26
	v_lshrrev_b32_e32 v19, 4, v18
	s_waitcnt vmcnt(1)
	v_xor_b32_e32 v2, v2, v3
	s_waitcnt vmcnt(0)
	v_mul_lo_u32 v3, v33, v7
	v_sub_u32_e32 v1, v1, v3
	v_add_u32_e32 v3, 1, v33
	v_cmp_ge_u32_e32 vcc, v1, v7
	v_sub_u32_e32 v6, v1, v7
	s_nop 0
	v_cndmask_b32_e32 v3, v33, v3, vcc
	v_cndmask_b32_e32 v1, v1, v6, vcc
	v_add_u32_e32 v6, 1, v3
	v_cmp_ge_u32_e32 vcc, v1, v7
	v_mov_b32_e32 v7, 0xff7fffff
	s_nop 0
	v_cndmask_b32_e32 v1, v3, v6, vcc
	v_xor_b32_e32 v1, v1, v2
	v_sub_u32_e32 v1, v1, v2
	v_add_u32_e32 v2, 31, v12
	v_ashrrev_i32_e32 v3, 31, v2
	v_lshrrev_b32_e32 v3, 27, v3
	v_add_u32_e32 v2, v2, v3
	v_ashrrev_i32_e32 v2, 5, v2
	v_lshrrev_b32_e32 v3, 6, v18
	v_sub_u32_e32 v1, v1, v25
	v_cmp_ge_i32_e64 s[2:3], v3, v2
	scratch_store_dword off, v1, s32 offset:244 ; 4-byte Folded Spill
	v_lshlrev_b32_e32 v1, 5, v3
	v_mbcnt_lo_u32_b32 v6, -1, 0
	scratch_store_dword off, v2, s32 offset:228 ; 4-byte Folded Spill
	v_cmp_lt_i32_e32 vcc, v3, v2
	scratch_store_dword off, v3, s32 offset:216 ; 4-byte Folded Spill
	scratch_store_dword off, v1, s32 offset:516 ; 4-byte Folded Spill
	s_mov_b64 s[12:13], exec
	s_and_b64 s[4:5], s[12:13], vcc
	scratch_store_dword off, v18, s32 offset:488 ; 4-byte Folded Spill
	s_mov_b64 exec, s[4:5]
	s_cbranch_execz .LBB260_788
; %bb.9:
	s_ashr_i32 s19, s18, 31
	s_lshl_b64 s[4:5], s[18:19], 2
	s_getpc_b64 s[6:7]
	s_add_u32 s6, s6, llvm.amdgcn.dynlds.offset.table@rel32@lo+4
	s_addc_u32 s7, s7, llvm.amdgcn.dynlds.offset.table@rel32@hi+12
	v_bfe_u32 v7, v18, 1, 5
	s_add_u32 s20, s6, s4
	scratch_store_dwordx2 off, v[50:51], s32 offset:532 ; 8-byte Folded Spill
	scratch_store_dwordx2 off, v[48:49], s32 offset:524 ; 8-byte Folded Spill
	s_addc_u32 s21, s7, s5
	v_lshl_add_u64 v[2:3], v[4:5], 0, v[52:53]
	v_lshlrev_b32_e32 v4, 4, v7
	v_mov_b32_e32 v5, 0
	s_load_dword s19, s[20:21], 0x0
	scratch_store_dwordx2 off, v[52:53], s32 offset:548 ; 8-byte Folded Spill
	scratch_store_dword off, v26, s32 offset:520 ; 4-byte Folded Spill
	scratch_store_dword off, v24, s32 offset:544 ; 4-byte Folded Spill
	v_lshl_add_u64 v[2:3], v[2:3], 0, v[4:5]
	v_cmp_eq_u32_e32 vcc, 0, v0
	scratch_store_dwordx2 off, v[2:3], s32 offset:460 ; 8-byte Folded Spill
	v_lshlrev_b32_e32 v2, 2, v0
	v_lshlrev_b32_e32 v50, 8, v0
	scratch_load_dword v0, off, s32 offset:472 ; 4-byte Folded Reload
	v_mov_b32_e32 v3, v5
	scratch_store_dwordx2 off, v[2:3], s32 offset:200 ; 8-byte Folded Spill
	v_or_b32_e32 v2, 8, v2
	v_max_i32_e32 v8, v26, v24
	scratch_store_dwordx2 off, v[2:3], s32 offset:208 ; 8-byte Folded Spill
	scratch_store_dword off, v8, s32 offset:324 ; 4-byte Folded Spill
	scratch_load_dword v66, off, s32 offset:216 ; 4-byte Folded Reload
	v_cvt_f32_u32_e32 v1, v8
	scratch_store_dword off, v7, s32 offset:480 ; 4-byte Folded Spill
	v_and_b32_e32 v4, 60, v19
	s_mov_b64 s[22:23], 0
	v_rcp_iflag_f32_e32 v1, v1
	s_movk_i32 s72, 0x80
	s_movk_i32 s73, 0x7f
	s_mov_b32 s74, 0x8000
	s_mov_b32 s75, 0xffffff
	s_mov_b64 s[24:25], 0x1000
	s_mov_b64 s[26:27], 0x1200
	;; [unrolled: 1-line block ×8, first 2 shown]
	s_waitcnt vmcnt(5)
	v_cmp_neq_f32_e64 s[4:5], 0, v0
	v_mul_f32_e32 v0, 0x4f7ffffe, v1
	v_cvt_u32_f32_e32 v0, v0
	v_sub_u32_e32 v1, 0, v8
	v_mul_lo_u32 v1, v1, v0
	v_mul_hi_u32 v1, v0, v1
	v_add_u32_e32 v0, v0, v1
	scratch_store_dwordx2 off, v[0:1], s32 offset:328 ; 8-byte Folded Spill
	v_lshlrev_b32_e32 v0, 2, v7
	s_waitcnt vmcnt(2)
	v_lshl_or_b32 v53, v66, 7, v0
	v_sub_u32_e32 v0, v7, v12
	v_add_u32_e32 v0, 1, v0
	scratch_store_dword off, v0, s32 offset:484 ; 4-byte Folded Spill
	scratch_store_dword off, v19, s32 offset:540 ; 4-byte Folded Spill
	scratch_load_dwordx2 v[0:1], off, s32 offset:500 ; 8-byte Folded Reload
	v_lshlrev_b32_e32 v52, 5, v66
	scratch_load_dwordx2 v[2:3], off, s32 offset:492 ; 8-byte Folded Reload
	s_waitcnt vmcnt(1)
	v_lshl_add_u64 v[0:1], v[0:1], 2, v[4:5]
	s_waitcnt vmcnt(0)
	v_lshl_add_u64 v[34:35], v[2:3], 0, v[0:1]
	v_mbcnt_hi_u32_b32 v0, -1, v6
	scratch_store_dword off, v0, s32 offset:468 ; 4-byte Folded Spill
	v_mov_b32_e32 v0, 0xff7fffff
	scratch_store_dword off, v0, s32 offset:456 ; 4-byte Folded Spill
	s_branch .LBB260_12
.LBB260_10:                             ;   in Loop: Header=BB260_12 Depth=1
	s_or_b64 exec, exec, s[58:59]
.LBB260_11:                             ;   in Loop: Header=BB260_12 Depth=1
	s_or_b64 exec, exec, s[8:9]
	scratch_load_dword v0, off, s32 offset:228 ; 4-byte Folded Reload
	v_add_u32_e32 v66, 2, v66
	v_add_u32_e32 v52, 64, v52
	;; [unrolled: 1-line block ×3, first 2 shown]
	v_lshl_add_u64 v[34:35], v[34:35], 0, 8
	s_waitcnt vmcnt(0)
	v_cmp_ge_i32_e64 s[6:7], v66, v0
	s_or_b64 s[22:23], s[6:7], s[22:23]
	s_andn2_b64 exec, exec, s[22:23]
	s_cbranch_execz .LBB260_787
.LBB260_12:                             ; =>This Inner Loop Header: Depth=1
	scratch_load_dword v0, off, s32 offset:240 ; 4-byte Folded Reload
	scratch_load_dwordx2 v[6:7], off, s32 offset:328 ; 8-byte Folded Reload
	scratch_load_dword v3, off, s32 offset:236 ; 4-byte Folded Reload
	scratch_load_dword v4, off, s32 offset:324 ; 4-byte Folded Reload
	s_waitcnt vmcnt(3)
	v_mul_hi_u32 v0, v52, v0
	v_add_u32_e32 v2, 1, v0
	s_waitcnt vmcnt(1) lgkmcnt(0)
	v_mul_lo_u32 v1, v0, v3
	v_sub_u32_e32 v1, v52, v1
	v_cmp_ge_u32_e64 s[6:7], v1, v3
	s_nop 1
	v_cndmask_b32_e64 v0, v0, v2, s[6:7]
	v_sub_u32_e32 v2, v1, v3
	v_cndmask_b32_e64 v1, v1, v2, s[6:7]
	v_cmp_ge_u32_e64 s[6:7], v1, v3
	scratch_load_dword v1, off, s32 offset:232 ; 4-byte Folded Reload
	v_add_u32_e32 v2, 1, v0
	v_cndmask_b32_e64 v0, v0, v2, s[6:7]
	scratch_load_dwordx2 v[2:3], off, s32 offset:220 ; 8-byte Folded Reload
	s_waitcnt vmcnt(1)
	v_xor_b32_e32 v0, v0, v1
	v_sub_u32_e32 v0, v0, v1
	s_waitcnt vmcnt(0)
	v_add_u32_e32 v1, v0, v2
	v_sub_u32_e32 v3, 0, v1
	v_ashrrev_i32_e32 v2, 31, v1
	v_max_i32_e32 v1, v1, v3
	v_mul_hi_u32 v3, v1, v6
	v_mul_lo_u32 v3, v3, v4
	v_sub_u32_e32 v1, v1, v3
	v_sub_u32_e32 v3, v1, v4
	v_cmp_ge_u32_e64 s[6:7], v1, v4
	s_nop 1
	v_cndmask_b32_e64 v1, v1, v3, s[6:7]
	v_sub_u32_e32 v3, v1, v4
	v_cmp_ge_u32_e64 s[6:7], v1, v4
	s_nop 1
	v_cndmask_b32_e64 v1, v1, v3, s[6:7]
	v_xor_b32_e32 v1, v1, v2
	v_sub_u32_e32 v1, v1, v2
	v_cmp_ne_u32_e64 s[6:7], 0, v1
	scratch_load_dword v1, off, s32 offset:244 ; 4-byte Folded Reload
	s_waitcnt vmcnt(0)
	v_cmp_le_i32_e64 s[8:9], v0, v1
	s_and_b64 s[6:7], s[6:7], s[8:9]
	s_and_saveexec_b64 s[8:9], s[6:7]
	s_xor_b64 s[6:7], exec, s[8:9]
	s_cbranch_execz .LBB260_16
; %bb.13:                               ;   in Loop: Header=BB260_12 Depth=1
	s_and_saveexec_b64 s[8:9], vcc
	s_cbranch_execz .LBB260_15
; %bb.14:                               ;   in Loop: Header=BB260_12 Depth=1
	s_waitcnt lgkmcnt(0)
	v_add_u32_e32 v0, s19, v53
	v_mov_b32_e32 v1, 0xff7fffff
	ds_write_b32 v0, v1
.LBB260_15:                             ;   in Loop: Header=BB260_12 Depth=1
	s_or_b64 exec, exec, s[8:9]
.LBB260_16:                             ;   in Loop: Header=BB260_12 Depth=1
	s_andn2_saveexec_b64 s[8:9], s[6:7]
	s_cbranch_execz .LBB260_11
; %bb.17:                               ;   in Loop: Header=BB260_12 Depth=1
	flat_load_dword v0, v[34:35]
	scratch_load_dwordx2 v[2:3], off, s32 offset:316 ; 8-byte Folded Reload
	scratch_load_dwordx2 v[6:7], off, s32 offset:460 ; 8-byte Folded Reload
	v_mov_b32_e32 v102, 0
	v_mov_b32_e32 v72, 0
	s_waitcnt vmcnt(0) lgkmcnt(0)
	v_mad_i64_i32 v[36:37], s[6:7], v0, v2, v[6:7]
	scratch_load_dwordx2 v[0:1], off, s32 offset:200 ; 8-byte Folded Reload
	s_waitcnt vmcnt(0)
	v_lshl_add_u64 v[38:39], v[36:37], 0, v[0:1]
	flat_load_dword v48, v[38:39]
	scratch_load_dwordx2 v[0:1], off, s32 offset:448 ; 8-byte Folded Reload
	s_waitcnt vmcnt(0) lgkmcnt(0)
	v_cmp_ne_u16_sdwa s[6:7], v48, v5 src0_sel:BYTE_0 src1_sel:DWORD
	flat_load_dword v82, v[0:1]
	s_and_saveexec_b64 s[58:59], s[6:7]
	s_cbranch_execz .LBB260_23
; %bb.18:                               ;   in Loop: Header=BB260_12 Depth=1
	v_cmp_ne_u16_sdwa s[6:7], v48, s72 src0_sel:BYTE_0 src1_sel:DWORD
	v_mov_b32_e32 v72, 0x8000
	s_and_saveexec_b64 s[60:61], s[6:7]
	s_cbranch_execz .LBB260_22
; %bb.19:                               ;   in Loop: Header=BB260_12 Depth=1
	v_and_b32_e32 v0, 0x7f, v48
	v_cmp_ne_u32_e64 s[6:7], s73, v0
	v_mov_b32_e32 v72, 0x7c01
	s_and_saveexec_b64 s[62:63], s[6:7]
	s_cbranch_execz .LBB260_21
; %bb.20:                               ;   in Loop: Header=BB260_12 Depth=1
	v_and_b32_e32 v1, 7, v48
	v_ffbh_u32_e32 v2, v1
	v_min_u32_e32 v6, 32, v2
	v_subrev_u32_e32 v2, 28, v6
	v_lshlrev_b64 v[2:3], v2, v[48:49]
	v_lshrrev_b32_e32 v4, 3, v0
	v_sub_u32_e32 v3, 29, v6
	v_cmp_gt_u32_e64 s[6:7], 8, v0
	v_and_b32_e32 v2, 7, v2
	s_nop 0
	v_cndmask_b32_e64 v0, v4, v3, s[6:7]
	v_mov_b32_e32 v4, 0x2000
	v_lshl_add_u32 v0, v0, 10, v4
	v_lshlrev_b32_e32 v3, 8, v48
	v_and_b32_e32 v0, 0xfc00, v0
	v_cndmask_b32_e64 v1, v1, v2, s[6:7]
	v_and_or_b32 v0, v3, s74, v0
	v_lshl_or_b32 v72, v1, 7, v0
.LBB260_21:                             ;   in Loop: Header=BB260_12 Depth=1
	s_or_b64 exec, exec, s[62:63]
.LBB260_22:                             ;   in Loop: Header=BB260_12 Depth=1
	s_or_b64 exec, exec, s[60:61]
.LBB260_23:                             ;   in Loop: Header=BB260_12 Depth=1
	s_or_b64 exec, exec, s[58:59]
	v_lshrrev_b16_e32 v4, 8, v48
	v_cmp_ne_u16_e64 s[6:7], 0, v4
	s_and_saveexec_b64 s[58:59], s[6:7]
	s_cbranch_execz .LBB260_29
; %bb.24:                               ;   in Loop: Header=BB260_12 Depth=1
	v_cmp_ne_u16_e64 s[6:7], s72, v4
	v_bfrev_b32_e32 v102, 1
	s_and_saveexec_b64 s[60:61], s[6:7]
	s_cbranch_execz .LBB260_28
; %bb.25:                               ;   in Loop: Header=BB260_12 Depth=1
	v_and_b32_e32 v0, 0x7f, v4
	v_cmp_ne_u32_e64 s[6:7], s73, v0
	v_mov_b32_e32 v102, 0x7c010000
	s_and_saveexec_b64 s[62:63], s[6:7]
	s_cbranch_execz .LBB260_27
; %bb.26:                               ;   in Loop: Header=BB260_12 Depth=1
	v_and_b32_e32 v1, 7, v4
	v_ffbh_u32_e32 v2, v1
	v_min_u32_e32 v7, 32, v2
	v_subrev_u32_e32 v2, 28, v7
	v_lshlrev_b64 v[2:3], v2, v[4:5]
	v_lshrrev_b32_e32 v6, 3, v0
	v_sub_u32_e32 v3, 29, v7
	v_cmp_gt_u32_e64 s[6:7], 8, v0
	v_and_b32_e32 v2, 7, v2
	s_nop 0
	v_cndmask_b32_e64 v0, v6, v3, s[6:7]
	v_lshlrev_b32_e32 v3, 8, v4
	v_mov_b32_e32 v4, 0x2000
	v_lshl_add_u32 v0, v0, 10, v4
	v_and_or_b32 v0, v3, s74, v0
	v_cndmask_b32_e64 v1, v1, v2, s[6:7]
	v_lshlrev_b32_e32 v0, 16, v0
	v_lshl_or_b32 v102, v1, 23, v0
.LBB260_27:                             ;   in Loop: Header=BB260_12 Depth=1
	s_or_b64 exec, exec, s[62:63]
.LBB260_28:                             ;   in Loop: Header=BB260_12 Depth=1
	s_or_b64 exec, exec, s[60:61]
.LBB260_29:                             ;   in Loop: Header=BB260_12 Depth=1
	s_or_b64 exec, exec, s[58:59]
	v_lshrrev_b32_e32 v4, 16, v48
	v_cmp_ne_u16_sdwa s[6:7], v4, v5 src0_sel:BYTE_0 src1_sel:DWORD
	v_mov_b32_e32 v74, 0
	v_mov_b32_e32 v59, 0
	s_and_saveexec_b64 s[58:59], s[6:7]
	s_cbranch_execz .LBB260_35
; %bb.30:                               ;   in Loop: Header=BB260_12 Depth=1
	v_cmp_ne_u16_sdwa s[6:7], v4, s72 src0_sel:BYTE_0 src1_sel:DWORD
	v_mov_b32_e32 v59, 0x8000
	s_and_saveexec_b64 s[60:61], s[6:7]
	s_cbranch_execz .LBB260_34
; %bb.31:                               ;   in Loop: Header=BB260_12 Depth=1
	v_bfe_u32 v0, v48, 16, 7
	v_cmp_ne_u32_e64 s[6:7], s73, v0
	v_mov_b32_e32 v59, 0x7c01
	s_and_saveexec_b64 s[62:63], s[6:7]
	s_cbranch_execz .LBB260_33
; %bb.32:                               ;   in Loop: Header=BB260_12 Depth=1
	v_and_b32_e32 v1, 7, v4
	v_ffbh_u32_e32 v2, v1
	v_min_u32_e32 v7, 32, v2
	v_subrev_u32_e32 v2, 28, v7
	v_lshlrev_b64 v[2:3], v2, v[4:5]
	v_lshrrev_b32_e32 v6, 3, v0
	v_sub_u32_e32 v3, 29, v7
	v_cmp_gt_u32_e64 s[6:7], 8, v0
	v_and_b32_e32 v2, 7, v2
	s_nop 0
	v_cndmask_b32_e64 v0, v6, v3, s[6:7]
	v_lshlrev_b32_e32 v3, 8, v4
	v_mov_b32_e32 v4, 0x2000
	v_lshl_add_u32 v0, v0, 10, v4
	v_and_b32_e32 v0, 0xfc00, v0
	v_cndmask_b32_e64 v1, v1, v2, s[6:7]
	v_and_or_b32 v0, v3, s74, v0
	v_lshl_or_b32 v59, v1, 7, v0
.LBB260_33:                             ;   in Loop: Header=BB260_12 Depth=1
	s_or_b64 exec, exec, s[62:63]
.LBB260_34:                             ;   in Loop: Header=BB260_12 Depth=1
	s_or_b64 exec, exec, s[60:61]
.LBB260_35:                             ;   in Loop: Header=BB260_12 Depth=1
	s_or_b64 exec, exec, s[58:59]
	v_cmp_lt_u32_e64 s[6:7], s75, v48
	s_and_saveexec_b64 s[58:59], s[6:7]
	s_cbranch_execz .LBB260_41
; %bb.36:                               ;   in Loop: Header=BB260_12 Depth=1
	v_lshrrev_b32_e32 v4, 24, v48
	v_cmp_ne_u32_e64 s[6:7], s72, v4
	v_bfrev_b32_e32 v74, 1
	s_and_saveexec_b64 s[60:61], s[6:7]
	s_cbranch_execz .LBB260_40
; %bb.37:                               ;   in Loop: Header=BB260_12 Depth=1
	v_and_b32_e32 v0, 0x7f, v4
	v_cmp_ne_u32_e64 s[6:7], s73, v0
	v_mov_b32_e32 v74, 0x7c010000
	s_and_saveexec_b64 s[62:63], s[6:7]
	s_cbranch_execz .LBB260_39
; %bb.38:                               ;   in Loop: Header=BB260_12 Depth=1
	v_and_b32_e32 v1, 7, v4
	v_ffbh_u32_e32 v2, v1
	v_min_u32_e32 v7, 32, v2
	v_subrev_u32_e32 v2, 28, v7
	v_lshlrev_b64 v[2:3], v2, v[4:5]
	v_lshrrev_b32_e32 v6, 3, v0
	v_sub_u32_e32 v3, 29, v7
	v_cmp_gt_u32_e64 s[6:7], 8, v0
	v_and_b32_e32 v2, 7, v2
	s_nop 0
	v_cndmask_b32_e64 v0, v6, v3, s[6:7]
	v_lshlrev_b32_e32 v3, 8, v4
	v_mov_b32_e32 v4, 0x2000
	v_lshl_add_u32 v0, v0, 10, v4
	v_and_or_b32 v0, v3, s74, v0
	v_cndmask_b32_e64 v1, v1, v2, s[6:7]
	v_lshlrev_b32_e32 v0, 16, v0
	v_lshl_or_b32 v74, v1, 23, v0
.LBB260_39:                             ;   in Loop: Header=BB260_12 Depth=1
	s_or_b64 exec, exec, s[62:63]
.LBB260_40:                             ;   in Loop: Header=BB260_12 Depth=1
	s_or_b64 exec, exec, s[60:61]
.LBB260_41:                             ;   in Loop: Header=BB260_12 Depth=1
	s_or_b64 exec, exec, s[58:59]
	flat_load_dword v48, v[38:39] offset:8
	v_mov_b32_e32 v71, 0
	v_mov_b32_e32 v61, 0
	s_waitcnt vmcnt(0) lgkmcnt(0)
	v_cmp_ne_u16_sdwa s[6:7], v48, v5 src0_sel:BYTE_0 src1_sel:DWORD
	s_and_saveexec_b64 s[58:59], s[6:7]
	s_cbranch_execz .LBB260_47
; %bb.42:                               ;   in Loop: Header=BB260_12 Depth=1
	v_cmp_ne_u16_sdwa s[6:7], v48, s72 src0_sel:BYTE_0 src1_sel:DWORD
	v_mov_b32_e32 v61, 0x8000
	s_and_saveexec_b64 s[60:61], s[6:7]
	s_cbranch_execz .LBB260_46
; %bb.43:                               ;   in Loop: Header=BB260_12 Depth=1
	v_and_b32_e32 v0, 0x7f, v48
	v_cmp_ne_u32_e64 s[6:7], s73, v0
	v_mov_b32_e32 v61, 0x7c01
	s_and_saveexec_b64 s[62:63], s[6:7]
	s_cbranch_execz .LBB260_45
; %bb.44:                               ;   in Loop: Header=BB260_12 Depth=1
	v_and_b32_e32 v1, 7, v48
	v_ffbh_u32_e32 v2, v1
	v_min_u32_e32 v6, 32, v2
	v_subrev_u32_e32 v2, 28, v6
	v_lshlrev_b64 v[2:3], v2, v[48:49]
	v_lshrrev_b32_e32 v4, 3, v0
	v_sub_u32_e32 v3, 29, v6
	v_cmp_gt_u32_e64 s[6:7], 8, v0
	v_and_b32_e32 v2, 7, v2
	s_nop 0
	v_cndmask_b32_e64 v0, v4, v3, s[6:7]
	v_mov_b32_e32 v4, 0x2000
	v_lshl_add_u32 v0, v0, 10, v4
	v_lshlrev_b32_e32 v3, 8, v48
	v_and_b32_e32 v0, 0xfc00, v0
	v_cndmask_b32_e64 v1, v1, v2, s[6:7]
	v_and_or_b32 v0, v3, s74, v0
	v_lshl_or_b32 v61, v1, 7, v0
.LBB260_45:                             ;   in Loop: Header=BB260_12 Depth=1
	s_or_b64 exec, exec, s[62:63]
.LBB260_46:                             ;   in Loop: Header=BB260_12 Depth=1
	s_or_b64 exec, exec, s[60:61]
.LBB260_47:                             ;   in Loop: Header=BB260_12 Depth=1
	s_or_b64 exec, exec, s[58:59]
	v_lshrrev_b16_e32 v4, 8, v48
	v_cmp_ne_u16_e64 s[6:7], 0, v4
	s_and_saveexec_b64 s[58:59], s[6:7]
	s_cbranch_execz .LBB260_53
; %bb.48:                               ;   in Loop: Header=BB260_12 Depth=1
	v_cmp_ne_u16_e64 s[6:7], s72, v4
	v_bfrev_b32_e32 v71, 1
	s_and_saveexec_b64 s[60:61], s[6:7]
	s_cbranch_execz .LBB260_52
; %bb.49:                               ;   in Loop: Header=BB260_12 Depth=1
	v_and_b32_e32 v0, 0x7f, v4
	v_cmp_ne_u32_e64 s[6:7], s73, v0
	v_mov_b32_e32 v71, 0x7c010000
	s_and_saveexec_b64 s[62:63], s[6:7]
	s_cbranch_execz .LBB260_51
; %bb.50:                               ;   in Loop: Header=BB260_12 Depth=1
	v_and_b32_e32 v1, 7, v4
	v_ffbh_u32_e32 v2, v1
	v_min_u32_e32 v7, 32, v2
	v_subrev_u32_e32 v2, 28, v7
	v_lshlrev_b64 v[2:3], v2, v[4:5]
	v_lshrrev_b32_e32 v6, 3, v0
	v_sub_u32_e32 v3, 29, v7
	v_cmp_gt_u32_e64 s[6:7], 8, v0
	v_and_b32_e32 v2, 7, v2
	s_nop 0
	v_cndmask_b32_e64 v0, v6, v3, s[6:7]
	v_lshlrev_b32_e32 v3, 8, v4
	v_mov_b32_e32 v4, 0x2000
	v_lshl_add_u32 v0, v0, 10, v4
	v_and_or_b32 v0, v3, s74, v0
	v_cndmask_b32_e64 v1, v1, v2, s[6:7]
	v_lshlrev_b32_e32 v0, 16, v0
	v_lshl_or_b32 v71, v1, 23, v0
.LBB260_51:                             ;   in Loop: Header=BB260_12 Depth=1
	s_or_b64 exec, exec, s[62:63]
.LBB260_52:                             ;   in Loop: Header=BB260_12 Depth=1
	s_or_b64 exec, exec, s[60:61]
.LBB260_53:                             ;   in Loop: Header=BB260_12 Depth=1
	s_or_b64 exec, exec, s[58:59]
	v_lshrrev_b32_e32 v4, 16, v48
	v_cmp_ne_u16_sdwa s[6:7], v4, v5 src0_sel:BYTE_0 src1_sel:DWORD
	v_mov_b32_e32 v76, 0
	v_mov_b32_e32 v77, 0
	s_and_saveexec_b64 s[58:59], s[6:7]
	s_cbranch_execz .LBB260_59
; %bb.54:                               ;   in Loop: Header=BB260_12 Depth=1
	v_cmp_ne_u16_sdwa s[6:7], v4, s72 src0_sel:BYTE_0 src1_sel:DWORD
	v_mov_b32_e32 v77, 0x8000
	s_and_saveexec_b64 s[60:61], s[6:7]
	s_cbranch_execz .LBB260_58
; %bb.55:                               ;   in Loop: Header=BB260_12 Depth=1
	v_bfe_u32 v0, v48, 16, 7
	v_cmp_ne_u32_e64 s[6:7], s73, v0
	v_mov_b32_e32 v77, 0x7c01
	s_and_saveexec_b64 s[62:63], s[6:7]
	s_cbranch_execz .LBB260_57
; %bb.56:                               ;   in Loop: Header=BB260_12 Depth=1
	v_and_b32_e32 v1, 7, v4
	v_ffbh_u32_e32 v2, v1
	v_min_u32_e32 v7, 32, v2
	v_subrev_u32_e32 v2, 28, v7
	v_lshlrev_b64 v[2:3], v2, v[4:5]
	v_lshrrev_b32_e32 v6, 3, v0
	v_sub_u32_e32 v3, 29, v7
	v_cmp_gt_u32_e64 s[6:7], 8, v0
	v_and_b32_e32 v2, 7, v2
	s_nop 0
	v_cndmask_b32_e64 v0, v6, v3, s[6:7]
	v_lshlrev_b32_e32 v3, 8, v4
	v_mov_b32_e32 v4, 0x2000
	v_lshl_add_u32 v0, v0, 10, v4
	v_and_b32_e32 v0, 0xfc00, v0
	v_cndmask_b32_e64 v1, v1, v2, s[6:7]
	v_and_or_b32 v0, v3, s74, v0
	v_lshl_or_b32 v77, v1, 7, v0
.LBB260_57:                             ;   in Loop: Header=BB260_12 Depth=1
	s_or_b64 exec, exec, s[62:63]
.LBB260_58:                             ;   in Loop: Header=BB260_12 Depth=1
	s_or_b64 exec, exec, s[60:61]
.LBB260_59:                             ;   in Loop: Header=BB260_12 Depth=1
	s_or_b64 exec, exec, s[58:59]
	v_cmp_lt_u32_e64 s[6:7], s75, v48
	s_and_saveexec_b64 s[58:59], s[6:7]
	s_cbranch_execz .LBB260_65
; %bb.60:                               ;   in Loop: Header=BB260_12 Depth=1
	v_lshrrev_b32_e32 v4, 24, v48
	v_cmp_ne_u32_e64 s[6:7], s72, v4
	v_bfrev_b32_e32 v76, 1
	s_and_saveexec_b64 s[60:61], s[6:7]
	s_cbranch_execz .LBB260_64
; %bb.61:                               ;   in Loop: Header=BB260_12 Depth=1
	v_and_b32_e32 v0, 0x7f, v4
	v_cmp_ne_u32_e64 s[6:7], s73, v0
	v_mov_b32_e32 v76, 0x7c010000
	s_and_saveexec_b64 s[62:63], s[6:7]
	s_cbranch_execz .LBB260_63
; %bb.62:                               ;   in Loop: Header=BB260_12 Depth=1
	v_and_b32_e32 v1, 7, v4
	v_ffbh_u32_e32 v2, v1
	v_min_u32_e32 v7, 32, v2
	v_subrev_u32_e32 v2, 28, v7
	v_lshlrev_b64 v[2:3], v2, v[4:5]
	v_lshrrev_b32_e32 v6, 3, v0
	v_sub_u32_e32 v3, 29, v7
	v_cmp_gt_u32_e64 s[6:7], 8, v0
	v_and_b32_e32 v2, 7, v2
	s_nop 0
	v_cndmask_b32_e64 v0, v6, v3, s[6:7]
	v_lshlrev_b32_e32 v3, 8, v4
	v_mov_b32_e32 v4, 0x2000
	v_lshl_add_u32 v0, v0, 10, v4
	v_and_or_b32 v0, v3, s74, v0
	v_cndmask_b32_e64 v1, v1, v2, s[6:7]
	v_lshlrev_b32_e32 v0, 16, v0
	v_lshl_or_b32 v76, v1, 23, v0
.LBB260_63:                             ;   in Loop: Header=BB260_12 Depth=1
	s_or_b64 exec, exec, s[62:63]
.LBB260_64:                             ;   in Loop: Header=BB260_12 Depth=1
	s_or_b64 exec, exec, s[60:61]
.LBB260_65:                             ;   in Loop: Header=BB260_12 Depth=1
	s_or_b64 exec, exec, s[58:59]
	flat_load_dword v48, v[38:39] offset:512
	v_mov_b32_e32 v78, 0
	v_mov_b32_e32 v79, 0
	s_waitcnt vmcnt(0) lgkmcnt(0)
	v_cmp_ne_u16_sdwa s[6:7], v48, v5 src0_sel:BYTE_0 src1_sel:DWORD
	s_and_saveexec_b64 s[58:59], s[6:7]
	s_cbranch_execz .LBB260_71
; %bb.66:                               ;   in Loop: Header=BB260_12 Depth=1
	v_cmp_ne_u16_sdwa s[6:7], v48, s72 src0_sel:BYTE_0 src1_sel:DWORD
	v_mov_b32_e32 v79, 0x8000
	s_and_saveexec_b64 s[60:61], s[6:7]
	s_cbranch_execz .LBB260_70
; %bb.67:                               ;   in Loop: Header=BB260_12 Depth=1
	v_and_b32_e32 v0, 0x7f, v48
	v_cmp_ne_u32_e64 s[6:7], s73, v0
	v_mov_b32_e32 v79, 0x7c01
	s_and_saveexec_b64 s[62:63], s[6:7]
	s_cbranch_execz .LBB260_69
; %bb.68:                               ;   in Loop: Header=BB260_12 Depth=1
	v_and_b32_e32 v1, 7, v48
	v_ffbh_u32_e32 v2, v1
	v_min_u32_e32 v6, 32, v2
	v_subrev_u32_e32 v2, 28, v6
	v_lshlrev_b64 v[2:3], v2, v[48:49]
	v_lshrrev_b32_e32 v4, 3, v0
	v_sub_u32_e32 v3, 29, v6
	v_cmp_gt_u32_e64 s[6:7], 8, v0
	v_and_b32_e32 v2, 7, v2
	s_nop 0
	v_cndmask_b32_e64 v0, v4, v3, s[6:7]
	v_mov_b32_e32 v4, 0x2000
	v_lshl_add_u32 v0, v0, 10, v4
	v_lshlrev_b32_e32 v3, 8, v48
	v_and_b32_e32 v0, 0xfc00, v0
	v_cndmask_b32_e64 v1, v1, v2, s[6:7]
	v_and_or_b32 v0, v3, s74, v0
	v_lshl_or_b32 v79, v1, 7, v0
.LBB260_69:                             ;   in Loop: Header=BB260_12 Depth=1
	s_or_b64 exec, exec, s[62:63]
.LBB260_70:                             ;   in Loop: Header=BB260_12 Depth=1
	s_or_b64 exec, exec, s[60:61]
.LBB260_71:                             ;   in Loop: Header=BB260_12 Depth=1
	s_or_b64 exec, exec, s[58:59]
	v_lshrrev_b16_e32 v4, 8, v48
	v_cmp_ne_u16_e64 s[6:7], 0, v4
	s_and_saveexec_b64 s[58:59], s[6:7]
	s_cbranch_execz .LBB260_77
; %bb.72:                               ;   in Loop: Header=BB260_12 Depth=1
	v_cmp_ne_u16_e64 s[6:7], s72, v4
	v_bfrev_b32_e32 v78, 1
	s_and_saveexec_b64 s[60:61], s[6:7]
	s_cbranch_execz .LBB260_76
; %bb.73:                               ;   in Loop: Header=BB260_12 Depth=1
	v_and_b32_e32 v0, 0x7f, v4
	v_cmp_ne_u32_e64 s[6:7], s73, v0
	v_mov_b32_e32 v78, 0x7c010000
	s_and_saveexec_b64 s[62:63], s[6:7]
	s_cbranch_execz .LBB260_75
; %bb.74:                               ;   in Loop: Header=BB260_12 Depth=1
	v_and_b32_e32 v1, 7, v4
	v_ffbh_u32_e32 v2, v1
	v_min_u32_e32 v7, 32, v2
	v_subrev_u32_e32 v2, 28, v7
	v_lshlrev_b64 v[2:3], v2, v[4:5]
	v_lshrrev_b32_e32 v6, 3, v0
	v_sub_u32_e32 v3, 29, v7
	v_cmp_gt_u32_e64 s[6:7], 8, v0
	v_and_b32_e32 v2, 7, v2
	s_nop 0
	v_cndmask_b32_e64 v0, v6, v3, s[6:7]
	v_lshlrev_b32_e32 v3, 8, v4
	v_mov_b32_e32 v4, 0x2000
	v_lshl_add_u32 v0, v0, 10, v4
	v_and_or_b32 v0, v3, s74, v0
	v_cndmask_b32_e64 v1, v1, v2, s[6:7]
	v_lshlrev_b32_e32 v0, 16, v0
	v_lshl_or_b32 v78, v1, 23, v0
.LBB260_75:                             ;   in Loop: Header=BB260_12 Depth=1
	s_or_b64 exec, exec, s[62:63]
.LBB260_76:                             ;   in Loop: Header=BB260_12 Depth=1
	s_or_b64 exec, exec, s[60:61]
.LBB260_77:                             ;   in Loop: Header=BB260_12 Depth=1
	s_or_b64 exec, exec, s[58:59]
	v_lshrrev_b32_e32 v4, 16, v48
	v_cmp_ne_u16_sdwa s[6:7], v4, v5 src0_sel:BYTE_0 src1_sel:DWORD
	v_mov_b32_e32 v88, 0
	v_mov_b32_e32 v0, 0
	scratch_store_dword off, v0, s32 offset:248 ; 4-byte Folded Spill
	s_and_saveexec_b64 s[58:59], s[6:7]
	s_cbranch_execz .LBB260_83
; %bb.78:                               ;   in Loop: Header=BB260_12 Depth=1
	v_cmp_ne_u16_sdwa s[6:7], v4, s72 src0_sel:BYTE_0 src1_sel:DWORD
	v_mov_b32_e32 v0, 0x8000
	scratch_store_dword off, v0, s32 offset:248 ; 4-byte Folded Spill
	s_and_saveexec_b64 s[60:61], s[6:7]
	s_cbranch_execz .LBB260_82
; %bb.79:                               ;   in Loop: Header=BB260_12 Depth=1
	v_bfe_u32 v0, v48, 16, 7
	v_cmp_ne_u32_e64 s[6:7], s73, v0
	v_mov_b32_e32 v1, 0x7c01
	scratch_store_dword off, v1, s32 offset:248 ; 4-byte Folded Spill
	s_and_saveexec_b64 s[62:63], s[6:7]
	s_cbranch_execz .LBB260_81
; %bb.80:                               ;   in Loop: Header=BB260_12 Depth=1
	v_and_b32_e32 v1, 7, v4
	v_ffbh_u32_e32 v2, v1
	v_min_u32_e32 v7, 32, v2
	v_subrev_u32_e32 v2, 28, v7
	v_lshlrev_b64 v[2:3], v2, v[4:5]
	v_lshrrev_b32_e32 v6, 3, v0
	v_sub_u32_e32 v3, 29, v7
	v_cmp_gt_u32_e64 s[6:7], 8, v0
	v_and_b32_e32 v2, 7, v2
	s_nop 0
	v_cndmask_b32_e64 v0, v6, v3, s[6:7]
	v_lshlrev_b32_e32 v3, 8, v4
	v_mov_b32_e32 v4, 0x2000
	v_lshl_add_u32 v0, v0, 10, v4
	v_and_b32_e32 v0, 0xfc00, v0
	v_cndmask_b32_e64 v1, v1, v2, s[6:7]
	v_and_or_b32 v0, v3, s74, v0
	v_lshl_or_b32 v0, v1, 7, v0
	scratch_store_dword off, v0, s32 offset:248 ; 4-byte Folded Spill
.LBB260_81:                             ;   in Loop: Header=BB260_12 Depth=1
	s_or_b64 exec, exec, s[62:63]
.LBB260_82:                             ;   in Loop: Header=BB260_12 Depth=1
	s_or_b64 exec, exec, s[60:61]
.LBB260_83:                             ;   in Loop: Header=BB260_12 Depth=1
	s_or_b64 exec, exec, s[58:59]
	v_cmp_lt_u32_e64 s[6:7], s75, v48
	s_and_saveexec_b64 s[58:59], s[6:7]
	s_cbranch_execz .LBB260_89
; %bb.84:                               ;   in Loop: Header=BB260_12 Depth=1
	v_lshrrev_b32_e32 v4, 24, v48
	v_cmp_ne_u32_e64 s[6:7], s72, v4
	v_bfrev_b32_e32 v88, 1
	s_and_saveexec_b64 s[60:61], s[6:7]
	s_cbranch_execz .LBB260_88
; %bb.85:                               ;   in Loop: Header=BB260_12 Depth=1
	v_and_b32_e32 v0, 0x7f, v4
	v_cmp_ne_u32_e64 s[6:7], s73, v0
	v_mov_b32_e32 v88, 0x7c010000
	s_and_saveexec_b64 s[62:63], s[6:7]
	s_cbranch_execz .LBB260_87
; %bb.86:                               ;   in Loop: Header=BB260_12 Depth=1
	v_and_b32_e32 v1, 7, v4
	v_ffbh_u32_e32 v2, v1
	v_min_u32_e32 v7, 32, v2
	v_subrev_u32_e32 v2, 28, v7
	v_lshlrev_b64 v[2:3], v2, v[4:5]
	v_lshrrev_b32_e32 v6, 3, v0
	v_sub_u32_e32 v3, 29, v7
	v_cmp_gt_u32_e64 s[6:7], 8, v0
	v_and_b32_e32 v2, 7, v2
	s_nop 0
	v_cndmask_b32_e64 v0, v6, v3, s[6:7]
	v_lshlrev_b32_e32 v3, 8, v4
	v_mov_b32_e32 v4, 0x2000
	v_lshl_add_u32 v0, v0, 10, v4
	v_and_or_b32 v0, v3, s74, v0
	v_cndmask_b32_e64 v1, v1, v2, s[6:7]
	v_lshlrev_b32_e32 v0, 16, v0
	v_lshl_or_b32 v88, v1, 23, v0
.LBB260_87:                             ;   in Loop: Header=BB260_12 Depth=1
	s_or_b64 exec, exec, s[62:63]
.LBB260_88:                             ;   in Loop: Header=BB260_12 Depth=1
	s_or_b64 exec, exec, s[60:61]
.LBB260_89:                             ;   in Loop: Header=BB260_12 Depth=1
	s_or_b64 exec, exec, s[58:59]
	flat_load_dword v48, v[38:39] offset:520
	v_mov_b32_e32 v126, 0
	v_mov_b32_e32 v23, 0
	s_waitcnt vmcnt(0) lgkmcnt(0)
	v_cmp_ne_u16_sdwa s[6:7], v48, v5 src0_sel:BYTE_0 src1_sel:DWORD
	s_and_saveexec_b64 s[58:59], s[6:7]
	s_cbranch_execz .LBB260_95
; %bb.90:                               ;   in Loop: Header=BB260_12 Depth=1
	v_cmp_ne_u16_sdwa s[6:7], v48, s72 src0_sel:BYTE_0 src1_sel:DWORD
	v_mov_b32_e32 v23, 0x8000
	s_and_saveexec_b64 s[60:61], s[6:7]
	s_cbranch_execz .LBB260_94
; %bb.91:                               ;   in Loop: Header=BB260_12 Depth=1
	v_and_b32_e32 v0, 0x7f, v48
	v_cmp_ne_u32_e64 s[6:7], s73, v0
	v_mov_b32_e32 v23, 0x7c01
	s_and_saveexec_b64 s[62:63], s[6:7]
	s_cbranch_execz .LBB260_93
; %bb.92:                               ;   in Loop: Header=BB260_12 Depth=1
	v_and_b32_e32 v1, 7, v48
	v_ffbh_u32_e32 v2, v1
	v_min_u32_e32 v6, 32, v2
	v_subrev_u32_e32 v2, 28, v6
	v_lshlrev_b64 v[2:3], v2, v[48:49]
	v_lshrrev_b32_e32 v4, 3, v0
	v_sub_u32_e32 v3, 29, v6
	v_cmp_gt_u32_e64 s[6:7], 8, v0
	v_and_b32_e32 v2, 7, v2
	s_nop 0
	v_cndmask_b32_e64 v0, v4, v3, s[6:7]
	v_mov_b32_e32 v4, 0x2000
	v_lshl_add_u32 v0, v0, 10, v4
	v_lshlrev_b32_e32 v3, 8, v48
	v_and_b32_e32 v0, 0xfc00, v0
	v_cndmask_b32_e64 v1, v1, v2, s[6:7]
	v_and_or_b32 v0, v3, s74, v0
	v_lshl_or_b32 v23, v1, 7, v0
.LBB260_93:                             ;   in Loop: Header=BB260_12 Depth=1
	s_or_b64 exec, exec, s[62:63]
.LBB260_94:                             ;   in Loop: Header=BB260_12 Depth=1
	s_or_b64 exec, exec, s[60:61]
.LBB260_95:                             ;   in Loop: Header=BB260_12 Depth=1
	s_or_b64 exec, exec, s[58:59]
	v_lshrrev_b16_e32 v4, 8, v48
	v_cmp_ne_u16_e64 s[6:7], 0, v4
	s_and_saveexec_b64 s[58:59], s[6:7]
	s_cbranch_execz .LBB260_101
; %bb.96:                               ;   in Loop: Header=BB260_12 Depth=1
	v_cmp_ne_u16_e64 s[6:7], s72, v4
	v_bfrev_b32_e32 v126, 1
	s_and_saveexec_b64 s[60:61], s[6:7]
	s_cbranch_execz .LBB260_100
; %bb.97:                               ;   in Loop: Header=BB260_12 Depth=1
	v_and_b32_e32 v0, 0x7f, v4
	v_cmp_ne_u32_e64 s[6:7], s73, v0
	v_mov_b32_e32 v126, 0x7c010000
	s_and_saveexec_b64 s[62:63], s[6:7]
	s_cbranch_execz .LBB260_99
; %bb.98:                               ;   in Loop: Header=BB260_12 Depth=1
	v_and_b32_e32 v1, 7, v4
	v_ffbh_u32_e32 v2, v1
	v_min_u32_e32 v7, 32, v2
	v_subrev_u32_e32 v2, 28, v7
	v_lshlrev_b64 v[2:3], v2, v[4:5]
	v_lshrrev_b32_e32 v6, 3, v0
	v_sub_u32_e32 v3, 29, v7
	v_cmp_gt_u32_e64 s[6:7], 8, v0
	v_and_b32_e32 v2, 7, v2
	s_nop 0
	v_cndmask_b32_e64 v0, v6, v3, s[6:7]
	v_lshlrev_b32_e32 v3, 8, v4
	v_mov_b32_e32 v4, 0x2000
	v_lshl_add_u32 v0, v0, 10, v4
	v_and_or_b32 v0, v3, s74, v0
	v_cndmask_b32_e64 v1, v1, v2, s[6:7]
	v_lshlrev_b32_e32 v0, 16, v0
	v_lshl_or_b32 v126, v1, 23, v0
.LBB260_99:                             ;   in Loop: Header=BB260_12 Depth=1
	s_or_b64 exec, exec, s[62:63]
.LBB260_100:                            ;   in Loop: Header=BB260_12 Depth=1
	s_or_b64 exec, exec, s[60:61]
.LBB260_101:                            ;   in Loop: Header=BB260_12 Depth=1
	s_or_b64 exec, exec, s[58:59]
	v_lshrrev_b32_e32 v4, 16, v48
	v_cmp_ne_u16_sdwa s[6:7], v4, v5 src0_sel:BYTE_0 src1_sel:DWORD
	v_mov_b32_e32 v22, 0
	v_mov_b32_e32 v89, 0
	s_and_saveexec_b64 s[58:59], s[6:7]
	s_cbranch_execz .LBB260_107
; %bb.102:                              ;   in Loop: Header=BB260_12 Depth=1
	v_cmp_ne_u16_sdwa s[6:7], v4, s72 src0_sel:BYTE_0 src1_sel:DWORD
	v_mov_b32_e32 v89, 0x8000
	s_and_saveexec_b64 s[60:61], s[6:7]
	s_cbranch_execz .LBB260_106
; %bb.103:                              ;   in Loop: Header=BB260_12 Depth=1
	v_bfe_u32 v0, v48, 16, 7
	v_cmp_ne_u32_e64 s[6:7], s73, v0
	v_mov_b32_e32 v89, 0x7c01
	s_and_saveexec_b64 s[62:63], s[6:7]
	s_cbranch_execz .LBB260_105
; %bb.104:                              ;   in Loop: Header=BB260_12 Depth=1
	v_and_b32_e32 v1, 7, v4
	v_ffbh_u32_e32 v2, v1
	v_min_u32_e32 v7, 32, v2
	v_subrev_u32_e32 v2, 28, v7
	v_lshlrev_b64 v[2:3], v2, v[4:5]
	v_lshrrev_b32_e32 v6, 3, v0
	v_sub_u32_e32 v3, 29, v7
	v_cmp_gt_u32_e64 s[6:7], 8, v0
	v_and_b32_e32 v2, 7, v2
	s_nop 0
	v_cndmask_b32_e64 v0, v6, v3, s[6:7]
	v_lshlrev_b32_e32 v3, 8, v4
	v_mov_b32_e32 v4, 0x2000
	v_lshl_add_u32 v0, v0, 10, v4
	v_and_b32_e32 v0, 0xfc00, v0
	v_cndmask_b32_e64 v1, v1, v2, s[6:7]
	v_and_or_b32 v0, v3, s74, v0
	v_lshl_or_b32 v89, v1, 7, v0
.LBB260_105:                            ;   in Loop: Header=BB260_12 Depth=1
	s_or_b64 exec, exec, s[62:63]
.LBB260_106:                            ;   in Loop: Header=BB260_12 Depth=1
	s_or_b64 exec, exec, s[60:61]
.LBB260_107:                            ;   in Loop: Header=BB260_12 Depth=1
	s_or_b64 exec, exec, s[58:59]
	v_cmp_lt_u32_e64 s[6:7], s75, v48
	s_and_saveexec_b64 s[58:59], s[6:7]
	s_cbranch_execz .LBB260_113
; %bb.108:                              ;   in Loop: Header=BB260_12 Depth=1
	v_lshrrev_b32_e32 v4, 24, v48
	v_cmp_ne_u32_e64 s[6:7], s72, v4
	v_bfrev_b32_e32 v22, 1
	s_and_saveexec_b64 s[60:61], s[6:7]
	s_cbranch_execz .LBB260_112
; %bb.109:                              ;   in Loop: Header=BB260_12 Depth=1
	v_and_b32_e32 v0, 0x7f, v4
	v_cmp_ne_u32_e64 s[6:7], s73, v0
	v_mov_b32_e32 v22, 0x7c010000
	s_and_saveexec_b64 s[62:63], s[6:7]
	s_cbranch_execz .LBB260_111
; %bb.110:                              ;   in Loop: Header=BB260_12 Depth=1
	v_and_b32_e32 v1, 7, v4
	v_ffbh_u32_e32 v2, v1
	v_min_u32_e32 v7, 32, v2
	v_subrev_u32_e32 v2, 28, v7
	v_lshlrev_b64 v[2:3], v2, v[4:5]
	v_lshrrev_b32_e32 v6, 3, v0
	v_sub_u32_e32 v3, 29, v7
	v_cmp_gt_u32_e64 s[6:7], 8, v0
	v_and_b32_e32 v2, 7, v2
	s_nop 0
	v_cndmask_b32_e64 v0, v6, v3, s[6:7]
	v_lshlrev_b32_e32 v3, 8, v4
	v_mov_b32_e32 v4, 0x2000
	v_lshl_add_u32 v0, v0, 10, v4
	v_and_or_b32 v0, v3, s74, v0
	v_cndmask_b32_e64 v1, v1, v2, s[6:7]
	v_lshlrev_b32_e32 v0, 16, v0
	v_lshl_or_b32 v22, v1, 23, v0
.LBB260_111:                            ;   in Loop: Header=BB260_12 Depth=1
	s_or_b64 exec, exec, s[62:63]
.LBB260_112:                            ;   in Loop: Header=BB260_12 Depth=1
	s_or_b64 exec, exec, s[60:61]
.LBB260_113:                            ;   in Loop: Header=BB260_12 Depth=1
	s_or_b64 exec, exec, s[58:59]
	flat_load_dword v48, v[38:39] offset:1024
	v_mov_b32_e32 v108, 0
	v_mov_b32_e32 v0, 0
	scratch_store_dword off, v0, s32 offset:252 ; 4-byte Folded Spill
	s_waitcnt vmcnt(0) lgkmcnt(0)
	v_cmp_ne_u16_sdwa s[6:7], v48, v5 src0_sel:BYTE_0 src1_sel:DWORD
	s_and_saveexec_b64 s[58:59], s[6:7]
	s_cbranch_execz .LBB260_119
; %bb.114:                              ;   in Loop: Header=BB260_12 Depth=1
	v_cmp_ne_u16_sdwa s[6:7], v48, s72 src0_sel:BYTE_0 src1_sel:DWORD
	v_mov_b32_e32 v0, 0x8000
	scratch_store_dword off, v0, s32 offset:252 ; 4-byte Folded Spill
	s_and_saveexec_b64 s[60:61], s[6:7]
	s_cbranch_execz .LBB260_118
; %bb.115:                              ;   in Loop: Header=BB260_12 Depth=1
	v_and_b32_e32 v0, 0x7f, v48
	v_cmp_ne_u32_e64 s[6:7], s73, v0
	v_mov_b32_e32 v1, 0x7c01
	scratch_store_dword off, v1, s32 offset:252 ; 4-byte Folded Spill
	s_and_saveexec_b64 s[62:63], s[6:7]
	s_cbranch_execz .LBB260_117
; %bb.116:                              ;   in Loop: Header=BB260_12 Depth=1
	v_and_b32_e32 v1, 7, v48
	v_ffbh_u32_e32 v2, v1
	v_min_u32_e32 v6, 32, v2
	v_subrev_u32_e32 v2, 28, v6
	v_lshlrev_b64 v[2:3], v2, v[48:49]
	v_lshrrev_b32_e32 v4, 3, v0
	v_sub_u32_e32 v3, 29, v6
	v_cmp_gt_u32_e64 s[6:7], 8, v0
	v_and_b32_e32 v2, 7, v2
	s_nop 0
	v_cndmask_b32_e64 v0, v4, v3, s[6:7]
	v_mov_b32_e32 v4, 0x2000
	v_lshl_add_u32 v0, v0, 10, v4
	v_lshlrev_b32_e32 v3, 8, v48
	v_and_b32_e32 v0, 0xfc00, v0
	v_cndmask_b32_e64 v1, v1, v2, s[6:7]
	v_and_or_b32 v0, v3, s74, v0
	v_lshl_or_b32 v0, v1, 7, v0
	scratch_store_dword off, v0, s32 offset:252 ; 4-byte Folded Spill
.LBB260_117:                            ;   in Loop: Header=BB260_12 Depth=1
	s_or_b64 exec, exec, s[62:63]
.LBB260_118:                            ;   in Loop: Header=BB260_12 Depth=1
	s_or_b64 exec, exec, s[60:61]
.LBB260_119:                            ;   in Loop: Header=BB260_12 Depth=1
	s_or_b64 exec, exec, s[58:59]
	v_lshrrev_b16_e32 v4, 8, v48
	v_cmp_ne_u16_e64 s[6:7], 0, v4
	s_and_saveexec_b64 s[58:59], s[6:7]
	s_cbranch_execz .LBB260_125
; %bb.120:                              ;   in Loop: Header=BB260_12 Depth=1
	v_cmp_ne_u16_e64 s[6:7], s72, v4
	v_bfrev_b32_e32 v108, 1
	s_and_saveexec_b64 s[60:61], s[6:7]
	s_cbranch_execz .LBB260_124
; %bb.121:                              ;   in Loop: Header=BB260_12 Depth=1
	v_and_b32_e32 v0, 0x7f, v4
	v_cmp_ne_u32_e64 s[6:7], s73, v0
	v_mov_b32_e32 v108, 0x7c010000
	s_and_saveexec_b64 s[62:63], s[6:7]
	s_cbranch_execz .LBB260_123
; %bb.122:                              ;   in Loop: Header=BB260_12 Depth=1
	v_and_b32_e32 v1, 7, v4
	v_ffbh_u32_e32 v2, v1
	v_min_u32_e32 v7, 32, v2
	v_subrev_u32_e32 v2, 28, v7
	v_lshlrev_b64 v[2:3], v2, v[4:5]
	v_lshrrev_b32_e32 v6, 3, v0
	v_sub_u32_e32 v3, 29, v7
	v_cmp_gt_u32_e64 s[6:7], 8, v0
	v_and_b32_e32 v2, 7, v2
	s_nop 0
	v_cndmask_b32_e64 v0, v6, v3, s[6:7]
	v_lshlrev_b32_e32 v3, 8, v4
	v_mov_b32_e32 v4, 0x2000
	v_lshl_add_u32 v0, v0, 10, v4
	v_and_or_b32 v0, v3, s74, v0
	v_cndmask_b32_e64 v1, v1, v2, s[6:7]
	v_lshlrev_b32_e32 v0, 16, v0
	v_lshl_or_b32 v108, v1, 23, v0
.LBB260_123:                            ;   in Loop: Header=BB260_12 Depth=1
	s_or_b64 exec, exec, s[62:63]
.LBB260_124:                            ;   in Loop: Header=BB260_12 Depth=1
	s_or_b64 exec, exec, s[60:61]
.LBB260_125:                            ;   in Loop: Header=BB260_12 Depth=1
	s_or_b64 exec, exec, s[58:59]
	v_lshrrev_b32_e32 v4, 16, v48
	v_cmp_ne_u16_sdwa s[6:7], v4, v5 src0_sel:BYTE_0 src1_sel:DWORD
	v_mov_b32_e32 v26, 0
	v_mov_b32_e32 v0, 0
	scratch_store_dword off, v0, s32 offset:256 ; 4-byte Folded Spill
	s_and_saveexec_b64 s[58:59], s[6:7]
	s_cbranch_execz .LBB260_131
; %bb.126:                              ;   in Loop: Header=BB260_12 Depth=1
	v_cmp_ne_u16_sdwa s[6:7], v4, s72 src0_sel:BYTE_0 src1_sel:DWORD
	v_mov_b32_e32 v0, 0x8000
	scratch_store_dword off, v0, s32 offset:256 ; 4-byte Folded Spill
	s_and_saveexec_b64 s[60:61], s[6:7]
	s_cbranch_execz .LBB260_130
; %bb.127:                              ;   in Loop: Header=BB260_12 Depth=1
	v_bfe_u32 v0, v48, 16, 7
	v_cmp_ne_u32_e64 s[6:7], s73, v0
	v_mov_b32_e32 v1, 0x7c01
	scratch_store_dword off, v1, s32 offset:256 ; 4-byte Folded Spill
	s_and_saveexec_b64 s[62:63], s[6:7]
	s_cbranch_execz .LBB260_129
; %bb.128:                              ;   in Loop: Header=BB260_12 Depth=1
	v_and_b32_e32 v1, 7, v4
	v_ffbh_u32_e32 v2, v1
	v_min_u32_e32 v7, 32, v2
	v_subrev_u32_e32 v2, 28, v7
	v_lshlrev_b64 v[2:3], v2, v[4:5]
	v_lshrrev_b32_e32 v6, 3, v0
	v_sub_u32_e32 v3, 29, v7
	v_cmp_gt_u32_e64 s[6:7], 8, v0
	v_and_b32_e32 v2, 7, v2
	s_nop 0
	v_cndmask_b32_e64 v0, v6, v3, s[6:7]
	v_lshlrev_b32_e32 v3, 8, v4
	v_mov_b32_e32 v4, 0x2000
	v_lshl_add_u32 v0, v0, 10, v4
	v_and_b32_e32 v0, 0xfc00, v0
	v_cndmask_b32_e64 v1, v1, v2, s[6:7]
	v_and_or_b32 v0, v3, s74, v0
	v_lshl_or_b32 v0, v1, 7, v0
	scratch_store_dword off, v0, s32 offset:256 ; 4-byte Folded Spill
.LBB260_129:                            ;   in Loop: Header=BB260_12 Depth=1
	s_or_b64 exec, exec, s[62:63]
.LBB260_130:                            ;   in Loop: Header=BB260_12 Depth=1
	s_or_b64 exec, exec, s[60:61]
.LBB260_131:                            ;   in Loop: Header=BB260_12 Depth=1
	s_or_b64 exec, exec, s[58:59]
	v_cmp_lt_u32_e64 s[6:7], s75, v48
	s_and_saveexec_b64 s[58:59], s[6:7]
	s_cbranch_execz .LBB260_137
; %bb.132:                              ;   in Loop: Header=BB260_12 Depth=1
	v_lshrrev_b32_e32 v4, 24, v48
	v_cmp_ne_u32_e64 s[6:7], s72, v4
	v_bfrev_b32_e32 v26, 1
	s_and_saveexec_b64 s[60:61], s[6:7]
	s_cbranch_execz .LBB260_136
; %bb.133:                              ;   in Loop: Header=BB260_12 Depth=1
	v_and_b32_e32 v0, 0x7f, v4
	v_cmp_ne_u32_e64 s[6:7], s73, v0
	v_mov_b32_e32 v26, 0x7c010000
	s_and_saveexec_b64 s[62:63], s[6:7]
	s_cbranch_execz .LBB260_135
; %bb.134:                              ;   in Loop: Header=BB260_12 Depth=1
	v_and_b32_e32 v1, 7, v4
	v_ffbh_u32_e32 v2, v1
	v_min_u32_e32 v7, 32, v2
	v_subrev_u32_e32 v2, 28, v7
	v_lshlrev_b64 v[2:3], v2, v[4:5]
	v_lshrrev_b32_e32 v6, 3, v0
	v_sub_u32_e32 v3, 29, v7
	v_cmp_gt_u32_e64 s[6:7], 8, v0
	v_and_b32_e32 v2, 7, v2
	s_nop 0
	v_cndmask_b32_e64 v0, v6, v3, s[6:7]
	v_lshlrev_b32_e32 v3, 8, v4
	v_mov_b32_e32 v4, 0x2000
	v_lshl_add_u32 v0, v0, 10, v4
	v_and_or_b32 v0, v3, s74, v0
	v_cndmask_b32_e64 v1, v1, v2, s[6:7]
	v_lshlrev_b32_e32 v0, 16, v0
	v_lshl_or_b32 v26, v1, 23, v0
.LBB260_135:                            ;   in Loop: Header=BB260_12 Depth=1
	s_or_b64 exec, exec, s[62:63]
.LBB260_136:                            ;   in Loop: Header=BB260_12 Depth=1
	s_or_b64 exec, exec, s[60:61]
.LBB260_137:                            ;   in Loop: Header=BB260_12 Depth=1
	s_or_b64 exec, exec, s[58:59]
	flat_load_dword v48, v[38:39] offset:1032
	v_mov_b32_e32 v6, 0
	v_mov_b32_e32 v0, 0
	scratch_store_dword off, v0, s32 offset:260 ; 4-byte Folded Spill
	s_waitcnt vmcnt(0) lgkmcnt(0)
	v_cmp_ne_u16_sdwa s[6:7], v48, v5 src0_sel:BYTE_0 src1_sel:DWORD
	s_and_saveexec_b64 s[58:59], s[6:7]
	s_cbranch_execz .LBB260_143
; %bb.138:                              ;   in Loop: Header=BB260_12 Depth=1
	v_cmp_ne_u16_sdwa s[6:7], v48, s72 src0_sel:BYTE_0 src1_sel:DWORD
	v_mov_b32_e32 v0, 0x8000
	scratch_store_dword off, v0, s32 offset:260 ; 4-byte Folded Spill
	s_and_saveexec_b64 s[60:61], s[6:7]
	s_cbranch_execz .LBB260_142
; %bb.139:                              ;   in Loop: Header=BB260_12 Depth=1
	v_and_b32_e32 v0, 0x7f, v48
	v_cmp_ne_u32_e64 s[6:7], s73, v0
	v_mov_b32_e32 v1, 0x7c01
	scratch_store_dword off, v1, s32 offset:260 ; 4-byte Folded Spill
	s_and_saveexec_b64 s[62:63], s[6:7]
	s_cbranch_execz .LBB260_141
; %bb.140:                              ;   in Loop: Header=BB260_12 Depth=1
	v_and_b32_e32 v1, 7, v48
	v_ffbh_u32_e32 v2, v1
	v_min_u32_e32 v7, 32, v2
	v_subrev_u32_e32 v2, 28, v7
	v_lshlrev_b64 v[2:3], v2, v[48:49]
	v_lshrrev_b32_e32 v4, 3, v0
	v_sub_u32_e32 v3, 29, v7
	v_cmp_gt_u32_e64 s[6:7], 8, v0
	v_and_b32_e32 v2, 7, v2
	s_nop 0
	v_cndmask_b32_e64 v0, v4, v3, s[6:7]
	v_mov_b32_e32 v4, 0x2000
	v_lshl_add_u32 v0, v0, 10, v4
	v_lshlrev_b32_e32 v3, 8, v48
	v_and_b32_e32 v0, 0xfc00, v0
	v_cndmask_b32_e64 v1, v1, v2, s[6:7]
	v_and_or_b32 v0, v3, s74, v0
	v_lshl_or_b32 v0, v1, 7, v0
	scratch_store_dword off, v0, s32 offset:260 ; 4-byte Folded Spill
.LBB260_141:                            ;   in Loop: Header=BB260_12 Depth=1
	s_or_b64 exec, exec, s[62:63]
.LBB260_142:                            ;   in Loop: Header=BB260_12 Depth=1
	s_or_b64 exec, exec, s[60:61]
.LBB260_143:                            ;   in Loop: Header=BB260_12 Depth=1
	s_or_b64 exec, exec, s[58:59]
	v_lshrrev_b16_e32 v4, 8, v48
	v_cmp_ne_u16_e64 s[6:7], 0, v4
	s_and_saveexec_b64 s[58:59], s[6:7]
	s_cbranch_execz .LBB260_149
; %bb.144:                              ;   in Loop: Header=BB260_12 Depth=1
	v_cmp_ne_u16_e64 s[6:7], s72, v4
	v_bfrev_b32_e32 v6, 1
	s_and_saveexec_b64 s[60:61], s[6:7]
	s_cbranch_execz .LBB260_148
; %bb.145:                              ;   in Loop: Header=BB260_12 Depth=1
	v_and_b32_e32 v0, 0x7f, v4
	v_cmp_ne_u32_e64 s[6:7], s73, v0
	v_mov_b32_e32 v6, 0x7c010000
	s_and_saveexec_b64 s[62:63], s[6:7]
	s_cbranch_execz .LBB260_147
; %bb.146:                              ;   in Loop: Header=BB260_12 Depth=1
	v_and_b32_e32 v1, 7, v4
	v_ffbh_u32_e32 v2, v1
	v_min_u32_e32 v7, 32, v2
	v_subrev_u32_e32 v2, 28, v7
	v_lshlrev_b64 v[2:3], v2, v[4:5]
	v_lshrrev_b32_e32 v6, 3, v0
	v_sub_u32_e32 v3, 29, v7
	v_cmp_gt_u32_e64 s[6:7], 8, v0
	v_and_b32_e32 v2, 7, v2
	s_nop 0
	v_cndmask_b32_e64 v0, v6, v3, s[6:7]
	v_lshlrev_b32_e32 v3, 8, v4
	v_mov_b32_e32 v4, 0x2000
	v_lshl_add_u32 v0, v0, 10, v4
	v_and_or_b32 v0, v3, s74, v0
	v_cndmask_b32_e64 v1, v1, v2, s[6:7]
	v_lshlrev_b32_e32 v0, 16, v0
	v_lshl_or_b32 v6, v1, 23, v0
.LBB260_147:                            ;   in Loop: Header=BB260_12 Depth=1
	s_or_b64 exec, exec, s[62:63]
.LBB260_148:                            ;   in Loop: Header=BB260_12 Depth=1
	s_or_b64 exec, exec, s[60:61]
.LBB260_149:                            ;   in Loop: Header=BB260_12 Depth=1
	s_or_b64 exec, exec, s[58:59]
	v_lshrrev_b32_e32 v4, 16, v48
	v_cmp_ne_u16_sdwa s[6:7], v4, v5 src0_sel:BYTE_0 src1_sel:DWORD
	v_mov_b32_e32 v28, 0
	v_mov_b32_e32 v0, 0
	scratch_store_dword off, v0, s32 offset:264 ; 4-byte Folded Spill
	s_and_saveexec_b64 s[58:59], s[6:7]
	s_cbranch_execz .LBB260_155
; %bb.150:                              ;   in Loop: Header=BB260_12 Depth=1
	v_cmp_ne_u16_sdwa s[6:7], v4, s72 src0_sel:BYTE_0 src1_sel:DWORD
	v_mov_b32_e32 v0, 0x8000
	scratch_store_dword off, v0, s32 offset:264 ; 4-byte Folded Spill
	s_and_saveexec_b64 s[60:61], s[6:7]
	s_cbranch_execz .LBB260_154
; %bb.151:                              ;   in Loop: Header=BB260_12 Depth=1
	v_bfe_u32 v0, v48, 16, 7
	v_cmp_ne_u32_e64 s[6:7], s73, v0
	v_mov_b32_e32 v1, 0x7c01
	scratch_store_dword off, v1, s32 offset:264 ; 4-byte Folded Spill
	s_and_saveexec_b64 s[62:63], s[6:7]
	s_cbranch_execz .LBB260_153
; %bb.152:                              ;   in Loop: Header=BB260_12 Depth=1
	v_and_b32_e32 v1, 7, v4
	v_ffbh_u32_e32 v2, v1
	v_min_u32_e32 v8, 32, v2
	v_subrev_u32_e32 v2, 28, v8
	v_lshlrev_b64 v[2:3], v2, v[4:5]
	v_lshrrev_b32_e32 v7, 3, v0
	v_sub_u32_e32 v3, 29, v8
	v_cmp_gt_u32_e64 s[6:7], 8, v0
	v_and_b32_e32 v2, 7, v2
	s_nop 0
	v_cndmask_b32_e64 v0, v7, v3, s[6:7]
	v_lshlrev_b32_e32 v3, 8, v4
	v_mov_b32_e32 v4, 0x2000
	v_lshl_add_u32 v0, v0, 10, v4
	v_and_b32_e32 v0, 0xfc00, v0
	v_cndmask_b32_e64 v1, v1, v2, s[6:7]
	v_and_or_b32 v0, v3, s74, v0
	v_lshl_or_b32 v0, v1, 7, v0
	scratch_store_dword off, v0, s32 offset:264 ; 4-byte Folded Spill
.LBB260_153:                            ;   in Loop: Header=BB260_12 Depth=1
	s_or_b64 exec, exec, s[62:63]
.LBB260_154:                            ;   in Loop: Header=BB260_12 Depth=1
	s_or_b64 exec, exec, s[60:61]
.LBB260_155:                            ;   in Loop: Header=BB260_12 Depth=1
	s_or_b64 exec, exec, s[58:59]
	v_cmp_lt_u32_e64 s[6:7], s75, v48
	s_and_saveexec_b64 s[58:59], s[6:7]
	s_cbranch_execz .LBB260_161
; %bb.156:                              ;   in Loop: Header=BB260_12 Depth=1
	v_lshrrev_b32_e32 v4, 24, v48
	v_cmp_ne_u32_e64 s[6:7], s72, v4
	v_bfrev_b32_e32 v28, 1
	s_and_saveexec_b64 s[60:61], s[6:7]
	s_cbranch_execz .LBB260_160
; %bb.157:                              ;   in Loop: Header=BB260_12 Depth=1
	v_and_b32_e32 v0, 0x7f, v4
	v_cmp_ne_u32_e64 s[6:7], s73, v0
	v_mov_b32_e32 v28, 0x7c010000
	s_and_saveexec_b64 s[62:63], s[6:7]
	s_cbranch_execz .LBB260_159
; %bb.158:                              ;   in Loop: Header=BB260_12 Depth=1
	v_and_b32_e32 v1, 7, v4
	v_ffbh_u32_e32 v2, v1
	v_min_u32_e32 v8, 32, v2
	v_subrev_u32_e32 v2, 28, v8
	v_lshlrev_b64 v[2:3], v2, v[4:5]
	v_lshrrev_b32_e32 v7, 3, v0
	v_sub_u32_e32 v3, 29, v8
	v_cmp_gt_u32_e64 s[6:7], 8, v0
	v_and_b32_e32 v2, 7, v2
	s_nop 0
	v_cndmask_b32_e64 v0, v7, v3, s[6:7]
	v_lshlrev_b32_e32 v3, 8, v4
	v_mov_b32_e32 v4, 0x2000
	v_lshl_add_u32 v0, v0, 10, v4
	v_and_or_b32 v0, v3, s74, v0
	v_cndmask_b32_e64 v1, v1, v2, s[6:7]
	v_lshlrev_b32_e32 v0, 16, v0
	v_lshl_or_b32 v28, v1, 23, v0
.LBB260_159:                            ;   in Loop: Header=BB260_12 Depth=1
	s_or_b64 exec, exec, s[62:63]
.LBB260_160:                            ;   in Loop: Header=BB260_12 Depth=1
	s_or_b64 exec, exec, s[60:61]
.LBB260_161:                            ;   in Loop: Header=BB260_12 Depth=1
	s_or_b64 exec, exec, s[58:59]
	flat_load_dword v48, v[38:39] offset:1536
	v_mov_b32_e32 v43, 0
	v_mov_b32_e32 v0, 0
	scratch_store_dword off, v0, s32 offset:268 ; 4-byte Folded Spill
	s_waitcnt vmcnt(0) lgkmcnt(0)
	v_cmp_ne_u16_sdwa s[6:7], v48, v5 src0_sel:BYTE_0 src1_sel:DWORD
	s_and_saveexec_b64 s[58:59], s[6:7]
	s_cbranch_execz .LBB260_167
; %bb.162:                              ;   in Loop: Header=BB260_12 Depth=1
	v_cmp_ne_u16_sdwa s[6:7], v48, s72 src0_sel:BYTE_0 src1_sel:DWORD
	v_mov_b32_e32 v0, 0x8000
	scratch_store_dword off, v0, s32 offset:268 ; 4-byte Folded Spill
	s_and_saveexec_b64 s[60:61], s[6:7]
	s_cbranch_execz .LBB260_166
; %bb.163:                              ;   in Loop: Header=BB260_12 Depth=1
	v_and_b32_e32 v0, 0x7f, v48
	v_cmp_ne_u32_e64 s[6:7], s73, v0
	v_mov_b32_e32 v1, 0x7c01
	scratch_store_dword off, v1, s32 offset:268 ; 4-byte Folded Spill
	s_and_saveexec_b64 s[62:63], s[6:7]
	s_cbranch_execz .LBB260_165
; %bb.164:                              ;   in Loop: Header=BB260_12 Depth=1
	v_and_b32_e32 v1, 7, v48
	v_ffbh_u32_e32 v2, v1
	v_min_u32_e32 v7, 32, v2
	v_subrev_u32_e32 v2, 28, v7
	v_lshlrev_b64 v[2:3], v2, v[48:49]
	v_lshrrev_b32_e32 v4, 3, v0
	v_sub_u32_e32 v3, 29, v7
	v_cmp_gt_u32_e64 s[6:7], 8, v0
	v_and_b32_e32 v2, 7, v2
	s_nop 0
	v_cndmask_b32_e64 v0, v4, v3, s[6:7]
	v_mov_b32_e32 v4, 0x2000
	v_lshl_add_u32 v0, v0, 10, v4
	v_lshlrev_b32_e32 v3, 8, v48
	v_and_b32_e32 v0, 0xfc00, v0
	v_cndmask_b32_e64 v1, v1, v2, s[6:7]
	v_and_or_b32 v0, v3, s74, v0
	v_lshl_or_b32 v0, v1, 7, v0
	scratch_store_dword off, v0, s32 offset:268 ; 4-byte Folded Spill
.LBB260_165:                            ;   in Loop: Header=BB260_12 Depth=1
	s_or_b64 exec, exec, s[62:63]
.LBB260_166:                            ;   in Loop: Header=BB260_12 Depth=1
	s_or_b64 exec, exec, s[60:61]
.LBB260_167:                            ;   in Loop: Header=BB260_12 Depth=1
	s_or_b64 exec, exec, s[58:59]
	v_lshrrev_b16_e32 v4, 8, v48
	v_cmp_ne_u16_e64 s[6:7], 0, v4
	s_and_saveexec_b64 s[58:59], s[6:7]
	s_cbranch_execz .LBB260_173
; %bb.168:                              ;   in Loop: Header=BB260_12 Depth=1
	v_cmp_ne_u16_e64 s[6:7], s72, v4
	v_bfrev_b32_e32 v43, 1
	s_and_saveexec_b64 s[60:61], s[6:7]
	s_cbranch_execz .LBB260_172
; %bb.169:                              ;   in Loop: Header=BB260_12 Depth=1
	v_and_b32_e32 v0, 0x7f, v4
	v_cmp_ne_u32_e64 s[6:7], s73, v0
	v_mov_b32_e32 v43, 0x7c010000
	s_and_saveexec_b64 s[62:63], s[6:7]
	s_cbranch_execz .LBB260_171
; %bb.170:                              ;   in Loop: Header=BB260_12 Depth=1
	v_and_b32_e32 v1, 7, v4
	v_ffbh_u32_e32 v2, v1
	v_min_u32_e32 v8, 32, v2
	v_subrev_u32_e32 v2, 28, v8
	v_lshlrev_b64 v[2:3], v2, v[4:5]
	v_lshrrev_b32_e32 v7, 3, v0
	v_sub_u32_e32 v3, 29, v8
	v_cmp_gt_u32_e64 s[6:7], 8, v0
	v_and_b32_e32 v2, 7, v2
	s_nop 0
	v_cndmask_b32_e64 v0, v7, v3, s[6:7]
	v_lshlrev_b32_e32 v3, 8, v4
	v_mov_b32_e32 v4, 0x2000
	v_lshl_add_u32 v0, v0, 10, v4
	v_and_or_b32 v0, v3, s74, v0
	v_cndmask_b32_e64 v1, v1, v2, s[6:7]
	v_lshlrev_b32_e32 v0, 16, v0
	v_lshl_or_b32 v43, v1, 23, v0
.LBB260_171:                            ;   in Loop: Header=BB260_12 Depth=1
	s_or_b64 exec, exec, s[62:63]
.LBB260_172:                            ;   in Loop: Header=BB260_12 Depth=1
	s_or_b64 exec, exec, s[60:61]
.LBB260_173:                            ;   in Loop: Header=BB260_12 Depth=1
	s_or_b64 exec, exec, s[58:59]
	v_lshrrev_b32_e32 v4, 16, v48
	v_cmp_ne_u16_sdwa s[6:7], v4, v5 src0_sel:BYTE_0 src1_sel:DWORD
	v_mov_b32_e32 v45, 0
	v_mov_b32_e32 v0, 0
	scratch_store_dword off, v0, s32 offset:272 ; 4-byte Folded Spill
	s_and_saveexec_b64 s[58:59], s[6:7]
	s_cbranch_execz .LBB260_179
; %bb.174:                              ;   in Loop: Header=BB260_12 Depth=1
	v_cmp_ne_u16_sdwa s[6:7], v4, s72 src0_sel:BYTE_0 src1_sel:DWORD
	v_mov_b32_e32 v0, 0x8000
	scratch_store_dword off, v0, s32 offset:272 ; 4-byte Folded Spill
	s_and_saveexec_b64 s[60:61], s[6:7]
	s_cbranch_execz .LBB260_178
; %bb.175:                              ;   in Loop: Header=BB260_12 Depth=1
	v_bfe_u32 v0, v48, 16, 7
	v_cmp_ne_u32_e64 s[6:7], s73, v0
	v_mov_b32_e32 v1, 0x7c01
	scratch_store_dword off, v1, s32 offset:272 ; 4-byte Folded Spill
	s_and_saveexec_b64 s[62:63], s[6:7]
	s_cbranch_execz .LBB260_177
; %bb.176:                              ;   in Loop: Header=BB260_12 Depth=1
	v_and_b32_e32 v1, 7, v4
	v_ffbh_u32_e32 v2, v1
	v_min_u32_e32 v8, 32, v2
	v_subrev_u32_e32 v2, 28, v8
	v_lshlrev_b64 v[2:3], v2, v[4:5]
	v_lshrrev_b32_e32 v7, 3, v0
	v_sub_u32_e32 v3, 29, v8
	v_cmp_gt_u32_e64 s[6:7], 8, v0
	v_and_b32_e32 v2, 7, v2
	s_nop 0
	v_cndmask_b32_e64 v0, v7, v3, s[6:7]
	v_lshlrev_b32_e32 v3, 8, v4
	v_mov_b32_e32 v4, 0x2000
	v_lshl_add_u32 v0, v0, 10, v4
	v_and_b32_e32 v0, 0xfc00, v0
	v_cndmask_b32_e64 v1, v1, v2, s[6:7]
	v_and_or_b32 v0, v3, s74, v0
	v_lshl_or_b32 v0, v1, 7, v0
	scratch_store_dword off, v0, s32 offset:272 ; 4-byte Folded Spill
.LBB260_177:                            ;   in Loop: Header=BB260_12 Depth=1
	s_or_b64 exec, exec, s[62:63]
.LBB260_178:                            ;   in Loop: Header=BB260_12 Depth=1
	s_or_b64 exec, exec, s[60:61]
.LBB260_179:                            ;   in Loop: Header=BB260_12 Depth=1
	s_or_b64 exec, exec, s[58:59]
	v_cmp_lt_u32_e64 s[6:7], s75, v48
	s_and_saveexec_b64 s[58:59], s[6:7]
	s_cbranch_execz .LBB260_185
; %bb.180:                              ;   in Loop: Header=BB260_12 Depth=1
	v_lshrrev_b32_e32 v4, 24, v48
	v_cmp_ne_u32_e64 s[6:7], s72, v4
	v_bfrev_b32_e32 v45, 1
	s_and_saveexec_b64 s[60:61], s[6:7]
	s_cbranch_execz .LBB260_184
; %bb.181:                              ;   in Loop: Header=BB260_12 Depth=1
	v_and_b32_e32 v0, 0x7f, v4
	v_cmp_ne_u32_e64 s[6:7], s73, v0
	v_mov_b32_e32 v45, 0x7c010000
	s_and_saveexec_b64 s[62:63], s[6:7]
	s_cbranch_execz .LBB260_183
; %bb.182:                              ;   in Loop: Header=BB260_12 Depth=1
	v_and_b32_e32 v1, 7, v4
	v_ffbh_u32_e32 v2, v1
	v_min_u32_e32 v8, 32, v2
	v_subrev_u32_e32 v2, 28, v8
	v_lshlrev_b64 v[2:3], v2, v[4:5]
	v_lshrrev_b32_e32 v7, 3, v0
	v_sub_u32_e32 v3, 29, v8
	v_cmp_gt_u32_e64 s[6:7], 8, v0
	v_and_b32_e32 v2, 7, v2
	s_nop 0
	v_cndmask_b32_e64 v0, v7, v3, s[6:7]
	v_lshlrev_b32_e32 v3, 8, v4
	v_mov_b32_e32 v4, 0x2000
	v_lshl_add_u32 v0, v0, 10, v4
	v_and_or_b32 v0, v3, s74, v0
	v_cndmask_b32_e64 v1, v1, v2, s[6:7]
	v_lshlrev_b32_e32 v0, 16, v0
	v_lshl_or_b32 v45, v1, 23, v0
.LBB260_183:                            ;   in Loop: Header=BB260_12 Depth=1
	s_or_b64 exec, exec, s[62:63]
.LBB260_184:                            ;   in Loop: Header=BB260_12 Depth=1
	s_or_b64 exec, exec, s[60:61]
.LBB260_185:                            ;   in Loop: Header=BB260_12 Depth=1
	s_or_b64 exec, exec, s[58:59]
	flat_load_dword v48, v[38:39] offset:1544
	v_mov_b32_e32 v47, 0
	v_mov_b32_e32 v0, 0
	scratch_store_dword off, v0, s32 offset:276 ; 4-byte Folded Spill
	s_waitcnt vmcnt(0) lgkmcnt(0)
	v_cmp_ne_u16_sdwa s[6:7], v48, v5 src0_sel:BYTE_0 src1_sel:DWORD
	s_and_saveexec_b64 s[58:59], s[6:7]
	s_cbranch_execz .LBB260_191
; %bb.186:                              ;   in Loop: Header=BB260_12 Depth=1
	v_cmp_ne_u16_sdwa s[6:7], v48, s72 src0_sel:BYTE_0 src1_sel:DWORD
	v_mov_b32_e32 v0, 0x8000
	scratch_store_dword off, v0, s32 offset:276 ; 4-byte Folded Spill
	s_and_saveexec_b64 s[60:61], s[6:7]
	s_cbranch_execz .LBB260_190
; %bb.187:                              ;   in Loop: Header=BB260_12 Depth=1
	v_and_b32_e32 v0, 0x7f, v48
	v_cmp_ne_u32_e64 s[6:7], s73, v0
	v_mov_b32_e32 v1, 0x7c01
	scratch_store_dword off, v1, s32 offset:276 ; 4-byte Folded Spill
	s_and_saveexec_b64 s[62:63], s[6:7]
	s_cbranch_execz .LBB260_189
; %bb.188:                              ;   in Loop: Header=BB260_12 Depth=1
	v_and_b32_e32 v1, 7, v48
	v_ffbh_u32_e32 v2, v1
	v_min_u32_e32 v7, 32, v2
	v_subrev_u32_e32 v2, 28, v7
	v_lshlrev_b64 v[2:3], v2, v[48:49]
	v_lshrrev_b32_e32 v4, 3, v0
	v_sub_u32_e32 v3, 29, v7
	v_cmp_gt_u32_e64 s[6:7], 8, v0
	v_and_b32_e32 v2, 7, v2
	s_nop 0
	v_cndmask_b32_e64 v0, v4, v3, s[6:7]
	v_mov_b32_e32 v4, 0x2000
	v_lshl_add_u32 v0, v0, 10, v4
	v_lshlrev_b32_e32 v3, 8, v48
	v_and_b32_e32 v0, 0xfc00, v0
	v_cndmask_b32_e64 v1, v1, v2, s[6:7]
	v_and_or_b32 v0, v3, s74, v0
	v_lshl_or_b32 v0, v1, 7, v0
	scratch_store_dword off, v0, s32 offset:276 ; 4-byte Folded Spill
.LBB260_189:                            ;   in Loop: Header=BB260_12 Depth=1
	s_or_b64 exec, exec, s[62:63]
.LBB260_190:                            ;   in Loop: Header=BB260_12 Depth=1
	s_or_b64 exec, exec, s[60:61]
.LBB260_191:                            ;   in Loop: Header=BB260_12 Depth=1
	s_or_b64 exec, exec, s[58:59]
	v_lshrrev_b16_e32 v4, 8, v48
	v_cmp_ne_u16_e64 s[6:7], 0, v4
	s_and_saveexec_b64 s[58:59], s[6:7]
	s_cbranch_execz .LBB260_197
; %bb.192:                              ;   in Loop: Header=BB260_12 Depth=1
	v_cmp_ne_u16_e64 s[6:7], s72, v4
	v_bfrev_b32_e32 v47, 1
	s_and_saveexec_b64 s[60:61], s[6:7]
	s_cbranch_execz .LBB260_196
; %bb.193:                              ;   in Loop: Header=BB260_12 Depth=1
	v_and_b32_e32 v0, 0x7f, v4
	v_cmp_ne_u32_e64 s[6:7], s73, v0
	v_mov_b32_e32 v47, 0x7c010000
	s_and_saveexec_b64 s[62:63], s[6:7]
	s_cbranch_execz .LBB260_195
; %bb.194:                              ;   in Loop: Header=BB260_12 Depth=1
	v_and_b32_e32 v1, 7, v4
	v_ffbh_u32_e32 v2, v1
	v_min_u32_e32 v8, 32, v2
	v_subrev_u32_e32 v2, 28, v8
	v_lshlrev_b64 v[2:3], v2, v[4:5]
	v_lshrrev_b32_e32 v7, 3, v0
	v_sub_u32_e32 v3, 29, v8
	v_cmp_gt_u32_e64 s[6:7], 8, v0
	v_and_b32_e32 v2, 7, v2
	s_nop 0
	v_cndmask_b32_e64 v0, v7, v3, s[6:7]
	v_lshlrev_b32_e32 v3, 8, v4
	v_mov_b32_e32 v4, 0x2000
	v_lshl_add_u32 v0, v0, 10, v4
	v_and_or_b32 v0, v3, s74, v0
	v_cndmask_b32_e64 v1, v1, v2, s[6:7]
	v_lshlrev_b32_e32 v0, 16, v0
	v_lshl_or_b32 v47, v1, 23, v0
.LBB260_195:                            ;   in Loop: Header=BB260_12 Depth=1
	s_or_b64 exec, exec, s[62:63]
.LBB260_196:                            ;   in Loop: Header=BB260_12 Depth=1
	s_or_b64 exec, exec, s[60:61]
.LBB260_197:                            ;   in Loop: Header=BB260_12 Depth=1
	s_or_b64 exec, exec, s[58:59]
	v_lshrrev_b32_e32 v4, 16, v48
	v_cmp_ne_u16_sdwa s[6:7], v4, v5 src0_sel:BYTE_0 src1_sel:DWORD
	v_mov_b32_e32 v57, 0
	v_mov_b32_e32 v0, 0
	scratch_store_dword off, v0, s32 offset:280 ; 4-byte Folded Spill
	s_and_saveexec_b64 s[58:59], s[6:7]
	s_cbranch_execz .LBB260_203
; %bb.198:                              ;   in Loop: Header=BB260_12 Depth=1
	v_cmp_ne_u16_sdwa s[6:7], v4, s72 src0_sel:BYTE_0 src1_sel:DWORD
	v_mov_b32_e32 v0, 0x8000
	scratch_store_dword off, v0, s32 offset:280 ; 4-byte Folded Spill
	s_and_saveexec_b64 s[60:61], s[6:7]
	s_cbranch_execz .LBB260_202
; %bb.199:                              ;   in Loop: Header=BB260_12 Depth=1
	v_bfe_u32 v0, v48, 16, 7
	v_cmp_ne_u32_e64 s[6:7], s73, v0
	v_mov_b32_e32 v1, 0x7c01
	scratch_store_dword off, v1, s32 offset:280 ; 4-byte Folded Spill
	s_and_saveexec_b64 s[62:63], s[6:7]
	s_cbranch_execz .LBB260_201
; %bb.200:                              ;   in Loop: Header=BB260_12 Depth=1
	v_and_b32_e32 v1, 7, v4
	v_ffbh_u32_e32 v2, v1
	v_min_u32_e32 v8, 32, v2
	v_subrev_u32_e32 v2, 28, v8
	v_lshlrev_b64 v[2:3], v2, v[4:5]
	v_lshrrev_b32_e32 v7, 3, v0
	v_sub_u32_e32 v3, 29, v8
	v_cmp_gt_u32_e64 s[6:7], 8, v0
	v_and_b32_e32 v2, 7, v2
	s_nop 0
	v_cndmask_b32_e64 v0, v7, v3, s[6:7]
	v_lshlrev_b32_e32 v3, 8, v4
	v_mov_b32_e32 v4, 0x2000
	v_lshl_add_u32 v0, v0, 10, v4
	v_and_b32_e32 v0, 0xfc00, v0
	v_cndmask_b32_e64 v1, v1, v2, s[6:7]
	v_and_or_b32 v0, v3, s74, v0
	v_lshl_or_b32 v0, v1, 7, v0
	scratch_store_dword off, v0, s32 offset:280 ; 4-byte Folded Spill
.LBB260_201:                            ;   in Loop: Header=BB260_12 Depth=1
	s_or_b64 exec, exec, s[62:63]
.LBB260_202:                            ;   in Loop: Header=BB260_12 Depth=1
	s_or_b64 exec, exec, s[60:61]
.LBB260_203:                            ;   in Loop: Header=BB260_12 Depth=1
	s_or_b64 exec, exec, s[58:59]
	v_cmp_lt_u32_e64 s[6:7], s75, v48
	s_and_saveexec_b64 s[58:59], s[6:7]
	s_cbranch_execz .LBB260_209
; %bb.204:                              ;   in Loop: Header=BB260_12 Depth=1
	v_lshrrev_b32_e32 v4, 24, v48
	v_cmp_ne_u32_e64 s[6:7], s72, v4
	v_bfrev_b32_e32 v57, 1
	s_and_saveexec_b64 s[60:61], s[6:7]
	s_cbranch_execz .LBB260_208
; %bb.205:                              ;   in Loop: Header=BB260_12 Depth=1
	v_and_b32_e32 v0, 0x7f, v4
	v_cmp_ne_u32_e64 s[6:7], s73, v0
	v_mov_b32_e32 v57, 0x7c010000
	s_and_saveexec_b64 s[62:63], s[6:7]
	s_cbranch_execz .LBB260_207
; %bb.206:                              ;   in Loop: Header=BB260_12 Depth=1
	v_and_b32_e32 v1, 7, v4
	v_ffbh_u32_e32 v2, v1
	v_min_u32_e32 v8, 32, v2
	v_subrev_u32_e32 v2, 28, v8
	v_lshlrev_b64 v[2:3], v2, v[4:5]
	v_lshrrev_b32_e32 v7, 3, v0
	v_sub_u32_e32 v3, 29, v8
	v_cmp_gt_u32_e64 s[6:7], 8, v0
	v_and_b32_e32 v2, 7, v2
	s_nop 0
	v_cndmask_b32_e64 v0, v7, v3, s[6:7]
	v_lshlrev_b32_e32 v3, 8, v4
	v_mov_b32_e32 v4, 0x2000
	v_lshl_add_u32 v0, v0, 10, v4
	v_and_or_b32 v0, v3, s74, v0
	v_cndmask_b32_e64 v1, v1, v2, s[6:7]
	v_lshlrev_b32_e32 v0, 16, v0
	v_lshl_or_b32 v57, v1, 23, v0
.LBB260_207:                            ;   in Loop: Header=BB260_12 Depth=1
	s_or_b64 exec, exec, s[62:63]
.LBB260_208:                            ;   in Loop: Header=BB260_12 Depth=1
	s_or_b64 exec, exec, s[60:61]
.LBB260_209:                            ;   in Loop: Header=BB260_12 Depth=1
	s_or_b64 exec, exec, s[58:59]
	flat_load_dword v48, v[38:39] offset:2048
	v_mov_b32_e32 v41, 0
	v_mov_b32_e32 v0, 0
	scratch_store_dword off, v0, s32 offset:284 ; 4-byte Folded Spill
	s_waitcnt vmcnt(0) lgkmcnt(0)
	v_cmp_ne_u16_sdwa s[6:7], v48, v5 src0_sel:BYTE_0 src1_sel:DWORD
	s_and_saveexec_b64 s[58:59], s[6:7]
	s_cbranch_execz .LBB260_215
; %bb.210:                              ;   in Loop: Header=BB260_12 Depth=1
	v_cmp_ne_u16_sdwa s[6:7], v48, s72 src0_sel:BYTE_0 src1_sel:DWORD
	v_mov_b32_e32 v0, 0x8000
	scratch_store_dword off, v0, s32 offset:284 ; 4-byte Folded Spill
	s_and_saveexec_b64 s[60:61], s[6:7]
	s_cbranch_execz .LBB260_214
; %bb.211:                              ;   in Loop: Header=BB260_12 Depth=1
	v_and_b32_e32 v0, 0x7f, v48
	v_cmp_ne_u32_e64 s[6:7], s73, v0
	v_mov_b32_e32 v1, 0x7c01
	scratch_store_dword off, v1, s32 offset:284 ; 4-byte Folded Spill
	s_and_saveexec_b64 s[62:63], s[6:7]
	s_cbranch_execz .LBB260_213
; %bb.212:                              ;   in Loop: Header=BB260_12 Depth=1
	v_and_b32_e32 v1, 7, v48
	v_ffbh_u32_e32 v2, v1
	v_min_u32_e32 v7, 32, v2
	v_subrev_u32_e32 v2, 28, v7
	v_lshlrev_b64 v[2:3], v2, v[48:49]
	v_lshrrev_b32_e32 v4, 3, v0
	v_sub_u32_e32 v3, 29, v7
	v_cmp_gt_u32_e64 s[6:7], 8, v0
	v_and_b32_e32 v2, 7, v2
	s_nop 0
	v_cndmask_b32_e64 v0, v4, v3, s[6:7]
	v_mov_b32_e32 v4, 0x2000
	v_lshl_add_u32 v0, v0, 10, v4
	v_lshlrev_b32_e32 v3, 8, v48
	v_and_b32_e32 v0, 0xfc00, v0
	v_cndmask_b32_e64 v1, v1, v2, s[6:7]
	v_and_or_b32 v0, v3, s74, v0
	v_lshl_or_b32 v0, v1, 7, v0
	scratch_store_dword off, v0, s32 offset:284 ; 4-byte Folded Spill
.LBB260_213:                            ;   in Loop: Header=BB260_12 Depth=1
	s_or_b64 exec, exec, s[62:63]
.LBB260_214:                            ;   in Loop: Header=BB260_12 Depth=1
	s_or_b64 exec, exec, s[60:61]
.LBB260_215:                            ;   in Loop: Header=BB260_12 Depth=1
	s_or_b64 exec, exec, s[58:59]
	v_lshrrev_b16_e32 v4, 8, v48
	v_cmp_ne_u16_e64 s[6:7], 0, v4
	s_and_saveexec_b64 s[58:59], s[6:7]
	s_cbranch_execz .LBB260_221
; %bb.216:                              ;   in Loop: Header=BB260_12 Depth=1
	v_cmp_ne_u16_e64 s[6:7], s72, v4
	v_bfrev_b32_e32 v41, 1
	s_and_saveexec_b64 s[60:61], s[6:7]
	s_cbranch_execz .LBB260_220
; %bb.217:                              ;   in Loop: Header=BB260_12 Depth=1
	v_and_b32_e32 v0, 0x7f, v4
	v_cmp_ne_u32_e64 s[6:7], s73, v0
	v_mov_b32_e32 v41, 0x7c010000
	s_and_saveexec_b64 s[62:63], s[6:7]
	s_cbranch_execz .LBB260_219
; %bb.218:                              ;   in Loop: Header=BB260_12 Depth=1
	v_and_b32_e32 v1, 7, v4
	v_ffbh_u32_e32 v2, v1
	v_min_u32_e32 v8, 32, v2
	v_subrev_u32_e32 v2, 28, v8
	v_lshlrev_b64 v[2:3], v2, v[4:5]
	v_lshrrev_b32_e32 v7, 3, v0
	v_sub_u32_e32 v3, 29, v8
	v_cmp_gt_u32_e64 s[6:7], 8, v0
	v_and_b32_e32 v2, 7, v2
	s_nop 0
	v_cndmask_b32_e64 v0, v7, v3, s[6:7]
	v_lshlrev_b32_e32 v3, 8, v4
	v_mov_b32_e32 v4, 0x2000
	v_lshl_add_u32 v0, v0, 10, v4
	v_and_or_b32 v0, v3, s74, v0
	v_cndmask_b32_e64 v1, v1, v2, s[6:7]
	v_lshlrev_b32_e32 v0, 16, v0
	v_lshl_or_b32 v41, v1, 23, v0
.LBB260_219:                            ;   in Loop: Header=BB260_12 Depth=1
	s_or_b64 exec, exec, s[62:63]
.LBB260_220:                            ;   in Loop: Header=BB260_12 Depth=1
	s_or_b64 exec, exec, s[60:61]
.LBB260_221:                            ;   in Loop: Header=BB260_12 Depth=1
	s_or_b64 exec, exec, s[58:59]
	v_lshrrev_b32_e32 v4, 16, v48
	v_cmp_ne_u16_sdwa s[6:7], v4, v5 src0_sel:BYTE_0 src1_sel:DWORD
	v_mov_b32_e32 v97, 0
	v_mov_b32_e32 v0, 0
	scratch_store_dword off, v0, s32 offset:288 ; 4-byte Folded Spill
	s_and_saveexec_b64 s[58:59], s[6:7]
	s_cbranch_execz .LBB260_227
; %bb.222:                              ;   in Loop: Header=BB260_12 Depth=1
	v_cmp_ne_u16_sdwa s[6:7], v4, s72 src0_sel:BYTE_0 src1_sel:DWORD
	v_mov_b32_e32 v0, 0x8000
	scratch_store_dword off, v0, s32 offset:288 ; 4-byte Folded Spill
	s_and_saveexec_b64 s[60:61], s[6:7]
	s_cbranch_execz .LBB260_226
; %bb.223:                              ;   in Loop: Header=BB260_12 Depth=1
	v_bfe_u32 v0, v48, 16, 7
	v_cmp_ne_u32_e64 s[6:7], s73, v0
	v_mov_b32_e32 v1, 0x7c01
	scratch_store_dword off, v1, s32 offset:288 ; 4-byte Folded Spill
	s_and_saveexec_b64 s[62:63], s[6:7]
	s_cbranch_execz .LBB260_225
; %bb.224:                              ;   in Loop: Header=BB260_12 Depth=1
	v_and_b32_e32 v1, 7, v4
	v_ffbh_u32_e32 v2, v1
	v_min_u32_e32 v8, 32, v2
	v_subrev_u32_e32 v2, 28, v8
	v_lshlrev_b64 v[2:3], v2, v[4:5]
	v_lshrrev_b32_e32 v7, 3, v0
	v_sub_u32_e32 v3, 29, v8
	v_cmp_gt_u32_e64 s[6:7], 8, v0
	v_and_b32_e32 v2, 7, v2
	s_nop 0
	v_cndmask_b32_e64 v0, v7, v3, s[6:7]
	v_lshlrev_b32_e32 v3, 8, v4
	v_mov_b32_e32 v4, 0x2000
	v_lshl_add_u32 v0, v0, 10, v4
	v_and_b32_e32 v0, 0xfc00, v0
	v_cndmask_b32_e64 v1, v1, v2, s[6:7]
	v_and_or_b32 v0, v3, s74, v0
	v_lshl_or_b32 v0, v1, 7, v0
	scratch_store_dword off, v0, s32 offset:288 ; 4-byte Folded Spill
.LBB260_225:                            ;   in Loop: Header=BB260_12 Depth=1
	s_or_b64 exec, exec, s[62:63]
.LBB260_226:                            ;   in Loop: Header=BB260_12 Depth=1
	s_or_b64 exec, exec, s[60:61]
.LBB260_227:                            ;   in Loop: Header=BB260_12 Depth=1
	s_or_b64 exec, exec, s[58:59]
	v_cmp_lt_u32_e64 s[6:7], s75, v48
	s_and_saveexec_b64 s[58:59], s[6:7]
	s_cbranch_execz .LBB260_233
; %bb.228:                              ;   in Loop: Header=BB260_12 Depth=1
	v_lshrrev_b32_e32 v4, 24, v48
	v_cmp_ne_u32_e64 s[6:7], s72, v4
	v_bfrev_b32_e32 v97, 1
	s_and_saveexec_b64 s[60:61], s[6:7]
	s_cbranch_execz .LBB260_232
; %bb.229:                              ;   in Loop: Header=BB260_12 Depth=1
	v_and_b32_e32 v0, 0x7f, v4
	v_cmp_ne_u32_e64 s[6:7], s73, v0
	v_mov_b32_e32 v97, 0x7c010000
	s_and_saveexec_b64 s[62:63], s[6:7]
	s_cbranch_execz .LBB260_231
; %bb.230:                              ;   in Loop: Header=BB260_12 Depth=1
	v_and_b32_e32 v1, 7, v4
	v_ffbh_u32_e32 v2, v1
	v_min_u32_e32 v8, 32, v2
	v_subrev_u32_e32 v2, 28, v8
	v_lshlrev_b64 v[2:3], v2, v[4:5]
	v_lshrrev_b32_e32 v7, 3, v0
	v_sub_u32_e32 v3, 29, v8
	v_cmp_gt_u32_e64 s[6:7], 8, v0
	v_and_b32_e32 v2, 7, v2
	s_nop 0
	v_cndmask_b32_e64 v0, v7, v3, s[6:7]
	v_lshlrev_b32_e32 v3, 8, v4
	v_mov_b32_e32 v4, 0x2000
	v_lshl_add_u32 v0, v0, 10, v4
	v_and_or_b32 v0, v3, s74, v0
	v_cndmask_b32_e64 v1, v1, v2, s[6:7]
	v_lshlrev_b32_e32 v0, 16, v0
	v_lshl_or_b32 v97, v1, 23, v0
.LBB260_231:                            ;   in Loop: Header=BB260_12 Depth=1
	s_or_b64 exec, exec, s[62:63]
.LBB260_232:                            ;   in Loop: Header=BB260_12 Depth=1
	s_or_b64 exec, exec, s[60:61]
.LBB260_233:                            ;   in Loop: Header=BB260_12 Depth=1
	s_or_b64 exec, exec, s[58:59]
	flat_load_dword v48, v[38:39] offset:2056
	v_mov_b32_e32 v63, 0
	v_mov_b32_e32 v0, 0
	scratch_store_dword off, v0, s32 offset:292 ; 4-byte Folded Spill
	s_waitcnt vmcnt(0) lgkmcnt(0)
	v_cmp_ne_u16_sdwa s[6:7], v48, v5 src0_sel:BYTE_0 src1_sel:DWORD
	s_and_saveexec_b64 s[58:59], s[6:7]
	s_cbranch_execz .LBB260_239
; %bb.234:                              ;   in Loop: Header=BB260_12 Depth=1
	v_cmp_ne_u16_sdwa s[6:7], v48, s72 src0_sel:BYTE_0 src1_sel:DWORD
	v_mov_b32_e32 v0, 0x8000
	scratch_store_dword off, v0, s32 offset:292 ; 4-byte Folded Spill
	s_and_saveexec_b64 s[60:61], s[6:7]
	s_cbranch_execz .LBB260_238
; %bb.235:                              ;   in Loop: Header=BB260_12 Depth=1
	v_and_b32_e32 v0, 0x7f, v48
	v_cmp_ne_u32_e64 s[6:7], s73, v0
	v_mov_b32_e32 v1, 0x7c01
	scratch_store_dword off, v1, s32 offset:292 ; 4-byte Folded Spill
	s_and_saveexec_b64 s[62:63], s[6:7]
	s_cbranch_execz .LBB260_237
; %bb.236:                              ;   in Loop: Header=BB260_12 Depth=1
	v_and_b32_e32 v1, 7, v48
	v_ffbh_u32_e32 v2, v1
	v_min_u32_e32 v7, 32, v2
	v_subrev_u32_e32 v2, 28, v7
	v_lshlrev_b64 v[2:3], v2, v[48:49]
	v_lshrrev_b32_e32 v4, 3, v0
	v_sub_u32_e32 v3, 29, v7
	v_cmp_gt_u32_e64 s[6:7], 8, v0
	v_and_b32_e32 v2, 7, v2
	s_nop 0
	v_cndmask_b32_e64 v0, v4, v3, s[6:7]
	v_mov_b32_e32 v4, 0x2000
	v_lshl_add_u32 v0, v0, 10, v4
	v_lshlrev_b32_e32 v3, 8, v48
	v_and_b32_e32 v0, 0xfc00, v0
	v_cndmask_b32_e64 v1, v1, v2, s[6:7]
	v_and_or_b32 v0, v3, s74, v0
	v_lshl_or_b32 v0, v1, 7, v0
	scratch_store_dword off, v0, s32 offset:292 ; 4-byte Folded Spill
.LBB260_237:                            ;   in Loop: Header=BB260_12 Depth=1
	s_or_b64 exec, exec, s[62:63]
.LBB260_238:                            ;   in Loop: Header=BB260_12 Depth=1
	s_or_b64 exec, exec, s[60:61]
.LBB260_239:                            ;   in Loop: Header=BB260_12 Depth=1
	s_or_b64 exec, exec, s[58:59]
	v_lshrrev_b16_e32 v4, 8, v48
	v_cmp_ne_u16_e64 s[6:7], 0, v4
	s_and_saveexec_b64 s[58:59], s[6:7]
	s_cbranch_execz .LBB260_245
; %bb.240:                              ;   in Loop: Header=BB260_12 Depth=1
	v_cmp_ne_u16_e64 s[6:7], s72, v4
	v_bfrev_b32_e32 v63, 1
	s_and_saveexec_b64 s[60:61], s[6:7]
	s_cbranch_execz .LBB260_244
; %bb.241:                              ;   in Loop: Header=BB260_12 Depth=1
	v_and_b32_e32 v0, 0x7f, v4
	v_cmp_ne_u32_e64 s[6:7], s73, v0
	v_mov_b32_e32 v63, 0x7c010000
	s_and_saveexec_b64 s[62:63], s[6:7]
	s_cbranch_execz .LBB260_243
; %bb.242:                              ;   in Loop: Header=BB260_12 Depth=1
	v_and_b32_e32 v1, 7, v4
	v_ffbh_u32_e32 v2, v1
	v_min_u32_e32 v8, 32, v2
	v_subrev_u32_e32 v2, 28, v8
	v_lshlrev_b64 v[2:3], v2, v[4:5]
	v_lshrrev_b32_e32 v7, 3, v0
	v_sub_u32_e32 v3, 29, v8
	v_cmp_gt_u32_e64 s[6:7], 8, v0
	v_and_b32_e32 v2, 7, v2
	s_nop 0
	v_cndmask_b32_e64 v0, v7, v3, s[6:7]
	v_lshlrev_b32_e32 v3, 8, v4
	v_mov_b32_e32 v4, 0x2000
	v_lshl_add_u32 v0, v0, 10, v4
	v_and_or_b32 v0, v3, s74, v0
	v_cndmask_b32_e64 v1, v1, v2, s[6:7]
	v_lshlrev_b32_e32 v0, 16, v0
	v_lshl_or_b32 v63, v1, 23, v0
.LBB260_243:                            ;   in Loop: Header=BB260_12 Depth=1
	s_or_b64 exec, exec, s[62:63]
.LBB260_244:                            ;   in Loop: Header=BB260_12 Depth=1
	s_or_b64 exec, exec, s[60:61]
.LBB260_245:                            ;   in Loop: Header=BB260_12 Depth=1
	s_or_b64 exec, exec, s[58:59]
	v_lshrrev_b32_e32 v4, 16, v48
	v_cmp_ne_u16_sdwa s[6:7], v4, v5 src0_sel:BYTE_0 src1_sel:DWORD
	v_mov_b32_e32 v73, 0
	v_mov_b32_e32 v0, 0
	scratch_store_dword off, v0, s32 offset:296 ; 4-byte Folded Spill
	s_and_saveexec_b64 s[58:59], s[6:7]
	s_cbranch_execz .LBB260_251
; %bb.246:                              ;   in Loop: Header=BB260_12 Depth=1
	v_cmp_ne_u16_sdwa s[6:7], v4, s72 src0_sel:BYTE_0 src1_sel:DWORD
	v_mov_b32_e32 v0, 0x8000
	scratch_store_dword off, v0, s32 offset:296 ; 4-byte Folded Spill
	s_and_saveexec_b64 s[60:61], s[6:7]
	s_cbranch_execz .LBB260_250
; %bb.247:                              ;   in Loop: Header=BB260_12 Depth=1
	v_bfe_u32 v0, v48, 16, 7
	v_cmp_ne_u32_e64 s[6:7], s73, v0
	v_mov_b32_e32 v1, 0x7c01
	scratch_store_dword off, v1, s32 offset:296 ; 4-byte Folded Spill
	s_and_saveexec_b64 s[62:63], s[6:7]
	s_cbranch_execz .LBB260_249
; %bb.248:                              ;   in Loop: Header=BB260_12 Depth=1
	v_and_b32_e32 v1, 7, v4
	v_ffbh_u32_e32 v2, v1
	v_min_u32_e32 v8, 32, v2
	v_subrev_u32_e32 v2, 28, v8
	v_lshlrev_b64 v[2:3], v2, v[4:5]
	v_lshrrev_b32_e32 v7, 3, v0
	v_sub_u32_e32 v3, 29, v8
	v_cmp_gt_u32_e64 s[6:7], 8, v0
	v_and_b32_e32 v2, 7, v2
	s_nop 0
	v_cndmask_b32_e64 v0, v7, v3, s[6:7]
	v_lshlrev_b32_e32 v3, 8, v4
	v_mov_b32_e32 v4, 0x2000
	v_lshl_add_u32 v0, v0, 10, v4
	v_and_b32_e32 v0, 0xfc00, v0
	v_cndmask_b32_e64 v1, v1, v2, s[6:7]
	v_and_or_b32 v0, v3, s74, v0
	v_lshl_or_b32 v0, v1, 7, v0
	scratch_store_dword off, v0, s32 offset:296 ; 4-byte Folded Spill
.LBB260_249:                            ;   in Loop: Header=BB260_12 Depth=1
	s_or_b64 exec, exec, s[62:63]
.LBB260_250:                            ;   in Loop: Header=BB260_12 Depth=1
	s_or_b64 exec, exec, s[60:61]
.LBB260_251:                            ;   in Loop: Header=BB260_12 Depth=1
	s_or_b64 exec, exec, s[58:59]
	v_cmp_lt_u32_e64 s[6:7], s75, v48
	s_and_saveexec_b64 s[58:59], s[6:7]
	s_cbranch_execz .LBB260_257
; %bb.252:                              ;   in Loop: Header=BB260_12 Depth=1
	v_lshrrev_b32_e32 v4, 24, v48
	v_cmp_ne_u32_e64 s[6:7], s72, v4
	v_bfrev_b32_e32 v73, 1
	s_and_saveexec_b64 s[60:61], s[6:7]
	s_cbranch_execz .LBB260_256
; %bb.253:                              ;   in Loop: Header=BB260_12 Depth=1
	v_and_b32_e32 v0, 0x7f, v4
	v_cmp_ne_u32_e64 s[6:7], s73, v0
	v_mov_b32_e32 v73, 0x7c010000
	s_and_saveexec_b64 s[62:63], s[6:7]
	s_cbranch_execz .LBB260_255
; %bb.254:                              ;   in Loop: Header=BB260_12 Depth=1
	v_and_b32_e32 v1, 7, v4
	v_ffbh_u32_e32 v2, v1
	v_min_u32_e32 v8, 32, v2
	v_subrev_u32_e32 v2, 28, v8
	v_lshlrev_b64 v[2:3], v2, v[4:5]
	v_lshrrev_b32_e32 v7, 3, v0
	v_sub_u32_e32 v3, 29, v8
	v_cmp_gt_u32_e64 s[6:7], 8, v0
	v_and_b32_e32 v2, 7, v2
	s_nop 0
	v_cndmask_b32_e64 v0, v7, v3, s[6:7]
	v_lshlrev_b32_e32 v3, 8, v4
	v_mov_b32_e32 v4, 0x2000
	v_lshl_add_u32 v0, v0, 10, v4
	v_and_or_b32 v0, v3, s74, v0
	v_cndmask_b32_e64 v1, v1, v2, s[6:7]
	v_lshlrev_b32_e32 v0, 16, v0
	v_lshl_or_b32 v73, v1, 23, v0
.LBB260_255:                            ;   in Loop: Header=BB260_12 Depth=1
	s_or_b64 exec, exec, s[62:63]
.LBB260_256:                            ;   in Loop: Header=BB260_12 Depth=1
	s_or_b64 exec, exec, s[60:61]
.LBB260_257:                            ;   in Loop: Header=BB260_12 Depth=1
	s_or_b64 exec, exec, s[58:59]
	flat_load_dword v48, v[38:39] offset:2560
	v_mov_b32_e32 v75, 0
	v_mov_b32_e32 v0, 0
	scratch_store_dword off, v0, s32 offset:300 ; 4-byte Folded Spill
	s_waitcnt vmcnt(0) lgkmcnt(0)
	v_cmp_ne_u16_sdwa s[6:7], v48, v5 src0_sel:BYTE_0 src1_sel:DWORD
	s_and_saveexec_b64 s[58:59], s[6:7]
	s_cbranch_execz .LBB260_263
; %bb.258:                              ;   in Loop: Header=BB260_12 Depth=1
	v_cmp_ne_u16_sdwa s[6:7], v48, s72 src0_sel:BYTE_0 src1_sel:DWORD
	v_mov_b32_e32 v0, 0x8000
	scratch_store_dword off, v0, s32 offset:300 ; 4-byte Folded Spill
	s_and_saveexec_b64 s[60:61], s[6:7]
	s_cbranch_execz .LBB260_262
; %bb.259:                              ;   in Loop: Header=BB260_12 Depth=1
	v_and_b32_e32 v0, 0x7f, v48
	v_cmp_ne_u32_e64 s[6:7], s73, v0
	v_mov_b32_e32 v1, 0x7c01
	scratch_store_dword off, v1, s32 offset:300 ; 4-byte Folded Spill
	s_and_saveexec_b64 s[62:63], s[6:7]
	s_cbranch_execz .LBB260_261
; %bb.260:                              ;   in Loop: Header=BB260_12 Depth=1
	v_and_b32_e32 v1, 7, v48
	v_ffbh_u32_e32 v2, v1
	v_min_u32_e32 v7, 32, v2
	v_subrev_u32_e32 v2, 28, v7
	v_lshlrev_b64 v[2:3], v2, v[48:49]
	v_lshrrev_b32_e32 v4, 3, v0
	v_sub_u32_e32 v3, 29, v7
	v_cmp_gt_u32_e64 s[6:7], 8, v0
	v_and_b32_e32 v2, 7, v2
	s_nop 0
	v_cndmask_b32_e64 v0, v4, v3, s[6:7]
	v_mov_b32_e32 v4, 0x2000
	v_lshl_add_u32 v0, v0, 10, v4
	v_lshlrev_b32_e32 v3, 8, v48
	v_and_b32_e32 v0, 0xfc00, v0
	v_cndmask_b32_e64 v1, v1, v2, s[6:7]
	v_and_or_b32 v0, v3, s74, v0
	v_lshl_or_b32 v0, v1, 7, v0
	scratch_store_dword off, v0, s32 offset:300 ; 4-byte Folded Spill
.LBB260_261:                            ;   in Loop: Header=BB260_12 Depth=1
	s_or_b64 exec, exec, s[62:63]
.LBB260_262:                            ;   in Loop: Header=BB260_12 Depth=1
	s_or_b64 exec, exec, s[60:61]
.LBB260_263:                            ;   in Loop: Header=BB260_12 Depth=1
	s_or_b64 exec, exec, s[58:59]
	v_lshrrev_b16_e32 v4, 8, v48
	v_cmp_ne_u16_e64 s[6:7], 0, v4
	s_and_saveexec_b64 s[58:59], s[6:7]
	s_cbranch_execz .LBB260_269
; %bb.264:                              ;   in Loop: Header=BB260_12 Depth=1
	v_cmp_ne_u16_e64 s[6:7], s72, v4
	v_bfrev_b32_e32 v75, 1
	s_and_saveexec_b64 s[60:61], s[6:7]
	s_cbranch_execz .LBB260_268
; %bb.265:                              ;   in Loop: Header=BB260_12 Depth=1
	v_and_b32_e32 v0, 0x7f, v4
	v_cmp_ne_u32_e64 s[6:7], s73, v0
	v_mov_b32_e32 v75, 0x7c010000
	s_and_saveexec_b64 s[62:63], s[6:7]
	s_cbranch_execz .LBB260_267
; %bb.266:                              ;   in Loop: Header=BB260_12 Depth=1
	v_and_b32_e32 v1, 7, v4
	v_ffbh_u32_e32 v2, v1
	v_min_u32_e32 v8, 32, v2
	v_subrev_u32_e32 v2, 28, v8
	v_lshlrev_b64 v[2:3], v2, v[4:5]
	v_lshrrev_b32_e32 v7, 3, v0
	v_sub_u32_e32 v3, 29, v8
	v_cmp_gt_u32_e64 s[6:7], 8, v0
	v_and_b32_e32 v2, 7, v2
	s_nop 0
	v_cndmask_b32_e64 v0, v7, v3, s[6:7]
	v_lshlrev_b32_e32 v3, 8, v4
	v_mov_b32_e32 v4, 0x2000
	v_lshl_add_u32 v0, v0, 10, v4
	v_and_or_b32 v0, v3, s74, v0
	v_cndmask_b32_e64 v1, v1, v2, s[6:7]
	v_lshlrev_b32_e32 v0, 16, v0
	v_lshl_or_b32 v75, v1, 23, v0
.LBB260_267:                            ;   in Loop: Header=BB260_12 Depth=1
	s_or_b64 exec, exec, s[62:63]
.LBB260_268:                            ;   in Loop: Header=BB260_12 Depth=1
	s_or_b64 exec, exec, s[60:61]
.LBB260_269:                            ;   in Loop: Header=BB260_12 Depth=1
	s_or_b64 exec, exec, s[58:59]
	v_lshrrev_b32_e32 v4, 16, v48
	v_cmp_ne_u16_sdwa s[6:7], v4, v5 src0_sel:BYTE_0 src1_sel:DWORD
	v_mov_b32_e32 v99, 0
	v_mov_b32_e32 v0, 0
	scratch_store_dword off, v0, s32 offset:304 ; 4-byte Folded Spill
	s_and_saveexec_b64 s[58:59], s[6:7]
	s_cbranch_execz .LBB260_275
; %bb.270:                              ;   in Loop: Header=BB260_12 Depth=1
	v_cmp_ne_u16_sdwa s[6:7], v4, s72 src0_sel:BYTE_0 src1_sel:DWORD
	v_mov_b32_e32 v0, 0x8000
	scratch_store_dword off, v0, s32 offset:304 ; 4-byte Folded Spill
	s_and_saveexec_b64 s[60:61], s[6:7]
	s_cbranch_execz .LBB260_274
; %bb.271:                              ;   in Loop: Header=BB260_12 Depth=1
	v_bfe_u32 v0, v48, 16, 7
	v_cmp_ne_u32_e64 s[6:7], s73, v0
	v_mov_b32_e32 v1, 0x7c01
	scratch_store_dword off, v1, s32 offset:304 ; 4-byte Folded Spill
	s_and_saveexec_b64 s[62:63], s[6:7]
	s_cbranch_execz .LBB260_273
; %bb.272:                              ;   in Loop: Header=BB260_12 Depth=1
	v_and_b32_e32 v1, 7, v4
	v_ffbh_u32_e32 v2, v1
	v_min_u32_e32 v8, 32, v2
	v_subrev_u32_e32 v2, 28, v8
	v_lshlrev_b64 v[2:3], v2, v[4:5]
	v_lshrrev_b32_e32 v7, 3, v0
	v_sub_u32_e32 v3, 29, v8
	v_cmp_gt_u32_e64 s[6:7], 8, v0
	v_and_b32_e32 v2, 7, v2
	s_nop 0
	v_cndmask_b32_e64 v0, v7, v3, s[6:7]
	v_lshlrev_b32_e32 v3, 8, v4
	v_mov_b32_e32 v4, 0x2000
	v_lshl_add_u32 v0, v0, 10, v4
	v_and_b32_e32 v0, 0xfc00, v0
	v_cndmask_b32_e64 v1, v1, v2, s[6:7]
	v_and_or_b32 v0, v3, s74, v0
	v_lshl_or_b32 v0, v1, 7, v0
	scratch_store_dword off, v0, s32 offset:304 ; 4-byte Folded Spill
.LBB260_273:                            ;   in Loop: Header=BB260_12 Depth=1
	s_or_b64 exec, exec, s[62:63]
.LBB260_274:                            ;   in Loop: Header=BB260_12 Depth=1
	s_or_b64 exec, exec, s[60:61]
.LBB260_275:                            ;   in Loop: Header=BB260_12 Depth=1
	s_or_b64 exec, exec, s[58:59]
	v_cmp_lt_u32_e64 s[6:7], s75, v48
	s_and_saveexec_b64 s[58:59], s[6:7]
	s_cbranch_execz .LBB260_281
; %bb.276:                              ;   in Loop: Header=BB260_12 Depth=1
	v_lshrrev_b32_e32 v4, 24, v48
	v_cmp_ne_u32_e64 s[6:7], s72, v4
	v_bfrev_b32_e32 v99, 1
	s_and_saveexec_b64 s[60:61], s[6:7]
	s_cbranch_execz .LBB260_280
; %bb.277:                              ;   in Loop: Header=BB260_12 Depth=1
	v_and_b32_e32 v0, 0x7f, v4
	v_cmp_ne_u32_e64 s[6:7], s73, v0
	v_mov_b32_e32 v99, 0x7c010000
	s_and_saveexec_b64 s[62:63], s[6:7]
	s_cbranch_execz .LBB260_279
; %bb.278:                              ;   in Loop: Header=BB260_12 Depth=1
	v_and_b32_e32 v1, 7, v4
	v_ffbh_u32_e32 v2, v1
	v_min_u32_e32 v8, 32, v2
	v_subrev_u32_e32 v2, 28, v8
	v_lshlrev_b64 v[2:3], v2, v[4:5]
	v_lshrrev_b32_e32 v7, 3, v0
	v_sub_u32_e32 v3, 29, v8
	v_cmp_gt_u32_e64 s[6:7], 8, v0
	v_and_b32_e32 v2, 7, v2
	s_nop 0
	v_cndmask_b32_e64 v0, v7, v3, s[6:7]
	v_lshlrev_b32_e32 v3, 8, v4
	v_mov_b32_e32 v4, 0x2000
	v_lshl_add_u32 v0, v0, 10, v4
	v_and_or_b32 v0, v3, s74, v0
	v_cndmask_b32_e64 v1, v1, v2, s[6:7]
	v_lshlrev_b32_e32 v0, 16, v0
	v_lshl_or_b32 v99, v1, 23, v0
.LBB260_279:                            ;   in Loop: Header=BB260_12 Depth=1
	s_or_b64 exec, exec, s[62:63]
.LBB260_280:                            ;   in Loop: Header=BB260_12 Depth=1
	s_or_b64 exec, exec, s[60:61]
.LBB260_281:                            ;   in Loop: Header=BB260_12 Depth=1
	s_or_b64 exec, exec, s[58:59]
	flat_load_dword v48, v[38:39] offset:2568
	v_mov_b32_e32 v90, 0
	v_mov_b32_e32 v0, 0
	scratch_store_dword off, v0, s32 offset:308 ; 4-byte Folded Spill
	s_waitcnt vmcnt(0) lgkmcnt(0)
	v_cmp_ne_u16_sdwa s[6:7], v48, v5 src0_sel:BYTE_0 src1_sel:DWORD
	s_and_saveexec_b64 s[58:59], s[6:7]
	s_cbranch_execz .LBB260_287
; %bb.282:                              ;   in Loop: Header=BB260_12 Depth=1
	v_cmp_ne_u16_sdwa s[6:7], v48, s72 src0_sel:BYTE_0 src1_sel:DWORD
	v_mov_b32_e32 v0, 0x8000
	scratch_store_dword off, v0, s32 offset:308 ; 4-byte Folded Spill
	s_and_saveexec_b64 s[60:61], s[6:7]
	s_cbranch_execz .LBB260_286
; %bb.283:                              ;   in Loop: Header=BB260_12 Depth=1
	v_and_b32_e32 v0, 0x7f, v48
	v_cmp_ne_u32_e64 s[6:7], s73, v0
	v_mov_b32_e32 v1, 0x7c01
	scratch_store_dword off, v1, s32 offset:308 ; 4-byte Folded Spill
	s_and_saveexec_b64 s[62:63], s[6:7]
	s_cbranch_execz .LBB260_285
; %bb.284:                              ;   in Loop: Header=BB260_12 Depth=1
	v_and_b32_e32 v1, 7, v48
	v_ffbh_u32_e32 v2, v1
	v_min_u32_e32 v7, 32, v2
	v_subrev_u32_e32 v2, 28, v7
	v_lshlrev_b64 v[2:3], v2, v[48:49]
	v_lshrrev_b32_e32 v4, 3, v0
	v_sub_u32_e32 v3, 29, v7
	v_cmp_gt_u32_e64 s[6:7], 8, v0
	v_and_b32_e32 v2, 7, v2
	s_nop 0
	v_cndmask_b32_e64 v0, v4, v3, s[6:7]
	v_mov_b32_e32 v4, 0x2000
	v_lshl_add_u32 v0, v0, 10, v4
	v_lshlrev_b32_e32 v3, 8, v48
	v_and_b32_e32 v0, 0xfc00, v0
	v_cndmask_b32_e64 v1, v1, v2, s[6:7]
	v_and_or_b32 v0, v3, s74, v0
	v_lshl_or_b32 v0, v1, 7, v0
	scratch_store_dword off, v0, s32 offset:308 ; 4-byte Folded Spill
.LBB260_285:                            ;   in Loop: Header=BB260_12 Depth=1
	s_or_b64 exec, exec, s[62:63]
.LBB260_286:                            ;   in Loop: Header=BB260_12 Depth=1
	s_or_b64 exec, exec, s[60:61]
.LBB260_287:                            ;   in Loop: Header=BB260_12 Depth=1
	s_or_b64 exec, exec, s[58:59]
	v_lshrrev_b16_e32 v4, 8, v48
	v_cmp_ne_u16_e64 s[6:7], 0, v4
	s_and_saveexec_b64 s[58:59], s[6:7]
	s_cbranch_execz .LBB260_293
; %bb.288:                              ;   in Loop: Header=BB260_12 Depth=1
	v_cmp_ne_u16_e64 s[6:7], s72, v4
	v_bfrev_b32_e32 v90, 1
	s_and_saveexec_b64 s[60:61], s[6:7]
	s_cbranch_execz .LBB260_292
; %bb.289:                              ;   in Loop: Header=BB260_12 Depth=1
	v_and_b32_e32 v0, 0x7f, v4
	v_cmp_ne_u32_e64 s[6:7], s73, v0
	v_mov_b32_e32 v90, 0x7c010000
	s_and_saveexec_b64 s[62:63], s[6:7]
	s_cbranch_execz .LBB260_291
; %bb.290:                              ;   in Loop: Header=BB260_12 Depth=1
	v_and_b32_e32 v1, 7, v4
	v_ffbh_u32_e32 v2, v1
	v_min_u32_e32 v8, 32, v2
	v_subrev_u32_e32 v2, 28, v8
	v_lshlrev_b64 v[2:3], v2, v[4:5]
	v_lshrrev_b32_e32 v7, 3, v0
	v_sub_u32_e32 v3, 29, v8
	v_cmp_gt_u32_e64 s[6:7], 8, v0
	v_and_b32_e32 v2, 7, v2
	s_nop 0
	v_cndmask_b32_e64 v0, v7, v3, s[6:7]
	v_lshlrev_b32_e32 v3, 8, v4
	v_mov_b32_e32 v4, 0x2000
	v_lshl_add_u32 v0, v0, 10, v4
	v_and_or_b32 v0, v3, s74, v0
	v_cndmask_b32_e64 v1, v1, v2, s[6:7]
	v_lshlrev_b32_e32 v0, 16, v0
	v_lshl_or_b32 v90, v1, 23, v0
.LBB260_291:                            ;   in Loop: Header=BB260_12 Depth=1
	s_or_b64 exec, exec, s[62:63]
.LBB260_292:                            ;   in Loop: Header=BB260_12 Depth=1
	s_or_b64 exec, exec, s[60:61]
.LBB260_293:                            ;   in Loop: Header=BB260_12 Depth=1
	s_or_b64 exec, exec, s[58:59]
	v_lshrrev_b32_e32 v4, 16, v48
	v_cmp_ne_u16_sdwa s[6:7], v4, v5 src0_sel:BYTE_0 src1_sel:DWORD
	v_mov_b32_e32 v101, 0
	v_mov_b32_e32 v0, 0
	scratch_store_dword off, v0, s32 offset:312 ; 4-byte Folded Spill
	s_and_saveexec_b64 s[58:59], s[6:7]
	s_cbranch_execz .LBB260_299
; %bb.294:                              ;   in Loop: Header=BB260_12 Depth=1
	v_cmp_ne_u16_sdwa s[6:7], v4, s72 src0_sel:BYTE_0 src1_sel:DWORD
	v_mov_b32_e32 v0, 0x8000
	scratch_store_dword off, v0, s32 offset:312 ; 4-byte Folded Spill
	s_and_saveexec_b64 s[60:61], s[6:7]
	s_cbranch_execz .LBB260_298
; %bb.295:                              ;   in Loop: Header=BB260_12 Depth=1
	v_bfe_u32 v0, v48, 16, 7
	v_cmp_ne_u32_e64 s[6:7], s73, v0
	v_mov_b32_e32 v1, 0x7c01
	scratch_store_dword off, v1, s32 offset:312 ; 4-byte Folded Spill
	s_and_saveexec_b64 s[62:63], s[6:7]
	s_cbranch_execz .LBB260_297
; %bb.296:                              ;   in Loop: Header=BB260_12 Depth=1
	v_and_b32_e32 v1, 7, v4
	v_ffbh_u32_e32 v2, v1
	v_min_u32_e32 v8, 32, v2
	v_subrev_u32_e32 v2, 28, v8
	v_lshlrev_b64 v[2:3], v2, v[4:5]
	v_lshrrev_b32_e32 v7, 3, v0
	v_sub_u32_e32 v3, 29, v8
	v_cmp_gt_u32_e64 s[6:7], 8, v0
	v_and_b32_e32 v2, 7, v2
	s_nop 0
	v_cndmask_b32_e64 v0, v7, v3, s[6:7]
	v_lshlrev_b32_e32 v3, 8, v4
	v_mov_b32_e32 v4, 0x2000
	v_lshl_add_u32 v0, v0, 10, v4
	v_and_b32_e32 v0, 0xfc00, v0
	v_cndmask_b32_e64 v1, v1, v2, s[6:7]
	v_and_or_b32 v0, v3, s74, v0
	v_lshl_or_b32 v0, v1, 7, v0
	scratch_store_dword off, v0, s32 offset:312 ; 4-byte Folded Spill
.LBB260_297:                            ;   in Loop: Header=BB260_12 Depth=1
	s_or_b64 exec, exec, s[62:63]
.LBB260_298:                            ;   in Loop: Header=BB260_12 Depth=1
	s_or_b64 exec, exec, s[60:61]
.LBB260_299:                            ;   in Loop: Header=BB260_12 Depth=1
	s_or_b64 exec, exec, s[58:59]
	v_cmp_lt_u32_e64 s[6:7], s75, v48
	s_and_saveexec_b64 s[58:59], s[6:7]
	s_cbranch_execz .LBB260_305
; %bb.300:                              ;   in Loop: Header=BB260_12 Depth=1
	v_lshrrev_b32_e32 v4, 24, v48
	v_cmp_ne_u32_e64 s[6:7], s72, v4
	v_bfrev_b32_e32 v101, 1
	s_and_saveexec_b64 s[60:61], s[6:7]
	s_cbranch_execz .LBB260_304
; %bb.301:                              ;   in Loop: Header=BB260_12 Depth=1
	v_and_b32_e32 v0, 0x7f, v4
	v_cmp_ne_u32_e64 s[6:7], s73, v0
	v_mov_b32_e32 v101, 0x7c010000
	s_and_saveexec_b64 s[62:63], s[6:7]
	s_cbranch_execz .LBB260_303
; %bb.302:                              ;   in Loop: Header=BB260_12 Depth=1
	v_and_b32_e32 v1, 7, v4
	v_ffbh_u32_e32 v2, v1
	v_min_u32_e32 v8, 32, v2
	v_subrev_u32_e32 v2, 28, v8
	v_lshlrev_b64 v[2:3], v2, v[4:5]
	v_lshrrev_b32_e32 v7, 3, v0
	v_sub_u32_e32 v3, 29, v8
	v_cmp_gt_u32_e64 s[6:7], 8, v0
	v_and_b32_e32 v2, 7, v2
	s_nop 0
	v_cndmask_b32_e64 v0, v7, v3, s[6:7]
	v_lshlrev_b32_e32 v3, 8, v4
	v_mov_b32_e32 v4, 0x2000
	v_lshl_add_u32 v0, v0, 10, v4
	v_and_or_b32 v0, v3, s74, v0
	v_cndmask_b32_e64 v1, v1, v2, s[6:7]
	v_lshlrev_b32_e32 v0, 16, v0
	v_lshl_or_b32 v101, v1, 23, v0
.LBB260_303:                            ;   in Loop: Header=BB260_12 Depth=1
	s_or_b64 exec, exec, s[62:63]
.LBB260_304:                            ;   in Loop: Header=BB260_12 Depth=1
	s_or_b64 exec, exec, s[60:61]
.LBB260_305:                            ;   in Loop: Header=BB260_12 Depth=1
	s_or_b64 exec, exec, s[58:59]
	flat_load_dword v48, v[38:39] offset:3072
	v_mov_b32_e32 v91, 0
	v_mov_b32_e32 v92, 0
	s_waitcnt vmcnt(0) lgkmcnt(0)
	v_cmp_ne_u16_sdwa s[6:7], v48, v5 src0_sel:BYTE_0 src1_sel:DWORD
	s_and_saveexec_b64 s[58:59], s[6:7]
	s_cbranch_execz .LBB260_311
; %bb.306:                              ;   in Loop: Header=BB260_12 Depth=1
	v_cmp_ne_u16_sdwa s[6:7], v48, s72 src0_sel:BYTE_0 src1_sel:DWORD
	v_mov_b32_e32 v92, 0x8000
	s_and_saveexec_b64 s[60:61], s[6:7]
	s_cbranch_execz .LBB260_310
; %bb.307:                              ;   in Loop: Header=BB260_12 Depth=1
	v_and_b32_e32 v0, 0x7f, v48
	v_cmp_ne_u32_e64 s[6:7], s73, v0
	v_mov_b32_e32 v92, 0x7c01
	s_and_saveexec_b64 s[62:63], s[6:7]
	s_cbranch_execz .LBB260_309
; %bb.308:                              ;   in Loop: Header=BB260_12 Depth=1
	v_and_b32_e32 v1, 7, v48
	v_ffbh_u32_e32 v2, v1
	v_min_u32_e32 v7, 32, v2
	v_subrev_u32_e32 v2, 28, v7
	v_lshlrev_b64 v[2:3], v2, v[48:49]
	v_lshrrev_b32_e32 v4, 3, v0
	v_sub_u32_e32 v3, 29, v7
	v_cmp_gt_u32_e64 s[6:7], 8, v0
	v_and_b32_e32 v2, 7, v2
	s_nop 0
	v_cndmask_b32_e64 v0, v4, v3, s[6:7]
	v_mov_b32_e32 v4, 0x2000
	v_lshl_add_u32 v0, v0, 10, v4
	v_lshlrev_b32_e32 v3, 8, v48
	v_and_b32_e32 v0, 0xfc00, v0
	v_cndmask_b32_e64 v1, v1, v2, s[6:7]
	v_and_or_b32 v0, v3, s74, v0
	v_lshl_or_b32 v92, v1, 7, v0
.LBB260_309:                            ;   in Loop: Header=BB260_12 Depth=1
	s_or_b64 exec, exec, s[62:63]
.LBB260_310:                            ;   in Loop: Header=BB260_12 Depth=1
	s_or_b64 exec, exec, s[60:61]
.LBB260_311:                            ;   in Loop: Header=BB260_12 Depth=1
	s_or_b64 exec, exec, s[58:59]
	v_lshrrev_b16_e32 v4, 8, v48
	v_cmp_ne_u16_e64 s[6:7], 0, v4
	s_and_saveexec_b64 s[58:59], s[6:7]
	s_cbranch_execz .LBB260_317
; %bb.312:                              ;   in Loop: Header=BB260_12 Depth=1
	v_cmp_ne_u16_e64 s[6:7], s72, v4
	v_bfrev_b32_e32 v91, 1
	s_and_saveexec_b64 s[60:61], s[6:7]
	s_cbranch_execz .LBB260_316
; %bb.313:                              ;   in Loop: Header=BB260_12 Depth=1
	v_and_b32_e32 v0, 0x7f, v4
	v_cmp_ne_u32_e64 s[6:7], s73, v0
	v_mov_b32_e32 v91, 0x7c010000
	s_and_saveexec_b64 s[62:63], s[6:7]
	s_cbranch_execz .LBB260_315
; %bb.314:                              ;   in Loop: Header=BB260_12 Depth=1
	v_and_b32_e32 v1, 7, v4
	v_ffbh_u32_e32 v2, v1
	v_min_u32_e32 v8, 32, v2
	v_subrev_u32_e32 v2, 28, v8
	v_lshlrev_b64 v[2:3], v2, v[4:5]
	v_lshrrev_b32_e32 v7, 3, v0
	v_sub_u32_e32 v3, 29, v8
	v_cmp_gt_u32_e64 s[6:7], 8, v0
	v_and_b32_e32 v2, 7, v2
	s_nop 0
	v_cndmask_b32_e64 v0, v7, v3, s[6:7]
	v_lshlrev_b32_e32 v3, 8, v4
	v_mov_b32_e32 v4, 0x2000
	v_lshl_add_u32 v0, v0, 10, v4
	v_and_or_b32 v0, v3, s74, v0
	v_cndmask_b32_e64 v1, v1, v2, s[6:7]
	v_lshlrev_b32_e32 v0, 16, v0
	v_lshl_or_b32 v91, v1, 23, v0
.LBB260_315:                            ;   in Loop: Header=BB260_12 Depth=1
	s_or_b64 exec, exec, s[62:63]
.LBB260_316:                            ;   in Loop: Header=BB260_12 Depth=1
	s_or_b64 exec, exec, s[60:61]
.LBB260_317:                            ;   in Loop: Header=BB260_12 Depth=1
	s_or_b64 exec, exec, s[58:59]
	v_lshrrev_b32_e32 v4, 16, v48
	v_cmp_ne_u16_sdwa s[6:7], v4, v5 src0_sel:BYTE_0 src1_sel:DWORD
	v_mov_b32_e32 v93, 0
	v_mov_b32_e32 v94, 0
	s_and_saveexec_b64 s[58:59], s[6:7]
	s_cbranch_execz .LBB260_323
; %bb.318:                              ;   in Loop: Header=BB260_12 Depth=1
	v_cmp_ne_u16_sdwa s[6:7], v4, s72 src0_sel:BYTE_0 src1_sel:DWORD
	v_mov_b32_e32 v94, 0x8000
	s_and_saveexec_b64 s[60:61], s[6:7]
	s_cbranch_execz .LBB260_322
; %bb.319:                              ;   in Loop: Header=BB260_12 Depth=1
	v_bfe_u32 v0, v48, 16, 7
	v_cmp_ne_u32_e64 s[6:7], s73, v0
	v_mov_b32_e32 v94, 0x7c01
	s_and_saveexec_b64 s[62:63], s[6:7]
	s_cbranch_execz .LBB260_321
; %bb.320:                              ;   in Loop: Header=BB260_12 Depth=1
	v_and_b32_e32 v1, 7, v4
	v_ffbh_u32_e32 v2, v1
	v_min_u32_e32 v8, 32, v2
	v_subrev_u32_e32 v2, 28, v8
	v_lshlrev_b64 v[2:3], v2, v[4:5]
	v_lshrrev_b32_e32 v7, 3, v0
	v_sub_u32_e32 v3, 29, v8
	v_cmp_gt_u32_e64 s[6:7], 8, v0
	v_and_b32_e32 v2, 7, v2
	s_nop 0
	v_cndmask_b32_e64 v0, v7, v3, s[6:7]
	v_lshlrev_b32_e32 v3, 8, v4
	v_mov_b32_e32 v4, 0x2000
	v_lshl_add_u32 v0, v0, 10, v4
	v_and_b32_e32 v0, 0xfc00, v0
	v_cndmask_b32_e64 v1, v1, v2, s[6:7]
	v_and_or_b32 v0, v3, s74, v0
	v_lshl_or_b32 v94, v1, 7, v0
.LBB260_321:                            ;   in Loop: Header=BB260_12 Depth=1
	s_or_b64 exec, exec, s[62:63]
.LBB260_322:                            ;   in Loop: Header=BB260_12 Depth=1
	s_or_b64 exec, exec, s[60:61]
.LBB260_323:                            ;   in Loop: Header=BB260_12 Depth=1
	s_or_b64 exec, exec, s[58:59]
	v_cmp_lt_u32_e64 s[6:7], s75, v48
	s_and_saveexec_b64 s[58:59], s[6:7]
	s_cbranch_execz .LBB260_329
; %bb.324:                              ;   in Loop: Header=BB260_12 Depth=1
	v_lshrrev_b32_e32 v4, 24, v48
	v_cmp_ne_u32_e64 s[6:7], s72, v4
	v_bfrev_b32_e32 v93, 1
	s_and_saveexec_b64 s[60:61], s[6:7]
	s_cbranch_execz .LBB260_328
; %bb.325:                              ;   in Loop: Header=BB260_12 Depth=1
	v_and_b32_e32 v0, 0x7f, v4
	v_cmp_ne_u32_e64 s[6:7], s73, v0
	v_mov_b32_e32 v93, 0x7c010000
	s_and_saveexec_b64 s[62:63], s[6:7]
	s_cbranch_execz .LBB260_327
; %bb.326:                              ;   in Loop: Header=BB260_12 Depth=1
	v_and_b32_e32 v1, 7, v4
	v_ffbh_u32_e32 v2, v1
	v_min_u32_e32 v8, 32, v2
	v_subrev_u32_e32 v2, 28, v8
	v_lshlrev_b64 v[2:3], v2, v[4:5]
	v_lshrrev_b32_e32 v7, 3, v0
	v_sub_u32_e32 v3, 29, v8
	v_cmp_gt_u32_e64 s[6:7], 8, v0
	v_and_b32_e32 v2, 7, v2
	s_nop 0
	v_cndmask_b32_e64 v0, v7, v3, s[6:7]
	v_lshlrev_b32_e32 v3, 8, v4
	v_mov_b32_e32 v4, 0x2000
	v_lshl_add_u32 v0, v0, 10, v4
	v_and_or_b32 v0, v3, s74, v0
	v_cndmask_b32_e64 v1, v1, v2, s[6:7]
	v_lshlrev_b32_e32 v0, 16, v0
	v_lshl_or_b32 v93, v1, 23, v0
.LBB260_327:                            ;   in Loop: Header=BB260_12 Depth=1
	s_or_b64 exec, exec, s[62:63]
.LBB260_328:                            ;   in Loop: Header=BB260_12 Depth=1
	s_or_b64 exec, exec, s[60:61]
.LBB260_329:                            ;   in Loop: Header=BB260_12 Depth=1
	s_or_b64 exec, exec, s[58:59]
	flat_load_dword v48, v[38:39] offset:3080
	v_mov_b32_e32 v95, 0
	v_mov_b32_e32 v104, 0
	s_waitcnt vmcnt(0) lgkmcnt(0)
	v_cmp_ne_u16_sdwa s[6:7], v48, v5 src0_sel:BYTE_0 src1_sel:DWORD
	s_and_saveexec_b64 s[58:59], s[6:7]
	s_cbranch_execz .LBB260_335
; %bb.330:                              ;   in Loop: Header=BB260_12 Depth=1
	v_cmp_ne_u16_sdwa s[6:7], v48, s72 src0_sel:BYTE_0 src1_sel:DWORD
	v_mov_b32_e32 v104, 0x8000
	s_and_saveexec_b64 s[60:61], s[6:7]
	s_cbranch_execz .LBB260_334
; %bb.331:                              ;   in Loop: Header=BB260_12 Depth=1
	v_and_b32_e32 v0, 0x7f, v48
	v_cmp_ne_u32_e64 s[6:7], s73, v0
	v_mov_b32_e32 v104, 0x7c01
	s_and_saveexec_b64 s[62:63], s[6:7]
	s_cbranch_execz .LBB260_333
; %bb.332:                              ;   in Loop: Header=BB260_12 Depth=1
	v_and_b32_e32 v1, 7, v48
	v_ffbh_u32_e32 v2, v1
	v_min_u32_e32 v7, 32, v2
	v_subrev_u32_e32 v2, 28, v7
	v_lshlrev_b64 v[2:3], v2, v[48:49]
	v_lshrrev_b32_e32 v4, 3, v0
	v_sub_u32_e32 v3, 29, v7
	v_cmp_gt_u32_e64 s[6:7], 8, v0
	v_and_b32_e32 v2, 7, v2
	s_nop 0
	v_cndmask_b32_e64 v0, v4, v3, s[6:7]
	v_mov_b32_e32 v4, 0x2000
	v_lshl_add_u32 v0, v0, 10, v4
	v_lshlrev_b32_e32 v3, 8, v48
	v_and_b32_e32 v0, 0xfc00, v0
	v_cndmask_b32_e64 v1, v1, v2, s[6:7]
	v_and_or_b32 v0, v3, s74, v0
	v_lshl_or_b32 v104, v1, 7, v0
.LBB260_333:                            ;   in Loop: Header=BB260_12 Depth=1
	s_or_b64 exec, exec, s[62:63]
.LBB260_334:                            ;   in Loop: Header=BB260_12 Depth=1
	s_or_b64 exec, exec, s[60:61]
.LBB260_335:                            ;   in Loop: Header=BB260_12 Depth=1
	s_or_b64 exec, exec, s[58:59]
	v_lshrrev_b16_e32 v4, 8, v48
	v_cmp_ne_u16_e64 s[6:7], 0, v4
	s_and_saveexec_b64 s[58:59], s[6:7]
	s_cbranch_execz .LBB260_341
; %bb.336:                              ;   in Loop: Header=BB260_12 Depth=1
	v_cmp_ne_u16_e64 s[6:7], s72, v4
	v_bfrev_b32_e32 v95, 1
	s_and_saveexec_b64 s[60:61], s[6:7]
	s_cbranch_execz .LBB260_340
; %bb.337:                              ;   in Loop: Header=BB260_12 Depth=1
	v_and_b32_e32 v0, 0x7f, v4
	v_cmp_ne_u32_e64 s[6:7], s73, v0
	v_mov_b32_e32 v95, 0x7c010000
	s_and_saveexec_b64 s[62:63], s[6:7]
	s_cbranch_execz .LBB260_339
; %bb.338:                              ;   in Loop: Header=BB260_12 Depth=1
	v_and_b32_e32 v1, 7, v4
	v_ffbh_u32_e32 v2, v1
	v_min_u32_e32 v8, 32, v2
	v_subrev_u32_e32 v2, 28, v8
	v_lshlrev_b64 v[2:3], v2, v[4:5]
	v_lshrrev_b32_e32 v7, 3, v0
	v_sub_u32_e32 v3, 29, v8
	v_cmp_gt_u32_e64 s[6:7], 8, v0
	v_and_b32_e32 v2, 7, v2
	s_nop 0
	v_cndmask_b32_e64 v0, v7, v3, s[6:7]
	v_lshlrev_b32_e32 v3, 8, v4
	v_mov_b32_e32 v4, 0x2000
	v_lshl_add_u32 v0, v0, 10, v4
	v_and_or_b32 v0, v3, s74, v0
	v_cndmask_b32_e64 v1, v1, v2, s[6:7]
	v_lshlrev_b32_e32 v0, 16, v0
	v_lshl_or_b32 v95, v1, 23, v0
.LBB260_339:                            ;   in Loop: Header=BB260_12 Depth=1
	s_or_b64 exec, exec, s[62:63]
.LBB260_340:                            ;   in Loop: Header=BB260_12 Depth=1
	s_or_b64 exec, exec, s[60:61]
.LBB260_341:                            ;   in Loop: Header=BB260_12 Depth=1
	s_or_b64 exec, exec, s[58:59]
	v_lshrrev_b32_e32 v4, 16, v48
	v_cmp_ne_u16_sdwa s[6:7], v4, v5 src0_sel:BYTE_0 src1_sel:DWORD
	v_mov_b32_e32 v105, 0
	v_mov_b32_e32 v106, 0
	s_and_saveexec_b64 s[58:59], s[6:7]
	s_cbranch_execz .LBB260_347
; %bb.342:                              ;   in Loop: Header=BB260_12 Depth=1
	v_cmp_ne_u16_sdwa s[6:7], v4, s72 src0_sel:BYTE_0 src1_sel:DWORD
	v_mov_b32_e32 v106, 0x8000
	s_and_saveexec_b64 s[60:61], s[6:7]
	s_cbranch_execz .LBB260_346
; %bb.343:                              ;   in Loop: Header=BB260_12 Depth=1
	v_bfe_u32 v0, v48, 16, 7
	v_cmp_ne_u32_e64 s[6:7], s73, v0
	v_mov_b32_e32 v106, 0x7c01
	s_and_saveexec_b64 s[62:63], s[6:7]
	s_cbranch_execz .LBB260_345
; %bb.344:                              ;   in Loop: Header=BB260_12 Depth=1
	v_and_b32_e32 v1, 7, v4
	v_ffbh_u32_e32 v2, v1
	v_min_u32_e32 v8, 32, v2
	v_subrev_u32_e32 v2, 28, v8
	v_lshlrev_b64 v[2:3], v2, v[4:5]
	v_lshrrev_b32_e32 v7, 3, v0
	v_sub_u32_e32 v3, 29, v8
	v_cmp_gt_u32_e64 s[6:7], 8, v0
	v_and_b32_e32 v2, 7, v2
	s_nop 0
	v_cndmask_b32_e64 v0, v7, v3, s[6:7]
	v_lshlrev_b32_e32 v3, 8, v4
	v_mov_b32_e32 v4, 0x2000
	v_lshl_add_u32 v0, v0, 10, v4
	v_and_b32_e32 v0, 0xfc00, v0
	v_cndmask_b32_e64 v1, v1, v2, s[6:7]
	v_and_or_b32 v0, v3, s74, v0
	v_lshl_or_b32 v106, v1, 7, v0
.LBB260_345:                            ;   in Loop: Header=BB260_12 Depth=1
	s_or_b64 exec, exec, s[62:63]
.LBB260_346:                            ;   in Loop: Header=BB260_12 Depth=1
	s_or_b64 exec, exec, s[60:61]
.LBB260_347:                            ;   in Loop: Header=BB260_12 Depth=1
	s_or_b64 exec, exec, s[58:59]
	v_cmp_lt_u32_e64 s[6:7], s75, v48
	s_and_saveexec_b64 s[58:59], s[6:7]
	s_cbranch_execz .LBB260_353
; %bb.348:                              ;   in Loop: Header=BB260_12 Depth=1
	v_lshrrev_b32_e32 v4, 24, v48
	v_cmp_ne_u32_e64 s[6:7], s72, v4
	v_bfrev_b32_e32 v105, 1
	s_and_saveexec_b64 s[60:61], s[6:7]
	s_cbranch_execz .LBB260_352
; %bb.349:                              ;   in Loop: Header=BB260_12 Depth=1
	v_and_b32_e32 v0, 0x7f, v4
	v_cmp_ne_u32_e64 s[6:7], s73, v0
	v_mov_b32_e32 v105, 0x7c010000
	s_and_saveexec_b64 s[62:63], s[6:7]
	s_cbranch_execz .LBB260_351
; %bb.350:                              ;   in Loop: Header=BB260_12 Depth=1
	v_and_b32_e32 v1, 7, v4
	v_ffbh_u32_e32 v2, v1
	v_min_u32_e32 v8, 32, v2
	v_subrev_u32_e32 v2, 28, v8
	v_lshlrev_b64 v[2:3], v2, v[4:5]
	v_lshrrev_b32_e32 v7, 3, v0
	v_sub_u32_e32 v3, 29, v8
	v_cmp_gt_u32_e64 s[6:7], 8, v0
	v_and_b32_e32 v2, 7, v2
	s_nop 0
	v_cndmask_b32_e64 v0, v7, v3, s[6:7]
	v_lshlrev_b32_e32 v3, 8, v4
	v_mov_b32_e32 v4, 0x2000
	v_lshl_add_u32 v0, v0, 10, v4
	v_and_or_b32 v0, v3, s74, v0
	v_cndmask_b32_e64 v1, v1, v2, s[6:7]
	v_lshlrev_b32_e32 v0, 16, v0
	v_lshl_or_b32 v105, v1, 23, v0
.LBB260_351:                            ;   in Loop: Header=BB260_12 Depth=1
	s_or_b64 exec, exec, s[62:63]
.LBB260_352:                            ;   in Loop: Header=BB260_12 Depth=1
	s_or_b64 exec, exec, s[60:61]
.LBB260_353:                            ;   in Loop: Header=BB260_12 Depth=1
	s_or_b64 exec, exec, s[58:59]
	flat_load_dword v48, v[38:39] offset:3584
	v_mov_b32_e32 v107, 0
	v_mov_b32_e32 v81, 0
	s_waitcnt vmcnt(0) lgkmcnt(0)
	v_cmp_ne_u16_sdwa s[6:7], v48, v5 src0_sel:BYTE_0 src1_sel:DWORD
	s_and_saveexec_b64 s[58:59], s[6:7]
	s_cbranch_execz .LBB260_359
; %bb.354:                              ;   in Loop: Header=BB260_12 Depth=1
	v_cmp_ne_u16_sdwa s[6:7], v48, s72 src0_sel:BYTE_0 src1_sel:DWORD
	v_mov_b32_e32 v81, 0x8000
	s_and_saveexec_b64 s[60:61], s[6:7]
	s_cbranch_execz .LBB260_358
; %bb.355:                              ;   in Loop: Header=BB260_12 Depth=1
	v_and_b32_e32 v0, 0x7f, v48
	v_cmp_ne_u32_e64 s[6:7], s73, v0
	v_mov_b32_e32 v81, 0x7c01
	s_and_saveexec_b64 s[62:63], s[6:7]
	s_cbranch_execz .LBB260_357
; %bb.356:                              ;   in Loop: Header=BB260_12 Depth=1
	v_and_b32_e32 v1, 7, v48
	v_ffbh_u32_e32 v2, v1
	v_min_u32_e32 v7, 32, v2
	v_subrev_u32_e32 v2, 28, v7
	v_lshlrev_b64 v[2:3], v2, v[48:49]
	v_lshrrev_b32_e32 v4, 3, v0
	v_sub_u32_e32 v3, 29, v7
	v_cmp_gt_u32_e64 s[6:7], 8, v0
	v_and_b32_e32 v2, 7, v2
	s_nop 0
	v_cndmask_b32_e64 v0, v4, v3, s[6:7]
	v_mov_b32_e32 v4, 0x2000
	v_lshl_add_u32 v0, v0, 10, v4
	v_lshlrev_b32_e32 v3, 8, v48
	v_and_b32_e32 v0, 0xfc00, v0
	v_cndmask_b32_e64 v1, v1, v2, s[6:7]
	v_and_or_b32 v0, v3, s74, v0
	v_lshl_or_b32 v81, v1, 7, v0
.LBB260_357:                            ;   in Loop: Header=BB260_12 Depth=1
	s_or_b64 exec, exec, s[62:63]
.LBB260_358:                            ;   in Loop: Header=BB260_12 Depth=1
	s_or_b64 exec, exec, s[60:61]
.LBB260_359:                            ;   in Loop: Header=BB260_12 Depth=1
	s_or_b64 exec, exec, s[58:59]
	v_lshrrev_b16_e32 v4, 8, v48
	v_cmp_ne_u16_e64 s[6:7], 0, v4
	s_and_saveexec_b64 s[58:59], s[6:7]
	s_cbranch_execz .LBB260_365
; %bb.360:                              ;   in Loop: Header=BB260_12 Depth=1
	v_cmp_ne_u16_e64 s[6:7], s72, v4
	v_bfrev_b32_e32 v107, 1
	s_and_saveexec_b64 s[60:61], s[6:7]
	s_cbranch_execz .LBB260_364
; %bb.361:                              ;   in Loop: Header=BB260_12 Depth=1
	v_and_b32_e32 v0, 0x7f, v4
	v_cmp_ne_u32_e64 s[6:7], s73, v0
	v_mov_b32_e32 v107, 0x7c010000
	s_and_saveexec_b64 s[62:63], s[6:7]
	s_cbranch_execz .LBB260_363
; %bb.362:                              ;   in Loop: Header=BB260_12 Depth=1
	v_and_b32_e32 v1, 7, v4
	v_ffbh_u32_e32 v2, v1
	v_min_u32_e32 v8, 32, v2
	v_subrev_u32_e32 v2, 28, v8
	v_lshlrev_b64 v[2:3], v2, v[4:5]
	v_lshrrev_b32_e32 v7, 3, v0
	v_sub_u32_e32 v3, 29, v8
	v_cmp_gt_u32_e64 s[6:7], 8, v0
	v_and_b32_e32 v2, 7, v2
	s_nop 0
	v_cndmask_b32_e64 v0, v7, v3, s[6:7]
	v_lshlrev_b32_e32 v3, 8, v4
	v_mov_b32_e32 v4, 0x2000
	v_lshl_add_u32 v0, v0, 10, v4
	v_and_or_b32 v0, v3, s74, v0
	v_cndmask_b32_e64 v1, v1, v2, s[6:7]
	v_lshlrev_b32_e32 v0, 16, v0
	v_lshl_or_b32 v107, v1, 23, v0
.LBB260_363:                            ;   in Loop: Header=BB260_12 Depth=1
	s_or_b64 exec, exec, s[62:63]
.LBB260_364:                            ;   in Loop: Header=BB260_12 Depth=1
	s_or_b64 exec, exec, s[60:61]
.LBB260_365:                            ;   in Loop: Header=BB260_12 Depth=1
	s_or_b64 exec, exec, s[58:59]
	v_lshrrev_b32_e32 v4, 16, v48
	v_cmp_ne_u16_sdwa s[6:7], v4, v5 src0_sel:BYTE_0 src1_sel:DWORD
	v_mov_b32_e32 v109, 0
	v_mov_b32_e32 v110, 0
	s_and_saveexec_b64 s[58:59], s[6:7]
	s_cbranch_execz .LBB260_371
; %bb.366:                              ;   in Loop: Header=BB260_12 Depth=1
	v_cmp_ne_u16_sdwa s[6:7], v4, s72 src0_sel:BYTE_0 src1_sel:DWORD
	v_mov_b32_e32 v110, 0x8000
	s_and_saveexec_b64 s[60:61], s[6:7]
	s_cbranch_execz .LBB260_370
; %bb.367:                              ;   in Loop: Header=BB260_12 Depth=1
	v_bfe_u32 v0, v48, 16, 7
	v_cmp_ne_u32_e64 s[6:7], s73, v0
	v_mov_b32_e32 v110, 0x7c01
	s_and_saveexec_b64 s[62:63], s[6:7]
	s_cbranch_execz .LBB260_369
; %bb.368:                              ;   in Loop: Header=BB260_12 Depth=1
	v_and_b32_e32 v1, 7, v4
	v_ffbh_u32_e32 v2, v1
	v_min_u32_e32 v8, 32, v2
	v_subrev_u32_e32 v2, 28, v8
	v_lshlrev_b64 v[2:3], v2, v[4:5]
	v_lshrrev_b32_e32 v7, 3, v0
	v_sub_u32_e32 v3, 29, v8
	v_cmp_gt_u32_e64 s[6:7], 8, v0
	v_and_b32_e32 v2, 7, v2
	s_nop 0
	v_cndmask_b32_e64 v0, v7, v3, s[6:7]
	v_lshlrev_b32_e32 v3, 8, v4
	v_mov_b32_e32 v4, 0x2000
	v_lshl_add_u32 v0, v0, 10, v4
	v_and_b32_e32 v0, 0xfc00, v0
	v_cndmask_b32_e64 v1, v1, v2, s[6:7]
	v_and_or_b32 v0, v3, s74, v0
	v_lshl_or_b32 v110, v1, 7, v0
.LBB260_369:                            ;   in Loop: Header=BB260_12 Depth=1
	s_or_b64 exec, exec, s[62:63]
.LBB260_370:                            ;   in Loop: Header=BB260_12 Depth=1
	s_or_b64 exec, exec, s[60:61]
.LBB260_371:                            ;   in Loop: Header=BB260_12 Depth=1
	s_or_b64 exec, exec, s[58:59]
	v_cmp_lt_u32_e64 s[6:7], s75, v48
	s_and_saveexec_b64 s[58:59], s[6:7]
	s_cbranch_execz .LBB260_377
; %bb.372:                              ;   in Loop: Header=BB260_12 Depth=1
	v_lshrrev_b32_e32 v4, 24, v48
	v_cmp_ne_u32_e64 s[6:7], s72, v4
	v_bfrev_b32_e32 v109, 1
	s_and_saveexec_b64 s[60:61], s[6:7]
	s_cbranch_execz .LBB260_376
; %bb.373:                              ;   in Loop: Header=BB260_12 Depth=1
	v_and_b32_e32 v0, 0x7f, v4
	v_cmp_ne_u32_e64 s[6:7], s73, v0
	v_mov_b32_e32 v109, 0x7c010000
	s_and_saveexec_b64 s[62:63], s[6:7]
	s_cbranch_execz .LBB260_375
; %bb.374:                              ;   in Loop: Header=BB260_12 Depth=1
	v_and_b32_e32 v1, 7, v4
	v_ffbh_u32_e32 v2, v1
	v_min_u32_e32 v8, 32, v2
	v_subrev_u32_e32 v2, 28, v8
	v_lshlrev_b64 v[2:3], v2, v[4:5]
	v_lshrrev_b32_e32 v7, 3, v0
	v_sub_u32_e32 v3, 29, v8
	v_cmp_gt_u32_e64 s[6:7], 8, v0
	v_and_b32_e32 v2, 7, v2
	s_nop 0
	v_cndmask_b32_e64 v0, v7, v3, s[6:7]
	v_lshlrev_b32_e32 v3, 8, v4
	v_mov_b32_e32 v4, 0x2000
	v_lshl_add_u32 v0, v0, 10, v4
	v_and_or_b32 v0, v3, s74, v0
	v_cndmask_b32_e64 v1, v1, v2, s[6:7]
	v_lshlrev_b32_e32 v0, 16, v0
	v_lshl_or_b32 v109, v1, 23, v0
.LBB260_375:                            ;   in Loop: Header=BB260_12 Depth=1
	s_or_b64 exec, exec, s[62:63]
.LBB260_376:                            ;   in Loop: Header=BB260_12 Depth=1
	s_or_b64 exec, exec, s[60:61]
.LBB260_377:                            ;   in Loop: Header=BB260_12 Depth=1
	s_or_b64 exec, exec, s[58:59]
	flat_load_dword v38, v[38:39] offset:3592
	v_mov_b32_e32 v111, 0
	v_mov_b32_e32 v124, 0
	s_waitcnt vmcnt(0) lgkmcnt(0)
	v_cmp_ne_u16_sdwa s[6:7], v38, v5 src0_sel:BYTE_0 src1_sel:DWORD
	s_and_saveexec_b64 s[58:59], s[6:7]
	s_cbranch_execz .LBB260_383
; %bb.378:                              ;   in Loop: Header=BB260_12 Depth=1
	v_cmp_ne_u16_sdwa s[6:7], v38, s72 src0_sel:BYTE_0 src1_sel:DWORD
	v_mov_b32_e32 v124, 0x8000
	s_and_saveexec_b64 s[60:61], s[6:7]
	s_cbranch_execz .LBB260_382
; %bb.379:                              ;   in Loop: Header=BB260_12 Depth=1
	v_and_b32_e32 v0, 0x7f, v38
	v_cmp_ne_u32_e64 s[6:7], s73, v0
	v_mov_b32_e32 v124, 0x7c01
	s_and_saveexec_b64 s[62:63], s[6:7]
	s_cbranch_execz .LBB260_381
; %bb.380:                              ;   in Loop: Header=BB260_12 Depth=1
	v_and_b32_e32 v1, 7, v38
	v_ffbh_u32_e32 v2, v1
	v_min_u32_e32 v7, 32, v2
	v_subrev_u32_e32 v2, 28, v7
	v_lshlrev_b64 v[2:3], v2, v[38:39]
	v_lshrrev_b32_e32 v4, 3, v0
	v_sub_u32_e32 v3, 29, v7
	v_cmp_gt_u32_e64 s[6:7], 8, v0
	v_and_b32_e32 v2, 7, v2
	s_nop 0
	v_cndmask_b32_e64 v0, v4, v3, s[6:7]
	v_mov_b32_e32 v4, 0x2000
	v_lshl_add_u32 v0, v0, 10, v4
	v_lshlrev_b32_e32 v3, 8, v38
	v_and_b32_e32 v0, 0xfc00, v0
	v_cndmask_b32_e64 v1, v1, v2, s[6:7]
	v_and_or_b32 v0, v3, s74, v0
	v_lshl_or_b32 v124, v1, 7, v0
.LBB260_381:                            ;   in Loop: Header=BB260_12 Depth=1
	s_or_b64 exec, exec, s[62:63]
.LBB260_382:                            ;   in Loop: Header=BB260_12 Depth=1
	s_or_b64 exec, exec, s[60:61]
.LBB260_383:                            ;   in Loop: Header=BB260_12 Depth=1
	s_or_b64 exec, exec, s[58:59]
	v_lshrrev_b16_e32 v4, 8, v38
	v_cmp_ne_u16_e64 s[6:7], 0, v4
	s_and_saveexec_b64 s[58:59], s[6:7]
	s_cbranch_execz .LBB260_389
; %bb.384:                              ;   in Loop: Header=BB260_12 Depth=1
	v_cmp_ne_u16_e64 s[6:7], s72, v4
	v_bfrev_b32_e32 v111, 1
	s_and_saveexec_b64 s[60:61], s[6:7]
	s_cbranch_execz .LBB260_388
; %bb.385:                              ;   in Loop: Header=BB260_12 Depth=1
	v_and_b32_e32 v0, 0x7f, v4
	v_cmp_ne_u32_e64 s[6:7], s73, v0
	v_mov_b32_e32 v111, 0x7c010000
	s_and_saveexec_b64 s[62:63], s[6:7]
	s_cbranch_execz .LBB260_387
; %bb.386:                              ;   in Loop: Header=BB260_12 Depth=1
	v_and_b32_e32 v1, 7, v4
	v_ffbh_u32_e32 v2, v1
	v_min_u32_e32 v8, 32, v2
	v_subrev_u32_e32 v2, 28, v8
	v_lshlrev_b64 v[2:3], v2, v[4:5]
	v_lshrrev_b32_e32 v7, 3, v0
	v_sub_u32_e32 v3, 29, v8
	v_cmp_gt_u32_e64 s[6:7], 8, v0
	v_and_b32_e32 v2, 7, v2
	s_nop 0
	v_cndmask_b32_e64 v0, v7, v3, s[6:7]
	v_lshlrev_b32_e32 v3, 8, v4
	v_mov_b32_e32 v4, 0x2000
	v_lshl_add_u32 v0, v0, 10, v4
	v_and_or_b32 v0, v3, s74, v0
	v_cndmask_b32_e64 v1, v1, v2, s[6:7]
	v_lshlrev_b32_e32 v0, 16, v0
	v_lshl_or_b32 v111, v1, 23, v0
.LBB260_387:                            ;   in Loop: Header=BB260_12 Depth=1
	s_or_b64 exec, exec, s[62:63]
.LBB260_388:                            ;   in Loop: Header=BB260_12 Depth=1
	s_or_b64 exec, exec, s[60:61]
.LBB260_389:                            ;   in Loop: Header=BB260_12 Depth=1
	s_or_b64 exec, exec, s[58:59]
	v_lshrrev_b32_e32 v4, 16, v38
	v_cmp_ne_u16_sdwa s[6:7], v4, v5 src0_sel:BYTE_0 src1_sel:DWORD
	v_mov_b32_e32 v121, 0
	v_mov_b32_e32 v122, 0
	s_and_saveexec_b64 s[58:59], s[6:7]
	s_cbranch_execz .LBB260_395
; %bb.390:                              ;   in Loop: Header=BB260_12 Depth=1
	v_cmp_ne_u16_sdwa s[6:7], v4, s72 src0_sel:BYTE_0 src1_sel:DWORD
	v_mov_b32_e32 v122, 0x8000
	s_and_saveexec_b64 s[60:61], s[6:7]
	s_cbranch_execz .LBB260_394
; %bb.391:                              ;   in Loop: Header=BB260_12 Depth=1
	v_bfe_u32 v0, v38, 16, 7
	v_cmp_ne_u32_e64 s[6:7], s73, v0
	v_mov_b32_e32 v122, 0x7c01
	s_and_saveexec_b64 s[62:63], s[6:7]
	s_cbranch_execz .LBB260_393
; %bb.392:                              ;   in Loop: Header=BB260_12 Depth=1
	v_and_b32_e32 v1, 7, v4
	v_ffbh_u32_e32 v2, v1
	v_min_u32_e32 v8, 32, v2
	v_subrev_u32_e32 v2, 28, v8
	v_lshlrev_b64 v[2:3], v2, v[4:5]
	v_lshrrev_b32_e32 v7, 3, v0
	v_sub_u32_e32 v3, 29, v8
	v_cmp_gt_u32_e64 s[6:7], 8, v0
	v_and_b32_e32 v2, 7, v2
	s_nop 0
	v_cndmask_b32_e64 v0, v7, v3, s[6:7]
	v_lshlrev_b32_e32 v3, 8, v4
	v_mov_b32_e32 v4, 0x2000
	v_lshl_add_u32 v0, v0, 10, v4
	v_and_b32_e32 v0, 0xfc00, v0
	v_cndmask_b32_e64 v1, v1, v2, s[6:7]
	v_and_or_b32 v0, v3, s74, v0
	v_lshl_or_b32 v122, v1, 7, v0
.LBB260_393:                            ;   in Loop: Header=BB260_12 Depth=1
	s_or_b64 exec, exec, s[62:63]
.LBB260_394:                            ;   in Loop: Header=BB260_12 Depth=1
	s_or_b64 exec, exec, s[60:61]
.LBB260_395:                            ;   in Loop: Header=BB260_12 Depth=1
	s_or_b64 exec, exec, s[58:59]
	v_cmp_lt_u32_e64 s[6:7], s75, v38
	s_and_saveexec_b64 s[58:59], s[6:7]
	s_cbranch_execz .LBB260_401
; %bb.396:                              ;   in Loop: Header=BB260_12 Depth=1
	v_lshrrev_b32_e32 v4, 24, v38
	v_cmp_ne_u32_e64 s[6:7], s72, v4
	v_bfrev_b32_e32 v121, 1
	s_and_saveexec_b64 s[60:61], s[6:7]
	s_cbranch_execz .LBB260_400
; %bb.397:                              ;   in Loop: Header=BB260_12 Depth=1
	v_and_b32_e32 v0, 0x7f, v4
	v_cmp_ne_u32_e64 s[6:7], s73, v0
	v_mov_b32_e32 v121, 0x7c010000
	s_and_saveexec_b64 s[62:63], s[6:7]
	s_cbranch_execz .LBB260_399
; %bb.398:                              ;   in Loop: Header=BB260_12 Depth=1
	v_and_b32_e32 v1, 7, v4
	v_ffbh_u32_e32 v2, v1
	v_min_u32_e32 v8, 32, v2
	v_subrev_u32_e32 v2, 28, v8
	v_lshlrev_b64 v[2:3], v2, v[4:5]
	v_lshrrev_b32_e32 v7, 3, v0
	v_sub_u32_e32 v3, 29, v8
	v_cmp_gt_u32_e64 s[6:7], 8, v0
	v_and_b32_e32 v2, 7, v2
	s_nop 0
	v_cndmask_b32_e64 v0, v7, v3, s[6:7]
	v_lshlrev_b32_e32 v3, 8, v4
	v_mov_b32_e32 v4, 0x2000
	v_lshl_add_u32 v0, v0, 10, v4
	v_and_or_b32 v0, v3, s74, v0
	v_cndmask_b32_e64 v1, v1, v2, s[6:7]
	v_lshlrev_b32_e32 v0, 16, v0
	v_lshl_or_b32 v121, v1, 23, v0
.LBB260_399:                            ;   in Loop: Header=BB260_12 Depth=1
	s_or_b64 exec, exec, s[62:63]
.LBB260_400:                            ;   in Loop: Header=BB260_12 Depth=1
	s_or_b64 exec, exec, s[60:61]
.LBB260_401:                            ;   in Loop: Header=BB260_12 Depth=1
	s_or_b64 exec, exec, s[58:59]
	scratch_load_dwordx2 v[0:1], off, s32 offset:200 ; 8-byte Folded Reload
	v_lshl_add_u64 v[38:39], v[36:37], 0, s[24:25]
	v_mov_b32_e32 v123, 0
	v_mov_b32_e32 v67, 0
	s_waitcnt vmcnt(0)
	v_lshl_add_u64 v[0:1], v[38:39], 0, v[0:1]
	flat_load_dword v48, v[0:1]
	s_waitcnt vmcnt(0) lgkmcnt(0)
	v_cmp_ne_u16_sdwa s[6:7], v48, v5 src0_sel:BYTE_0 src1_sel:DWORD
	s_and_saveexec_b64 s[58:59], s[6:7]
	s_cbranch_execz .LBB260_407
; %bb.402:                              ;   in Loop: Header=BB260_12 Depth=1
	v_cmp_ne_u16_sdwa s[6:7], v48, s72 src0_sel:BYTE_0 src1_sel:DWORD
	v_mov_b32_e32 v67, 0x8000
	s_and_saveexec_b64 s[60:61], s[6:7]
	s_cbranch_execz .LBB260_406
; %bb.403:                              ;   in Loop: Header=BB260_12 Depth=1
	v_and_b32_e32 v0, 0x7f, v48
	v_cmp_ne_u32_e64 s[6:7], s73, v0
	v_mov_b32_e32 v67, 0x7c01
	s_and_saveexec_b64 s[62:63], s[6:7]
	s_cbranch_execz .LBB260_405
; %bb.404:                              ;   in Loop: Header=BB260_12 Depth=1
	v_and_b32_e32 v2, 7, v48
	v_lshrrev_b32_e32 v3, 3, v0
	v_cmp_gt_u32_e64 s[6:7], 8, v0
	v_ffbh_u32_e32 v0, v2
	v_min_u32_e32 v4, 32, v0
	v_subrev_u32_e32 v0, 28, v4
	v_lshlrev_b64 v[0:1], v0, v[48:49]
	v_sub_u32_e32 v1, 29, v4
	v_cndmask_b32_e64 v1, v3, v1, s[6:7]
	v_mov_b32_e32 v4, 0x2000
	v_lshl_add_u32 v1, v1, 10, v4
	v_lshlrev_b32_e32 v3, 8, v48
	v_and_b32_e32 v0, 7, v0
	v_and_b32_e32 v1, 0xfc00, v1
	v_cndmask_b32_e64 v0, v2, v0, s[6:7]
	v_and_or_b32 v1, v3, s74, v1
	v_lshl_or_b32 v67, v0, 7, v1
.LBB260_405:                            ;   in Loop: Header=BB260_12 Depth=1
	s_or_b64 exec, exec, s[62:63]
.LBB260_406:                            ;   in Loop: Header=BB260_12 Depth=1
	s_or_b64 exec, exec, s[60:61]
.LBB260_407:                            ;   in Loop: Header=BB260_12 Depth=1
	s_or_b64 exec, exec, s[58:59]
	v_lshrrev_b16_e32 v4, 8, v48
	v_cmp_ne_u16_e64 s[6:7], 0, v4
	s_and_saveexec_b64 s[58:59], s[6:7]
	s_cbranch_execz .LBB260_413
; %bb.408:                              ;   in Loop: Header=BB260_12 Depth=1
	v_cmp_ne_u16_e64 s[6:7], s72, v4
	v_bfrev_b32_e32 v123, 1
	s_and_saveexec_b64 s[60:61], s[6:7]
	s_cbranch_execz .LBB260_412
; %bb.409:                              ;   in Loop: Header=BB260_12 Depth=1
	v_and_b32_e32 v0, 0x7f, v4
	v_cmp_ne_u32_e64 s[6:7], s73, v0
	v_mov_b32_e32 v123, 0x7c010000
	s_and_saveexec_b64 s[62:63], s[6:7]
	s_cbranch_execz .LBB260_411
; %bb.410:                              ;   in Loop: Header=BB260_12 Depth=1
	v_and_b32_e32 v2, 7, v4
	v_lshrrev_b32_e32 v3, 3, v0
	v_cmp_gt_u32_e64 s[6:7], 8, v0
	v_ffbh_u32_e32 v0, v2
	v_min_u32_e32 v7, 32, v0
	v_subrev_u32_e32 v0, 28, v7
	v_lshlrev_b64 v[0:1], v0, v[4:5]
	v_sub_u32_e32 v1, 29, v7
	v_cndmask_b32_e64 v1, v3, v1, s[6:7]
	v_lshlrev_b32_e32 v3, 8, v4
	v_mov_b32_e32 v4, 0x2000
	v_lshl_add_u32 v1, v1, 10, v4
	v_and_b32_e32 v0, 7, v0
	v_and_or_b32 v1, v3, s74, v1
	v_cndmask_b32_e64 v0, v2, v0, s[6:7]
	v_lshlrev_b32_e32 v1, 16, v1
	v_lshl_or_b32 v123, v0, 23, v1
.LBB260_411:                            ;   in Loop: Header=BB260_12 Depth=1
	s_or_b64 exec, exec, s[62:63]
.LBB260_412:                            ;   in Loop: Header=BB260_12 Depth=1
	s_or_b64 exec, exec, s[60:61]
.LBB260_413:                            ;   in Loop: Header=BB260_12 Depth=1
	s_or_b64 exec, exec, s[58:59]
	v_lshrrev_b32_e32 v4, 16, v48
	v_cmp_ne_u16_sdwa s[6:7], v4, v5 src0_sel:BYTE_0 src1_sel:DWORD
	v_mov_b32_e32 v125, 0
	v_mov_b32_e32 v120, 0
	s_and_saveexec_b64 s[58:59], s[6:7]
	s_cbranch_execz .LBB260_419
; %bb.414:                              ;   in Loop: Header=BB260_12 Depth=1
	v_cmp_ne_u16_sdwa s[6:7], v4, s72 src0_sel:BYTE_0 src1_sel:DWORD
	v_mov_b32_e32 v120, 0x8000
	s_and_saveexec_b64 s[60:61], s[6:7]
	s_cbranch_execz .LBB260_418
; %bb.415:                              ;   in Loop: Header=BB260_12 Depth=1
	v_bfe_u32 v0, v48, 16, 7
	v_cmp_ne_u32_e64 s[6:7], s73, v0
	v_mov_b32_e32 v120, 0x7c01
	s_and_saveexec_b64 s[62:63], s[6:7]
	s_cbranch_execz .LBB260_417
; %bb.416:                              ;   in Loop: Header=BB260_12 Depth=1
	v_and_b32_e32 v2, 7, v4
	v_lshrrev_b32_e32 v3, 3, v0
	v_cmp_gt_u32_e64 s[6:7], 8, v0
	v_ffbh_u32_e32 v0, v2
	v_min_u32_e32 v7, 32, v0
	v_subrev_u32_e32 v0, 28, v7
	v_lshlrev_b64 v[0:1], v0, v[4:5]
	v_sub_u32_e32 v1, 29, v7
	v_cndmask_b32_e64 v1, v3, v1, s[6:7]
	v_lshlrev_b32_e32 v3, 8, v4
	v_mov_b32_e32 v4, 0x2000
	v_lshl_add_u32 v1, v1, 10, v4
	v_and_b32_e32 v0, 7, v0
	v_and_b32_e32 v1, 0xfc00, v1
	v_cndmask_b32_e64 v0, v2, v0, s[6:7]
	v_and_or_b32 v1, v3, s74, v1
	v_lshl_or_b32 v120, v0, 7, v1
.LBB260_417:                            ;   in Loop: Header=BB260_12 Depth=1
	s_or_b64 exec, exec, s[62:63]
.LBB260_418:                            ;   in Loop: Header=BB260_12 Depth=1
	s_or_b64 exec, exec, s[60:61]
.LBB260_419:                            ;   in Loop: Header=BB260_12 Depth=1
	s_or_b64 exec, exec, s[58:59]
	v_cmp_lt_u32_e64 s[6:7], s75, v48
	s_and_saveexec_b64 s[58:59], s[6:7]
	s_cbranch_execz .LBB260_425
; %bb.420:                              ;   in Loop: Header=BB260_12 Depth=1
	v_lshrrev_b32_e32 v4, 24, v48
	v_cmp_ne_u32_e64 s[6:7], s72, v4
	v_bfrev_b32_e32 v125, 1
	s_and_saveexec_b64 s[60:61], s[6:7]
	s_cbranch_execz .LBB260_424
; %bb.421:                              ;   in Loop: Header=BB260_12 Depth=1
	v_and_b32_e32 v0, 0x7f, v4
	v_cmp_ne_u32_e64 s[6:7], s73, v0
	v_mov_b32_e32 v125, 0x7c010000
	s_and_saveexec_b64 s[62:63], s[6:7]
	s_cbranch_execz .LBB260_423
; %bb.422:                              ;   in Loop: Header=BB260_12 Depth=1
	v_and_b32_e32 v2, 7, v4
	v_lshrrev_b32_e32 v3, 3, v0
	v_cmp_gt_u32_e64 s[6:7], 8, v0
	v_ffbh_u32_e32 v0, v2
	v_min_u32_e32 v7, 32, v0
	v_subrev_u32_e32 v0, 28, v7
	v_lshlrev_b64 v[0:1], v0, v[4:5]
	v_sub_u32_e32 v1, 29, v7
	v_cndmask_b32_e64 v1, v3, v1, s[6:7]
	v_lshlrev_b32_e32 v3, 8, v4
	v_mov_b32_e32 v4, 0x2000
	v_lshl_add_u32 v1, v1, 10, v4
	v_and_b32_e32 v0, 7, v0
	v_and_or_b32 v1, v3, s74, v1
	v_cndmask_b32_e64 v0, v2, v0, s[6:7]
	v_lshlrev_b32_e32 v1, 16, v1
	v_lshl_or_b32 v125, v0, 23, v1
.LBB260_423:                            ;   in Loop: Header=BB260_12 Depth=1
	s_or_b64 exec, exec, s[62:63]
.LBB260_424:                            ;   in Loop: Header=BB260_12 Depth=1
	s_or_b64 exec, exec, s[60:61]
.LBB260_425:                            ;   in Loop: Header=BB260_12 Depth=1
	s_or_b64 exec, exec, s[58:59]
	scratch_load_dwordx2 v[0:1], off, s32 offset:208 ; 8-byte Folded Reload
	v_mov_b32_e32 v127, 0
	v_mov_b32_e32 v17, 0
	s_waitcnt vmcnt(0)
	v_lshl_add_u64 v[0:1], v[38:39], 0, v[0:1]
	flat_load_dword v38, v[0:1]
	s_waitcnt vmcnt(0) lgkmcnt(0)
	v_cmp_ne_u16_sdwa s[6:7], v38, v5 src0_sel:BYTE_0 src1_sel:DWORD
	s_and_saveexec_b64 s[58:59], s[6:7]
	s_cbranch_execz .LBB260_431
; %bb.426:                              ;   in Loop: Header=BB260_12 Depth=1
	v_cmp_ne_u16_sdwa s[6:7], v38, s72 src0_sel:BYTE_0 src1_sel:DWORD
	v_mov_b32_e32 v17, 0x8000
	s_and_saveexec_b64 s[60:61], s[6:7]
	s_cbranch_execz .LBB260_430
; %bb.427:                              ;   in Loop: Header=BB260_12 Depth=1
	v_and_b32_e32 v0, 0x7f, v38
	v_cmp_ne_u32_e64 s[6:7], s73, v0
	v_mov_b32_e32 v17, 0x7c01
	s_and_saveexec_b64 s[62:63], s[6:7]
	s_cbranch_execz .LBB260_429
; %bb.428:                              ;   in Loop: Header=BB260_12 Depth=1
	v_and_b32_e32 v2, 7, v38
	v_lshrrev_b32_e32 v3, 3, v0
	v_cmp_gt_u32_e64 s[6:7], 8, v0
	v_ffbh_u32_e32 v0, v2
	v_min_u32_e32 v4, 32, v0
	v_subrev_u32_e32 v0, 28, v4
	v_lshlrev_b64 v[0:1], v0, v[38:39]
	v_sub_u32_e32 v1, 29, v4
	v_cndmask_b32_e64 v1, v3, v1, s[6:7]
	v_mov_b32_e32 v4, 0x2000
	v_lshl_add_u32 v1, v1, 10, v4
	v_lshlrev_b32_e32 v3, 8, v38
	v_and_b32_e32 v0, 7, v0
	v_and_b32_e32 v1, 0xfc00, v1
	v_cndmask_b32_e64 v0, v2, v0, s[6:7]
	v_and_or_b32 v1, v3, s74, v1
	v_lshl_or_b32 v17, v0, 7, v1
.LBB260_429:                            ;   in Loop: Header=BB260_12 Depth=1
	s_or_b64 exec, exec, s[62:63]
.LBB260_430:                            ;   in Loop: Header=BB260_12 Depth=1
	s_or_b64 exec, exec, s[60:61]
.LBB260_431:                            ;   in Loop: Header=BB260_12 Depth=1
	s_or_b64 exec, exec, s[58:59]
	v_lshrrev_b16_e32 v4, 8, v38
	v_cmp_ne_u16_e64 s[6:7], 0, v4
	s_and_saveexec_b64 s[58:59], s[6:7]
	s_cbranch_execz .LBB260_437
; %bb.432:                              ;   in Loop: Header=BB260_12 Depth=1
	v_cmp_ne_u16_e64 s[6:7], s72, v4
	v_bfrev_b32_e32 v127, 1
	s_and_saveexec_b64 s[60:61], s[6:7]
	s_cbranch_execz .LBB260_436
; %bb.433:                              ;   in Loop: Header=BB260_12 Depth=1
	v_and_b32_e32 v0, 0x7f, v4
	v_cmp_ne_u32_e64 s[6:7], s73, v0
	v_mov_b32_e32 v127, 0x7c010000
	s_and_saveexec_b64 s[62:63], s[6:7]
	s_cbranch_execz .LBB260_435
; %bb.434:                              ;   in Loop: Header=BB260_12 Depth=1
	v_and_b32_e32 v2, 7, v4
	v_lshrrev_b32_e32 v3, 3, v0
	v_cmp_gt_u32_e64 s[6:7], 8, v0
	v_ffbh_u32_e32 v0, v2
	v_min_u32_e32 v7, 32, v0
	v_subrev_u32_e32 v0, 28, v7
	v_lshlrev_b64 v[0:1], v0, v[4:5]
	v_sub_u32_e32 v1, 29, v7
	v_cndmask_b32_e64 v1, v3, v1, s[6:7]
	v_lshlrev_b32_e32 v3, 8, v4
	v_mov_b32_e32 v4, 0x2000
	v_lshl_add_u32 v1, v1, 10, v4
	v_and_b32_e32 v0, 7, v0
	v_and_or_b32 v1, v3, s74, v1
	v_cndmask_b32_e64 v0, v2, v0, s[6:7]
	v_lshlrev_b32_e32 v1, 16, v1
	v_lshl_or_b32 v127, v0, 23, v1
.LBB260_435:                            ;   in Loop: Header=BB260_12 Depth=1
	s_or_b64 exec, exec, s[62:63]
.LBB260_436:                            ;   in Loop: Header=BB260_12 Depth=1
	s_or_b64 exec, exec, s[60:61]
.LBB260_437:                            ;   in Loop: Header=BB260_12 Depth=1
	s_or_b64 exec, exec, s[58:59]
	v_lshrrev_b32_e32 v4, 16, v38
	v_cmp_ne_u16_sdwa s[6:7], v4, v5 src0_sel:BYTE_0 src1_sel:DWORD
	v_mov_b32_e32 v13, 0
	v_mov_b32_e32 v1, 0
	s_and_saveexec_b64 s[58:59], s[6:7]
	s_cbranch_execz .LBB260_443
; %bb.438:                              ;   in Loop: Header=BB260_12 Depth=1
	v_cmp_ne_u16_sdwa s[6:7], v4, s72 src0_sel:BYTE_0 src1_sel:DWORD
	v_mov_b32_e32 v1, 0x8000
	s_and_saveexec_b64 s[60:61], s[6:7]
	s_cbranch_execz .LBB260_442
; %bb.439:                              ;   in Loop: Header=BB260_12 Depth=1
	v_bfe_u32 v0, v38, 16, 7
	v_cmp_ne_u32_e64 s[6:7], s73, v0
	v_mov_b32_e32 v1, 0x7c01
	s_and_saveexec_b64 s[62:63], s[6:7]
	s_cbranch_execz .LBB260_441
; %bb.440:                              ;   in Loop: Header=BB260_12 Depth=1
	v_and_b32_e32 v2, 7, v4
	v_lshrrev_b32_e32 v3, 3, v0
	v_cmp_gt_u32_e64 s[6:7], 8, v0
	v_ffbh_u32_e32 v0, v2
	v_min_u32_e32 v7, 32, v0
	v_subrev_u32_e32 v0, 28, v7
	v_lshlrev_b64 v[0:1], v0, v[4:5]
	v_sub_u32_e32 v1, 29, v7
	v_cndmask_b32_e64 v1, v3, v1, s[6:7]
	v_lshlrev_b32_e32 v3, 8, v4
	v_mov_b32_e32 v4, 0x2000
	v_lshl_add_u32 v1, v1, 10, v4
	v_and_b32_e32 v0, 7, v0
	v_and_b32_e32 v1, 0xfc00, v1
	v_cndmask_b32_e64 v0, v2, v0, s[6:7]
	v_and_or_b32 v1, v3, s74, v1
	v_lshl_or_b32 v1, v0, 7, v1
.LBB260_441:                            ;   in Loop: Header=BB260_12 Depth=1
	s_or_b64 exec, exec, s[62:63]
.LBB260_442:                            ;   in Loop: Header=BB260_12 Depth=1
	s_or_b64 exec, exec, s[60:61]
.LBB260_443:                            ;   in Loop: Header=BB260_12 Depth=1
	s_or_b64 exec, exec, s[58:59]
	v_cmp_lt_u32_e64 s[6:7], s75, v38
	s_and_saveexec_b64 s[58:59], s[6:7]
	s_cbranch_execz .LBB260_449
; %bb.444:                              ;   in Loop: Header=BB260_12 Depth=1
	v_lshrrev_b32_e32 v4, 24, v38
	v_cmp_ne_u32_e64 s[6:7], s72, v4
	v_bfrev_b32_e32 v13, 1
	s_and_saveexec_b64 s[60:61], s[6:7]
	s_cbranch_execz .LBB260_448
; %bb.445:                              ;   in Loop: Header=BB260_12 Depth=1
	v_and_b32_e32 v0, 0x7f, v4
	v_cmp_ne_u32_e64 s[6:7], s73, v0
	v_mov_b32_e32 v13, 0x7c010000
	s_and_saveexec_b64 s[62:63], s[6:7]
	s_cbranch_execz .LBB260_447
; %bb.446:                              ;   in Loop: Header=BB260_12 Depth=1
	v_and_b32_e32 v7, 7, v4
	v_lshrrev_b32_e32 v8, 3, v0
	v_cmp_gt_u32_e64 s[6:7], 8, v0
	v_ffbh_u32_e32 v0, v7
	v_min_u32_e32 v0, 32, v0
	v_subrev_u32_e32 v2, 28, v0
	v_lshlrev_b64 v[2:3], v2, v[4:5]
	v_sub_u32_e32 v0, 29, v0
	v_cndmask_b32_e64 v0, v8, v0, s[6:7]
	v_lshlrev_b32_e32 v3, 8, v4
	v_mov_b32_e32 v4, 0x2000
	v_lshl_add_u32 v0, v0, 10, v4
	v_and_b32_e32 v2, 7, v2
	v_and_or_b32 v0, v3, s74, v0
	v_cndmask_b32_e64 v2, v7, v2, s[6:7]
	v_lshlrev_b32_e32 v0, 16, v0
	v_lshl_or_b32 v13, v2, 23, v0
.LBB260_447:                            ;   in Loop: Header=BB260_12 Depth=1
	s_or_b64 exec, exec, s[62:63]
.LBB260_448:                            ;   in Loop: Header=BB260_12 Depth=1
	s_or_b64 exec, exec, s[60:61]
.LBB260_449:                            ;   in Loop: Header=BB260_12 Depth=1
	s_or_b64 exec, exec, s[58:59]
	scratch_load_dwordx2 v[2:3], off, s32 offset:200 ; 8-byte Folded Reload
	v_lshl_add_u64 v[38:39], v[36:37], 0, s[26:27]
	v_mov_b32_e32 v16, 0
	v_mov_b32_e32 v11, 0
	s_waitcnt vmcnt(0)
	v_lshl_add_u64 v[2:3], v[38:39], 0, v[2:3]
	flat_load_dword v48, v[2:3]
	s_waitcnt vmcnt(0) lgkmcnt(0)
	v_cmp_ne_u16_sdwa s[6:7], v48, v5 src0_sel:BYTE_0 src1_sel:DWORD
	s_and_saveexec_b64 s[58:59], s[6:7]
	s_cbranch_execz .LBB260_455
; %bb.450:                              ;   in Loop: Header=BB260_12 Depth=1
	v_cmp_ne_u16_sdwa s[6:7], v48, s72 src0_sel:BYTE_0 src1_sel:DWORD
	v_mov_b32_e32 v11, 0x8000
	s_and_saveexec_b64 s[60:61], s[6:7]
	s_cbranch_execz .LBB260_454
; %bb.451:                              ;   in Loop: Header=BB260_12 Depth=1
	v_and_b32_e32 v0, 0x7f, v48
	v_cmp_ne_u32_e64 s[6:7], s73, v0
	v_mov_b32_e32 v11, 0x7c01
	s_and_saveexec_b64 s[62:63], s[6:7]
	s_cbranch_execz .LBB260_453
; %bb.452:                              ;   in Loop: Header=BB260_12 Depth=1
	v_and_b32_e32 v4, 7, v48
	v_lshrrev_b32_e32 v7, 3, v0
	v_cmp_gt_u32_e64 s[6:7], 8, v0
	v_ffbh_u32_e32 v0, v4
	v_min_u32_e32 v0, 32, v0
	v_subrev_u32_e32 v2, 28, v0
	v_sub_u32_e32 v0, 29, v0
	v_cndmask_b32_e64 v0, v7, v0, s[6:7]
	v_mov_b32_e32 v7, 0x2000
	v_lshlrev_b64 v[2:3], v2, v[48:49]
	v_lshl_add_u32 v0, v0, 10, v7
	v_lshlrev_b32_e32 v3, 8, v48
	v_and_b32_e32 v2, 7, v2
	v_and_b32_e32 v0, 0xfc00, v0
	v_cndmask_b32_e64 v2, v4, v2, s[6:7]
	v_and_or_b32 v0, v3, s74, v0
	v_lshl_or_b32 v11, v2, 7, v0
.LBB260_453:                            ;   in Loop: Header=BB260_12 Depth=1
	s_or_b64 exec, exec, s[62:63]
.LBB260_454:                            ;   in Loop: Header=BB260_12 Depth=1
	s_or_b64 exec, exec, s[60:61]
.LBB260_455:                            ;   in Loop: Header=BB260_12 Depth=1
	s_or_b64 exec, exec, s[58:59]
	v_lshrrev_b16_e32 v4, 8, v48
	v_cmp_ne_u16_e64 s[6:7], 0, v4
	s_and_saveexec_b64 s[58:59], s[6:7]
	s_cbranch_execz .LBB260_461
; %bb.456:                              ;   in Loop: Header=BB260_12 Depth=1
	v_cmp_ne_u16_e64 s[6:7], s72, v4
	v_bfrev_b32_e32 v16, 1
	s_and_saveexec_b64 s[60:61], s[6:7]
	s_cbranch_execz .LBB260_460
; %bb.457:                              ;   in Loop: Header=BB260_12 Depth=1
	v_and_b32_e32 v0, 0x7f, v4
	v_cmp_ne_u32_e64 s[6:7], s73, v0
	v_mov_b32_e32 v16, 0x7c010000
	s_and_saveexec_b64 s[62:63], s[6:7]
	s_cbranch_execz .LBB260_459
; %bb.458:                              ;   in Loop: Header=BB260_12 Depth=1
	v_and_b32_e32 v7, 7, v4
	v_lshrrev_b32_e32 v8, 3, v0
	v_cmp_gt_u32_e64 s[6:7], 8, v0
	v_ffbh_u32_e32 v0, v7
	v_min_u32_e32 v0, 32, v0
	v_subrev_u32_e32 v2, 28, v0
	v_lshlrev_b64 v[2:3], v2, v[4:5]
	v_sub_u32_e32 v0, 29, v0
	v_cndmask_b32_e64 v0, v8, v0, s[6:7]
	v_lshlrev_b32_e32 v3, 8, v4
	v_mov_b32_e32 v4, 0x2000
	v_lshl_add_u32 v0, v0, 10, v4
	v_and_b32_e32 v2, 7, v2
	v_and_or_b32 v0, v3, s74, v0
	v_cndmask_b32_e64 v2, v7, v2, s[6:7]
	v_lshlrev_b32_e32 v0, 16, v0
	v_lshl_or_b32 v16, v2, 23, v0
.LBB260_459:                            ;   in Loop: Header=BB260_12 Depth=1
	s_or_b64 exec, exec, s[62:63]
.LBB260_460:                            ;   in Loop: Header=BB260_12 Depth=1
	s_or_b64 exec, exec, s[60:61]
.LBB260_461:                            ;   in Loop: Header=BB260_12 Depth=1
	s_or_b64 exec, exec, s[58:59]
	v_lshrrev_b32_e32 v4, 16, v48
	v_cmp_ne_u16_sdwa s[6:7], v4, v5 src0_sel:BYTE_0 src1_sel:DWORD
	v_mov_b32_e32 v15, 0
	v_mov_b32_e32 v54, 0
	s_and_saveexec_b64 s[58:59], s[6:7]
	s_cbranch_execz .LBB260_467
; %bb.462:                              ;   in Loop: Header=BB260_12 Depth=1
	v_cmp_ne_u16_sdwa s[6:7], v4, s72 src0_sel:BYTE_0 src1_sel:DWORD
	v_mov_b32_e32 v54, 0x8000
	s_and_saveexec_b64 s[60:61], s[6:7]
	s_cbranch_execz .LBB260_466
; %bb.463:                              ;   in Loop: Header=BB260_12 Depth=1
	v_bfe_u32 v0, v48, 16, 7
	v_cmp_ne_u32_e64 s[6:7], s73, v0
	v_mov_b32_e32 v54, 0x7c01
	s_and_saveexec_b64 s[62:63], s[6:7]
	s_cbranch_execz .LBB260_465
; %bb.464:                              ;   in Loop: Header=BB260_12 Depth=1
	v_and_b32_e32 v7, 7, v4
	v_lshrrev_b32_e32 v8, 3, v0
	v_cmp_gt_u32_e64 s[6:7], 8, v0
	v_ffbh_u32_e32 v0, v7
	v_min_u32_e32 v0, 32, v0
	v_subrev_u32_e32 v2, 28, v0
	v_lshlrev_b64 v[2:3], v2, v[4:5]
	v_sub_u32_e32 v0, 29, v0
	v_cndmask_b32_e64 v0, v8, v0, s[6:7]
	v_lshlrev_b32_e32 v3, 8, v4
	v_mov_b32_e32 v4, 0x2000
	v_lshl_add_u32 v0, v0, 10, v4
	v_and_b32_e32 v2, 7, v2
	v_and_b32_e32 v0, 0xfc00, v0
	v_cndmask_b32_e64 v2, v7, v2, s[6:7]
	v_and_or_b32 v0, v3, s74, v0
	v_lshl_or_b32 v54, v2, 7, v0
.LBB260_465:                            ;   in Loop: Header=BB260_12 Depth=1
	s_or_b64 exec, exec, s[62:63]
.LBB260_466:                            ;   in Loop: Header=BB260_12 Depth=1
	s_or_b64 exec, exec, s[60:61]
.LBB260_467:                            ;   in Loop: Header=BB260_12 Depth=1
	s_or_b64 exec, exec, s[58:59]
	v_cmp_lt_u32_e64 s[6:7], s75, v48
	s_and_saveexec_b64 s[58:59], s[6:7]
	s_cbranch_execz .LBB260_473
; %bb.468:                              ;   in Loop: Header=BB260_12 Depth=1
	v_lshrrev_b32_e32 v4, 24, v48
	v_cmp_ne_u32_e64 s[6:7], s72, v4
	v_bfrev_b32_e32 v15, 1
	s_and_saveexec_b64 s[60:61], s[6:7]
	s_cbranch_execz .LBB260_472
; %bb.469:                              ;   in Loop: Header=BB260_12 Depth=1
	v_and_b32_e32 v0, 0x7f, v4
	v_cmp_ne_u32_e64 s[6:7], s73, v0
	v_mov_b32_e32 v15, 0x7c010000
	s_and_saveexec_b64 s[62:63], s[6:7]
	s_cbranch_execz .LBB260_471
; %bb.470:                              ;   in Loop: Header=BB260_12 Depth=1
	v_and_b32_e32 v7, 7, v4
	v_lshrrev_b32_e32 v8, 3, v0
	v_cmp_gt_u32_e64 s[6:7], 8, v0
	v_ffbh_u32_e32 v0, v7
	v_min_u32_e32 v0, 32, v0
	v_subrev_u32_e32 v2, 28, v0
	v_lshlrev_b64 v[2:3], v2, v[4:5]
	v_sub_u32_e32 v0, 29, v0
	v_cndmask_b32_e64 v0, v8, v0, s[6:7]
	v_lshlrev_b32_e32 v3, 8, v4
	v_mov_b32_e32 v4, 0x2000
	v_lshl_add_u32 v0, v0, 10, v4
	v_and_b32_e32 v2, 7, v2
	v_and_or_b32 v0, v3, s74, v0
	v_cndmask_b32_e64 v2, v7, v2, s[6:7]
	v_lshlrev_b32_e32 v0, 16, v0
	v_lshl_or_b32 v15, v2, 23, v0
.LBB260_471:                            ;   in Loop: Header=BB260_12 Depth=1
	s_or_b64 exec, exec, s[62:63]
.LBB260_472:                            ;   in Loop: Header=BB260_12 Depth=1
	s_or_b64 exec, exec, s[60:61]
.LBB260_473:                            ;   in Loop: Header=BB260_12 Depth=1
	s_or_b64 exec, exec, s[58:59]
	scratch_load_dwordx2 v[2:3], off, s32 offset:208 ; 8-byte Folded Reload
	v_mov_b32_e32 v20, 0
	v_mov_b32_e32 v51, 0
	s_waitcnt vmcnt(0)
	v_lshl_add_u64 v[2:3], v[38:39], 0, v[2:3]
	flat_load_dword v38, v[2:3]
	s_waitcnt vmcnt(0) lgkmcnt(0)
	v_cmp_ne_u16_sdwa s[6:7], v38, v5 src0_sel:BYTE_0 src1_sel:DWORD
	s_and_saveexec_b64 s[58:59], s[6:7]
	s_cbranch_execz .LBB260_479
; %bb.474:                              ;   in Loop: Header=BB260_12 Depth=1
	v_cmp_ne_u16_sdwa s[6:7], v38, s72 src0_sel:BYTE_0 src1_sel:DWORD
	v_mov_b32_e32 v51, 0x8000
	s_and_saveexec_b64 s[60:61], s[6:7]
	s_cbranch_execz .LBB260_478
; %bb.475:                              ;   in Loop: Header=BB260_12 Depth=1
	v_and_b32_e32 v0, 0x7f, v38
	v_cmp_ne_u32_e64 s[6:7], s73, v0
	v_mov_b32_e32 v51, 0x7c01
	s_and_saveexec_b64 s[62:63], s[6:7]
	s_cbranch_execz .LBB260_477
; %bb.476:                              ;   in Loop: Header=BB260_12 Depth=1
	v_and_b32_e32 v4, 7, v38
	v_lshrrev_b32_e32 v7, 3, v0
	v_cmp_gt_u32_e64 s[6:7], 8, v0
	v_ffbh_u32_e32 v0, v4
	v_min_u32_e32 v0, 32, v0
	v_subrev_u32_e32 v2, 28, v0
	v_sub_u32_e32 v0, 29, v0
	v_cndmask_b32_e64 v0, v7, v0, s[6:7]
	v_mov_b32_e32 v7, 0x2000
	v_lshlrev_b64 v[2:3], v2, v[38:39]
	v_lshl_add_u32 v0, v0, 10, v7
	v_lshlrev_b32_e32 v3, 8, v38
	v_and_b32_e32 v2, 7, v2
	v_and_b32_e32 v0, 0xfc00, v0
	v_cndmask_b32_e64 v2, v4, v2, s[6:7]
	v_and_or_b32 v0, v3, s74, v0
	v_lshl_or_b32 v51, v2, 7, v0
.LBB260_477:                            ;   in Loop: Header=BB260_12 Depth=1
	s_or_b64 exec, exec, s[62:63]
.LBB260_478:                            ;   in Loop: Header=BB260_12 Depth=1
	s_or_b64 exec, exec, s[60:61]
.LBB260_479:                            ;   in Loop: Header=BB260_12 Depth=1
	s_or_b64 exec, exec, s[58:59]
	v_lshrrev_b16_e32 v4, 8, v38
	v_cmp_ne_u16_e64 s[6:7], 0, v4
	s_and_saveexec_b64 s[58:59], s[6:7]
	s_cbranch_execz .LBB260_485
; %bb.480:                              ;   in Loop: Header=BB260_12 Depth=1
	v_cmp_ne_u16_e64 s[6:7], s72, v4
	v_bfrev_b32_e32 v20, 1
	s_and_saveexec_b64 s[60:61], s[6:7]
	s_cbranch_execz .LBB260_484
; %bb.481:                              ;   in Loop: Header=BB260_12 Depth=1
	v_and_b32_e32 v0, 0x7f, v4
	v_cmp_ne_u32_e64 s[6:7], s73, v0
	v_mov_b32_e32 v20, 0x7c010000
	s_and_saveexec_b64 s[62:63], s[6:7]
	s_cbranch_execz .LBB260_483
; %bb.482:                              ;   in Loop: Header=BB260_12 Depth=1
	v_and_b32_e32 v7, 7, v4
	v_lshrrev_b32_e32 v8, 3, v0
	v_cmp_gt_u32_e64 s[6:7], 8, v0
	v_ffbh_u32_e32 v0, v7
	v_min_u32_e32 v0, 32, v0
	v_subrev_u32_e32 v2, 28, v0
	v_lshlrev_b64 v[2:3], v2, v[4:5]
	v_sub_u32_e32 v0, 29, v0
	v_cndmask_b32_e64 v0, v8, v0, s[6:7]
	v_lshlrev_b32_e32 v3, 8, v4
	v_mov_b32_e32 v4, 0x2000
	v_lshl_add_u32 v0, v0, 10, v4
	v_and_b32_e32 v2, 7, v2
	v_and_or_b32 v0, v3, s74, v0
	v_cndmask_b32_e64 v2, v7, v2, s[6:7]
	v_lshlrev_b32_e32 v0, 16, v0
	v_lshl_or_b32 v20, v2, 23, v0
.LBB260_483:                            ;   in Loop: Header=BB260_12 Depth=1
	s_or_b64 exec, exec, s[62:63]
.LBB260_484:                            ;   in Loop: Header=BB260_12 Depth=1
	s_or_b64 exec, exec, s[60:61]
.LBB260_485:                            ;   in Loop: Header=BB260_12 Depth=1
	s_or_b64 exec, exec, s[58:59]
	v_lshrrev_b32_e32 v4, 16, v38
	v_cmp_ne_u16_sdwa s[6:7], v4, v5 src0_sel:BYTE_0 src1_sel:DWORD
	v_mov_b32_e32 v86, 0
	v_mov_b32_e32 v69, 0
	s_and_saveexec_b64 s[58:59], s[6:7]
	s_cbranch_execz .LBB260_491
; %bb.486:                              ;   in Loop: Header=BB260_12 Depth=1
	v_cmp_ne_u16_sdwa s[6:7], v4, s72 src0_sel:BYTE_0 src1_sel:DWORD
	v_mov_b32_e32 v69, 0x8000
	s_and_saveexec_b64 s[60:61], s[6:7]
	s_cbranch_execz .LBB260_490
; %bb.487:                              ;   in Loop: Header=BB260_12 Depth=1
	v_bfe_u32 v0, v38, 16, 7
	v_cmp_ne_u32_e64 s[6:7], s73, v0
	v_mov_b32_e32 v69, 0x7c01
	s_and_saveexec_b64 s[62:63], s[6:7]
	s_cbranch_execz .LBB260_489
; %bb.488:                              ;   in Loop: Header=BB260_12 Depth=1
	v_and_b32_e32 v7, 7, v4
	v_lshrrev_b32_e32 v8, 3, v0
	v_cmp_gt_u32_e64 s[6:7], 8, v0
	v_ffbh_u32_e32 v0, v7
	v_min_u32_e32 v0, 32, v0
	v_subrev_u32_e32 v2, 28, v0
	v_lshlrev_b64 v[2:3], v2, v[4:5]
	v_sub_u32_e32 v0, 29, v0
	v_cndmask_b32_e64 v0, v8, v0, s[6:7]
	v_lshlrev_b32_e32 v3, 8, v4
	v_mov_b32_e32 v4, 0x2000
	v_lshl_add_u32 v0, v0, 10, v4
	v_and_b32_e32 v2, 7, v2
	v_and_b32_e32 v0, 0xfc00, v0
	v_cndmask_b32_e64 v2, v7, v2, s[6:7]
	v_and_or_b32 v0, v3, s74, v0
	v_lshl_or_b32 v69, v2, 7, v0
.LBB260_489:                            ;   in Loop: Header=BB260_12 Depth=1
	s_or_b64 exec, exec, s[62:63]
.LBB260_490:                            ;   in Loop: Header=BB260_12 Depth=1
	s_or_b64 exec, exec, s[60:61]
.LBB260_491:                            ;   in Loop: Header=BB260_12 Depth=1
	s_or_b64 exec, exec, s[58:59]
	v_cmp_lt_u32_e64 s[6:7], s75, v38
	s_and_saveexec_b64 s[58:59], s[6:7]
	s_cbranch_execz .LBB260_497
; %bb.492:                              ;   in Loop: Header=BB260_12 Depth=1
	v_lshrrev_b32_e32 v4, 24, v38
	v_cmp_ne_u32_e64 s[6:7], s72, v4
	v_bfrev_b32_e32 v86, 1
	s_and_saveexec_b64 s[60:61], s[6:7]
	s_cbranch_execz .LBB260_496
; %bb.493:                              ;   in Loop: Header=BB260_12 Depth=1
	v_and_b32_e32 v0, 0x7f, v4
	v_cmp_ne_u32_e64 s[6:7], s73, v0
	v_mov_b32_e32 v86, 0x7c010000
	s_and_saveexec_b64 s[62:63], s[6:7]
	s_cbranch_execz .LBB260_495
; %bb.494:                              ;   in Loop: Header=BB260_12 Depth=1
	v_and_b32_e32 v7, 7, v4
	v_lshrrev_b32_e32 v8, 3, v0
	v_cmp_gt_u32_e64 s[6:7], 8, v0
	v_ffbh_u32_e32 v0, v7
	v_min_u32_e32 v0, 32, v0
	v_subrev_u32_e32 v2, 28, v0
	v_lshlrev_b64 v[2:3], v2, v[4:5]
	v_sub_u32_e32 v0, 29, v0
	v_cndmask_b32_e64 v0, v8, v0, s[6:7]
	v_lshlrev_b32_e32 v3, 8, v4
	v_mov_b32_e32 v4, 0x2000
	v_lshl_add_u32 v0, v0, 10, v4
	v_and_b32_e32 v2, 7, v2
	v_and_or_b32 v0, v3, s74, v0
	v_cndmask_b32_e64 v2, v7, v2, s[6:7]
	v_lshlrev_b32_e32 v0, 16, v0
	v_lshl_or_b32 v86, v2, 23, v0
.LBB260_495:                            ;   in Loop: Header=BB260_12 Depth=1
	s_or_b64 exec, exec, s[62:63]
.LBB260_496:                            ;   in Loop: Header=BB260_12 Depth=1
	s_or_b64 exec, exec, s[60:61]
.LBB260_497:                            ;   in Loop: Header=BB260_12 Depth=1
	s_or_b64 exec, exec, s[58:59]
	scratch_load_dwordx2 v[2:3], off, s32 offset:200 ; 8-byte Folded Reload
	v_lshl_add_u64 v[38:39], v[36:37], 0, s[28:29]
	v_mov_b32_e32 v40, 0
	v_mov_b32_e32 v42, 0
	s_waitcnt vmcnt(0)
	v_lshl_add_u64 v[2:3], v[38:39], 0, v[2:3]
	flat_load_dword v48, v[2:3]
	s_waitcnt vmcnt(0) lgkmcnt(0)
	v_cmp_ne_u16_sdwa s[6:7], v48, v5 src0_sel:BYTE_0 src1_sel:DWORD
	s_and_saveexec_b64 s[58:59], s[6:7]
	s_cbranch_execz .LBB260_503
; %bb.498:                              ;   in Loop: Header=BB260_12 Depth=1
	v_cmp_ne_u16_sdwa s[6:7], v48, s72 src0_sel:BYTE_0 src1_sel:DWORD
	v_mov_b32_e32 v42, 0x8000
	s_and_saveexec_b64 s[60:61], s[6:7]
	s_cbranch_execz .LBB260_502
; %bb.499:                              ;   in Loop: Header=BB260_12 Depth=1
	v_and_b32_e32 v0, 0x7f, v48
	v_cmp_ne_u32_e64 s[6:7], s73, v0
	v_mov_b32_e32 v42, 0x7c01
	s_and_saveexec_b64 s[62:63], s[6:7]
	s_cbranch_execz .LBB260_501
; %bb.500:                              ;   in Loop: Header=BB260_12 Depth=1
	v_and_b32_e32 v4, 7, v48
	v_lshrrev_b32_e32 v7, 3, v0
	v_cmp_gt_u32_e64 s[6:7], 8, v0
	v_ffbh_u32_e32 v0, v4
	v_min_u32_e32 v0, 32, v0
	v_subrev_u32_e32 v2, 28, v0
	v_sub_u32_e32 v0, 29, v0
	v_cndmask_b32_e64 v0, v7, v0, s[6:7]
	v_mov_b32_e32 v7, 0x2000
	v_lshlrev_b64 v[2:3], v2, v[48:49]
	v_lshl_add_u32 v0, v0, 10, v7
	v_lshlrev_b32_e32 v3, 8, v48
	v_and_b32_e32 v2, 7, v2
	v_and_b32_e32 v0, 0xfc00, v0
	v_cndmask_b32_e64 v2, v4, v2, s[6:7]
	v_and_or_b32 v0, v3, s74, v0
	v_lshl_or_b32 v42, v2, 7, v0
.LBB260_501:                            ;   in Loop: Header=BB260_12 Depth=1
	s_or_b64 exec, exec, s[62:63]
.LBB260_502:                            ;   in Loop: Header=BB260_12 Depth=1
	s_or_b64 exec, exec, s[60:61]
.LBB260_503:                            ;   in Loop: Header=BB260_12 Depth=1
	s_or_b64 exec, exec, s[58:59]
	v_lshrrev_b16_e32 v4, 8, v48
	v_cmp_ne_u16_e64 s[6:7], 0, v4
	s_and_saveexec_b64 s[58:59], s[6:7]
	s_cbranch_execz .LBB260_509
; %bb.504:                              ;   in Loop: Header=BB260_12 Depth=1
	v_cmp_ne_u16_e64 s[6:7], s72, v4
	v_bfrev_b32_e32 v40, 1
	s_and_saveexec_b64 s[60:61], s[6:7]
	s_cbranch_execz .LBB260_508
; %bb.505:                              ;   in Loop: Header=BB260_12 Depth=1
	v_and_b32_e32 v0, 0x7f, v4
	v_cmp_ne_u32_e64 s[6:7], s73, v0
	v_mov_b32_e32 v40, 0x7c010000
	s_and_saveexec_b64 s[62:63], s[6:7]
	s_cbranch_execz .LBB260_507
; %bb.506:                              ;   in Loop: Header=BB260_12 Depth=1
	v_and_b32_e32 v7, 7, v4
	v_lshrrev_b32_e32 v8, 3, v0
	v_cmp_gt_u32_e64 s[6:7], 8, v0
	v_ffbh_u32_e32 v0, v7
	v_min_u32_e32 v0, 32, v0
	v_subrev_u32_e32 v2, 28, v0
	v_lshlrev_b64 v[2:3], v2, v[4:5]
	v_sub_u32_e32 v0, 29, v0
	v_cndmask_b32_e64 v0, v8, v0, s[6:7]
	v_lshlrev_b32_e32 v3, 8, v4
	v_mov_b32_e32 v4, 0x2000
	v_lshl_add_u32 v0, v0, 10, v4
	v_and_b32_e32 v2, 7, v2
	v_and_or_b32 v0, v3, s74, v0
	v_cndmask_b32_e64 v2, v7, v2, s[6:7]
	v_lshlrev_b32_e32 v0, 16, v0
	v_lshl_or_b32 v40, v2, 23, v0
.LBB260_507:                            ;   in Loop: Header=BB260_12 Depth=1
	s_or_b64 exec, exec, s[62:63]
.LBB260_508:                            ;   in Loop: Header=BB260_12 Depth=1
	s_or_b64 exec, exec, s[60:61]
.LBB260_509:                            ;   in Loop: Header=BB260_12 Depth=1
	s_or_b64 exec, exec, s[58:59]
	v_lshrrev_b32_e32 v4, 16, v48
	v_cmp_ne_u16_sdwa s[6:7], v4, v5 src0_sel:BYTE_0 src1_sel:DWORD
	v_mov_b32_e32 v62, 0
	v_mov_b32_e32 v83, 0
	s_and_saveexec_b64 s[58:59], s[6:7]
	s_cbranch_execz .LBB260_515
; %bb.510:                              ;   in Loop: Header=BB260_12 Depth=1
	v_cmp_ne_u16_sdwa s[6:7], v4, s72 src0_sel:BYTE_0 src1_sel:DWORD
	v_mov_b32_e32 v83, 0x8000
	s_and_saveexec_b64 s[60:61], s[6:7]
	s_cbranch_execz .LBB260_514
; %bb.511:                              ;   in Loop: Header=BB260_12 Depth=1
	v_bfe_u32 v0, v48, 16, 7
	v_cmp_ne_u32_e64 s[6:7], s73, v0
	v_mov_b32_e32 v83, 0x7c01
	s_and_saveexec_b64 s[62:63], s[6:7]
	s_cbranch_execz .LBB260_513
; %bb.512:                              ;   in Loop: Header=BB260_12 Depth=1
	v_and_b32_e32 v7, 7, v4
	v_lshrrev_b32_e32 v8, 3, v0
	v_cmp_gt_u32_e64 s[6:7], 8, v0
	v_ffbh_u32_e32 v0, v7
	v_min_u32_e32 v0, 32, v0
	v_subrev_u32_e32 v2, 28, v0
	v_lshlrev_b64 v[2:3], v2, v[4:5]
	v_sub_u32_e32 v0, 29, v0
	v_cndmask_b32_e64 v0, v8, v0, s[6:7]
	v_lshlrev_b32_e32 v3, 8, v4
	v_mov_b32_e32 v4, 0x2000
	v_lshl_add_u32 v0, v0, 10, v4
	v_and_b32_e32 v2, 7, v2
	v_and_b32_e32 v0, 0xfc00, v0
	v_cndmask_b32_e64 v2, v7, v2, s[6:7]
	v_and_or_b32 v0, v3, s74, v0
	v_lshl_or_b32 v83, v2, 7, v0
.LBB260_513:                            ;   in Loop: Header=BB260_12 Depth=1
	s_or_b64 exec, exec, s[62:63]
.LBB260_514:                            ;   in Loop: Header=BB260_12 Depth=1
	s_or_b64 exec, exec, s[60:61]
.LBB260_515:                            ;   in Loop: Header=BB260_12 Depth=1
	s_or_b64 exec, exec, s[58:59]
	v_cmp_lt_u32_e64 s[6:7], s75, v48
	s_and_saveexec_b64 s[58:59], s[6:7]
	s_cbranch_execz .LBB260_521
; %bb.516:                              ;   in Loop: Header=BB260_12 Depth=1
	v_lshrrev_b32_e32 v4, 24, v48
	v_cmp_ne_u32_e64 s[6:7], s72, v4
	v_bfrev_b32_e32 v62, 1
	s_and_saveexec_b64 s[60:61], s[6:7]
	s_cbranch_execz .LBB260_520
; %bb.517:                              ;   in Loop: Header=BB260_12 Depth=1
	v_and_b32_e32 v0, 0x7f, v4
	v_cmp_ne_u32_e64 s[6:7], s73, v0
	v_mov_b32_e32 v62, 0x7c010000
	s_and_saveexec_b64 s[62:63], s[6:7]
	s_cbranch_execz .LBB260_519
; %bb.518:                              ;   in Loop: Header=BB260_12 Depth=1
	v_and_b32_e32 v7, 7, v4
	v_lshrrev_b32_e32 v8, 3, v0
	v_cmp_gt_u32_e64 s[6:7], 8, v0
	v_ffbh_u32_e32 v0, v7
	v_min_u32_e32 v0, 32, v0
	v_subrev_u32_e32 v2, 28, v0
	v_lshlrev_b64 v[2:3], v2, v[4:5]
	v_sub_u32_e32 v0, 29, v0
	v_cndmask_b32_e64 v0, v8, v0, s[6:7]
	v_lshlrev_b32_e32 v3, 8, v4
	v_mov_b32_e32 v4, 0x2000
	v_lshl_add_u32 v0, v0, 10, v4
	v_and_b32_e32 v2, 7, v2
	v_and_or_b32 v0, v3, s74, v0
	v_cndmask_b32_e64 v2, v7, v2, s[6:7]
	v_lshlrev_b32_e32 v0, 16, v0
	v_lshl_or_b32 v62, v2, 23, v0
.LBB260_519:                            ;   in Loop: Header=BB260_12 Depth=1
	s_or_b64 exec, exec, s[62:63]
.LBB260_520:                            ;   in Loop: Header=BB260_12 Depth=1
	s_or_b64 exec, exec, s[60:61]
.LBB260_521:                            ;   in Loop: Header=BB260_12 Depth=1
	s_or_b64 exec, exec, s[58:59]
	scratch_load_dwordx2 v[2:3], off, s32 offset:208 ; 8-byte Folded Reload
	v_mov_b32_e32 v27, 0
	v_mov_b32_e32 v44, 0
	s_waitcnt vmcnt(0)
	v_lshl_add_u64 v[2:3], v[38:39], 0, v[2:3]
	flat_load_dword v38, v[2:3]
	s_waitcnt vmcnt(0) lgkmcnt(0)
	v_cmp_ne_u16_sdwa s[6:7], v38, v5 src0_sel:BYTE_0 src1_sel:DWORD
	s_and_saveexec_b64 s[58:59], s[6:7]
	s_cbranch_execz .LBB260_527
; %bb.522:                              ;   in Loop: Header=BB260_12 Depth=1
	v_cmp_ne_u16_sdwa s[6:7], v38, s72 src0_sel:BYTE_0 src1_sel:DWORD
	v_mov_b32_e32 v44, 0x8000
	s_and_saveexec_b64 s[60:61], s[6:7]
	s_cbranch_execz .LBB260_526
; %bb.523:                              ;   in Loop: Header=BB260_12 Depth=1
	v_and_b32_e32 v0, 0x7f, v38
	v_cmp_ne_u32_e64 s[6:7], s73, v0
	v_mov_b32_e32 v44, 0x7c01
	s_and_saveexec_b64 s[62:63], s[6:7]
	s_cbranch_execz .LBB260_525
; %bb.524:                              ;   in Loop: Header=BB260_12 Depth=1
	v_and_b32_e32 v4, 7, v38
	v_lshrrev_b32_e32 v7, 3, v0
	v_cmp_gt_u32_e64 s[6:7], 8, v0
	v_ffbh_u32_e32 v0, v4
	v_min_u32_e32 v0, 32, v0
	v_subrev_u32_e32 v2, 28, v0
	v_sub_u32_e32 v0, 29, v0
	v_cndmask_b32_e64 v0, v7, v0, s[6:7]
	v_mov_b32_e32 v7, 0x2000
	v_lshlrev_b64 v[2:3], v2, v[38:39]
	v_lshl_add_u32 v0, v0, 10, v7
	v_lshlrev_b32_e32 v3, 8, v38
	v_and_b32_e32 v2, 7, v2
	v_and_b32_e32 v0, 0xfc00, v0
	v_cndmask_b32_e64 v2, v4, v2, s[6:7]
	v_and_or_b32 v0, v3, s74, v0
	v_lshl_or_b32 v44, v2, 7, v0
.LBB260_525:                            ;   in Loop: Header=BB260_12 Depth=1
	s_or_b64 exec, exec, s[62:63]
.LBB260_526:                            ;   in Loop: Header=BB260_12 Depth=1
	s_or_b64 exec, exec, s[60:61]
.LBB260_527:                            ;   in Loop: Header=BB260_12 Depth=1
	s_or_b64 exec, exec, s[58:59]
	v_lshrrev_b16_e32 v4, 8, v38
	v_cmp_ne_u16_e64 s[6:7], 0, v4
	s_and_saveexec_b64 s[58:59], s[6:7]
	s_cbranch_execz .LBB260_533
; %bb.528:                              ;   in Loop: Header=BB260_12 Depth=1
	v_cmp_ne_u16_e64 s[6:7], s72, v4
	v_bfrev_b32_e32 v27, 1
	s_and_saveexec_b64 s[60:61], s[6:7]
	s_cbranch_execz .LBB260_532
; %bb.529:                              ;   in Loop: Header=BB260_12 Depth=1
	v_and_b32_e32 v0, 0x7f, v4
	v_cmp_ne_u32_e64 s[6:7], s73, v0
	v_mov_b32_e32 v27, 0x7c010000
	s_and_saveexec_b64 s[62:63], s[6:7]
	s_cbranch_execz .LBB260_531
; %bb.530:                              ;   in Loop: Header=BB260_12 Depth=1
	v_and_b32_e32 v7, 7, v4
	v_lshrrev_b32_e32 v8, 3, v0
	v_cmp_gt_u32_e64 s[6:7], 8, v0
	v_ffbh_u32_e32 v0, v7
	v_min_u32_e32 v0, 32, v0
	v_subrev_u32_e32 v2, 28, v0
	v_lshlrev_b64 v[2:3], v2, v[4:5]
	v_sub_u32_e32 v0, 29, v0
	v_cndmask_b32_e64 v0, v8, v0, s[6:7]
	v_lshlrev_b32_e32 v3, 8, v4
	v_mov_b32_e32 v4, 0x2000
	v_lshl_add_u32 v0, v0, 10, v4
	v_and_b32_e32 v2, 7, v2
	v_and_or_b32 v0, v3, s74, v0
	v_cndmask_b32_e64 v2, v7, v2, s[6:7]
	v_lshlrev_b32_e32 v0, 16, v0
	v_lshl_or_b32 v27, v2, 23, v0
.LBB260_531:                            ;   in Loop: Header=BB260_12 Depth=1
	s_or_b64 exec, exec, s[62:63]
.LBB260_532:                            ;   in Loop: Header=BB260_12 Depth=1
	s_or_b64 exec, exec, s[60:61]
.LBB260_533:                            ;   in Loop: Header=BB260_12 Depth=1
	s_or_b64 exec, exec, s[58:59]
	v_lshrrev_b32_e32 v4, 16, v38
	v_cmp_ne_u16_sdwa s[6:7], v4, v5 src0_sel:BYTE_0 src1_sel:DWORD
	v_mov_b32_e32 v85, 0
	v_mov_b32_e32 v87, 0
	s_and_saveexec_b64 s[58:59], s[6:7]
	s_cbranch_execz .LBB260_539
; %bb.534:                              ;   in Loop: Header=BB260_12 Depth=1
	v_cmp_ne_u16_sdwa s[6:7], v4, s72 src0_sel:BYTE_0 src1_sel:DWORD
	v_mov_b32_e32 v87, 0x8000
	s_and_saveexec_b64 s[60:61], s[6:7]
	s_cbranch_execz .LBB260_538
; %bb.535:                              ;   in Loop: Header=BB260_12 Depth=1
	v_bfe_u32 v0, v38, 16, 7
	v_cmp_ne_u32_e64 s[6:7], s73, v0
	v_mov_b32_e32 v87, 0x7c01
	s_and_saveexec_b64 s[62:63], s[6:7]
	s_cbranch_execz .LBB260_537
; %bb.536:                              ;   in Loop: Header=BB260_12 Depth=1
	v_and_b32_e32 v7, 7, v4
	v_lshrrev_b32_e32 v8, 3, v0
	v_cmp_gt_u32_e64 s[6:7], 8, v0
	v_ffbh_u32_e32 v0, v7
	v_min_u32_e32 v0, 32, v0
	v_subrev_u32_e32 v2, 28, v0
	v_lshlrev_b64 v[2:3], v2, v[4:5]
	v_sub_u32_e32 v0, 29, v0
	v_cndmask_b32_e64 v0, v8, v0, s[6:7]
	v_lshlrev_b32_e32 v3, 8, v4
	v_mov_b32_e32 v4, 0x2000
	v_lshl_add_u32 v0, v0, 10, v4
	v_and_b32_e32 v2, 7, v2
	v_and_b32_e32 v0, 0xfc00, v0
	v_cndmask_b32_e64 v2, v7, v2, s[6:7]
	v_and_or_b32 v0, v3, s74, v0
	v_lshl_or_b32 v87, v2, 7, v0
.LBB260_537:                            ;   in Loop: Header=BB260_12 Depth=1
	s_or_b64 exec, exec, s[62:63]
.LBB260_538:                            ;   in Loop: Header=BB260_12 Depth=1
	s_or_b64 exec, exec, s[60:61]
.LBB260_539:                            ;   in Loop: Header=BB260_12 Depth=1
	s_or_b64 exec, exec, s[58:59]
	v_cmp_lt_u32_e64 s[6:7], s75, v38
	s_and_saveexec_b64 s[58:59], s[6:7]
	s_cbranch_execz .LBB260_545
; %bb.540:                              ;   in Loop: Header=BB260_12 Depth=1
	v_lshrrev_b32_e32 v4, 24, v38
	v_cmp_ne_u32_e64 s[6:7], s72, v4
	v_bfrev_b32_e32 v85, 1
	s_and_saveexec_b64 s[60:61], s[6:7]
	s_cbranch_execz .LBB260_544
; %bb.541:                              ;   in Loop: Header=BB260_12 Depth=1
	v_and_b32_e32 v0, 0x7f, v4
	v_cmp_ne_u32_e64 s[6:7], s73, v0
	v_mov_b32_e32 v85, 0x7c010000
	s_and_saveexec_b64 s[62:63], s[6:7]
	s_cbranch_execz .LBB260_543
; %bb.542:                              ;   in Loop: Header=BB260_12 Depth=1
	v_and_b32_e32 v7, 7, v4
	v_lshrrev_b32_e32 v8, 3, v0
	v_cmp_gt_u32_e64 s[6:7], 8, v0
	v_ffbh_u32_e32 v0, v7
	v_min_u32_e32 v0, 32, v0
	v_subrev_u32_e32 v2, 28, v0
	v_lshlrev_b64 v[2:3], v2, v[4:5]
	v_sub_u32_e32 v0, 29, v0
	v_cndmask_b32_e64 v0, v8, v0, s[6:7]
	v_lshlrev_b32_e32 v3, 8, v4
	v_mov_b32_e32 v4, 0x2000
	v_lshl_add_u32 v0, v0, 10, v4
	v_and_b32_e32 v2, 7, v2
	v_and_or_b32 v0, v3, s74, v0
	v_cndmask_b32_e64 v2, v7, v2, s[6:7]
	v_lshlrev_b32_e32 v0, 16, v0
	v_lshl_or_b32 v85, v2, 23, v0
.LBB260_543:                            ;   in Loop: Header=BB260_12 Depth=1
	s_or_b64 exec, exec, s[62:63]
.LBB260_544:                            ;   in Loop: Header=BB260_12 Depth=1
	s_or_b64 exec, exec, s[60:61]
.LBB260_545:                            ;   in Loop: Header=BB260_12 Depth=1
	s_or_b64 exec, exec, s[58:59]
	scratch_load_dwordx2 v[2:3], off, s32 offset:200 ; 8-byte Folded Reload
	v_lshl_add_u64 v[38:39], v[36:37], 0, s[40:41]
	v_mov_b32_e32 v112, 0
	v_mov_b32_e32 v114, 0
	s_waitcnt vmcnt(0)
	v_lshl_add_u64 v[2:3], v[38:39], 0, v[2:3]
	flat_load_dword v48, v[2:3]
	s_waitcnt vmcnt(0) lgkmcnt(0)
	v_cmp_ne_u16_sdwa s[6:7], v48, v5 src0_sel:BYTE_0 src1_sel:DWORD
	s_and_saveexec_b64 s[58:59], s[6:7]
	s_cbranch_execz .LBB260_551
; %bb.546:                              ;   in Loop: Header=BB260_12 Depth=1
	v_cmp_ne_u16_sdwa s[6:7], v48, s72 src0_sel:BYTE_0 src1_sel:DWORD
	v_mov_b32_e32 v114, 0x8000
	s_and_saveexec_b64 s[60:61], s[6:7]
	s_cbranch_execz .LBB260_550
; %bb.547:                              ;   in Loop: Header=BB260_12 Depth=1
	v_and_b32_e32 v0, 0x7f, v48
	v_cmp_ne_u32_e64 s[6:7], s73, v0
	v_mov_b32_e32 v114, 0x7c01
	s_and_saveexec_b64 s[62:63], s[6:7]
	s_cbranch_execz .LBB260_549
; %bb.548:                              ;   in Loop: Header=BB260_12 Depth=1
	v_and_b32_e32 v4, 7, v48
	v_lshrrev_b32_e32 v7, 3, v0
	v_cmp_gt_u32_e64 s[6:7], 8, v0
	v_ffbh_u32_e32 v0, v4
	v_min_u32_e32 v0, 32, v0
	v_subrev_u32_e32 v2, 28, v0
	v_sub_u32_e32 v0, 29, v0
	v_cndmask_b32_e64 v0, v7, v0, s[6:7]
	v_mov_b32_e32 v7, 0x2000
	v_lshlrev_b64 v[2:3], v2, v[48:49]
	v_lshl_add_u32 v0, v0, 10, v7
	v_lshlrev_b32_e32 v3, 8, v48
	v_and_b32_e32 v2, 7, v2
	v_and_b32_e32 v0, 0xfc00, v0
	v_cndmask_b32_e64 v2, v4, v2, s[6:7]
	v_and_or_b32 v0, v3, s74, v0
	v_lshl_or_b32 v114, v2, 7, v0
.LBB260_549:                            ;   in Loop: Header=BB260_12 Depth=1
	s_or_b64 exec, exec, s[62:63]
.LBB260_550:                            ;   in Loop: Header=BB260_12 Depth=1
	s_or_b64 exec, exec, s[60:61]
.LBB260_551:                            ;   in Loop: Header=BB260_12 Depth=1
	s_or_b64 exec, exec, s[58:59]
	v_lshrrev_b16_e32 v4, 8, v48
	v_cmp_ne_u16_e64 s[6:7], 0, v4
	s_and_saveexec_b64 s[58:59], s[6:7]
	s_cbranch_execz .LBB260_557
; %bb.552:                              ;   in Loop: Header=BB260_12 Depth=1
	v_cmp_ne_u16_e64 s[6:7], s72, v4
	v_bfrev_b32_e32 v112, 1
	s_and_saveexec_b64 s[60:61], s[6:7]
	s_cbranch_execz .LBB260_556
; %bb.553:                              ;   in Loop: Header=BB260_12 Depth=1
	v_and_b32_e32 v0, 0x7f, v4
	v_cmp_ne_u32_e64 s[6:7], s73, v0
	v_mov_b32_e32 v112, 0x7c010000
	s_and_saveexec_b64 s[62:63], s[6:7]
	s_cbranch_execz .LBB260_555
; %bb.554:                              ;   in Loop: Header=BB260_12 Depth=1
	v_and_b32_e32 v7, 7, v4
	v_lshrrev_b32_e32 v8, 3, v0
	v_cmp_gt_u32_e64 s[6:7], 8, v0
	v_ffbh_u32_e32 v0, v7
	v_min_u32_e32 v0, 32, v0
	v_subrev_u32_e32 v2, 28, v0
	v_lshlrev_b64 v[2:3], v2, v[4:5]
	v_sub_u32_e32 v0, 29, v0
	v_cndmask_b32_e64 v0, v8, v0, s[6:7]
	v_lshlrev_b32_e32 v3, 8, v4
	v_mov_b32_e32 v4, 0x2000
	v_lshl_add_u32 v0, v0, 10, v4
	v_and_b32_e32 v2, 7, v2
	v_and_or_b32 v0, v3, s74, v0
	v_cndmask_b32_e64 v2, v7, v2, s[6:7]
	v_lshlrev_b32_e32 v0, 16, v0
	v_lshl_or_b32 v112, v2, 23, v0
.LBB260_555:                            ;   in Loop: Header=BB260_12 Depth=1
	s_or_b64 exec, exec, s[62:63]
.LBB260_556:                            ;   in Loop: Header=BB260_12 Depth=1
	s_or_b64 exec, exec, s[60:61]
.LBB260_557:                            ;   in Loop: Header=BB260_12 Depth=1
	s_or_b64 exec, exec, s[58:59]
	v_lshrrev_b32_e32 v4, 16, v48
	v_cmp_ne_u16_sdwa s[6:7], v4, v5 src0_sel:BYTE_0 src1_sel:DWORD
	v_mov_b32_e32 v46, 0
	v_mov_b32_e32 v56, 0
	s_and_saveexec_b64 s[58:59], s[6:7]
	s_cbranch_execz .LBB260_563
; %bb.558:                              ;   in Loop: Header=BB260_12 Depth=1
	v_cmp_ne_u16_sdwa s[6:7], v4, s72 src0_sel:BYTE_0 src1_sel:DWORD
	v_mov_b32_e32 v56, 0x8000
	s_and_saveexec_b64 s[60:61], s[6:7]
	s_cbranch_execz .LBB260_562
; %bb.559:                              ;   in Loop: Header=BB260_12 Depth=1
	v_bfe_u32 v0, v48, 16, 7
	v_cmp_ne_u32_e64 s[6:7], s73, v0
	v_mov_b32_e32 v56, 0x7c01
	s_and_saveexec_b64 s[62:63], s[6:7]
	s_cbranch_execz .LBB260_561
; %bb.560:                              ;   in Loop: Header=BB260_12 Depth=1
	v_and_b32_e32 v7, 7, v4
	v_lshrrev_b32_e32 v8, 3, v0
	v_cmp_gt_u32_e64 s[6:7], 8, v0
	v_ffbh_u32_e32 v0, v7
	v_min_u32_e32 v0, 32, v0
	v_subrev_u32_e32 v2, 28, v0
	v_lshlrev_b64 v[2:3], v2, v[4:5]
	v_sub_u32_e32 v0, 29, v0
	v_cndmask_b32_e64 v0, v8, v0, s[6:7]
	v_lshlrev_b32_e32 v3, 8, v4
	v_mov_b32_e32 v4, 0x2000
	v_lshl_add_u32 v0, v0, 10, v4
	v_and_b32_e32 v2, 7, v2
	v_and_b32_e32 v0, 0xfc00, v0
	v_cndmask_b32_e64 v2, v7, v2, s[6:7]
	v_and_or_b32 v0, v3, s74, v0
	v_lshl_or_b32 v56, v2, 7, v0
.LBB260_561:                            ;   in Loop: Header=BB260_12 Depth=1
	s_or_b64 exec, exec, s[62:63]
.LBB260_562:                            ;   in Loop: Header=BB260_12 Depth=1
	s_or_b64 exec, exec, s[60:61]
.LBB260_563:                            ;   in Loop: Header=BB260_12 Depth=1
	s_or_b64 exec, exec, s[58:59]
	v_cmp_lt_u32_e64 s[6:7], s75, v48
	s_and_saveexec_b64 s[58:59], s[6:7]
	s_cbranch_execz .LBB260_569
; %bb.564:                              ;   in Loop: Header=BB260_12 Depth=1
	v_lshrrev_b32_e32 v4, 24, v48
	v_cmp_ne_u32_e64 s[6:7], s72, v4
	v_bfrev_b32_e32 v46, 1
	s_and_saveexec_b64 s[60:61], s[6:7]
	s_cbranch_execz .LBB260_568
; %bb.565:                              ;   in Loop: Header=BB260_12 Depth=1
	v_and_b32_e32 v0, 0x7f, v4
	v_cmp_ne_u32_e64 s[6:7], s73, v0
	v_mov_b32_e32 v46, 0x7c010000
	s_and_saveexec_b64 s[62:63], s[6:7]
	s_cbranch_execz .LBB260_567
; %bb.566:                              ;   in Loop: Header=BB260_12 Depth=1
	v_and_b32_e32 v7, 7, v4
	v_lshrrev_b32_e32 v8, 3, v0
	v_cmp_gt_u32_e64 s[6:7], 8, v0
	v_ffbh_u32_e32 v0, v7
	v_min_u32_e32 v0, 32, v0
	v_subrev_u32_e32 v2, 28, v0
	v_lshlrev_b64 v[2:3], v2, v[4:5]
	v_sub_u32_e32 v0, 29, v0
	v_cndmask_b32_e64 v0, v8, v0, s[6:7]
	v_lshlrev_b32_e32 v3, 8, v4
	v_mov_b32_e32 v4, 0x2000
	v_lshl_add_u32 v0, v0, 10, v4
	v_and_b32_e32 v2, 7, v2
	v_and_or_b32 v0, v3, s74, v0
	v_cndmask_b32_e64 v2, v7, v2, s[6:7]
	v_lshlrev_b32_e32 v0, 16, v0
	v_lshl_or_b32 v46, v2, 23, v0
.LBB260_567:                            ;   in Loop: Header=BB260_12 Depth=1
	s_or_b64 exec, exec, s[62:63]
.LBB260_568:                            ;   in Loop: Header=BB260_12 Depth=1
	s_or_b64 exec, exec, s[60:61]
.LBB260_569:                            ;   in Loop: Header=BB260_12 Depth=1
	s_or_b64 exec, exec, s[58:59]
	scratch_load_dwordx2 v[2:3], off, s32 offset:208 ; 8-byte Folded Reload
	v_mov_b32_e32 v96, 0
	v_mov_b32_e32 v98, 0
	s_waitcnt vmcnt(0)
	v_lshl_add_u64 v[2:3], v[38:39], 0, v[2:3]
	flat_load_dword v38, v[2:3]
	s_waitcnt vmcnt(0) lgkmcnt(0)
	v_cmp_ne_u16_sdwa s[6:7], v38, v5 src0_sel:BYTE_0 src1_sel:DWORD
	s_and_saveexec_b64 s[58:59], s[6:7]
	s_cbranch_execz .LBB260_575
; %bb.570:                              ;   in Loop: Header=BB260_12 Depth=1
	v_cmp_ne_u16_sdwa s[6:7], v38, s72 src0_sel:BYTE_0 src1_sel:DWORD
	v_mov_b32_e32 v98, 0x8000
	s_and_saveexec_b64 s[60:61], s[6:7]
	s_cbranch_execz .LBB260_574
; %bb.571:                              ;   in Loop: Header=BB260_12 Depth=1
	v_and_b32_e32 v0, 0x7f, v38
	v_cmp_ne_u32_e64 s[6:7], s73, v0
	v_mov_b32_e32 v98, 0x7c01
	s_and_saveexec_b64 s[62:63], s[6:7]
	s_cbranch_execz .LBB260_573
; %bb.572:                              ;   in Loop: Header=BB260_12 Depth=1
	v_and_b32_e32 v4, 7, v38
	v_lshrrev_b32_e32 v7, 3, v0
	v_cmp_gt_u32_e64 s[6:7], 8, v0
	v_ffbh_u32_e32 v0, v4
	v_min_u32_e32 v0, 32, v0
	v_subrev_u32_e32 v2, 28, v0
	v_sub_u32_e32 v0, 29, v0
	v_cndmask_b32_e64 v0, v7, v0, s[6:7]
	v_mov_b32_e32 v7, 0x2000
	v_lshlrev_b64 v[2:3], v2, v[38:39]
	v_lshl_add_u32 v0, v0, 10, v7
	v_lshlrev_b32_e32 v3, 8, v38
	v_and_b32_e32 v2, 7, v2
	v_and_b32_e32 v0, 0xfc00, v0
	v_cndmask_b32_e64 v2, v4, v2, s[6:7]
	v_and_or_b32 v0, v3, s74, v0
	v_lshl_or_b32 v98, v2, 7, v0
.LBB260_573:                            ;   in Loop: Header=BB260_12 Depth=1
	s_or_b64 exec, exec, s[62:63]
.LBB260_574:                            ;   in Loop: Header=BB260_12 Depth=1
	s_or_b64 exec, exec, s[60:61]
.LBB260_575:                            ;   in Loop: Header=BB260_12 Depth=1
	s_or_b64 exec, exec, s[58:59]
	v_lshrrev_b16_e32 v4, 8, v38
	v_cmp_ne_u16_e64 s[6:7], 0, v4
	s_and_saveexec_b64 s[58:59], s[6:7]
	s_cbranch_execz .LBB260_581
; %bb.576:                              ;   in Loop: Header=BB260_12 Depth=1
	v_cmp_ne_u16_e64 s[6:7], s72, v4
	v_bfrev_b32_e32 v96, 1
	s_and_saveexec_b64 s[60:61], s[6:7]
	s_cbranch_execz .LBB260_580
; %bb.577:                              ;   in Loop: Header=BB260_12 Depth=1
	v_and_b32_e32 v0, 0x7f, v4
	v_cmp_ne_u32_e64 s[6:7], s73, v0
	v_mov_b32_e32 v96, 0x7c010000
	s_and_saveexec_b64 s[62:63], s[6:7]
	s_cbranch_execz .LBB260_579
; %bb.578:                              ;   in Loop: Header=BB260_12 Depth=1
	v_and_b32_e32 v7, 7, v4
	v_lshrrev_b32_e32 v8, 3, v0
	v_cmp_gt_u32_e64 s[6:7], 8, v0
	v_ffbh_u32_e32 v0, v7
	v_min_u32_e32 v0, 32, v0
	v_subrev_u32_e32 v2, 28, v0
	v_lshlrev_b64 v[2:3], v2, v[4:5]
	v_sub_u32_e32 v0, 29, v0
	v_cndmask_b32_e64 v0, v8, v0, s[6:7]
	v_lshlrev_b32_e32 v3, 8, v4
	v_mov_b32_e32 v4, 0x2000
	v_lshl_add_u32 v0, v0, 10, v4
	v_and_b32_e32 v2, 7, v2
	v_and_or_b32 v0, v3, s74, v0
	v_cndmask_b32_e64 v2, v7, v2, s[6:7]
	v_lshlrev_b32_e32 v0, 16, v0
	v_lshl_or_b32 v96, v2, 23, v0
.LBB260_579:                            ;   in Loop: Header=BB260_12 Depth=1
	s_or_b64 exec, exec, s[62:63]
.LBB260_580:                            ;   in Loop: Header=BB260_12 Depth=1
	s_or_b64 exec, exec, s[60:61]
.LBB260_581:                            ;   in Loop: Header=BB260_12 Depth=1
	s_or_b64 exec, exec, s[58:59]
	v_lshrrev_b32_e32 v4, 16, v38
	v_cmp_ne_u16_sdwa s[6:7], v4, v5 src0_sel:BYTE_0 src1_sel:DWORD
	v_mov_b32_e32 v103, 0
	v_mov_b32_e32 v116, 0
	s_and_saveexec_b64 s[58:59], s[6:7]
	s_cbranch_execz .LBB260_587
; %bb.582:                              ;   in Loop: Header=BB260_12 Depth=1
	v_cmp_ne_u16_sdwa s[6:7], v4, s72 src0_sel:BYTE_0 src1_sel:DWORD
	v_mov_b32_e32 v116, 0x8000
	s_and_saveexec_b64 s[60:61], s[6:7]
	s_cbranch_execz .LBB260_586
; %bb.583:                              ;   in Loop: Header=BB260_12 Depth=1
	v_bfe_u32 v0, v38, 16, 7
	v_cmp_ne_u32_e64 s[6:7], s73, v0
	v_mov_b32_e32 v116, 0x7c01
	s_and_saveexec_b64 s[62:63], s[6:7]
	s_cbranch_execz .LBB260_585
; %bb.584:                              ;   in Loop: Header=BB260_12 Depth=1
	v_and_b32_e32 v7, 7, v4
	v_lshrrev_b32_e32 v8, 3, v0
	v_cmp_gt_u32_e64 s[6:7], 8, v0
	v_ffbh_u32_e32 v0, v7
	v_min_u32_e32 v0, 32, v0
	v_subrev_u32_e32 v2, 28, v0
	v_lshlrev_b64 v[2:3], v2, v[4:5]
	v_sub_u32_e32 v0, 29, v0
	v_cndmask_b32_e64 v0, v8, v0, s[6:7]
	v_lshlrev_b32_e32 v3, 8, v4
	v_mov_b32_e32 v4, 0x2000
	v_lshl_add_u32 v0, v0, 10, v4
	v_and_b32_e32 v2, 7, v2
	v_and_b32_e32 v0, 0xfc00, v0
	v_cndmask_b32_e64 v2, v7, v2, s[6:7]
	v_and_or_b32 v0, v3, s74, v0
	v_lshl_or_b32 v116, v2, 7, v0
.LBB260_585:                            ;   in Loop: Header=BB260_12 Depth=1
	s_or_b64 exec, exec, s[62:63]
.LBB260_586:                            ;   in Loop: Header=BB260_12 Depth=1
	s_or_b64 exec, exec, s[60:61]
.LBB260_587:                            ;   in Loop: Header=BB260_12 Depth=1
	s_or_b64 exec, exec, s[58:59]
	v_cmp_lt_u32_e64 s[6:7], s75, v38
	s_and_saveexec_b64 s[58:59], s[6:7]
	s_cbranch_execz .LBB260_593
; %bb.588:                              ;   in Loop: Header=BB260_12 Depth=1
	v_lshrrev_b32_e32 v4, 24, v38
	v_cmp_ne_u32_e64 s[6:7], s72, v4
	v_bfrev_b32_e32 v103, 1
	s_and_saveexec_b64 s[60:61], s[6:7]
	s_cbranch_execz .LBB260_592
; %bb.589:                              ;   in Loop: Header=BB260_12 Depth=1
	v_and_b32_e32 v0, 0x7f, v4
	v_cmp_ne_u32_e64 s[6:7], s73, v0
	v_mov_b32_e32 v103, 0x7c010000
	s_and_saveexec_b64 s[62:63], s[6:7]
	s_cbranch_execz .LBB260_591
; %bb.590:                              ;   in Loop: Header=BB260_12 Depth=1
	v_and_b32_e32 v7, 7, v4
	v_lshrrev_b32_e32 v8, 3, v0
	v_cmp_gt_u32_e64 s[6:7], 8, v0
	v_ffbh_u32_e32 v0, v7
	v_min_u32_e32 v0, 32, v0
	v_subrev_u32_e32 v2, 28, v0
	v_lshlrev_b64 v[2:3], v2, v[4:5]
	v_sub_u32_e32 v0, 29, v0
	v_cndmask_b32_e64 v0, v8, v0, s[6:7]
	v_lshlrev_b32_e32 v3, 8, v4
	v_mov_b32_e32 v4, 0x2000
	v_lshl_add_u32 v0, v0, 10, v4
	v_and_b32_e32 v2, 7, v2
	v_and_or_b32 v0, v3, s74, v0
	v_cndmask_b32_e64 v2, v7, v2, s[6:7]
	v_lshlrev_b32_e32 v0, 16, v0
	v_lshl_or_b32 v103, v2, 23, v0
.LBB260_591:                            ;   in Loop: Header=BB260_12 Depth=1
	s_or_b64 exec, exec, s[62:63]
.LBB260_592:                            ;   in Loop: Header=BB260_12 Depth=1
	s_or_b64 exec, exec, s[60:61]
.LBB260_593:                            ;   in Loop: Header=BB260_12 Depth=1
	s_or_b64 exec, exec, s[58:59]
	scratch_load_dwordx2 v[2:3], off, s32 offset:200 ; 8-byte Folded Reload
	v_lshl_add_u64 v[38:39], v[36:37], 0, s[42:43]
	v_mov_b32_e32 v0, 0
	v_mov_b32_e32 v68, 0
	s_waitcnt vmcnt(0)
	v_lshl_add_u64 v[2:3], v[38:39], 0, v[2:3]
	flat_load_dword v48, v[2:3]
	s_waitcnt vmcnt(0) lgkmcnt(0)
	v_cmp_ne_u16_sdwa s[6:7], v48, v5 src0_sel:BYTE_0 src1_sel:DWORD
	s_and_saveexec_b64 s[58:59], s[6:7]
	s_cbranch_execz .LBB260_599
; %bb.594:                              ;   in Loop: Header=BB260_12 Depth=1
	v_cmp_ne_u16_sdwa s[6:7], v48, s72 src0_sel:BYTE_0 src1_sel:DWORD
	v_mov_b32_e32 v68, 0x8000
	s_and_saveexec_b64 s[60:61], s[6:7]
	s_cbranch_execz .LBB260_598
; %bb.595:                              ;   in Loop: Header=BB260_12 Depth=1
	v_and_b32_e32 v2, 0x7f, v48
	v_cmp_ne_u32_e64 s[6:7], s73, v2
	v_mov_b32_e32 v68, 0x7c01
	s_and_saveexec_b64 s[62:63], s[6:7]
	s_cbranch_execz .LBB260_597
; %bb.596:                              ;   in Loop: Header=BB260_12 Depth=1
	v_and_b32_e32 v4, 7, v48
	v_lshrrev_b32_e32 v7, 3, v2
	v_cmp_gt_u32_e64 s[6:7], 8, v2
	v_ffbh_u32_e32 v2, v4
	v_min_u32_e32 v8, 32, v2
	v_subrev_u32_e32 v2, 28, v8
	v_lshlrev_b64 v[2:3], v2, v[48:49]
	v_sub_u32_e32 v3, 29, v8
	v_cndmask_b32_e64 v3, v7, v3, s[6:7]
	v_mov_b32_e32 v8, 0x2000
	v_lshl_add_u32 v3, v3, 10, v8
	v_lshlrev_b32_e32 v7, 8, v48
	v_and_b32_e32 v2, 7, v2
	v_and_b32_e32 v3, 0xfc00, v3
	v_cndmask_b32_e64 v2, v4, v2, s[6:7]
	v_and_or_b32 v3, v7, s74, v3
	v_lshl_or_b32 v68, v2, 7, v3
.LBB260_597:                            ;   in Loop: Header=BB260_12 Depth=1
	s_or_b64 exec, exec, s[62:63]
.LBB260_598:                            ;   in Loop: Header=BB260_12 Depth=1
	s_or_b64 exec, exec, s[60:61]
.LBB260_599:                            ;   in Loop: Header=BB260_12 Depth=1
	s_or_b64 exec, exec, s[58:59]
	v_lshrrev_b16_e32 v4, 8, v48
	v_cmp_ne_u16_e64 s[6:7], 0, v4
	s_and_saveexec_b64 s[58:59], s[6:7]
	s_cbranch_execz .LBB260_605
; %bb.600:                              ;   in Loop: Header=BB260_12 Depth=1
	v_cmp_ne_u16_e64 s[6:7], s72, v4
	v_bfrev_b32_e32 v0, 1
	s_and_saveexec_b64 s[60:61], s[6:7]
	s_cbranch_execz .LBB260_604
; %bb.601:                              ;   in Loop: Header=BB260_12 Depth=1
	v_and_b32_e32 v2, 0x7f, v4
	v_cmp_ne_u32_e64 s[6:7], s73, v2
	v_mov_b32_e32 v0, 0x7c010000
	s_and_saveexec_b64 s[62:63], s[6:7]
	s_cbranch_execz .LBB260_603
; %bb.602:                              ;   in Loop: Header=BB260_12 Depth=1
	v_and_b32_e32 v0, 7, v4
	v_lshrrev_b32_e32 v7, 3, v2
	v_cmp_gt_u32_e64 s[6:7], 8, v2
	v_ffbh_u32_e32 v2, v0
	v_min_u32_e32 v8, 32, v2
	v_subrev_u32_e32 v2, 28, v8
	v_lshlrev_b64 v[2:3], v2, v[4:5]
	v_sub_u32_e32 v3, 29, v8
	v_cndmask_b32_e64 v3, v7, v3, s[6:7]
	v_mov_b32_e32 v7, 0x2000
	v_lshlrev_b32_e32 v4, 8, v4
	v_lshl_add_u32 v3, v3, 10, v7
	v_and_b32_e32 v2, 7, v2
	v_cndmask_b32_e64 v0, v0, v2, s[6:7]
	v_and_or_b32 v2, v4, s74, v3
	v_lshlrev_b32_e32 v2, 16, v2
	v_lshl_or_b32 v0, v0, 23, v2
.LBB260_603:                            ;   in Loop: Header=BB260_12 Depth=1
	s_or_b64 exec, exec, s[62:63]
.LBB260_604:                            ;   in Loop: Header=BB260_12 Depth=1
	s_or_b64 exec, exec, s[60:61]
.LBB260_605:                            ;   in Loop: Header=BB260_12 Depth=1
	s_or_b64 exec, exec, s[58:59]
	v_lshrrev_b32_e32 v4, 16, v48
	v_cmp_ne_u16_sdwa s[6:7], v4, v5 src0_sel:BYTE_0 src1_sel:DWORD
	v_mov_b32_e32 v55, 0
	v_mov_b32_e32 v80, 0
	s_and_saveexec_b64 s[58:59], s[6:7]
	s_cbranch_execz .LBB260_611
; %bb.606:                              ;   in Loop: Header=BB260_12 Depth=1
	v_cmp_ne_u16_sdwa s[6:7], v4, s72 src0_sel:BYTE_0 src1_sel:DWORD
	v_mov_b32_e32 v80, 0x8000
	s_and_saveexec_b64 s[60:61], s[6:7]
	s_cbranch_execz .LBB260_610
; %bb.607:                              ;   in Loop: Header=BB260_12 Depth=1
	v_bfe_u32 v2, v48, 16, 7
	v_cmp_ne_u32_e64 s[6:7], s73, v2
	v_mov_b32_e32 v80, 0x7c01
	s_and_saveexec_b64 s[62:63], s[6:7]
	s_cbranch_execz .LBB260_609
; %bb.608:                              ;   in Loop: Header=BB260_12 Depth=1
	v_and_b32_e32 v7, 7, v4
	v_lshrrev_b32_e32 v8, 3, v2
	v_cmp_gt_u32_e64 s[6:7], 8, v2
	v_ffbh_u32_e32 v2, v7
	v_min_u32_e32 v9, 32, v2
	v_subrev_u32_e32 v2, 28, v9
	v_lshlrev_b64 v[2:3], v2, v[4:5]
	v_sub_u32_e32 v3, 29, v9
	v_cndmask_b32_e64 v3, v8, v3, s[6:7]
	v_mov_b32_e32 v8, 0x2000
	v_lshl_add_u32 v3, v3, 10, v8
	v_lshlrev_b32_e32 v4, 8, v4
	v_and_b32_e32 v2, 7, v2
	v_and_b32_e32 v3, 0xfc00, v3
	v_cndmask_b32_e64 v2, v7, v2, s[6:7]
	v_and_or_b32 v3, v4, s74, v3
	v_lshl_or_b32 v80, v2, 7, v3
.LBB260_609:                            ;   in Loop: Header=BB260_12 Depth=1
	s_or_b64 exec, exec, s[62:63]
.LBB260_610:                            ;   in Loop: Header=BB260_12 Depth=1
	s_or_b64 exec, exec, s[60:61]
.LBB260_611:                            ;   in Loop: Header=BB260_12 Depth=1
	s_or_b64 exec, exec, s[58:59]
	v_cmp_lt_u32_e64 s[6:7], s75, v48
	s_and_saveexec_b64 s[58:59], s[6:7]
	s_cbranch_execz .LBB260_617
; %bb.612:                              ;   in Loop: Header=BB260_12 Depth=1
	v_lshrrev_b32_e32 v4, 24, v48
	v_cmp_ne_u32_e64 s[6:7], s72, v4
	v_bfrev_b32_e32 v55, 1
	s_and_saveexec_b64 s[60:61], s[6:7]
	s_cbranch_execz .LBB260_616
; %bb.613:                              ;   in Loop: Header=BB260_12 Depth=1
	v_and_b32_e32 v2, 0x7f, v4
	v_cmp_ne_u32_e64 s[6:7], s73, v2
	v_mov_b32_e32 v55, 0x7c010000
	s_and_saveexec_b64 s[62:63], s[6:7]
	s_cbranch_execz .LBB260_615
; %bb.614:                              ;   in Loop: Header=BB260_12 Depth=1
	v_and_b32_e32 v7, 7, v4
	v_lshrrev_b32_e32 v8, 3, v2
	v_cmp_gt_u32_e64 s[6:7], 8, v2
	v_ffbh_u32_e32 v2, v7
	v_min_u32_e32 v9, 32, v2
	v_subrev_u32_e32 v2, 28, v9
	v_lshlrev_b64 v[2:3], v2, v[4:5]
	v_sub_u32_e32 v3, 29, v9
	v_cndmask_b32_e64 v3, v8, v3, s[6:7]
	v_mov_b32_e32 v8, 0x2000
	v_lshlrev_b32_e32 v4, 8, v4
	v_lshl_add_u32 v3, v3, 10, v8
	v_and_b32_e32 v2, 7, v2
	v_and_or_b32 v3, v4, s74, v3
	v_cndmask_b32_e64 v2, v7, v2, s[6:7]
	v_lshlrev_b32_e32 v3, 16, v3
	v_lshl_or_b32 v55, v2, 23, v3
.LBB260_615:                            ;   in Loop: Header=BB260_12 Depth=1
	s_or_b64 exec, exec, s[62:63]
.LBB260_616:                            ;   in Loop: Header=BB260_12 Depth=1
	s_or_b64 exec, exec, s[60:61]
.LBB260_617:                            ;   in Loop: Header=BB260_12 Depth=1
	s_or_b64 exec, exec, s[58:59]
	scratch_load_dwordx2 v[2:3], off, s32 offset:208 ; 8-byte Folded Reload
	v_mov_b32_e32 v8, 0
	s_waitcnt vmcnt(0)
	v_lshl_add_u64 v[2:3], v[38:39], 0, v[2:3]
	flat_load_dword v38, v[2:3]
	v_mov_b32_e32 v2, 0
	s_waitcnt vmcnt(0) lgkmcnt(0)
	v_cmp_ne_u16_sdwa s[6:7], v38, v5 src0_sel:BYTE_0 src1_sel:DWORD
	s_and_saveexec_b64 s[58:59], s[6:7]
	s_cbranch_execz .LBB260_623
; %bb.618:                              ;   in Loop: Header=BB260_12 Depth=1
	v_cmp_ne_u16_sdwa s[6:7], v38, s72 src0_sel:BYTE_0 src1_sel:DWORD
	v_mov_b32_e32 v8, 0x8000
	s_and_saveexec_b64 s[60:61], s[6:7]
	s_cbranch_execz .LBB260_622
; %bb.619:                              ;   in Loop: Header=BB260_12 Depth=1
	v_and_b32_e32 v3, 0x7f, v38
	v_cmp_ne_u32_e64 s[6:7], s73, v3
	v_mov_b32_e32 v8, 0x7c01
	s_and_saveexec_b64 s[62:63], s[6:7]
	s_cbranch_execz .LBB260_621
; %bb.620:                              ;   in Loop: Header=BB260_12 Depth=1
	v_and_b32_e32 v4, 7, v38
	v_lshrrev_b32_e32 v7, 3, v3
	v_cmp_gt_u32_e64 s[6:7], 8, v3
	v_ffbh_u32_e32 v3, v4
	v_min_u32_e32 v3, 32, v3
	v_subrev_u32_e32 v8, 28, v3
	v_lshlrev_b64 v[8:9], v8, v[38:39]
	v_sub_u32_e32 v3, 29, v3
	v_cndmask_b32_e64 v3, v7, v3, s[6:7]
	v_mov_b32_e32 v9, 0x2000
	v_lshl_add_u32 v3, v3, 10, v9
	v_lshlrev_b32_e32 v7, 8, v38
	v_and_b32_e32 v8, 7, v8
	v_and_b32_e32 v3, 0xfc00, v3
	v_cndmask_b32_e64 v4, v4, v8, s[6:7]
	v_and_or_b32 v3, v7, s74, v3
	v_lshl_or_b32 v8, v4, 7, v3
.LBB260_621:                            ;   in Loop: Header=BB260_12 Depth=1
	s_or_b64 exec, exec, s[62:63]
.LBB260_622:                            ;   in Loop: Header=BB260_12 Depth=1
	s_or_b64 exec, exec, s[60:61]
.LBB260_623:                            ;   in Loop: Header=BB260_12 Depth=1
	s_or_b64 exec, exec, s[58:59]
	v_lshrrev_b16_e32 v4, 8, v38
	v_cmp_ne_u16_e64 s[6:7], 0, v4
	s_and_saveexec_b64 s[58:59], s[6:7]
	s_cbranch_execz .LBB260_629
; %bb.624:                              ;   in Loop: Header=BB260_12 Depth=1
	v_cmp_ne_u16_e64 s[6:7], s72, v4
	v_bfrev_b32_e32 v2, 1
	s_and_saveexec_b64 s[60:61], s[6:7]
	s_cbranch_execz .LBB260_628
; %bb.625:                              ;   in Loop: Header=BB260_12 Depth=1
	v_and_b32_e32 v3, 0x7f, v4
	v_cmp_ne_u32_e64 s[6:7], s73, v3
	v_mov_b32_e32 v2, 0x7c010000
	s_and_saveexec_b64 s[62:63], s[6:7]
	s_cbranch_execz .LBB260_627
; %bb.626:                              ;   in Loop: Header=BB260_12 Depth=1
	v_and_b32_e32 v7, 7, v4
	v_ffbh_u32_e32 v2, v7
	v_min_u32_e32 v10, 32, v2
	v_subrev_u32_e32 v2, 28, v10
	v_lshrrev_b32_e32 v9, 3, v3
	v_cmp_gt_u32_e64 s[6:7], 8, v3
	v_lshlrev_b64 v[2:3], v2, v[4:5]
	v_sub_u32_e32 v3, 29, v10
	v_cndmask_b32_e64 v3, v9, v3, s[6:7]
	v_mov_b32_e32 v9, 0x2000
	v_lshlrev_b32_e32 v4, 8, v4
	v_lshl_add_u32 v3, v3, 10, v9
	v_and_b32_e32 v2, 7, v2
	v_and_or_b32 v3, v4, s74, v3
	v_cndmask_b32_e64 v2, v7, v2, s[6:7]
	v_lshlrev_b32_e32 v3, 16, v3
	v_lshl_or_b32 v2, v2, 23, v3
.LBB260_627:                            ;   in Loop: Header=BB260_12 Depth=1
	s_or_b64 exec, exec, s[62:63]
.LBB260_628:                            ;   in Loop: Header=BB260_12 Depth=1
	s_or_b64 exec, exec, s[60:61]
.LBB260_629:                            ;   in Loop: Header=BB260_12 Depth=1
	s_or_b64 exec, exec, s[58:59]
	v_lshrrev_b32_e32 v4, 16, v38
	v_cmp_ne_u16_sdwa s[6:7], v4, v5 src0_sel:BYTE_0 src1_sel:DWORD
	v_mov_b32_e32 v3, 0
	v_mov_b32_e32 v10, 0
	s_and_saveexec_b64 s[58:59], s[6:7]
	s_cbranch_execz .LBB260_635
; %bb.630:                              ;   in Loop: Header=BB260_12 Depth=1
	v_cmp_ne_u16_sdwa s[6:7], v4, s72 src0_sel:BYTE_0 src1_sel:DWORD
	v_mov_b32_e32 v10, 0x8000
	s_and_saveexec_b64 s[60:61], s[6:7]
	s_cbranch_execz .LBB260_634
; %bb.631:                              ;   in Loop: Header=BB260_12 Depth=1
	v_bfe_u32 v7, v38, 16, 7
	v_cmp_ne_u32_e64 s[6:7], s73, v7
	v_mov_b32_e32 v10, 0x7c01
	s_and_saveexec_b64 s[62:63], s[6:7]
	s_cbranch_execz .LBB260_633
; %bb.632:                              ;   in Loop: Header=BB260_12 Depth=1
	v_and_b32_e32 v9, 7, v4
	v_lshrrev_b32_e32 v10, 3, v7
	v_cmp_gt_u32_e64 s[6:7], 8, v7
	v_ffbh_u32_e32 v7, v9
	v_min_u32_e32 v7, 32, v7
	v_subrev_u32_e32 v14, 28, v7
	v_sub_u32_e32 v7, 29, v7
	v_cndmask_b32_e64 v7, v10, v7, s[6:7]
	v_mov_b32_e32 v10, 0x2000
	v_lshlrev_b64 v[18:19], v14, v[4:5]
	v_lshl_add_u32 v7, v7, 10, v10
	v_lshlrev_b32_e32 v4, 8, v4
	v_and_b32_e32 v10, 7, v18
	v_and_b32_e32 v7, 0xfc00, v7
	v_cndmask_b32_e64 v9, v9, v10, s[6:7]
	v_and_or_b32 v4, v4, s74, v7
	v_lshl_or_b32 v10, v9, 7, v4
.LBB260_633:                            ;   in Loop: Header=BB260_12 Depth=1
	s_or_b64 exec, exec, s[62:63]
.LBB260_634:                            ;   in Loop: Header=BB260_12 Depth=1
	s_or_b64 exec, exec, s[60:61]
.LBB260_635:                            ;   in Loop: Header=BB260_12 Depth=1
	s_or_b64 exec, exec, s[58:59]
	v_cmp_lt_u32_e64 s[6:7], s75, v38
	s_and_saveexec_b64 s[58:59], s[6:7]
	s_cbranch_execz .LBB260_641
; %bb.636:                              ;   in Loop: Header=BB260_12 Depth=1
	v_lshrrev_b32_e32 v4, 24, v38
	v_cmp_ne_u32_e64 s[6:7], s72, v4
	v_bfrev_b32_e32 v3, 1
	s_and_saveexec_b64 s[60:61], s[6:7]
	s_cbranch_execz .LBB260_640
; %bb.637:                              ;   in Loop: Header=BB260_12 Depth=1
	v_and_b32_e32 v7, 0x7f, v4
	v_cmp_ne_u32_e64 s[6:7], s73, v7
	v_mov_b32_e32 v3, 0x7c010000
	s_and_saveexec_b64 s[62:63], s[6:7]
	s_cbranch_execz .LBB260_639
; %bb.638:                              ;   in Loop: Header=BB260_12 Depth=1
	v_and_b32_e32 v3, 7, v4
	v_lshrrev_b32_e32 v9, 3, v7
	v_cmp_gt_u32_e64 s[6:7], 8, v7
	v_ffbh_u32_e32 v7, v3
	v_min_u32_e32 v7, 32, v7
	v_subrev_u32_e32 v14, 28, v7
	v_sub_u32_e32 v7, 29, v7
	v_cndmask_b32_e64 v7, v9, v7, s[6:7]
	v_mov_b32_e32 v9, 0x2000
	v_lshlrev_b64 v[18:19], v14, v[4:5]
	v_lshlrev_b32_e32 v4, 8, v4
	v_lshl_add_u32 v7, v7, 10, v9
	v_and_b32_e32 v9, 7, v18
	v_and_or_b32 v4, v4, s74, v7
	v_cndmask_b32_e64 v3, v3, v9, s[6:7]
	v_lshlrev_b32_e32 v4, 16, v4
	v_lshl_or_b32 v3, v3, 23, v4
.LBB260_639:                            ;   in Loop: Header=BB260_12 Depth=1
	s_or_b64 exec, exec, s[62:63]
.LBB260_640:                            ;   in Loop: Header=BB260_12 Depth=1
	s_or_b64 exec, exec, s[60:61]
.LBB260_641:                            ;   in Loop: Header=BB260_12 Depth=1
	s_or_b64 exec, exec, s[58:59]
	scratch_load_dwordx2 v[18:19], off, s32 offset:200 ; 8-byte Folded Reload
	v_lshl_add_u64 v[38:39], v[36:37], 0, s[44:45]
	v_mov_b32_e32 v14, 0
	s_waitcnt vmcnt(0)
	v_lshl_add_u64 v[18:19], v[38:39], 0, v[18:19]
	flat_load_dword v48, v[18:19]
	v_mov_b32_e32 v18, 0
	s_waitcnt vmcnt(0) lgkmcnt(0)
	v_cmp_ne_u16_sdwa s[6:7], v48, v5 src0_sel:BYTE_0 src1_sel:DWORD
	s_and_saveexec_b64 s[58:59], s[6:7]
	s_cbranch_execz .LBB260_647
; %bb.642:                              ;   in Loop: Header=BB260_12 Depth=1
	v_cmp_ne_u16_sdwa s[6:7], v48, s72 src0_sel:BYTE_0 src1_sel:DWORD
	v_mov_b32_e32 v18, 0x8000
	s_and_saveexec_b64 s[60:61], s[6:7]
	s_cbranch_execz .LBB260_646
; %bb.643:                              ;   in Loop: Header=BB260_12 Depth=1
	v_and_b32_e32 v4, 0x7f, v48
	v_cmp_ne_u32_e64 s[6:7], s73, v4
	v_mov_b32_e32 v18, 0x7c01
	s_and_saveexec_b64 s[62:63], s[6:7]
	s_cbranch_execz .LBB260_645
; %bb.644:                              ;   in Loop: Header=BB260_12 Depth=1
	v_and_b32_e32 v7, 7, v48
	v_lshrrev_b32_e32 v9, 3, v4
	v_cmp_gt_u32_e64 s[6:7], 8, v4
	v_ffbh_u32_e32 v4, v7
	v_min_u32_e32 v4, 32, v4
	v_subrev_u32_e32 v18, 28, v4
	v_lshlrev_b64 v[18:19], v18, v[48:49]
	v_sub_u32_e32 v4, 29, v4
	v_cndmask_b32_e64 v4, v9, v4, s[6:7]
	v_mov_b32_e32 v19, 0x2000
	v_lshl_add_u32 v4, v4, 10, v19
	v_lshlrev_b32_e32 v9, 8, v48
	v_and_b32_e32 v18, 7, v18
	v_and_b32_e32 v4, 0xfc00, v4
	v_cndmask_b32_e64 v7, v7, v18, s[6:7]
	v_and_or_b32 v4, v9, s74, v4
	v_lshl_or_b32 v18, v7, 7, v4
.LBB260_645:                            ;   in Loop: Header=BB260_12 Depth=1
	s_or_b64 exec, exec, s[62:63]
.LBB260_646:                            ;   in Loop: Header=BB260_12 Depth=1
	s_or_b64 exec, exec, s[60:61]
.LBB260_647:                            ;   in Loop: Header=BB260_12 Depth=1
	s_or_b64 exec, exec, s[58:59]
	v_lshrrev_b16_e32 v4, 8, v48
	v_cmp_ne_u16_e64 s[6:7], 0, v4
	s_and_saveexec_b64 s[58:59], s[6:7]
	s_cbranch_execz .LBB260_653
; %bb.648:                              ;   in Loop: Header=BB260_12 Depth=1
	v_cmp_ne_u16_e64 s[6:7], s72, v4
	v_bfrev_b32_e32 v14, 1
	s_and_saveexec_b64 s[60:61], s[6:7]
	s_cbranch_execz .LBB260_652
; %bb.649:                              ;   in Loop: Header=BB260_12 Depth=1
	v_and_b32_e32 v7, 0x7f, v4
	v_cmp_ne_u32_e64 s[6:7], s73, v7
	v_mov_b32_e32 v14, 0x7c010000
	s_and_saveexec_b64 s[62:63], s[6:7]
	s_cbranch_execz .LBB260_651
; %bb.650:                              ;   in Loop: Header=BB260_12 Depth=1
	v_and_b32_e32 v9, 7, v4
	v_lshrrev_b32_e32 v14, 3, v7
	v_cmp_gt_u32_e64 s[6:7], 8, v7
	v_ffbh_u32_e32 v7, v9
	v_min_u32_e32 v7, 32, v7
	v_subrev_u32_e32 v19, 28, v7
	v_sub_u32_e32 v7, 29, v7
	v_cndmask_b32_e64 v7, v14, v7, s[6:7]
	v_mov_b32_e32 v14, 0x2000
	v_lshlrev_b64 v[24:25], v19, v[4:5]
	v_lshlrev_b32_e32 v4, 8, v4
	v_lshl_add_u32 v7, v7, 10, v14
	v_and_b32_e32 v14, 7, v24
	v_and_or_b32 v4, v4, s74, v7
	v_cndmask_b32_e64 v9, v9, v14, s[6:7]
	v_lshlrev_b32_e32 v4, 16, v4
	v_lshl_or_b32 v14, v9, 23, v4
.LBB260_651:                            ;   in Loop: Header=BB260_12 Depth=1
	s_or_b64 exec, exec, s[62:63]
.LBB260_652:                            ;   in Loop: Header=BB260_12 Depth=1
	s_or_b64 exec, exec, s[60:61]
.LBB260_653:                            ;   in Loop: Header=BB260_12 Depth=1
	s_or_b64 exec, exec, s[58:59]
	v_lshrrev_b32_e32 v4, 16, v48
	v_cmp_ne_u16_sdwa s[6:7], v4, v5 src0_sel:BYTE_0 src1_sel:DWORD
	v_mov_b32_e32 v19, 0
	v_mov_b32_e32 v21, 0
	s_and_saveexec_b64 s[58:59], s[6:7]
	s_cbranch_execz .LBB260_659
; %bb.654:                              ;   in Loop: Header=BB260_12 Depth=1
	v_cmp_ne_u16_sdwa s[6:7], v4, s72 src0_sel:BYTE_0 src1_sel:DWORD
	v_mov_b32_e32 v21, 0x8000
	s_and_saveexec_b64 s[60:61], s[6:7]
	s_cbranch_execz .LBB260_658
; %bb.655:                              ;   in Loop: Header=BB260_12 Depth=1
	v_bfe_u32 v7, v48, 16, 7
	v_cmp_ne_u32_e64 s[6:7], s73, v7
	v_mov_b32_e32 v21, 0x7c01
	s_and_saveexec_b64 s[62:63], s[6:7]
	s_cbranch_execz .LBB260_657
; %bb.656:                              ;   in Loop: Header=BB260_12 Depth=1
	v_and_b32_e32 v9, 7, v4
	v_lshrrev_b32_e32 v21, 3, v7
	v_cmp_gt_u32_e64 s[6:7], 8, v7
	v_ffbh_u32_e32 v7, v9
	v_min_u32_e32 v7, 32, v7
	v_subrev_u32_e32 v24, 28, v7
	v_sub_u32_e32 v7, 29, v7
	v_cndmask_b32_e64 v7, v21, v7, s[6:7]
	v_mov_b32_e32 v21, 0x2000
	v_lshlrev_b64 v[24:25], v24, v[4:5]
	v_lshl_add_u32 v7, v7, 10, v21
	v_lshlrev_b32_e32 v4, 8, v4
	v_and_b32_e32 v21, 7, v24
	v_and_b32_e32 v7, 0xfc00, v7
	v_cndmask_b32_e64 v9, v9, v21, s[6:7]
	v_and_or_b32 v4, v4, s74, v7
	v_lshl_or_b32 v21, v9, 7, v4
.LBB260_657:                            ;   in Loop: Header=BB260_12 Depth=1
	s_or_b64 exec, exec, s[62:63]
.LBB260_658:                            ;   in Loop: Header=BB260_12 Depth=1
	s_or_b64 exec, exec, s[60:61]
.LBB260_659:                            ;   in Loop: Header=BB260_12 Depth=1
	s_or_b64 exec, exec, s[58:59]
	v_cmp_lt_u32_e64 s[6:7], s75, v48
	s_and_saveexec_b64 s[58:59], s[6:7]
	s_cbranch_execz .LBB260_665
; %bb.660:                              ;   in Loop: Header=BB260_12 Depth=1
	v_lshrrev_b32_e32 v4, 24, v48
	v_cmp_ne_u32_e64 s[6:7], s72, v4
	v_bfrev_b32_e32 v19, 1
	s_and_saveexec_b64 s[60:61], s[6:7]
	s_cbranch_execz .LBB260_664
; %bb.661:                              ;   in Loop: Header=BB260_12 Depth=1
	v_and_b32_e32 v7, 0x7f, v4
	v_cmp_ne_u32_e64 s[6:7], s73, v7
	v_mov_b32_e32 v19, 0x7c010000
	s_and_saveexec_b64 s[62:63], s[6:7]
	s_cbranch_execz .LBB260_663
; %bb.662:                              ;   in Loop: Header=BB260_12 Depth=1
	v_and_b32_e32 v9, 7, v4
	v_lshrrev_b32_e32 v19, 3, v7
	v_cmp_gt_u32_e64 s[6:7], 8, v7
	v_ffbh_u32_e32 v7, v9
	v_min_u32_e32 v7, 32, v7
	v_subrev_u32_e32 v24, 28, v7
	v_sub_u32_e32 v7, 29, v7
	v_cndmask_b32_e64 v7, v19, v7, s[6:7]
	v_mov_b32_e32 v19, 0x2000
	v_lshlrev_b64 v[24:25], v24, v[4:5]
	v_lshlrev_b32_e32 v4, 8, v4
	v_lshl_add_u32 v7, v7, 10, v19
	v_and_b32_e32 v19, 7, v24
	v_and_or_b32 v4, v4, s74, v7
	v_cndmask_b32_e64 v9, v9, v19, s[6:7]
	v_lshlrev_b32_e32 v4, 16, v4
	v_lshl_or_b32 v19, v9, 23, v4
.LBB260_663:                            ;   in Loop: Header=BB260_12 Depth=1
	s_or_b64 exec, exec, s[62:63]
.LBB260_664:                            ;   in Loop: Header=BB260_12 Depth=1
	s_or_b64 exec, exec, s[60:61]
.LBB260_665:                            ;   in Loop: Header=BB260_12 Depth=1
	s_or_b64 exec, exec, s[58:59]
	scratch_load_dwordx2 v[24:25], off, s32 offset:208 ; 8-byte Folded Reload
	v_mov_b32_e32 v7, 0
	v_mov_b32_e32 v9, 0
	s_waitcnt vmcnt(0)
	v_lshl_add_u64 v[24:25], v[38:39], 0, v[24:25]
	flat_load_dword v38, v[24:25]
	s_waitcnt vmcnt(0) lgkmcnt(0)
	v_cmp_ne_u16_sdwa s[6:7], v38, v5 src0_sel:BYTE_0 src1_sel:DWORD
	s_and_saveexec_b64 s[58:59], s[6:7]
	s_cbranch_execz .LBB260_671
; %bb.666:                              ;   in Loop: Header=BB260_12 Depth=1
	v_cmp_ne_u16_sdwa s[6:7], v38, s72 src0_sel:BYTE_0 src1_sel:DWORD
	v_mov_b32_e32 v9, 0x8000
	s_and_saveexec_b64 s[60:61], s[6:7]
	s_cbranch_execz .LBB260_670
; %bb.667:                              ;   in Loop: Header=BB260_12 Depth=1
	v_and_b32_e32 v4, 0x7f, v38
	v_cmp_ne_u32_e64 s[6:7], s73, v4
	v_mov_b32_e32 v9, 0x7c01
	s_and_saveexec_b64 s[62:63], s[6:7]
	s_cbranch_execz .LBB260_669
; %bb.668:                              ;   in Loop: Header=BB260_12 Depth=1
	v_and_b32_e32 v9, 7, v38
	v_lshrrev_b32_e32 v29, 3, v4
	v_cmp_gt_u32_e64 s[6:7], 8, v4
	v_ffbh_u32_e32 v4, v9
	v_min_u32_e32 v4, 32, v4
	v_subrev_u32_e32 v24, 28, v4
	v_sub_u32_e32 v4, 29, v4
	v_cndmask_b32_e64 v4, v29, v4, s[6:7]
	v_mov_b32_e32 v29, 0x2000
	v_lshlrev_b64 v[24:25], v24, v[38:39]
	v_lshl_add_u32 v4, v4, 10, v29
	v_lshlrev_b32_e32 v25, 8, v38
	v_and_b32_e32 v24, 7, v24
	v_and_b32_e32 v4, 0xfc00, v4
	v_cndmask_b32_e64 v9, v9, v24, s[6:7]
	v_and_or_b32 v4, v25, s74, v4
	v_lshl_or_b32 v9, v9, 7, v4
.LBB260_669:                            ;   in Loop: Header=BB260_12 Depth=1
	s_or_b64 exec, exec, s[62:63]
.LBB260_670:                            ;   in Loop: Header=BB260_12 Depth=1
	s_or_b64 exec, exec, s[60:61]
.LBB260_671:                            ;   in Loop: Header=BB260_12 Depth=1
	s_or_b64 exec, exec, s[58:59]
	v_lshrrev_b16_e32 v4, 8, v38
	v_cmp_ne_u16_e64 s[6:7], 0, v4
	s_and_saveexec_b64 s[58:59], s[6:7]
	s_cbranch_execz .LBB260_677
; %bb.672:                              ;   in Loop: Header=BB260_12 Depth=1
	v_cmp_ne_u16_e64 s[6:7], s72, v4
	v_bfrev_b32_e32 v7, 1
	s_and_saveexec_b64 s[60:61], s[6:7]
	s_cbranch_execz .LBB260_676
; %bb.673:                              ;   in Loop: Header=BB260_12 Depth=1
	v_and_b32_e32 v24, 0x7f, v4
	v_cmp_ne_u32_e64 s[6:7], s73, v24
	v_mov_b32_e32 v7, 0x7c010000
	s_and_saveexec_b64 s[62:63], s[6:7]
	s_cbranch_execz .LBB260_675
; %bb.674:                              ;   in Loop: Header=BB260_12 Depth=1
	v_and_b32_e32 v7, 7, v4
	v_lshrrev_b32_e32 v29, 3, v24
	v_cmp_gt_u32_e64 s[6:7], 8, v24
	v_ffbh_u32_e32 v24, v7
	v_min_u32_e32 v32, 32, v24
	v_subrev_u32_e32 v24, 28, v32
	v_lshlrev_b64 v[24:25], v24, v[4:5]
	v_sub_u32_e32 v25, 29, v32
	v_cndmask_b32_e64 v25, v29, v25, s[6:7]
	v_mov_b32_e32 v29, 0x2000
	v_lshlrev_b32_e32 v4, 8, v4
	v_lshl_add_u32 v25, v25, 10, v29
	v_and_b32_e32 v24, 7, v24
	v_and_or_b32 v4, v4, s74, v25
	v_cndmask_b32_e64 v7, v7, v24, s[6:7]
	v_lshlrev_b32_e32 v4, 16, v4
	v_lshl_or_b32 v7, v7, 23, v4
.LBB260_675:                            ;   in Loop: Header=BB260_12 Depth=1
	s_or_b64 exec, exec, s[62:63]
.LBB260_676:                            ;   in Loop: Header=BB260_12 Depth=1
	s_or_b64 exec, exec, s[60:61]
.LBB260_677:                            ;   in Loop: Header=BB260_12 Depth=1
	s_or_b64 exec, exec, s[58:59]
	v_lshrrev_b32_e32 v4, 16, v38
	v_cmp_ne_u16_sdwa s[6:7], v4, v5 src0_sel:BYTE_0 src1_sel:DWORD
	v_mov_b32_e32 v24, 0
	v_mov_b32_e32 v25, 0
	s_and_saveexec_b64 s[58:59], s[6:7]
	s_cbranch_execz .LBB260_683
; %bb.678:                              ;   in Loop: Header=BB260_12 Depth=1
	v_cmp_ne_u16_sdwa s[6:7], v4, s72 src0_sel:BYTE_0 src1_sel:DWORD
	v_mov_b32_e32 v25, 0x8000
	s_and_saveexec_b64 s[60:61], s[6:7]
	s_cbranch_execz .LBB260_682
; %bb.679:                              ;   in Loop: Header=BB260_12 Depth=1
	v_bfe_u32 v29, v38, 16, 7
	v_cmp_ne_u32_e64 s[6:7], s73, v29
	v_mov_b32_e32 v25, 0x7c01
	s_and_saveexec_b64 s[62:63], s[6:7]
	s_cbranch_execz .LBB260_681
; %bb.680:                              ;   in Loop: Header=BB260_12 Depth=1
	v_and_b32_e32 v25, 7, v4
	v_lshrrev_b32_e32 v32, 3, v29
	v_cmp_gt_u32_e64 s[6:7], 8, v29
	v_ffbh_u32_e32 v29, v25
	v_min_u32_e32 v29, 32, v29
	v_subrev_u32_e32 v33, 28, v29
	v_sub_u32_e32 v29, 29, v29
	v_cndmask_b32_e64 v29, v32, v29, s[6:7]
	v_mov_b32_e32 v32, 0x2000
	v_lshlrev_b64 v[48:49], v33, v[4:5]
	v_lshl_add_u32 v29, v29, 10, v32
	v_lshlrev_b32_e32 v4, 8, v4
	v_and_b32_e32 v32, 7, v48
	v_and_b32_e32 v29, 0xfc00, v29
	v_cndmask_b32_e64 v25, v25, v32, s[6:7]
	v_and_or_b32 v4, v4, s74, v29
	v_lshl_or_b32 v25, v25, 7, v4
.LBB260_681:                            ;   in Loop: Header=BB260_12 Depth=1
	s_or_b64 exec, exec, s[62:63]
.LBB260_682:                            ;   in Loop: Header=BB260_12 Depth=1
	s_or_b64 exec, exec, s[60:61]
.LBB260_683:                            ;   in Loop: Header=BB260_12 Depth=1
	s_or_b64 exec, exec, s[58:59]
	v_cmp_lt_u32_e64 s[6:7], s75, v38
	s_and_saveexec_b64 s[58:59], s[6:7]
	s_cbranch_execz .LBB260_689
; %bb.684:                              ;   in Loop: Header=BB260_12 Depth=1
	v_lshrrev_b32_e32 v4, 24, v38
	v_cmp_ne_u32_e64 s[6:7], s72, v4
	v_bfrev_b32_e32 v24, 1
	s_and_saveexec_b64 s[60:61], s[6:7]
	s_cbranch_execz .LBB260_688
; %bb.685:                              ;   in Loop: Header=BB260_12 Depth=1
	v_and_b32_e32 v29, 0x7f, v4
	v_cmp_ne_u32_e64 s[6:7], s73, v29
	v_mov_b32_e32 v24, 0x7c010000
	s_and_saveexec_b64 s[62:63], s[6:7]
	s_cbranch_execz .LBB260_687
; %bb.686:                              ;   in Loop: Header=BB260_12 Depth=1
	v_and_b32_e32 v24, 7, v4
	v_lshrrev_b32_e32 v32, 3, v29
	v_cmp_gt_u32_e64 s[6:7], 8, v29
	v_ffbh_u32_e32 v29, v24
	v_min_u32_e32 v29, 32, v29
	v_subrev_u32_e32 v33, 28, v29
	v_sub_u32_e32 v29, 29, v29
	v_cndmask_b32_e64 v29, v32, v29, s[6:7]
	v_mov_b32_e32 v32, 0x2000
	v_lshlrev_b64 v[38:39], v33, v[4:5]
	v_lshlrev_b32_e32 v4, 8, v4
	v_lshl_add_u32 v29, v29, 10, v32
	v_and_b32_e32 v32, 7, v38
	v_and_or_b32 v4, v4, s74, v29
	v_cndmask_b32_e64 v24, v24, v32, s[6:7]
	v_lshlrev_b32_e32 v4, 16, v4
	v_lshl_or_b32 v24, v24, 23, v4
.LBB260_687:                            ;   in Loop: Header=BB260_12 Depth=1
	s_or_b64 exec, exec, s[62:63]
.LBB260_688:                            ;   in Loop: Header=BB260_12 Depth=1
	s_or_b64 exec, exec, s[60:61]
.LBB260_689:                            ;   in Loop: Header=BB260_12 Depth=1
	s_or_b64 exec, exec, s[58:59]
	scratch_load_dwordx2 v[30:31], off, s32 offset:200 ; 8-byte Folded Reload
	v_lshl_add_u64 v[38:39], v[36:37], 0, s[46:47]
	v_mov_b32_e32 v29, 0
	s_waitcnt vmcnt(0)
	v_lshl_add_u64 v[48:49], v[38:39], 0, v[30:31]
	flat_load_dword v48, v[48:49]
	v_mov_b32_e32 v49, 0
	s_waitcnt vmcnt(0) lgkmcnt(0)
	v_cmp_ne_u16_sdwa s[6:7], v48, v5 src0_sel:BYTE_0 src1_sel:DWORD
	s_and_saveexec_b64 s[58:59], s[6:7]
	s_cbranch_execz .LBB260_695
; %bb.690:                              ;   in Loop: Header=BB260_12 Depth=1
	v_cmp_ne_u16_sdwa s[6:7], v48, s72 src0_sel:BYTE_0 src1_sel:DWORD
	v_mov_b32_e32 v49, 0x8000
	s_and_saveexec_b64 s[60:61], s[6:7]
	s_cbranch_execz .LBB260_694
; %bb.691:                              ;   in Loop: Header=BB260_12 Depth=1
	v_and_b32_e32 v4, 0x7f, v48
	v_cmp_ne_u32_e64 s[6:7], s73, v4
	v_mov_b32_e32 v49, 0x7c01
	s_and_saveexec_b64 s[62:63], s[6:7]
	s_cbranch_execz .LBB260_693
; %bb.692:                              ;   in Loop: Header=BB260_12 Depth=1
	v_and_b32_e32 v32, 7, v48
	v_lshrrev_b32_e32 v33, 3, v4
	v_cmp_gt_u32_e64 s[6:7], 8, v4
	v_ffbh_u32_e32 v4, v32
	v_min_u32_e32 v4, 32, v4
	v_subrev_u32_e32 v49, 28, v4
	v_sub_u32_e32 v4, 29, v4
	v_lshlrev_b64 v[64:65], v49, v[48:49]
	v_cndmask_b32_e64 v4, v33, v4, s[6:7]
	v_mov_b32_e32 v49, 0x2000
	v_lshl_add_u32 v4, v4, 10, v49
	v_lshlrev_b32_e32 v33, 8, v48
	v_and_b32_e32 v49, 7, v64
	v_and_b32_e32 v4, 0xfc00, v4
	v_cndmask_b32_e64 v32, v32, v49, s[6:7]
	v_and_or_b32 v4, v33, s74, v4
	v_lshl_or_b32 v49, v32, 7, v4
.LBB260_693:                            ;   in Loop: Header=BB260_12 Depth=1
	s_or_b64 exec, exec, s[62:63]
.LBB260_694:                            ;   in Loop: Header=BB260_12 Depth=1
	s_or_b64 exec, exec, s[60:61]
.LBB260_695:                            ;   in Loop: Header=BB260_12 Depth=1
	s_or_b64 exec, exec, s[58:59]
	v_lshrrev_b16_e32 v4, 8, v48
	v_cmp_ne_u16_e64 s[6:7], 0, v4
	s_and_saveexec_b64 s[58:59], s[6:7]
	s_cbranch_execz .LBB260_701
; %bb.696:                              ;   in Loop: Header=BB260_12 Depth=1
	v_cmp_ne_u16_e64 s[6:7], s72, v4
	v_bfrev_b32_e32 v29, 1
	s_and_saveexec_b64 s[60:61], s[6:7]
	s_cbranch_execz .LBB260_700
; %bb.697:                              ;   in Loop: Header=BB260_12 Depth=1
	v_and_b32_e32 v64, 0x7f, v4
	v_cmp_ne_u32_e64 s[6:7], s73, v64
	v_mov_b32_e32 v29, 0x7c010000
	s_and_saveexec_b64 s[62:63], s[6:7]
	s_cbranch_execz .LBB260_699
; %bb.698:                              ;   in Loop: Header=BB260_12 Depth=1
	v_and_b32_e32 v29, 7, v4
	v_ffbh_u32_e32 v33, v29
	v_min_u32_e32 v33, 32, v33
	v_lshrrev_b32_e32 v32, 3, v64
	v_cmp_gt_u32_e64 s[6:7], 8, v64
	v_subrev_u32_e32 v64, 28, v33
	v_sub_u32_e32 v33, 29, v33
	v_cndmask_b32_e64 v32, v32, v33, s[6:7]
	v_mov_b32_e32 v33, 0x2000
	v_lshlrev_b64 v[64:65], v64, v[4:5]
	v_lshlrev_b32_e32 v4, 8, v4
	v_lshl_add_u32 v32, v32, 10, v33
	v_and_b32_e32 v33, 7, v64
	v_and_or_b32 v4, v4, s74, v32
	v_cndmask_b32_e64 v29, v29, v33, s[6:7]
	v_lshlrev_b32_e32 v4, 16, v4
	v_lshl_or_b32 v29, v29, 23, v4
.LBB260_699:                            ;   in Loop: Header=BB260_12 Depth=1
	s_or_b64 exec, exec, s[62:63]
.LBB260_700:                            ;   in Loop: Header=BB260_12 Depth=1
	s_or_b64 exec, exec, s[60:61]
.LBB260_701:                            ;   in Loop: Header=BB260_12 Depth=1
	s_or_b64 exec, exec, s[58:59]
	v_lshrrev_b32_e32 v4, 16, v48
	v_cmp_ne_u16_sdwa s[6:7], v4, v5 src0_sel:BYTE_0 src1_sel:DWORD
	v_mov_b32_e32 v64, 0
	v_mov_b32_e32 v65, 0
	s_and_saveexec_b64 s[58:59], s[6:7]
	s_cbranch_execz .LBB260_707
; %bb.702:                              ;   in Loop: Header=BB260_12 Depth=1
	v_cmp_ne_u16_sdwa s[6:7], v4, s72 src0_sel:BYTE_0 src1_sel:DWORD
	v_mov_b32_e32 v65, 0x8000
	s_and_saveexec_b64 s[60:61], s[6:7]
	s_cbranch_execz .LBB260_706
; %bb.703:                              ;   in Loop: Header=BB260_12 Depth=1
	v_bfe_u32 v70, v48, 16, 7
	v_cmp_ne_u32_e64 s[6:7], s73, v70
	v_mov_b32_e32 v65, 0x7c01
	s_and_saveexec_b64 s[62:63], s[6:7]
	s_cbranch_execz .LBB260_705
; %bb.704:                              ;   in Loop: Header=BB260_12 Depth=1
	v_and_b32_e32 v32, 7, v4
	v_ffbh_u32_e32 v65, v32
	v_min_u32_e32 v65, 32, v65
	v_lshrrev_b32_e32 v33, 3, v70
	v_cmp_gt_u32_e64 s[6:7], 8, v70
	v_subrev_u32_e32 v70, 28, v65
	v_sub_u32_e32 v65, 29, v65
	v_cndmask_b32_e64 v33, v33, v65, s[6:7]
	v_mov_b32_e32 v65, 0x2000
	v_lshlrev_b64 v[118:119], v70, v[4:5]
	v_lshl_add_u32 v33, v33, 10, v65
	v_lshlrev_b32_e32 v4, 8, v4
	v_and_b32_e32 v65, 7, v118
	v_and_b32_e32 v33, 0xfc00, v33
	v_cndmask_b32_e64 v32, v32, v65, s[6:7]
	v_and_or_b32 v4, v4, s74, v33
	v_lshl_or_b32 v65, v32, 7, v4
.LBB260_705:                            ;   in Loop: Header=BB260_12 Depth=1
	s_or_b64 exec, exec, s[62:63]
.LBB260_706:                            ;   in Loop: Header=BB260_12 Depth=1
	s_or_b64 exec, exec, s[60:61]
.LBB260_707:                            ;   in Loop: Header=BB260_12 Depth=1
	s_or_b64 exec, exec, s[58:59]
	v_cmp_lt_u32_e64 s[6:7], s75, v48
	s_and_saveexec_b64 s[58:59], s[6:7]
	s_cbranch_execz .LBB260_713
; %bb.708:                              ;   in Loop: Header=BB260_12 Depth=1
	v_lshrrev_b32_e32 v4, 24, v48
	v_cmp_ne_u32_e64 s[6:7], s72, v4
	v_bfrev_b32_e32 v64, 1
	s_and_saveexec_b64 s[60:61], s[6:7]
	s_cbranch_execz .LBB260_712
; %bb.709:                              ;   in Loop: Header=BB260_12 Depth=1
	v_and_b32_e32 v48, 0x7f, v4
	v_cmp_ne_u32_e64 s[6:7], s73, v48
	v_mov_b32_e32 v64, 0x7c010000
	s_and_saveexec_b64 s[62:63], s[6:7]
	s_cbranch_execz .LBB260_711
; %bb.710:                              ;   in Loop: Header=BB260_12 Depth=1
	v_and_b32_e32 v32, 7, v4
	v_lshrrev_b32_e32 v33, 3, v48
	v_cmp_gt_u32_e64 s[6:7], 8, v48
	v_ffbh_u32_e32 v48, v32
	v_min_u32_e32 v48, 32, v48
	v_subrev_u32_e32 v64, 28, v48
	v_sub_u32_e32 v48, 29, v48
	v_cndmask_b32_e64 v33, v33, v48, s[6:7]
	v_mov_b32_e32 v48, 0x2000
	v_lshlrev_b64 v[118:119], v64, v[4:5]
	v_lshlrev_b32_e32 v4, 8, v4
	v_lshl_add_u32 v33, v33, 10, v48
	v_and_b32_e32 v48, 7, v118
	v_and_or_b32 v4, v4, s74, v33
	v_cndmask_b32_e64 v32, v32, v48, s[6:7]
	v_lshlrev_b32_e32 v4, 16, v4
	v_lshl_or_b32 v64, v32, 23, v4
.LBB260_711:                            ;   in Loop: Header=BB260_12 Depth=1
	s_or_b64 exec, exec, s[62:63]
.LBB260_712:                            ;   in Loop: Header=BB260_12 Depth=1
	s_or_b64 exec, exec, s[60:61]
.LBB260_713:                            ;   in Loop: Header=BB260_12 Depth=1
	s_or_b64 exec, exec, s[58:59]
	scratch_load_dwordx2 v[32:33], off, s32 offset:208 ; 8-byte Folded Reload
	v_mov_b32_e32 v48, 0
	s_waitcnt vmcnt(0)
	v_lshl_add_u64 v[38:39], v[38:39], 0, v[32:33]
	flat_load_dword v38, v[38:39]
	v_mov_b32_e32 v39, 0
	s_waitcnt vmcnt(0) lgkmcnt(0)
	v_cmp_ne_u16_sdwa s[6:7], v38, v5 src0_sel:BYTE_0 src1_sel:DWORD
	s_and_saveexec_b64 s[58:59], s[6:7]
	s_cbranch_execz .LBB260_719
; %bb.714:                              ;   in Loop: Header=BB260_12 Depth=1
	v_cmp_ne_u16_sdwa s[6:7], v38, s72 src0_sel:BYTE_0 src1_sel:DWORD
	v_mov_b32_e32 v48, 0x8000
	s_and_saveexec_b64 s[60:61], s[6:7]
	s_cbranch_execz .LBB260_718
; %bb.715:                              ;   in Loop: Header=BB260_12 Depth=1
	v_and_b32_e32 v4, 0x7f, v38
	v_cmp_ne_u32_e64 s[6:7], s73, v4
	v_mov_b32_e32 v48, 0x7c01
	s_and_saveexec_b64 s[62:63], s[6:7]
	s_cbranch_execz .LBB260_717
; %bb.716:                              ;   in Loop: Header=BB260_12 Depth=1
	v_and_b32_e32 v32, 7, v38
	v_lshrrev_b32_e32 v33, 3, v4
	v_cmp_gt_u32_e64 s[6:7], 8, v4
	v_ffbh_u32_e32 v4, v32
	v_min_u32_e32 v4, 32, v4
	v_subrev_u32_e32 v48, 28, v4
	v_sub_u32_e32 v4, 29, v4
	v_lshlrev_b64 v[118:119], v48, v[38:39]
	v_cndmask_b32_e64 v4, v33, v4, s[6:7]
	v_mov_b32_e32 v48, 0x2000
	v_lshl_add_u32 v4, v4, 10, v48
	v_lshlrev_b32_e32 v33, 8, v38
	v_and_b32_e32 v48, 7, v118
	v_and_b32_e32 v4, 0xfc00, v4
	v_cndmask_b32_e64 v32, v32, v48, s[6:7]
	v_and_or_b32 v4, v33, s74, v4
	v_lshl_or_b32 v48, v32, 7, v4
.LBB260_717:                            ;   in Loop: Header=BB260_12 Depth=1
	s_or_b64 exec, exec, s[62:63]
.LBB260_718:                            ;   in Loop: Header=BB260_12 Depth=1
	s_or_b64 exec, exec, s[60:61]
.LBB260_719:                            ;   in Loop: Header=BB260_12 Depth=1
	s_or_b64 exec, exec, s[58:59]
	v_lshrrev_b16_e32 v4, 8, v38
	v_cmp_ne_u16_e64 s[6:7], 0, v4
	s_and_saveexec_b64 s[58:59], s[6:7]
	s_cbranch_execz .LBB260_725
; %bb.720:                              ;   in Loop: Header=BB260_12 Depth=1
	v_cmp_ne_u16_e64 s[6:7], s72, v4
	v_bfrev_b32_e32 v39, 1
	s_and_saveexec_b64 s[60:61], s[6:7]
	s_cbranch_execz .LBB260_724
; %bb.721:                              ;   in Loop: Header=BB260_12 Depth=1
	v_and_b32_e32 v70, 0x7f, v4
	v_cmp_ne_u32_e64 s[6:7], s73, v70
	v_mov_b32_e32 v39, 0x7c010000
	s_and_saveexec_b64 s[62:63], s[6:7]
	s_cbranch_execz .LBB260_723
; %bb.722:                              ;   in Loop: Header=BB260_12 Depth=1
	v_and_b32_e32 v32, 7, v4
	v_ffbh_u32_e32 v39, v32
	v_min_u32_e32 v39, 32, v39
	v_lshrrev_b32_e32 v33, 3, v70
	v_cmp_gt_u32_e64 s[6:7], 8, v70
	v_subrev_u32_e32 v70, 28, v39
	v_sub_u32_e32 v39, 29, v39
	v_cndmask_b32_e64 v33, v33, v39, s[6:7]
	v_mov_b32_e32 v39, 0x2000
	v_lshlrev_b64 v[118:119], v70, v[4:5]
	v_lshlrev_b32_e32 v4, 8, v4
	v_lshl_add_u32 v33, v33, 10, v39
	v_and_b32_e32 v39, 7, v118
	v_and_or_b32 v4, v4, s74, v33
	v_cndmask_b32_e64 v32, v32, v39, s[6:7]
	v_lshlrev_b32_e32 v4, 16, v4
	v_lshl_or_b32 v39, v32, 23, v4
.LBB260_723:                            ;   in Loop: Header=BB260_12 Depth=1
	s_or_b64 exec, exec, s[62:63]
.LBB260_724:                            ;   in Loop: Header=BB260_12 Depth=1
	s_or_b64 exec, exec, s[60:61]
.LBB260_725:                            ;   in Loop: Header=BB260_12 Depth=1
	s_or_b64 exec, exec, s[58:59]
	v_lshrrev_b32_e32 v4, 16, v38
	v_cmp_ne_u16_sdwa s[6:7], v4, v5 src0_sel:BYTE_0 src1_sel:DWORD
	v_mov_b32_e32 v70, 0
	v_mov_b32_e32 v84, 0
	s_and_saveexec_b64 s[58:59], s[6:7]
	s_cbranch_execz .LBB260_731
; %bb.726:                              ;   in Loop: Header=BB260_12 Depth=1
	v_cmp_ne_u16_sdwa s[6:7], v4, s72 src0_sel:BYTE_0 src1_sel:DWORD
	v_mov_b32_e32 v84, 0x8000
	s_and_saveexec_b64 s[60:61], s[6:7]
	s_cbranch_execz .LBB260_730
; %bb.727:                              ;   in Loop: Header=BB260_12 Depth=1
	v_bfe_u32 v100, v38, 16, 7
	v_cmp_ne_u32_e64 s[6:7], s73, v100
	v_mov_b32_e32 v84, 0x7c01
	s_and_saveexec_b64 s[62:63], s[6:7]
	s_cbranch_execz .LBB260_729
; %bb.728:                              ;   in Loop: Header=BB260_12 Depth=1
	v_and_b32_e32 v32, 7, v4
	v_ffbh_u32_e32 v84, v32
	v_min_u32_e32 v84, 32, v84
	v_lshrrev_b32_e32 v33, 3, v100
	v_cmp_gt_u32_e64 s[6:7], 8, v100
	v_subrev_u32_e32 v100, 28, v84
	v_sub_u32_e32 v84, 29, v84
	v_cndmask_b32_e64 v33, v33, v84, s[6:7]
	v_mov_b32_e32 v84, 0x2000
	v_lshlrev_b64 v[118:119], v100, v[4:5]
	v_lshl_add_u32 v33, v33, 10, v84
	v_lshlrev_b32_e32 v4, 8, v4
	v_and_b32_e32 v84, 7, v118
	v_and_b32_e32 v33, 0xfc00, v33
	v_cndmask_b32_e64 v32, v32, v84, s[6:7]
	v_and_or_b32 v4, v4, s74, v33
	v_lshl_or_b32 v84, v32, 7, v4
.LBB260_729:                            ;   in Loop: Header=BB260_12 Depth=1
	s_or_b64 exec, exec, s[62:63]
.LBB260_730:                            ;   in Loop: Header=BB260_12 Depth=1
	s_or_b64 exec, exec, s[60:61]
.LBB260_731:                            ;   in Loop: Header=BB260_12 Depth=1
	s_or_b64 exec, exec, s[58:59]
	v_cmp_lt_u32_e64 s[6:7], s75, v38
	s_and_saveexec_b64 s[58:59], s[6:7]
	s_cbranch_execz .LBB260_737
; %bb.732:                              ;   in Loop: Header=BB260_12 Depth=1
	v_lshrrev_b32_e32 v4, 24, v38
	v_cmp_ne_u32_e64 s[6:7], s72, v4
	v_bfrev_b32_e32 v70, 1
	s_and_saveexec_b64 s[60:61], s[6:7]
	s_cbranch_execz .LBB260_736
; %bb.733:                              ;   in Loop: Header=BB260_12 Depth=1
	v_and_b32_e32 v38, 0x7f, v4
	v_cmp_ne_u32_e64 s[6:7], s73, v38
	v_mov_b32_e32 v70, 0x7c010000
	s_and_saveexec_b64 s[62:63], s[6:7]
	s_cbranch_execz .LBB260_735
; %bb.734:                              ;   in Loop: Header=BB260_12 Depth=1
	v_and_b32_e32 v32, 7, v4
	v_lshrrev_b32_e32 v33, 3, v38
	v_cmp_gt_u32_e64 s[6:7], 8, v38
	v_ffbh_u32_e32 v38, v32
	v_min_u32_e32 v38, 32, v38
	v_subrev_u32_e32 v70, 28, v38
	v_sub_u32_e32 v38, 29, v38
	v_cndmask_b32_e64 v33, v33, v38, s[6:7]
	v_mov_b32_e32 v38, 0x2000
	v_lshlrev_b64 v[118:119], v70, v[4:5]
	v_lshlrev_b32_e32 v4, 8, v4
	v_lshl_add_u32 v33, v33, 10, v38
	v_and_b32_e32 v38, 7, v118
	v_and_or_b32 v4, v4, s74, v33
	v_cndmask_b32_e64 v32, v32, v38, s[6:7]
	v_lshlrev_b32_e32 v4, 16, v4
	v_lshl_or_b32 v70, v32, 23, v4
.LBB260_735:                            ;   in Loop: Header=BB260_12 Depth=1
	s_or_b64 exec, exec, s[62:63]
.LBB260_736:                            ;   in Loop: Header=BB260_12 Depth=1
	s_or_b64 exec, exec, s[60:61]
.LBB260_737:                            ;   in Loop: Header=BB260_12 Depth=1
	s_or_b64 exec, exec, s[58:59]
	scratch_load_dwordx2 v[30:31], off, s32 offset:200 ; 8-byte Folded Reload
	v_lshl_add_u64 v[36:37], v[36:37], 0, s[56:57]
	v_mov_b32_e32 v100, 0
	v_mov_b32_e32 v113, 0
	s_waitcnt vmcnt(0)
	v_lshl_add_u64 v[118:119], v[36:37], 0, v[30:31]
	flat_load_dword v38, v[118:119]
	s_waitcnt vmcnt(0) lgkmcnt(0)
	v_cmp_ne_u16_sdwa s[6:7], v38, v5 src0_sel:BYTE_0 src1_sel:DWORD
	s_and_saveexec_b64 s[58:59], s[6:7]
	s_cbranch_execz .LBB260_743
; %bb.738:                              ;   in Loop: Header=BB260_12 Depth=1
	v_cmp_ne_u16_sdwa s[6:7], v38, s72 src0_sel:BYTE_0 src1_sel:DWORD
	v_mov_b32_e32 v113, 0x8000
	s_and_saveexec_b64 s[60:61], s[6:7]
	s_cbranch_execz .LBB260_742
; %bb.739:                              ;   in Loop: Header=BB260_12 Depth=1
	v_and_b32_e32 v4, 0x7f, v38
	v_cmp_ne_u32_e64 s[6:7], s73, v4
	v_mov_b32_e32 v113, 0x7c01
	s_and_saveexec_b64 s[62:63], s[6:7]
	s_cbranch_execz .LBB260_741
; %bb.740:                              ;   in Loop: Header=BB260_12 Depth=1
	v_and_b32_e32 v32, 7, v38
	v_lshrrev_b32_e32 v33, 3, v4
	v_cmp_gt_u32_e64 s[6:7], 8, v4
	v_ffbh_u32_e32 v4, v32
	v_min_u32_e32 v4, 32, v4
	v_subrev_u32_e32 v113, 28, v4
	v_sub_u32_e32 v4, 29, v4
	v_lshlrev_b64 v[118:119], v113, v[38:39]
	v_cndmask_b32_e64 v4, v33, v4, s[6:7]
	v_mov_b32_e32 v113, v102
	v_mov_b32_e32 v102, 0x2000
	v_lshl_add_u32 v4, v4, 10, v102
	v_lshlrev_b32_e32 v33, 8, v38
	v_mov_b32_e32 v102, v113
	v_and_b32_e32 v113, 7, v118
	v_and_b32_e32 v4, 0xfc00, v4
	v_cndmask_b32_e64 v32, v32, v113, s[6:7]
	v_and_or_b32 v4, v33, s74, v4
	v_lshl_or_b32 v113, v32, 7, v4
.LBB260_741:                            ;   in Loop: Header=BB260_12 Depth=1
	s_or_b64 exec, exec, s[62:63]
.LBB260_742:                            ;   in Loop: Header=BB260_12 Depth=1
	s_or_b64 exec, exec, s[60:61]
.LBB260_743:                            ;   in Loop: Header=BB260_12 Depth=1
	s_or_b64 exec, exec, s[58:59]
	v_lshrrev_b16_e32 v4, 8, v38
	v_cmp_ne_u16_e64 s[6:7], 0, v4
	s_and_saveexec_b64 s[58:59], s[6:7]
	s_cbranch_execz .LBB260_749
; %bb.744:                              ;   in Loop: Header=BB260_12 Depth=1
	v_cmp_ne_u16_e64 s[6:7], s72, v4
	v_bfrev_b32_e32 v100, 1
	s_and_saveexec_b64 s[60:61], s[6:7]
	s_cbranch_execz .LBB260_748
; %bb.745:                              ;   in Loop: Header=BB260_12 Depth=1
	v_and_b32_e32 v115, 0x7f, v4
	v_cmp_ne_u32_e64 s[6:7], s73, v115
	v_mov_b32_e32 v100, 0x7c010000
	s_and_saveexec_b64 s[62:63], s[6:7]
	s_cbranch_execz .LBB260_747
; %bb.746:                              ;   in Loop: Header=BB260_12 Depth=1
	v_and_b32_e32 v32, 7, v4
	v_ffbh_u32_e32 v100, v32
	v_min_u32_e32 v100, 32, v100
	v_lshrrev_b32_e32 v33, 3, v115
	v_cmp_gt_u32_e64 s[6:7], 8, v115
	v_subrev_u32_e32 v115, 28, v100
	v_sub_u32_e32 v100, 29, v100
	v_cndmask_b32_e64 v33, v33, v100, s[6:7]
	v_mov_b32_e32 v100, 0x2000
	v_lshlrev_b64 v[118:119], v115, v[4:5]
	v_lshlrev_b32_e32 v4, 8, v4
	v_lshl_add_u32 v33, v33, 10, v100
	v_and_b32_e32 v100, 7, v118
	v_and_or_b32 v4, v4, s74, v33
	v_cndmask_b32_e64 v32, v32, v100, s[6:7]
	v_lshlrev_b32_e32 v4, 16, v4
	v_lshl_or_b32 v100, v32, 23, v4
.LBB260_747:                            ;   in Loop: Header=BB260_12 Depth=1
	s_or_b64 exec, exec, s[62:63]
.LBB260_748:                            ;   in Loop: Header=BB260_12 Depth=1
	s_or_b64 exec, exec, s[60:61]
.LBB260_749:                            ;   in Loop: Header=BB260_12 Depth=1
	s_or_b64 exec, exec, s[58:59]
	v_lshrrev_b32_e32 v4, 16, v38
	v_cmp_ne_u16_sdwa s[6:7], v4, v5 src0_sel:BYTE_0 src1_sel:DWORD
	v_mov_b32_e32 v115, 0
	v_mov_b32_e32 v117, 0
	s_and_saveexec_b64 s[58:59], s[6:7]
	s_cbranch_execz .LBB260_755
; %bb.750:                              ;   in Loop: Header=BB260_12 Depth=1
	v_cmp_ne_u16_sdwa s[6:7], v4, s72 src0_sel:BYTE_0 src1_sel:DWORD
	v_mov_b32_e32 v117, 0x8000
	s_and_saveexec_b64 s[60:61], s[6:7]
	s_cbranch_execz .LBB260_754
; %bb.751:                              ;   in Loop: Header=BB260_12 Depth=1
	v_bfe_u32 v118, v38, 16, 7
	v_cmp_ne_u32_e64 s[6:7], s73, v118
	v_mov_b32_e32 v117, 0x7c01
	s_and_saveexec_b64 s[62:63], s[6:7]
	s_cbranch_execz .LBB260_753
; %bb.752:                              ;   in Loop: Header=BB260_12 Depth=1
	v_and_b32_e32 v32, 7, v4
	v_ffbh_u32_e32 v117, v32
	v_min_u32_e32 v117, 32, v117
	v_lshrrev_b32_e32 v33, 3, v118
	v_cmp_gt_u32_e64 s[6:7], 8, v118
	v_subrev_u32_e32 v118, 28, v117
	v_sub_u32_e32 v117, 29, v117
	v_cndmask_b32_e64 v33, v33, v117, s[6:7]
	v_mov_b32_e32 v117, v102
	v_mov_b32_e32 v102, 0x2000
	v_lshlrev_b64 v[118:119], v118, v[4:5]
	v_lshl_add_u32 v33, v33, 10, v102
	v_lshlrev_b32_e32 v4, 8, v4
	v_mov_b32_e32 v102, v117
	v_and_b32_e32 v117, 7, v118
	v_and_b32_e32 v33, 0xfc00, v33
	v_cndmask_b32_e64 v32, v32, v117, s[6:7]
	v_and_or_b32 v4, v4, s74, v33
	v_lshl_or_b32 v117, v32, 7, v4
.LBB260_753:                            ;   in Loop: Header=BB260_12 Depth=1
	s_or_b64 exec, exec, s[62:63]
.LBB260_754:                            ;   in Loop: Header=BB260_12 Depth=1
	s_or_b64 exec, exec, s[60:61]
.LBB260_755:                            ;   in Loop: Header=BB260_12 Depth=1
	s_or_b64 exec, exec, s[58:59]
	v_cmp_lt_u32_e64 s[6:7], s75, v38
	s_and_saveexec_b64 s[58:59], s[6:7]
	s_cbranch_execz .LBB260_761
; %bb.756:                              ;   in Loop: Header=BB260_12 Depth=1
	v_lshrrev_b32_e32 v4, 24, v38
	v_cmp_ne_u32_e64 s[6:7], s72, v4
	v_bfrev_b32_e32 v115, 1
	s_and_saveexec_b64 s[60:61], s[6:7]
	s_cbranch_execz .LBB260_760
; %bb.757:                              ;   in Loop: Header=BB260_12 Depth=1
	v_and_b32_e32 v38, 0x7f, v4
	v_cmp_ne_u32_e64 s[6:7], s73, v38
	v_mov_b32_e32 v115, 0x7c010000
	s_and_saveexec_b64 s[62:63], s[6:7]
	s_cbranch_execz .LBB260_759
; %bb.758:                              ;   in Loop: Header=BB260_12 Depth=1
	v_and_b32_e32 v32, 7, v4
	v_lshrrev_b32_e32 v33, 3, v38
	v_cmp_gt_u32_e64 s[6:7], 8, v38
	v_ffbh_u32_e32 v38, v32
	v_min_u32_e32 v38, 32, v38
	v_subrev_u32_e32 v115, 28, v38
	v_sub_u32_e32 v38, 29, v38
	v_cndmask_b32_e64 v33, v33, v38, s[6:7]
	v_mov_b32_e32 v38, 0x2000
	v_lshlrev_b64 v[118:119], v115, v[4:5]
	v_lshlrev_b32_e32 v4, 8, v4
	v_lshl_add_u32 v33, v33, 10, v38
	v_and_b32_e32 v38, 7, v118
	v_and_or_b32 v4, v4, s74, v33
	v_cndmask_b32_e64 v32, v32, v38, s[6:7]
	v_lshlrev_b32_e32 v4, 16, v4
	v_lshl_or_b32 v115, v32, 23, v4
.LBB260_759:                            ;   in Loop: Header=BB260_12 Depth=1
	s_or_b64 exec, exec, s[62:63]
.LBB260_760:                            ;   in Loop: Header=BB260_12 Depth=1
	s_or_b64 exec, exec, s[60:61]
.LBB260_761:                            ;   in Loop: Header=BB260_12 Depth=1
	s_or_b64 exec, exec, s[58:59]
	scratch_load_dwordx2 v[32:33], off, s32 offset:208 ; 8-byte Folded Reload
	v_mov_b32_e32 v38, 0
	v_mov_b32_e32 v118, 0
	s_waitcnt vmcnt(0)
	v_lshl_add_u64 v[36:37], v[36:37], 0, v[32:33]
	flat_load_dword v36, v[36:37]
	s_waitcnt vmcnt(0) lgkmcnt(0)
	v_cmp_ne_u16_sdwa s[6:7], v36, v5 src0_sel:BYTE_0 src1_sel:DWORD
	s_and_saveexec_b64 s[58:59], s[6:7]
	s_cbranch_execz .LBB260_767
; %bb.762:                              ;   in Loop: Header=BB260_12 Depth=1
	v_cmp_ne_u16_sdwa s[6:7], v36, s72 src0_sel:BYTE_0 src1_sel:DWORD
	v_mov_b32_e32 v118, 0x8000
	s_and_saveexec_b64 s[60:61], s[6:7]
	s_cbranch_execz .LBB260_766
; %bb.763:                              ;   in Loop: Header=BB260_12 Depth=1
	v_and_b32_e32 v4, 0x7f, v36
	v_cmp_ne_u32_e64 s[6:7], s73, v4
	v_mov_b32_e32 v118, 0x7c01
	s_and_saveexec_b64 s[62:63], s[6:7]
	s_cbranch_execz .LBB260_765
; %bb.764:                              ;   in Loop: Header=BB260_12 Depth=1
	v_and_b32_e32 v32, 7, v36
	v_lshrrev_b32_e32 v33, 3, v4
	v_cmp_gt_u32_e64 s[6:7], 8, v4
	v_ffbh_u32_e32 v4, v32
	v_min_u32_e32 v4, 32, v4
	v_subrev_u32_e32 v37, 28, v4
	v_sub_u32_e32 v4, 29, v4
	v_lshlrev_b64 v[118:119], v37, v[36:37]
	v_cndmask_b32_e64 v4, v33, v4, s[6:7]
	v_mov_b32_e32 v37, 0x2000
	v_lshl_add_u32 v4, v4, 10, v37
	v_lshlrev_b32_e32 v33, 8, v36
	v_and_b32_e32 v37, 7, v118
	v_and_b32_e32 v4, 0xfc00, v4
	v_cndmask_b32_e64 v32, v32, v37, s[6:7]
	v_and_or_b32 v4, v33, s74, v4
	v_lshl_or_b32 v118, v32, 7, v4
.LBB260_765:                            ;   in Loop: Header=BB260_12 Depth=1
	s_or_b64 exec, exec, s[62:63]
.LBB260_766:                            ;   in Loop: Header=BB260_12 Depth=1
	s_or_b64 exec, exec, s[60:61]
.LBB260_767:                            ;   in Loop: Header=BB260_12 Depth=1
	s_or_b64 exec, exec, s[58:59]
	v_lshrrev_b16_e32 v4, 8, v36
	v_cmp_ne_u16_e64 s[6:7], 0, v4
	s_and_saveexec_b64 s[58:59], s[6:7]
	s_cbranch_execz .LBB260_773
; %bb.768:                              ;   in Loop: Header=BB260_12 Depth=1
	v_cmp_ne_u16_e64 s[6:7], s72, v4
	v_bfrev_b32_e32 v38, 1
	s_and_saveexec_b64 s[60:61], s[6:7]
	s_cbranch_execz .LBB260_772
; %bb.769:                              ;   in Loop: Header=BB260_12 Depth=1
	v_and_b32_e32 v37, 0x7f, v4
	v_cmp_ne_u32_e64 s[6:7], s73, v37
	v_mov_b32_e32 v38, 0x7c010000
	s_and_saveexec_b64 s[62:63], s[6:7]
	s_cbranch_execz .LBB260_771
; %bb.770:                              ;   in Loop: Header=BB260_12 Depth=1
	v_and_b32_e32 v32, 7, v4
	v_lshrrev_b32_e32 v33, 3, v37
	v_cmp_gt_u32_e64 s[6:7], 8, v37
	v_ffbh_u32_e32 v37, v32
	v_min_u32_e32 v37, 32, v37
	v_subrev_u32_e32 v38, 28, v37
	v_sub_u32_e32 v37, 29, v37
	v_cndmask_b32_e64 v33, v33, v37, s[6:7]
	v_mov_b32_e32 v37, 0x2000
	v_mov_b32_e32 v119, v71
	;; [unrolled: 1-line block ×3, first 2 shown]
	v_lshlrev_b64 v[58:59], v38, v[4:5]
	v_lshlrev_b32_e32 v4, 8, v4
	v_lshl_add_u32 v33, v33, 10, v37
	v_and_b32_e32 v37, 7, v58
	v_and_or_b32 v4, v4, s74, v33
	v_cndmask_b32_e64 v32, v32, v37, s[6:7]
	v_lshlrev_b32_e32 v4, 16, v4
	v_mov_b32_e32 v59, v71
	v_mov_b32_e32 v71, v119
	v_lshl_or_b32 v38, v32, 23, v4
.LBB260_771:                            ;   in Loop: Header=BB260_12 Depth=1
	s_or_b64 exec, exec, s[62:63]
.LBB260_772:                            ;   in Loop: Header=BB260_12 Depth=1
	s_or_b64 exec, exec, s[60:61]
.LBB260_773:                            ;   in Loop: Header=BB260_12 Depth=1
	s_or_b64 exec, exec, s[58:59]
	v_lshrrev_b32_e32 v4, 16, v36
	v_cmp_ne_u16_sdwa s[6:7], v4, v5 src0_sel:BYTE_0 src1_sel:DWORD
	v_mov_b32_e32 v58, 0
	v_mov_b32_e32 v60, 0
	s_and_saveexec_b64 s[58:59], s[6:7]
	s_cbranch_execz .LBB260_779
; %bb.774:                              ;   in Loop: Header=BB260_12 Depth=1
	v_cmp_ne_u16_sdwa s[6:7], v4, s72 src0_sel:BYTE_0 src1_sel:DWORD
	v_mov_b32_e32 v60, 0x8000
	s_and_saveexec_b64 s[60:61], s[6:7]
	s_cbranch_execz .LBB260_778
; %bb.775:                              ;   in Loop: Header=BB260_12 Depth=1
	v_bfe_u32 v37, v36, 16, 7
	v_cmp_ne_u32_e64 s[6:7], s73, v37
	v_mov_b32_e32 v60, 0x7c01
	s_and_saveexec_b64 s[62:63], s[6:7]
	s_cbranch_execz .LBB260_777
; %bb.776:                              ;   in Loop: Header=BB260_12 Depth=1
	v_and_b32_e32 v32, 7, v4
	v_lshrrev_b32_e32 v33, 3, v37
	v_cmp_gt_u32_e64 s[6:7], 8, v37
	v_ffbh_u32_e32 v37, v32
	v_min_u32_e32 v37, 32, v37
	v_subrev_u32_e32 v119, 28, v37
	v_sub_u32_e32 v37, 29, v37
	v_cndmask_b32_e64 v33, v33, v37, s[6:7]
	v_mov_b32_e32 v37, 0x2000
	v_mov_b32_e32 v60, v76
	;; [unrolled: 1-line block ×8, first 2 shown]
	v_lshlrev_b64 v[88:89], v119, v[4:5]
	v_lshl_add_u32 v33, v33, 10, v37
	v_lshlrev_b32_e32 v4, 8, v4
	v_and_b32_e32 v37, 7, v88
	v_and_b32_e32 v33, 0xfc00, v33
	v_cndmask_b32_e64 v32, v32, v37, s[6:7]
	v_and_or_b32 v4, v4, s74, v33
	v_mov_b32_e32 v89, v108
	v_mov_b32_e32 v108, v30
	v_mov_b32_e32 v88, v23
	v_mov_b32_e32 v23, v22
	v_mov_b32_e32 v22, v78
	v_mov_b32_e32 v78, v76
	v_mov_b32_e32 v76, v60
	v_lshl_or_b32 v60, v32, 7, v4
.LBB260_777:                            ;   in Loop: Header=BB260_12 Depth=1
	s_or_b64 exec, exec, s[62:63]
.LBB260_778:                            ;   in Loop: Header=BB260_12 Depth=1
	s_or_b64 exec, exec, s[60:61]
.LBB260_779:                            ;   in Loop: Header=BB260_12 Depth=1
	s_or_b64 exec, exec, s[58:59]
	v_cmp_lt_u32_e64 s[6:7], s75, v36
	s_and_saveexec_b64 s[58:59], s[6:7]
	s_cbranch_execz .LBB260_785
; %bb.780:                              ;   in Loop: Header=BB260_12 Depth=1
	v_lshrrev_b32_e32 v4, 24, v36
	v_cmp_ne_u32_e64 s[6:7], s72, v4
	v_bfrev_b32_e32 v58, 1
	s_and_saveexec_b64 s[60:61], s[6:7]
	s_cbranch_execz .LBB260_784
; %bb.781:                              ;   in Loop: Header=BB260_12 Depth=1
	v_and_b32_e32 v36, 0x7f, v4
	v_cmp_ne_u32_e64 s[6:7], s73, v36
	v_mov_b32_e32 v58, 0x7c010000
	s_and_saveexec_b64 s[62:63], s[6:7]
	s_cbranch_execz .LBB260_783
; %bb.782:                              ;   in Loop: Header=BB260_12 Depth=1
	v_and_b32_e32 v32, 7, v4
	v_lshrrev_b32_e32 v33, 3, v36
	v_cmp_gt_u32_e64 s[6:7], 8, v36
	v_ffbh_u32_e32 v36, v32
	v_min_u32_e32 v119, 32, v36
	v_subrev_u32_e32 v36, 28, v119
	v_lshlrev_b64 v[36:37], v36, v[4:5]
	v_sub_u32_e32 v37, 29, v119
	v_cndmask_b32_e64 v33, v33, v37, s[6:7]
	v_mov_b32_e32 v37, 0x2000
	v_lshlrev_b32_e32 v4, 8, v4
	v_lshl_add_u32 v33, v33, 10, v37
	v_and_b32_e32 v36, 7, v36
	v_and_or_b32 v4, v4, s74, v33
	v_cndmask_b32_e64 v32, v32, v36, s[6:7]
	v_lshlrev_b32_e32 v4, 16, v4
	v_lshl_or_b32 v58, v32, 23, v4
.LBB260_783:                            ;   in Loop: Header=BB260_12 Depth=1
	s_or_b64 exec, exec, s[62:63]
.LBB260_784:                            ;   in Loop: Header=BB260_12 Depth=1
	s_or_b64 exec, exec, s[60:61]
.LBB260_785:                            ;   in Loop: Header=BB260_12 Depth=1
	s_or_b64 exec, exec, s[58:59]
	v_or_b32_e32 v4, v100, v113
	v_fma_mixlo_f16 v4, v82, v4, 0 op_sel_hi:[0,1,0]
	scratch_store_dword off, v4, s32 offset:344 ; 4-byte Folded Spill
	v_or_b32_e32 v4, v115, v117
	v_fma_mixlo_f16 v4, v82, v4, 0 op_sel_hi:[0,1,0]
	scratch_store_dword off, v4, s32 offset:336 ; 4-byte Folded Spill
	;; [unrolled: 3-line block ×4, first 2 shown]
	v_fma_mixlo_f16 v4, v82, v70, 0 op_sel:[0,1,0] op_sel_hi:[0,1,0]
	scratch_store_dword off, v4, s32 offset:348 ; 4-byte Folded Spill
	v_or_b32_e32 v4, v29, v49
	v_fma_mixlo_f16 v4, v82, v4, 0 op_sel_hi:[0,1,0]
	scratch_store_dword off, v4, s32 offset:376 ; 4-byte Folded Spill
	v_or_b32_e32 v4, v64, v65
	v_fma_mixlo_f16 v4, v82, v4, 0 op_sel_hi:[0,1,0]
	scratch_store_dword off, v4, s32 offset:368 ; 4-byte Folded Spill
	v_fma_mixlo_f16 v4, v82, v64, 0 op_sel:[0,1,0] op_sel_hi:[0,1,0]
	scratch_store_dword off, v4, s32 offset:364 ; 4-byte Folded Spill
	v_or_b32_e32 v4, v7, v9
	v_fma_mixlo_f16 v4, v82, v4, 0 op_sel_hi:[0,1,0]
	scratch_store_dword off, v4, s32 offset:392 ; 4-byte Folded Spill
	v_or_b32_e32 v4, v24, v25
	v_fma_mixlo_f16 v4, v82, v4, 0 op_sel_hi:[0,1,0]
	scratch_store_dword off, v4, s32 offset:384 ; 4-byte Folded Spill
	;; [unrolled: 8-line block ×3, first 2 shown]
	v_fma_mixlo_f16 v4, v82, v19, 0 op_sel:[0,1,0] op_sel_hi:[0,1,0]
	scratch_store_dword off, v4, s32 offset:396 ; 4-byte Folded Spill
	v_or_b32_e32 v4, v2, v8
	v_fma_mixlo_f16 v2, v82, v2, 0 op_sel:[0,1,0] op_sel_hi:[0,1,0]
	scratch_store_dword off, v2, s32 offset:420 ; 4-byte Folded Spill
	v_fma_mixlo_f16 v2, v82, v4, 0 op_sel_hi:[0,1,0]
	scratch_store_dword off, v2, s32 offset:424 ; 4-byte Folded Spill
	v_or_b32_e32 v2, v3, v10
	v_fma_mixlo_f16 v2, v82, v2, 0 op_sel_hi:[0,1,0]
	scratch_store_dword off, v2, s32 offset:416 ; 4-byte Folded Spill
	v_fma_mixlo_f16 v2, v82, v3, 0 op_sel:[0,1,0] op_sel_hi:[0,1,0]
	scratch_store_dword off, v2, s32 offset:412 ; 4-byte Folded Spill
	v_or_b32_e32 v2, v0, v68
	v_fma_mixlo_f16 v0, v82, v0, 0 op_sel:[0,1,0] op_sel_hi:[0,1,0]
	scratch_store_dword off, v0, s32 offset:436 ; 4-byte Folded Spill
	v_fma_mixlo_f16 v0, v82, v2, 0 op_sel_hi:[0,1,0]
	scratch_store_dword off, v0, s32 offset:440 ; 4-byte Folded Spill
	v_or_b32_e32 v0, v55, v80
	v_fma_mixlo_f16 v0, v82, v0, 0 op_sel_hi:[0,1,0]
	scratch_store_dword off, v0, s32 offset:432 ; 4-byte Folded Spill
	v_fma_mixlo_f16 v0, v82, v55, 0 op_sel:[0,1,0] op_sel_hi:[0,1,0]
	scratch_store_dword off, v0, s32 offset:428 ; 4-byte Folded Spill
	v_or_b32_e32 v0, v96, v98
	v_fma_mixlo_f16 v80, v82, v0, 0 op_sel_hi:[0,1,0]
	v_or_b32_e32 v0, v103, v116
	v_fma_mixlo_f16 v98, v82, v0, 0 op_sel_hi:[0,1,0]
	v_fma_mixlo_f16 v0, v82, v103, 0 op_sel:[0,1,0] op_sel_hi:[0,1,0]
	scratch_store_dword off, v0, s32 offset:444 ; 4-byte Folded Spill
	v_or_b32_e32 v0, v112, v114
	v_fma_mixlo_f16 v68, v82, v0, 0 op_sel_hi:[0,1,0]
	v_or_b32_e32 v0, v46, v56
	v_fma_mixlo_f16 v114, v82, v0, 0 op_sel_hi:[0,1,0]
	;; [unrolled: 2-line block ×3, first 2 shown]
	v_or_b32_e32 v0, v85, v87
	v_fma_mixlo_f16 v30, v82, v100, 0 op_sel:[0,1,0] op_sel_hi:[0,1,0]
	v_fma_mixlo_f16 v44, v82, v0, 0 op_sel_hi:[0,1,0]
	v_or_b32_e32 v0, v40, v42
	scratch_store_dword off, v30, s32 offset:340 ; 4-byte Folded Spill
	v_fma_mixlo_f16 v30, v82, v39, 0 op_sel:[0,1,0] op_sel_hi:[0,1,0]
	v_fma_mixlo_f16 v39, v82, v0, 0 op_sel_hi:[0,1,0]
	v_or_b32_e32 v0, v62, v83
	v_fma_mixlo_f16 v42, v82, v0, 0 op_sel_hi:[0,1,0]
	v_or_b32_e32 v0, v20, v51
	v_fma_mixlo_f16 v48, v82, v40, 0 op_sel:[0,1,0] op_sel_hi:[0,1,0]
	v_fma_mixlo_f16 v40, v82, v62, 0 op_sel:[0,1,0] op_sel_hi:[0,1,0]
	v_fma_mixlo_f16 v62, v82, v0, 0 op_sel_hi:[0,1,0]
	v_or_b32_e32 v0, v86, v69
	v_fma_mixlo_f16 v29, v82, v29, 0 op_sel:[0,1,0] op_sel_hi:[0,1,0]
	v_fma_mixlo_f16 v51, v82, v0, 0 op_sel_hi:[0,1,0]
	v_or_b32_e32 v0, v16, v11
	scratch_store_dword off, v29, s32 offset:372 ; 4-byte Folded Spill
	v_fma_mixlo_f16 v29, v82, v86, 0 op_sel:[0,1,0] op_sel_hi:[0,1,0]
	v_fma_mixlo_f16 v86, v82, v0, 0 op_sel_hi:[0,1,0]
	v_or_b32_e32 v0, v15, v54
	v_fma_mixlo_f16 v54, v82, v0, 0 op_sel_hi:[0,1,0]
	v_or_b32_e32 v0, v127, v17
	v_fma_mixlo_f16 v83, v82, v20, 0 op_sel:[0,1,0] op_sel_hi:[0,1,0]
	v_fma_mixlo_f16 v20, v82, v0, 0 op_sel_hi:[0,1,0]
	v_or_b32_e32 v0, v13, v1
	v_fma_mixlo_f16 v64, v82, v85, 0 op_sel:[0,1,0] op_sel_hi:[0,1,0]
	v_fma_mixlo_f16 v85, v82, v127, 0 op_sel:[0,1,0] op_sel_hi:[0,1,0]
	v_fma_mixlo_f16 v127, v82, v0, 0 op_sel_hi:[0,1,0]
	v_or_b32_e32 v0, v123, v67
	v_fma_mixlo_f16 v17, v82, v0, 0 op_sel_hi:[0,1,0]
	v_or_b32_e32 v0, v125, v120
	;; [unrolled: 2-line block ×4, first 2 shown]
	v_fma_mixlo_f16 v69, v82, v16, 0 op_sel:[0,1,0] op_sel_hi:[0,1,0]
	v_fma_mixlo_f16 v16, v82, v0, 0 op_sel_hi:[0,1,0]
	v_or_b32_e32 v0, v107, v81
	v_fma_mixlo_f16 v122, v82, v0, 0 op_sel_hi:[0,1,0]
	v_or_b32_e32 v0, v109, v110
	;; [unrolled: 2-line block ×6, first 2 shown]
	v_fma_mixlo_f16 v92, v82, v0, 0 op_sel_hi:[0,1,0]
	scratch_load_dword v0, off, s32 offset:308 ; 4-byte Folded Reload
	v_fma_mixlo_f16 v87, v82, v123, 0 op_sel:[0,1,0] op_sel_hi:[0,1,0]
	v_fma_mixlo_f16 v123, v82, v125, 0 op_sel:[0,1,0] op_sel_hi:[0,1,0]
	;; [unrolled: 1-line block ×19, first 2 shown]
	v_or_b32_e32 v15, v126, v23
	v_fma_mixlo_f16 v119, v82, v15, 0 op_sel_hi:[0,1,0]
	v_or_b32_e32 v15, v22, v89
	v_fma_mixlo_f16 v25, v82, v15, 0 op_sel_hi:[0,1,0]
	;; [unrolled: 2-line block ×3, first 2 shown]
	v_or_b32_e32 v32, v58, v60
	v_fma_mixlo_f16 v7, v82, v7, 0 op_sel:[0,1,0] op_sel_hi:[0,1,0]
	v_fma_mixlo_f16 v23, v82, v32, 0 op_sel_hi:[0,1,0]
	ds_read_b64 v[32:33], v50
	scratch_store_dword off, v7, s32 offset:388 ; 4-byte Folded Spill
	v_fma_mixlo_f16 v7, v82, v14, 0 op_sel:[0,1,0] op_sel_hi:[0,1,0]
	v_fma_mixlo_f16 v11, v82, v43, 0 op_sel:[0,1,0] op_sel_hi:[0,1,0]
	scratch_store_dword off, v7, s32 offset:404 ; 4-byte Folded Spill
	v_fma_mixlo_f16 v7, v82, v101, 0 op_sel:[0,1,0] op_sel_hi:[0,1,0]
	scratch_store_dword off, v30, s32 offset:356 ; 4-byte Folded Spill
	v_fma_mixlo_f16 v96, v82, v96, 0 op_sel:[0,1,0] op_sel_hi:[0,1,0]
	v_fma_mixlo_f16 v30, v82, v75, 0 op_sel:[0,1,0] op_sel_hi:[0,1,0]
	;; [unrolled: 1-line block ×10, first 2 shown]
	v_and_b32_e32 v49, 0xffff, v49
	v_and_b32_e32 v36, 0xffff, v36
	;; [unrolled: 1-line block ×5, first 2 shown]
	scratch_load_dword v1, off, s32 offset:288 ; 4-byte Folded Reload
	scratch_load_dword v15, off, s32 offset:248 ; 4-byte Folded Reload
	;; [unrolled: 1-line block ×3, first 2 shown]
	s_waitcnt vmcnt(6)
	v_or_b32_e32 v0, v90, v0
	v_fma_mixlo_f16 v94, v82, v0, 0 op_sel_hi:[0,1,0]
	scratch_load_dword v0, off, s32 offset:312 ; 4-byte Folded Reload
	s_waitcnt vmcnt(3)
	v_or_b32_e32 v1, v97, v1
	v_fma_mixlo_f16 v97, v82, v71, 0 op_sel:[0,1,0] op_sel_hi:[0,1,0]
	s_waitcnt vmcnt(1)
	v_or_b32_e32 v3, v57, v3
	v_fma_mixlo_f16 v67, v82, v3, 0 op_sel_hi:[0,1,0]
	scratch_load_dword v3, off, s32 offset:268 ; 4-byte Folded Reload
	v_or_b32_e32 v15, v88, v15
	v_fma_mixlo_f16 v37, v82, v15, 0 op_sel_hi:[0,1,0]
	v_or_b32_e32 v15, v71, v61
	v_fma_mixlo_f16 v71, v82, v38, 0 op_sel:[0,1,0] op_sel_hi:[0,1,0]
	s_waitcnt vmcnt(1)
	v_or_b32_e32 v0, v101, v0
	v_fma_mixlo_f16 v81, v82, v0, 0 op_sel_hi:[0,1,0]
	scratch_load_dword v0, off, s32 offset:300 ; 4-byte Folded Reload
	s_waitcnt vmcnt(1)
	v_or_b32_e32 v3, v43, v3
	v_fma_mixlo_f16 v13, v82, v3, 0 op_sel_hi:[0,1,0]
	scratch_load_dword v3, off, s32 offset:272 ; 4-byte Folded Reload
	v_fma_mixlo_f16 v43, v82, v45, 0 op_sel:[0,1,0] op_sel_hi:[0,1,0]
	s_waitcnt vmcnt(1)
	v_or_b32_e32 v0, v75, v0
	v_fma_mixlo_f16 v90, v82, v0, 0 op_sel_hi:[0,1,0]
	scratch_load_dword v0, off, s32 offset:304 ; 4-byte Folded Reload
	v_fma_mixlo_f16 v75, v82, v99, 0 op_sel:[0,1,0] op_sel_hi:[0,1,0]
	s_waitcnt vmcnt(1)
	v_or_b32_e32 v3, v45, v3
	v_fma_mixlo_f16 v45, v82, v28, 0 op_sel:[0,1,0] op_sel_hi:[0,1,0]
	s_waitcnt vmcnt(0)
	v_or_b32_e32 v0, v99, v0
	v_fma_mixlo_f16 v4, v82, v0, 0 op_sel_hi:[0,1,0]
	scratch_load_dword v0, off, s32 offset:292 ; 4-byte Folded Reload
	v_fma_mixlo_f16 v99, v82, v76, 0 op_sel:[0,1,0] op_sel_hi:[0,1,0]
	s_waitcnt vmcnt(0)
	v_or_b32_e32 v0, v63, v0
	v_fma_mixlo_f16 v103, v82, v0, 0 op_sel_hi:[0,1,0]
	scratch_load_dword v0, off, s32 offset:296 ; 4-byte Folded Reload
	;; [unrolled: 5-line block ×3, first 2 shown]
	v_fma_mixlo_f16 v73, v82, v1, 0 op_sel_hi:[0,1,0]
	scratch_load_dword v1, off, s32 offset:276 ; 4-byte Folded Reload
	s_waitcnt vmcnt(0)
	v_or_b32_e32 v1, v47, v1
	v_fma_mixlo_f16 v47, v82, v57, 0 op_sel:[0,1,0] op_sel_hi:[0,1,0]
	v_fma_mixlo_f16 v57, v82, v3, 0 op_sel_hi:[0,1,0]
	scratch_load_dword v3, off, s32 offset:260 ; 4-byte Folded Reload
	v_fma_mixlo_f16 v1, v82, v1, 0 op_sel_hi:[0,1,0]
	v_and_b32_e32 v1, 0xffff, v1
	s_waitcnt vmcnt(0)
	v_or_b32_e32 v10, v6, v3
	v_fma_mixlo_f16 v3, v82, v6, 0 op_sel:[0,1,0] op_sel_hi:[0,1,0]
	scratch_load_dword v6, off, s32 offset:264 ; 4-byte Folded Reload
	v_fma_mixlo_f16 v19, v82, v10, 0 op_sel_hi:[0,1,0]
	v_and_b32_e32 v3, 0xffff, v3
	s_waitcnt vmcnt(0)
	v_or_b32_e32 v6, v28, v6
	v_fma_mixlo_f16 v55, v82, v6, 0 op_sel_hi:[0,1,0]
	scratch_load_dword v6, off, s32 offset:252 ; 4-byte Folded Reload
	v_or_b32_e32 v0, v41, v0
	v_fma_mixlo_f16 v0, v82, v0, 0 op_sel_hi:[0,1,0]
	v_fma_mixlo_f16 v41, v82, v74, 0 op_sel:[0,1,0] op_sel_hi:[0,1,0]
	v_and_b32_e32 v0, 0xffff, v0
	v_fma_mixlo_f16 v28, v82, v15, 0 op_sel_hi:[0,1,0]
	v_or_b32_e32 v15, v76, v77
	v_fma_mixlo_f16 v101, v82, v15, 0 op_sel_hi:[0,1,0]
	v_or_b32_e32 v15, v102, v72
	v_and_b32_e32 v28, 0xffff, v28
	v_fma_mixlo_f16 v100, v82, v15, 0 op_sel_hi:[0,1,0]
	v_or_b32_e32 v15, v74, v59
	v_fma_mixlo_f16 v70, v82, v15, 0 op_sel_hi:[0,1,0]
	v_or_b32_e32 v15, v38, v118
	v_fma_mixlo_f16 v15, v82, v15, 0 op_sel_hi:[0,1,0]
	s_waitcnt vmcnt(0)
	v_or_b32_e32 v6, v108, v6
	v_fma_mixlo_f16 v24, v82, v6, 0 op_sel_hi:[0,1,0]
	scratch_load_dword v6, off, s32 offset:256 ; 4-byte Folded Reload
	v_and_b32_e32 v24, 0xffff, v24
	s_waitcnt vmcnt(0)
	v_or_b32_e32 v6, v26, v6
	v_fma_mixlo_f16 v26, v82, v26, 0 op_sel:[0,1,0] op_sel_hi:[0,1,0]
	v_fma_mixlo_f16 v10, v82, v6, 0 op_sel_hi:[0,1,0]
	v_fma_mixlo_f16 v6, v82, v126, 0 op_sel:[0,1,0] op_sel_hi:[0,1,0]
	s_waitcnt lgkmcnt(0)
	v_lshrrev_b32_e32 v82, 16, v32
	v_and_b32_e32 v32, 0xffff, v32
	;;#ASMSTART
	v_cvt_f32_f16 v38, v32;
	;;#ASMEND
	;;#ASMSTART
	v_cvt_f32_f16 v118, v82;
	;;#ASMEND
	v_and_b32_e32 v32, 0xffff, v100
	;;#ASMSTART
	v_cvt_f32_f16 v100, v32;
	;;#ASMEND
	v_and_b32_e32 v6, 0xffff, v6
	v_and_b32_e32 v10, 0xffff, v10
	;; [unrolled: 1-line block ×3, first 2 shown]
	;;#ASMSTART
	v_cvt_f32_f16 v84, v32;
	;;#ASMEND
	v_lshrrev_b32_e32 v32, 16, v33
	v_and_b32_e32 v33, 0xffff, v33
	;;#ASMSTART
	v_cvt_f32_f16 v58, v33;
	;;#ASMEND
	;;#ASMSTART
	v_cvt_f32_f16 v60, v32;
	;;#ASMEND
	v_and_b32_e32 v32, 0xffff, v70
	;;#ASMSTART
	v_cvt_f32_f16 v70, v32;
	;;#ASMEND
	v_and_b32_e32 v32, 0xffff, v41
	;;#ASMSTART
	v_cvt_f32_f16 v41, v32;
	;;#ASMEND
	ds_read_b64 v[32:33], v50 offset:8
	s_waitcnt lgkmcnt(0)
	v_lshrrev_b32_e32 v82, 16, v32
	v_and_b32_e32 v32, 0xffff, v32
	;;#ASMSTART
	v_cvt_f32_f16 v32, v32;
	;;#ASMEND
	;;#ASMSTART
	v_cvt_f32_f16 v102, v82;
	;;#ASMEND
	;; [unrolled: 3-line block ×3, first 2 shown]
	v_and_b32_e32 v82, 0xffff, v97
	;;#ASMSTART
	v_cvt_f32_f16 v97, v82;
	;;#ASMEND
	v_mul_f32_e32 v82, v32, v28
	v_lshrrev_b32_e32 v32, 16, v33
	v_and_b32_e32 v28, 0xffff, v33
	v_and_b32_e32 v33, 0xffff, v101
	v_mul_f32_e32 v97, v102, v97
	v_fmac_f32_e32 v82, v38, v100
	;;#ASMSTART
	v_cvt_f32_f16 v28, v28;
	;;#ASMEND
	;;#ASMSTART
	v_cvt_f32_f16 v32, v32;
	;;#ASMEND
	;; [unrolled: 3-line block ×3, first 2 shown]
	v_and_b32_e32 v38, 0xffff, v99
	v_mul_f32_e32 v99, v28, v33
	v_fmac_f32_e32 v97, v118, v84
	;;#ASMSTART
	v_cvt_f32_f16 v38, v38;
	;;#ASMEND
	v_fmac_f32_e32 v99, v58, v70
	v_mul_f32_e32 v101, v32, v38
	ds_read_b64 v[32:33], v50 offset:16
	v_fmac_f32_e32 v101, v60, v41
	s_waitcnt lgkmcnt(0)
	v_lshrrev_b32_e32 v38, 16, v32
	v_and_b32_e32 v28, 0xffff, v32
	;;#ASMSTART
	v_cvt_f32_f16 v28, v28;
	;;#ASMEND
	;;#ASMSTART
	v_cvt_f32_f16 v32, v38;
	;;#ASMEND
	v_and_b32_e32 v38, 0xffff, v65
	;;#ASMSTART
	v_cvt_f32_f16 v38, v38;
	;;#ASMEND
	;;#ASMSTART
	v_cvt_f32_f16 v49, v49;
	;;#ASMEND
	s_nop 0
	v_fmac_f32_e32 v82, v28, v38
	v_fmac_f32_e32 v97, v32, v49
	v_lshrrev_b32_e32 v32, 16, v33
	v_and_b32_e32 v28, 0xffff, v33
	v_and_b32_e32 v33, 0xffff, v37
	;;#ASMSTART
	v_cvt_f32_f16 v28, v28;
	;;#ASMEND
	;;#ASMSTART
	v_cvt_f32_f16 v32, v32;
	;;#ASMEND
	;; [unrolled: 3-line block ×4, first 2 shown]
	s_nop 0
	v_fmac_f32_e32 v101, v32, v36
	v_fmac_f32_e32 v99, v28, v33
	ds_read_b64 v[36:37], v50 offset:24
	v_and_b32_e32 v33, 0xffff, v119
	s_waitcnt lgkmcnt(0)
	v_lshrrev_b32_e32 v28, 16, v36
	v_and_b32_e32 v32, 0xffff, v36
	;;#ASMSTART
	v_cvt_f32_f16 v32, v32;
	;;#ASMEND
	;;#ASMSTART
	v_cvt_f32_f16 v28, v28;
	;;#ASMEND
	;; [unrolled: 3-line block ×4, first 2 shown]
	s_nop 0
	v_fmac_f32_e32 v82, v32, v33
	v_fmac_f32_e32 v97, v28, v6
	v_lshrrev_b32_e32 v28, 16, v37
	v_and_b32_e32 v6, 0xffff, v37
	v_and_b32_e32 v32, 0xffff, v117
	;;#ASMSTART
	v_cvt_f32_f16 v6, v6;
	;;#ASMEND
	;;#ASMSTART
	v_cvt_f32_f16 v28, v28;
	;;#ASMEND
	;; [unrolled: 3-line block ×4, first 2 shown]
	s_nop 0
	v_fmac_f32_e32 v101, v28, v32
	v_fmac_f32_e32 v99, v6, v25
	ds_read_b64 v[32:33], v50 offset:32
	s_waitcnt lgkmcnt(0)
	v_lshrrev_b32_e32 v25, 16, v32
	v_and_b32_e32 v6, 0xffff, v32
	;;#ASMSTART
	v_cvt_f32_f16 v6, v6;
	;;#ASMEND
	;;#ASMSTART
	v_cvt_f32_f16 v25, v25;
	;;#ASMEND
	;; [unrolled: 3-line block ×4, first 2 shown]
	s_nop 0
	v_fmac_f32_e32 v82, v6, v24
	v_fmac_f32_e32 v97, v25, v14
	v_lshrrev_b32_e32 v14, 16, v33
	v_and_b32_e32 v6, 0xffff, v33
	v_and_b32_e32 v24, 0xffff, v26
	;;#ASMSTART
	v_cvt_f32_f16 v6, v6;
	;;#ASMEND
	;;#ASMSTART
	v_cvt_f32_f16 v14, v14;
	;;#ASMEND
	;; [unrolled: 3-line block ×4, first 2 shown]
	ds_read_b64 v[36:37], v50 offset:40
	v_fmac_f32_e32 v99, v6, v10
	v_fmac_f32_e32 v101, v14, v24
	v_and_b32_e32 v14, 0xffff, v19
	s_waitcnt lgkmcnt(0)
	v_lshrrev_b32_e32 v10, 16, v36
	v_and_b32_e32 v6, 0xffff, v36
	;;#ASMSTART
	v_cvt_f32_f16 v6, v6;
	;;#ASMEND
	;;#ASMSTART
	v_cvt_f32_f16 v10, v10;
	;;#ASMEND
	;; [unrolled: 3-line block ×4, first 2 shown]
	s_nop 0
	v_fmac_f32_e32 v82, v6, v14
	v_fmac_f32_e32 v97, v10, v3
	v_lshrrev_b32_e32 v6, 16, v37
	v_and_b32_e32 v3, 0xffff, v37
	v_and_b32_e32 v10, 0xffff, v55
	;; [unrolled: 1-line block ×3, first 2 shown]
	;;#ASMSTART
	v_cvt_f32_f16 v3, v3;
	;;#ASMEND
	;;#ASMSTART
	v_cvt_f32_f16 v6, v6;
	;;#ASMEND
	;; [unrolled: 3-line block ×4, first 2 shown]
	ds_read_b64 v[24:25], v50 offset:48
	v_fmac_f32_e32 v99, v3, v10
	v_fmac_f32_e32 v101, v6, v14
	v_and_b32_e32 v10, 0xffff, v13
	s_waitcnt lgkmcnt(0)
	v_lshrrev_b32_e32 v6, 16, v24
	v_and_b32_e32 v3, 0xffff, v24
	;;#ASMSTART
	v_cvt_f32_f16 v3, v3;
	;;#ASMEND
	;;#ASMSTART
	v_cvt_f32_f16 v6, v6;
	;;#ASMEND
	;; [unrolled: 3-line block ×4, first 2 shown]
	s_nop 0
	v_fmac_f32_e32 v82, v3, v10
	v_fmac_f32_e32 v97, v6, v11
	v_lshrrev_b32_e32 v6, 16, v25
	v_and_b32_e32 v3, 0xffff, v25
	v_and_b32_e32 v10, 0xffff, v57
	;; [unrolled: 1-line block ×3, first 2 shown]
	;;#ASMSTART
	v_cvt_f32_f16 v3, v3;
	;;#ASMEND
	;;#ASMSTART
	v_cvt_f32_f16 v6, v6;
	;;#ASMEND
	;; [unrolled: 3-line block ×4, first 2 shown]
	s_nop 0
	v_fmac_f32_e32 v99, v3, v10
	v_fmac_f32_e32 v101, v6, v11
	ds_read_b64 v[10:11], v50 offset:56
	s_waitcnt lgkmcnt(0)
	v_lshrrev_b32_e32 v6, 16, v10
	v_and_b32_e32 v3, 0xffff, v10
	v_and_b32_e32 v10, 0xffff, v115
	;;#ASMSTART
	v_cvt_f32_f16 v3, v3;
	;;#ASMEND
	;;#ASMSTART
	v_cvt_f32_f16 v6, v6;
	;;#ASMEND
	;; [unrolled: 3-line block ×4, first 2 shown]
	s_nop 0
	v_fmac_f32_e32 v82, v3, v1
	v_fmac_f32_e32 v97, v6, v10
	v_lshrrev_b32_e32 v3, 16, v11
	v_and_b32_e32 v1, 0xffff, v11
	v_and_b32_e32 v6, 0xffff, v67
	v_and_b32_e32 v10, 0xffff, v47
	;;#ASMSTART
	v_cvt_f32_f16 v1, v1;
	;;#ASMEND
	;;#ASMSTART
	v_cvt_f32_f16 v3, v3;
	;;#ASMEND
	;; [unrolled: 3-line block ×4, first 2 shown]
	s_nop 0
	v_fmac_f32_e32 v101, v3, v10
	v_fmac_f32_e32 v99, v1, v6
	ds_read_b64 v[10:11], v50 offset:64
	v_and_b32_e32 v6, 0xffff, v113
	s_waitcnt lgkmcnt(0)
	v_lshrrev_b32_e32 v3, 16, v10
	v_and_b32_e32 v1, 0xffff, v10
	v_and_b32_e32 v10, 0xffff, v120
	;;#ASMSTART
	v_cvt_f32_f16 v1, v1;
	;;#ASMEND
	;;#ASMSTART
	v_cvt_f32_f16 v3, v3;
	;;#ASMEND
	;; [unrolled: 3-line block ×4, first 2 shown]
	s_nop 0
	v_fmac_f32_e32 v82, v1, v0
	v_fmac_f32_e32 v97, v3, v6
	v_lshrrev_b32_e32 v1, 16, v11
	v_and_b32_e32 v0, 0xffff, v11
	v_and_b32_e32 v3, 0xffff, v73
	;; [unrolled: 1-line block ×4, first 2 shown]
	;;#ASMSTART
	v_cvt_f32_f16 v0, v0;
	;;#ASMEND
	;;#ASMSTART
	v_cvt_f32_f16 v1, v1;
	;;#ASMEND
	;; [unrolled: 3-line block ×4, first 2 shown]
	s_nop 0
	v_fmac_f32_e32 v99, v0, v3
	v_fmac_f32_e32 v101, v1, v6
	ds_read_b64 v[0:1], v50 offset:72
	v_and_b32_e32 v6, 0xffff, v103
	s_waitcnt lgkmcnt(0)
	v_lshrrev_b32_e32 v3, 16, v0
	v_and_b32_e32 v0, 0xffff, v0
	;;#ASMSTART
	v_cvt_f32_f16 v0, v0;
	;;#ASMEND
	;;#ASMSTART
	v_cvt_f32_f16 v3, v3;
	;;#ASMEND
	;; [unrolled: 3-line block ×4, first 2 shown]
	s_nop 0
	v_fmac_f32_e32 v82, v0, v6
	v_fmac_f32_e32 v97, v3, v10
	v_lshrrev_b32_e32 v3, 16, v1
	v_and_b32_e32 v0, 0xffff, v1
	v_and_b32_e32 v6, 0xffff, v63
	;; [unrolled: 1-line block ×3, first 2 shown]
	;;#ASMSTART
	v_cvt_f32_f16 v0, v0;
	;;#ASMEND
	;;#ASMSTART
	v_cvt_f32_f16 v1, v3;
	;;#ASMEND
	v_and_b32_e32 v3, 0xffff, v124
	;;#ASMSTART
	v_cvt_f32_f16 v3, v3;
	;;#ASMEND
	;;#ASMSTART
	v_cvt_f32_f16 v6, v6;
	;;#ASMEND
	s_nop 0
	v_fmac_f32_e32 v99, v0, v3
	v_fmac_f32_e32 v101, v1, v6
	ds_read_b64 v[0:1], v50 offset:80
	v_and_b32_e32 v6, 0xffff, v90
	s_waitcnt lgkmcnt(0)
	v_lshrrev_b32_e32 v3, 16, v0
	v_and_b32_e32 v0, 0xffff, v0
	;;#ASMSTART
	v_cvt_f32_f16 v0, v0;
	;;#ASMEND
	;;#ASMSTART
	v_cvt_f32_f16 v3, v3;
	;;#ASMEND
	;; [unrolled: 3-line block ×4, first 2 shown]
	s_nop 0
	v_fmac_f32_e32 v82, v0, v6
	v_fmac_f32_e32 v97, v3, v10
	v_lshrrev_b32_e32 v3, 16, v1
	v_and_b32_e32 v0, 0xffff, v1
	v_and_b32_e32 v6, 0xffff, v75
	;;#ASMSTART
	v_cvt_f32_f16 v0, v0;
	;;#ASMEND
	;;#ASMSTART
	v_cvt_f32_f16 v1, v3;
	;;#ASMEND
	v_and_b32_e32 v3, 0xffff, v4
	;;#ASMSTART
	v_cvt_f32_f16 v3, v3;
	;;#ASMEND
	;;#ASMSTART
	v_cvt_f32_f16 v6, v6;
	;;#ASMEND
	v_and_b32_e32 v10, 0xffff, v93
	v_fmac_f32_e32 v99, v0, v3
	v_fmac_f32_e32 v101, v1, v6
	ds_read_b64 v[0:1], v50 offset:88
	v_and_b32_e32 v6, 0xffff, v94
	v_and_b32_e32 v4, 0xffff, v48
	s_waitcnt lgkmcnt(0)
	v_lshrrev_b32_e32 v3, 16, v0
	v_and_b32_e32 v0, 0xffff, v0
	;;#ASMSTART
	v_cvt_f32_f16 v0, v0;
	;;#ASMEND
	;;#ASMSTART
	v_cvt_f32_f16 v3, v3;
	;;#ASMEND
	;;#ASMSTART
	v_cvt_f32_f16 v6, v6;
	;;#ASMEND
	;;#ASMSTART
	v_cvt_f32_f16 v10, v10;
	;;#ASMEND
	s_nop 0
	v_fmac_f32_e32 v82, v0, v6
	v_fmac_f32_e32 v97, v3, v10
	v_lshrrev_b32_e32 v3, 16, v1
	v_and_b32_e32 v0, 0xffff, v1
	;;#ASMSTART
	v_cvt_f32_f16 v0, v0;
	;;#ASMEND
	;;#ASMSTART
	v_cvt_f32_f16 v1, v3;
	;;#ASMEND
	v_and_b32_e32 v3, 0xffff, v81
	v_and_b32_e32 v6, 0xffff, v7
	;;#ASMSTART
	v_cvt_f32_f16 v3, v3;
	;;#ASMEND
	;;#ASMSTART
	v_cvt_f32_f16 v6, v6;
	;;#ASMEND
	v_and_b32_e32 v10, 0xffff, v105
	v_fmac_f32_e32 v99, v0, v3
	v_fmac_f32_e32 v101, v1, v6
	ds_read_b64 v[0:1], v50 offset:96
	v_and_b32_e32 v6, 0xffff, v106
	s_waitcnt lgkmcnt(0)
	v_lshrrev_b32_e32 v3, 16, v0
	v_and_b32_e32 v0, 0xffff, v0
	;;#ASMSTART
	v_cvt_f32_f16 v0, v0;
	;;#ASMEND
	;;#ASMSTART
	v_cvt_f32_f16 v3, v3;
	;;#ASMEND
	;;#ASMSTART
	v_cvt_f32_f16 v6, v6;
	;;#ASMEND
	;;#ASMSTART
	v_cvt_f32_f16 v10, v10;
	;;#ASMEND
	s_nop 0
	v_fmac_f32_e32 v82, v0, v6
	v_fmac_f32_e32 v97, v3, v10
	v_lshrrev_b32_e32 v3, 16, v1
	v_and_b32_e32 v0, 0xffff, v1
	;;#ASMSTART
	v_cvt_f32_f16 v0, v0;
	;;#ASMEND
	;;#ASMSTART
	v_cvt_f32_f16 v1, v3;
	;;#ASMEND
	v_and_b32_e32 v3, 0xffff, v92
	v_and_b32_e32 v6, 0xffff, v91
	;;#ASMSTART
	v_cvt_f32_f16 v3, v3;
	;;#ASMEND
	;;#ASMSTART
	v_cvt_f32_f16 v6, v6;
	;;#ASMEND
	v_and_b32_e32 v10, 0xffff, v109
	v_fmac_f32_e32 v99, v0, v3
	v_fmac_f32_e32 v101, v1, v6
	ds_read_b64 v[0:1], v50 offset:104
	;; [unrolled: 39-line block ×8, first 2 shown]
	v_and_b32_e32 v6, 0xffff, v62
	s_waitcnt lgkmcnt(0)
	v_lshrrev_b32_e32 v3, 16, v0
	v_and_b32_e32 v0, 0xffff, v0
	;;#ASMSTART
	v_cvt_f32_f16 v0, v0;
	;;#ASMEND
	;;#ASMSTART
	v_cvt_f32_f16 v3, v3;
	;;#ASMEND
	;; [unrolled: 3-line block ×4, first 2 shown]
	s_nop 0
	v_fmac_f32_e32 v82, v0, v6
	v_fmac_f32_e32 v97, v3, v10
	v_lshrrev_b32_e32 v3, 16, v1
	v_and_b32_e32 v0, 0xffff, v1
	;;#ASMSTART
	v_cvt_f32_f16 v0, v0;
	;;#ASMEND
	;;#ASMSTART
	v_cvt_f32_f16 v1, v3;
	;;#ASMEND
	v_and_b32_e32 v3, 0xffff, v51
	v_and_b32_e32 v6, 0xffff, v29
	;;#ASMSTART
	v_cvt_f32_f16 v3, v3;
	;;#ASMEND
	;;#ASMSTART
	v_cvt_f32_f16 v6, v6;
	;;#ASMEND
	s_nop 0
	v_fmac_f32_e32 v99, v0, v3
	v_fmac_f32_e32 v101, v1, v6
	ds_read_b64 v[0:1], v50 offset:160
	s_waitcnt lgkmcnt(0)
	v_lshrrev_b32_e32 v3, 16, v0
	v_and_b32_e32 v0, 0xffff, v0
	;;#ASMSTART
	v_cvt_f32_f16 v0, v0;
	;;#ASMEND
	;;#ASMSTART
	v_cvt_f32_f16 v3, v3;
	;;#ASMEND
	;; [unrolled: 3-line block ×4, first 2 shown]
	s_nop 0
	v_fmac_f32_e32 v82, v0, v2
	v_lshrrev_b32_e32 v2, 16, v1
	v_and_b32_e32 v0, 0xffff, v1
	v_fmac_f32_e32 v97, v3, v4
	;;#ASMSTART
	v_cvt_f32_f16 v0, v0;
	;;#ASMEND
	;;#ASMSTART
	v_cvt_f32_f16 v1, v2;
	;;#ASMEND
	v_and_b32_e32 v2, 0xffff, v42
	v_and_b32_e32 v3, 0xffff, v40
	;;#ASMSTART
	v_cvt_f32_f16 v2, v2;
	;;#ASMEND
	;;#ASMSTART
	v_cvt_f32_f16 v3, v3;
	;;#ASMEND
	v_and_b32_e32 v4, 0xffff, v46
	v_fmac_f32_e32 v99, v0, v2
	v_fmac_f32_e32 v101, v1, v3
	ds_read_b64 v[0:1], v50 offset:168
	v_and_b32_e32 v3, 0xffff, v56
	s_waitcnt lgkmcnt(0)
	v_lshrrev_b32_e32 v2, 16, v0
	v_and_b32_e32 v0, 0xffff, v0
	;;#ASMSTART
	v_cvt_f32_f16 v0, v0;
	;;#ASMEND
	;;#ASMSTART
	v_cvt_f32_f16 v2, v2;
	;;#ASMEND
	;;#ASMSTART
	v_cvt_f32_f16 v3, v3;
	;;#ASMEND
	;;#ASMSTART
	v_cvt_f32_f16 v4, v4;
	;;#ASMEND
	s_nop 0
	v_fmac_f32_e32 v82, v0, v3
	v_fmac_f32_e32 v97, v2, v4
	v_lshrrev_b32_e32 v2, 16, v1
	v_and_b32_e32 v0, 0xffff, v1
	;;#ASMSTART
	v_cvt_f32_f16 v0, v0;
	;;#ASMEND
	;;#ASMSTART
	v_cvt_f32_f16 v1, v2;
	;;#ASMEND
	v_and_b32_e32 v2, 0xffff, v44
	v_and_b32_e32 v3, 0xffff, v64
	;;#ASMSTART
	v_cvt_f32_f16 v2, v2;
	;;#ASMEND
	;;#ASMSTART
	v_cvt_f32_f16 v3, v3;
	;;#ASMEND
	v_and_b32_e32 v4, 0xffff, v116
	v_fmac_f32_e32 v99, v0, v2
	v_fmac_f32_e32 v101, v1, v3
	ds_read_b64 v[0:1], v50 offset:176
	v_and_b32_e32 v3, 0xffff, v68
	s_waitcnt lgkmcnt(0)
	v_lshrrev_b32_e32 v2, 16, v0
	v_and_b32_e32 v0, 0xffff, v0
	;;#ASMSTART
	v_cvt_f32_f16 v0, v0;
	;;#ASMEND
	;;#ASMSTART
	v_cvt_f32_f16 v2, v2;
	;;#ASMEND
	;;#ASMSTART
	v_cvt_f32_f16 v3, v3;
	;;#ASMEND
	;;#ASMSTART
	v_cvt_f32_f16 v4, v4;
	;;#ASMEND
	s_nop 0
	v_fmac_f32_e32 v82, v0, v3
	v_fmac_f32_e32 v97, v2, v4
	v_lshrrev_b32_e32 v2, 16, v1
	v_and_b32_e32 v0, 0xffff, v1
	;; [unrolled: 39-line block ×3, first 2 shown]
	;;#ASMSTART
	v_cvt_f32_f16 v0, v0;
	;;#ASMEND
	;;#ASMSTART
	v_cvt_f32_f16 v1, v2;
	;;#ASMEND
	v_and_b32_e32 v2, 0xffff, v98
	;;#ASMSTART
	v_cvt_f32_f16 v2, v2;
	;;#ASMEND
	scratch_load_dword v3, off, s32 offset:444 ; 4-byte Folded Reload
	v_fmac_f32_e32 v99, v0, v2
	s_waitcnt vmcnt(0)
	v_and_b32_e32 v3, 0xffff, v3
	;;#ASMSTART
	v_cvt_f32_f16 v3, v3;
	;;#ASMEND
	s_nop 0
	v_fmac_f32_e32 v101, v1, v3
	ds_read_b64 v[0:1], v50 offset:192
	s_waitcnt lgkmcnt(0)
	v_lshrrev_b32_e32 v2, 16, v0
	v_and_b32_e32 v0, 0xffff, v0
	;;#ASMSTART
	v_cvt_f32_f16 v0, v0;
	;;#ASMEND
	;;#ASMSTART
	v_cvt_f32_f16 v2, v2;
	;;#ASMEND
	scratch_load_dword v3, off, s32 offset:440 ; 4-byte Folded Reload
	s_waitcnt vmcnt(0)
	v_and_b32_e32 v3, 0xffff, v3
	;;#ASMSTART
	v_cvt_f32_f16 v3, v3;
	;;#ASMEND
	scratch_load_dword v4, off, s32 offset:436 ; 4-byte Folded Reload
	v_fmac_f32_e32 v82, v0, v3
	v_and_b32_e32 v0, 0xffff, v1
	s_waitcnt vmcnt(0)
	v_and_b32_e32 v4, 0xffff, v4
	;;#ASMSTART
	v_cvt_f32_f16 v4, v4;
	;;#ASMEND
	;;#ASMSTART
	v_cvt_f32_f16 v0, v0;
	;;#ASMEND
	s_nop 0
	v_fmac_f32_e32 v97, v2, v4
	v_lshrrev_b32_e32 v2, 16, v1
	;;#ASMSTART
	v_cvt_f32_f16 v1, v2;
	;;#ASMEND
	scratch_load_dword v2, off, s32 offset:432 ; 4-byte Folded Reload
	s_waitcnt vmcnt(0)
	v_and_b32_e32 v2, 0xffff, v2
	;;#ASMSTART
	v_cvt_f32_f16 v2, v2;
	;;#ASMEND
	scratch_load_dword v3, off, s32 offset:428 ; 4-byte Folded Reload
	v_fmac_f32_e32 v99, v0, v2
	s_waitcnt vmcnt(0)
	v_and_b32_e32 v3, 0xffff, v3
	;;#ASMSTART
	v_cvt_f32_f16 v3, v3;
	;;#ASMEND
	s_nop 0
	v_fmac_f32_e32 v101, v1, v3
	ds_read_b64 v[0:1], v50 offset:200
	s_waitcnt lgkmcnt(0)
	v_lshrrev_b32_e32 v2, 16, v0
	v_and_b32_e32 v0, 0xffff, v0
	;;#ASMSTART
	v_cvt_f32_f16 v0, v0;
	;;#ASMEND
	;;#ASMSTART
	v_cvt_f32_f16 v2, v2;
	;;#ASMEND
	scratch_load_dword v3, off, s32 offset:424 ; 4-byte Folded Reload
	s_waitcnt vmcnt(0)
	v_and_b32_e32 v3, 0xffff, v3
	;;#ASMSTART
	v_cvt_f32_f16 v3, v3;
	;;#ASMEND
	scratch_load_dword v4, off, s32 offset:420 ; 4-byte Folded Reload
	v_fmac_f32_e32 v82, v0, v3
	v_and_b32_e32 v0, 0xffff, v1
	s_waitcnt vmcnt(0)
	v_and_b32_e32 v4, 0xffff, v4
	;;#ASMSTART
	v_cvt_f32_f16 v4, v4;
	;;#ASMEND
	;;#ASMSTART
	v_cvt_f32_f16 v0, v0;
	;;#ASMEND
	s_nop 0
	v_fmac_f32_e32 v97, v2, v4
	v_lshrrev_b32_e32 v2, 16, v1
	;;#ASMSTART
	v_cvt_f32_f16 v1, v2;
	;;#ASMEND
	scratch_load_dword v2, off, s32 offset:416 ; 4-byte Folded Reload
	s_waitcnt vmcnt(0)
	;; [unrolled: 48-line block ×6, first 2 shown]
	v_and_b32_e32 v2, 0xffff, v2
	;;#ASMSTART
	v_cvt_f32_f16 v2, v2;
	;;#ASMEND
	scratch_load_dword v3, off, s32 offset:348 ; 4-byte Folded Reload
	v_fmac_f32_e32 v99, v0, v2
	s_waitcnt vmcnt(0)
	v_and_b32_e32 v3, 0xffff, v3
	;;#ASMSTART
	v_cvt_f32_f16 v3, v3;
	;;#ASMEND
	s_nop 0
	v_fmac_f32_e32 v101, v1, v3
	ds_read_b64 v[0:1], v50 offset:240
	s_waitcnt lgkmcnt(0)
	v_lshrrev_b32_e32 v2, 16, v0
	v_and_b32_e32 v0, 0xffff, v0
	;;#ASMSTART
	v_cvt_f32_f16 v0, v0;
	;;#ASMEND
	;;#ASMSTART
	v_cvt_f32_f16 v2, v2;
	;;#ASMEND
	scratch_load_dword v3, off, s32 offset:344 ; 4-byte Folded Reload
	s_waitcnt vmcnt(0)
	v_and_b32_e32 v3, 0xffff, v3
	;;#ASMSTART
	v_cvt_f32_f16 v3, v3;
	;;#ASMEND
	scratch_load_dword v4, off, s32 offset:340 ; 4-byte Folded Reload
	v_fmac_f32_e32 v82, v0, v3
	v_and_b32_e32 v0, 0xffff, v1
	v_and_b32_e32 v3, 0xffff, v31
	s_waitcnt vmcnt(0)
	v_and_b32_e32 v4, 0xffff, v4
	;;#ASMSTART
	v_cvt_f32_f16 v4, v4;
	;;#ASMEND
	;;#ASMSTART
	v_cvt_f32_f16 v0, v0;
	;;#ASMEND
	s_nop 0
	v_fmac_f32_e32 v97, v2, v4
	v_lshrrev_b32_e32 v2, 16, v1
	;;#ASMSTART
	v_cvt_f32_f16 v1, v2;
	;;#ASMEND
	scratch_load_dword v2, off, s32 offset:336 ; 4-byte Folded Reload
	v_and_b32_e32 v4, 0xffff, v71
	s_waitcnt vmcnt(0)
	v_and_b32_e32 v2, 0xffff, v2
	;;#ASMSTART
	v_cvt_f32_f16 v2, v2;
	;;#ASMEND
	;;#ASMSTART
	v_cvt_f32_f16 v3, v3;
	;;#ASMEND
	s_nop 0
	v_fmac_f32_e32 v99, v0, v2
	v_fmac_f32_e32 v101, v1, v3
	ds_read_b64 v[0:1], v50 offset:248
	v_and_b32_e32 v3, 0xffff, v15
	s_waitcnt lgkmcnt(0)
	v_lshrrev_b32_e32 v2, 16, v0
	v_and_b32_e32 v0, 0xffff, v0
	;;#ASMSTART
	v_cvt_f32_f16 v0, v0;
	;;#ASMEND
	;;#ASMSTART
	v_cvt_f32_f16 v2, v2;
	;;#ASMEND
	;; [unrolled: 3-line block ×4, first 2 shown]
	s_nop 0
	v_fmac_f32_e32 v82, v0, v3
	v_fmac_f32_e32 v97, v2, v4
	v_lshrrev_b32_e32 v2, 16, v1
	v_and_b32_e32 v0, 0xffff, v1
	;;#ASMSTART
	v_cvt_f32_f16 v0, v0;
	;;#ASMEND
	;;#ASMSTART
	v_cvt_f32_f16 v1, v2;
	;;#ASMEND
	v_and_b32_e32 v2, 0xffff, v23
	v_and_b32_e32 v3, 0xffff, v22
	;;#ASMSTART
	v_cvt_f32_f16 v2, v2;
	;;#ASMEND
	;;#ASMSTART
	v_cvt_f32_f16 v3, v3;
	;;#ASMEND
	s_nop 0
	v_fmac_f32_e32 v101, v1, v3
	scratch_load_dword v3, off, s32 offset:468 ; 4-byte Folded Reload
	v_fmac_f32_e32 v99, v0, v2
	v_add_f32_e32 v0, v82, v97
	v_add_f32_e32 v0, v0, v99
	;; [unrolled: 1-line block ×3, first 2 shown]
	s_waitcnt vmcnt(0)
	v_and_b32_e32 v2, 64, v3
	v_xor_b32_e32 v1, 1, v3
	v_add_u32_e32 v2, 64, v2
	v_cmp_lt_i32_e64 s[6:7], v1, v2
	s_nop 1
	v_cndmask_b32_e64 v1, v3, v1, s[6:7]
	v_lshlrev_b32_e32 v1, 2, v1
	ds_bpermute_b32 v1, v1, v0
	s_and_saveexec_b64 s[58:59], vcc
	s_cbranch_execz .LBB260_10
; %bb.786:                              ;   in Loop: Header=BB260_12 Depth=1
	scratch_load_dword v2, off, s32 offset:484 ; 4-byte Folded Reload
	scratch_load_dword v4, off, s32 offset:472 ; 4-byte Folded Reload
	s_waitcnt lgkmcnt(0)
	v_add_f32_e32 v0, v0, v1
	scratch_load_dword v1, off, s32 offset:476 ; 4-byte Folded Reload
	scratch_load_dword v3, off, s32 offset:480 ; 4-byte Folded Reload
	s_load_dword s6, s[20:21], 0x0
	s_waitcnt vmcnt(3)
	v_add_u32_e32 v2, v2, v52
	v_cvt_f32_i32_e32 v2, v2
	s_waitcnt vmcnt(2)
	v_mul_f32_e32 v2, v4, v2
	v_cndmask_b32_e64 v2, 0, v2, s[4:5]
	s_waitcnt vmcnt(1)
	v_fmac_f32_e32 v2, v1, v0
	scratch_load_dword v1, off, s32 offset:456 ; 4-byte Folded Reload
	s_waitcnt vmcnt(1)
	v_add_u32_e32 v3, v3, v52
	s_waitcnt lgkmcnt(0)
	v_add_u32_e32 v4, s6, v53
	v_cmp_lt_i32_e64 s[6:7], v3, v12
	s_nop 1
	v_cndmask_b32_e64 v0, 0, v2, s[6:7]
	ds_write_b32 v4, v0
	s_waitcnt vmcnt(0)
	v_max_f32_e32 v0, v1, v1
	v_max_f32_e32 v0, v0, v2
	v_cndmask_b32_e64 v1, v1, v0, s[6:7]
	scratch_store_dword off, v1, s32 offset:456 ; 4-byte Folded Spill
	s_branch .LBB260_10
.LBB260_787:
	s_or_b64 exec, exec, s[22:23]
	scratch_load_dword v18, off, s32 offset:488 ; 4-byte Folded Reload
	scratch_load_dword v26, off, s32 offset:520 ; 4-byte Folded Reload
	scratch_load_dwordx2 v[48:49], off, s32 offset:524 ; 8-byte Folded Reload
	scratch_load_dwordx2 v[50:51], off, s32 offset:532 ; 8-byte Folded Reload
	scratch_load_dword v19, off, s32 offset:540 ; 4-byte Folded Reload
	scratch_load_dword v24, off, s32 offset:544 ; 4-byte Folded Reload
	scratch_load_dwordx2 v[52:53], off, s32 offset:548 ; 8-byte Folded Reload
	scratch_load_dword v7, off, s32 offset:456 ; 4-byte Folded Reload
	v_mbcnt_lo_u32_b32 v6, -1, 0
.LBB260_788:
	s_or_b64 exec, exec, s[12:13]
	s_waitcnt lgkmcnt(0)
	v_mbcnt_hi_u32_b32 v1, -1, v6
	v_and_b32_e32 v0, 64, v1
	v_add_u32_e32 v8, 64, v0
	v_xor_b32_e32 v2, 32, v1
	v_cmp_lt_i32_e32 vcc, v2, v8
	v_xor_b32_e32 v5, 16, v1
	s_waitcnt vmcnt(0)
	v_max_f32_e32 v4, v7, v7
	v_cndmask_b32_e32 v2, v1, v2, vcc
	v_lshlrev_b32_e32 v2, 2, v2
	ds_bpermute_b32 v3, v2, v7
	v_cmp_lt_i32_e32 vcc, v5, v8
	v_xor_b32_e32 v6, 8, v1
	v_xor_b32_e32 v7, 4, v1
	;; [unrolled: 1-line block ×3, first 2 shown]
	s_waitcnt lgkmcnt(0)
	v_max_f32_e32 v3, v3, v3
	v_max_f32_e32 v4, v4, v3
	v_cndmask_b32_e32 v3, v1, v5, vcc
	v_lshlrev_b32_e32 v3, 2, v3
	ds_bpermute_b32 v5, v3, v4
	v_cmp_lt_i32_e32 vcc, v6, v8
	v_and_b32_e32 v82, 63, v18
	s_lshr_b32 s17, s17, 16
	s_waitcnt lgkmcnt(0)
	v_max_f32_e32 v5, v5, v5
	v_max_f32_e32 v5, v4, v5
	v_cndmask_b32_e32 v4, v1, v6, vcc
	v_lshlrev_b32_e32 v4, 2, v4
	ds_bpermute_b32 v6, v4, v5
	v_cmp_lt_i32_e32 vcc, v7, v8
	s_waitcnt lgkmcnt(0)
	v_max_f32_e32 v6, v6, v6
	v_max_f32_e32 v6, v5, v6
	v_cndmask_b32_e32 v5, v1, v7, vcc
	v_lshlrev_b32_e32 v5, 2, v5
	ds_bpermute_b32 v7, v5, v6
	v_cmp_lt_i32_e32 vcc, v9, v8
	s_waitcnt lgkmcnt(0)
	v_max_f32_e32 v7, v7, v7
	v_max_f32_e32 v7, v6, v7
	v_cndmask_b32_e32 v6, v1, v9, vcc
	v_lshlrev_b32_e32 v83, 2, v6
	scratch_load_dword v6, off, s32 offset:216 ; 4-byte Folded Reload
	ds_bpermute_b32 v9, v83, v7
	v_cmp_eq_u32_e32 vcc, 0, v82
	s_waitcnt vmcnt(0)
	v_lshlrev_b32_e32 v6, 2, v6
	s_and_saveexec_b64 s[4:5], vcc
	s_cbranch_execz .LBB260_790
; %bb.789:
	s_waitcnt lgkmcnt(0)
	v_max_f32_e32 v9, v9, v9
	v_max_f32_e32 v7, v7, v7
	;; [unrolled: 1-line block ×3, first 2 shown]
	ds_write_b32 v6, v7 offset:512
.LBB260_790:
	s_or_b64 exec, exec, s[4:5]
	v_cmp_gt_u32_e64 s[4:5], 2, v82
	s_waitcnt lgkmcnt(0)
	v_mov_b32_e32 v9, 0xff7fffff
	v_lshlrev_b32_e32 v7, 2, v82
	s_barrier
	s_and_saveexec_b64 s[6:7], s[4:5]
; %bb.791:
	ds_read_b32 v9, v7 offset:512
; %bb.792:
	s_or_b64 exec, exec, s[6:7]
	v_xor_b32_e32 v10, 1, v1
	v_cmp_lt_i32_e64 s[6:7], v10, v8
	v_lshlrev_b32_e32 v0, 2, v0
	s_nop 0
	v_cndmask_b32_e64 v8, v1, v10, s[6:7]
	v_lshlrev_b32_e32 v84, 2, v8
	s_waitcnt lgkmcnt(0)
	ds_bpermute_b32 v8, v84, v9
	v_max_f32_e32 v9, v9, v9
	s_waitcnt lgkmcnt(0)
	v_max_f32_e32 v8, v8, v8
	v_max_f32_e32 v8, v9, v8
	ds_bpermute_b32 v8, v0, v8
	scratch_load_dword v0, off, s32 offset:228 ; 4-byte Folded Reload
	v_mov_b32_e32 v9, 0
	s_waitcnt vmcnt(0)
	v_lshlrev_b32_e32 v0, 5, v0
	v_min_i32_e32 v0, v0, v12
	v_cmp_lt_i32_e64 s[6:7], v18, v0
	s_and_saveexec_b64 s[12:13], s[6:7]
	s_cbranch_execz .LBB260_796
; %bb.793:
	s_ashr_i32 s19, s18, 31
	s_lshl_b64 s[8:9], s[18:19], 2
	s_getpc_b64 s[20:21]
	s_add_u32 s20, s20, llvm.amdgcn.dynlds.offset.table@rel32@lo+4
	s_addc_u32 s21, s21, llvm.amdgcn.dynlds.offset.table@rel32@hi+12
	s_add_u32 s8, s20, s8
	s_addc_u32 s9, s21, s9
	s_load_dword s8, s[8:9], 0x0
	v_mov_b32_e32 v9, 0
	s_mov_b64 s[20:21], 0
	v_mov_b32_e32 v11, v18
	s_waitcnt lgkmcnt(0)
	v_lshl_add_u32 v10, v18, 2, s8
.LBB260_794:                            ; =>This Inner Loop Header: Depth=1
	ds_read_b32 v13, v10
	v_add_u32_e32 v11, 0x80, v11
	v_cmp_ge_i32_e64 s[8:9], v11, v0
	s_or_b64 s[20:21], s[8:9], s[20:21]
	s_waitcnt lgkmcnt(0)
	v_sub_f32_e32 v13, v13, v8
	v_mul_f32_e32 v13, 0x3fb8aa3b, v13
	v_exp_f32_e32 v13, v13
	ds_write_b32 v10, v13
	v_add_f32_e32 v9, v9, v13
	v_add_u32_e32 v10, 0x200, v10
	s_andn2_b64 exec, exec, s[20:21]
	s_cbranch_execnz .LBB260_794
; %bb.795:
	s_or_b64 exec, exec, s[20:21]
.LBB260_796:
	s_or_b64 exec, exec, s[12:13]
	ds_bpermute_b32 v2, v2, v9
	s_waitcnt lgkmcnt(0)
	v_add_f32_e32 v2, v9, v2
	ds_bpermute_b32 v3, v3, v2
	s_waitcnt lgkmcnt(0)
	v_add_f32_e32 v2, v2, v3
	;; [unrolled: 3-line block ×6, first 2 shown]
	s_and_saveexec_b64 s[8:9], vcc
; %bb.797:
	ds_write_b32 v6, v2 offset:520
; %bb.798:
	s_or_b64 exec, exec, s[8:9]
	s_waitcnt lgkmcnt(0)
	s_barrier
	s_and_saveexec_b64 s[8:9], s[4:5]
; %bb.799:
	ds_read_b32 v2, v7 offset:520
; %bb.800:
	s_or_b64 exec, exec, s[8:9]
	s_waitcnt lgkmcnt(0)
	ds_bpermute_b32 v3, v84, v2
	v_lshlrev_b32_e32 v1, 2, v1
	v_and_b32_e32 v1, 0x100, v1
	s_waitcnt lgkmcnt(0)
	v_add_f32_e32 v2, v2, v3
	ds_bpermute_b32 v1, v1, v2
	s_and_saveexec_b64 s[4:5], s[6:7]
	s_cbranch_execz .LBB260_813
; %bb.801:
	s_waitcnt lgkmcnt(0)
	v_add_f32_e32 v1, 0x358637bd, v1
	v_div_scale_f32 v2, s[6:7], v1, v1, 1.0
	v_rcp_f32_e32 v3, v2
	v_div_scale_f32 v4, vcc, 1.0, v1, 1.0
	s_movk_i32 s6, 0x7f
	v_fma_f32 v5, -v2, v3, 1.0
	v_fmac_f32_e32 v3, v5, v3
	v_mul_f32_e32 v5, v4, v3
	v_fma_f32 v6, -v2, v5, v4
	v_fmac_f32_e32 v5, v6, v3
	v_fma_f32 v2, -v2, v5, v4
	v_div_fmas_f32 v2, v2, v3, v5
	v_div_fixup_f32 v4, v2, v1, 1.0
	v_xad_u32 v2, v18, -1, v0
	v_cmp_lt_u32_e32 vcc, s6, v2
	s_mov_b64 s[8:9], -1
	v_mov_b32_e32 v1, v18
	s_and_saveexec_b64 s[6:7], vcc
	s_cbranch_execz .LBB260_810
; %bb.802:
	v_lshrrev_b32_e32 v1, 7, v2
	v_add_u32_e32 v3, -1, v1
	v_lshrrev_b32_e32 v2, 1, v3
	v_mov_b32_e32 v5, v4
	v_add_u32_e32 v2, 1, v2
	v_cmp_lt_u32_e32 vcc, 13, v3
	v_mov_b32_e32 v7, 0
	s_and_saveexec_b64 s[8:9], vcc
	s_cbranch_execz .LBB260_806
; %bb.803:
	s_ashr_i32 s19, s18, 31
	s_lshl_b64 s[12:13], s[18:19], 2
	s_getpc_b64 s[20:21]
	s_add_u32 s20, s20, llvm.amdgcn.dynlds.offset.table@rel32@lo+4
	s_addc_u32 s21, s21, llvm.amdgcn.dynlds.offset.table@rel32@hi+12
	s_add_u32 s12, s20, s12
	s_addc_u32 s13, s21, s13
	s_load_dword s12, s[12:13], 0x0
	v_and_b32_e32 v3, -8, v2
	s_mov_b32 s19, 0
	s_waitcnt lgkmcnt(0)
	v_lshl_add_u32 v6, v18, 2, s12
	s_mov_b64 s[12:13], 0
.LBB260_804:                            ; =>This Inner Loop Header: Depth=1
	ds_read2st64_b32 v[8:9], v6 offset1:2
	ds_read2st64_b32 v[10:11], v6 offset0:4 offset1:6
	ds_read2st64_b32 v[14:15], v6 offset0:8 offset1:10
	;; [unrolled: 1-line block ×3, first 2 shown]
	v_add_u32_e32 v3, -8, v3
	s_waitcnt lgkmcnt(3)
	v_pk_mul_f32 v[8:9], v[4:5], v[8:9]
	s_waitcnt lgkmcnt(2)
	v_pk_mul_f32 v[10:11], v[4:5], v[10:11]
	ds_write2st64_b32 v6, v8, v9 offset1:2
	ds_write2st64_b32 v6, v10, v11 offset0:4 offset1:6
	ds_read2st64_b32 v[10:11], v6 offset0:16 offset1:18
	s_waitcnt lgkmcnt(4)
	v_pk_mul_f32 v[8:9], v[4:5], v[14:15]
	ds_write2st64_b32 v6, v8, v9 offset0:8 offset1:10
	s_waitcnt lgkmcnt(4)
	v_pk_mul_f32 v[8:9], v[4:5], v[16:17]
	ds_write2st64_b32 v6, v8, v9 offset0:12 offset1:14
	ds_read2st64_b32 v[8:9], v6 offset0:20 offset1:22
	s_waitcnt lgkmcnt(3)
	v_pk_mul_f32 v[10:11], v[4:5], v[10:11]
	ds_read2st64_b32 v[14:15], v6 offset0:24 offset1:26
	ds_write2st64_b32 v6, v10, v11 offset0:16 offset1:18
	ds_read2st64_b32 v[10:11], v6 offset0:28 offset1:30
	s_waitcnt lgkmcnt(3)
	v_pk_mul_f32 v[8:9], v[4:5], v[8:9]
	ds_write2st64_b32 v6, v8, v9 offset0:20 offset1:22
	s_waitcnt lgkmcnt(3)
	v_pk_mul_f32 v[8:9], v[4:5], v[14:15]
	ds_write2st64_b32 v6, v8, v9 offset0:24 offset1:26
	s_waitcnt lgkmcnt(2)
	v_pk_mul_f32 v[8:9], v[4:5], v[10:11]
	s_add_i32 s19, s19, 16
	v_cmp_eq_u32_e32 vcc, 0, v3
	ds_write2st64_b32 v6, v8, v9 offset0:28 offset1:30
	v_add_u32_e32 v6, 0x2000, v6
	s_or_b64 s[12:13], vcc, s[12:13]
	v_mov_b32_e32 v7, s19
	s_andn2_b64 exec, exec, s[12:13]
	s_cbranch_execnz .LBB260_804
; %bb.805:
	s_or_b64 exec, exec, s[12:13]
.LBB260_806:
	s_or_b64 exec, exec, s[8:9]
	v_and_b32_e32 v2, 7, v2
	v_cmp_ne_u32_e32 vcc, 0, v2
	s_and_saveexec_b64 s[8:9], vcc
	s_cbranch_execz .LBB260_809
; %bb.807:
	s_ashr_i32 s19, s18, 31
	s_lshl_b64 s[12:13], s[18:19], 2
	s_getpc_b64 s[20:21]
	s_add_u32 s20, s20, llvm.amdgcn.dynlds.offset.table@rel32@lo+4
	s_addc_u32 s21, s21, llvm.amdgcn.dynlds.offset.table@rel32@hi+12
	s_add_u32 s12, s20, s12
	s_addc_u32 s13, s21, s13
	s_load_dword s12, s[12:13], 0x0
	v_lshlrev_b32_e32 v3, 9, v7
	v_lshlrev_b32_e32 v6, 2, v18
	s_waitcnt lgkmcnt(0)
	v_add3_u32 v3, v3, v6, s12
	s_mov_b64 s[12:13], 0
.LBB260_808:                            ; =>This Inner Loop Header: Depth=1
	ds_read2st64_b32 v[6:7], v3 offset1:2
	v_add_u32_e32 v2, -1, v2
	v_cmp_eq_u32_e32 vcc, 0, v2
	s_or_b64 s[12:13], vcc, s[12:13]
	s_waitcnt lgkmcnt(0)
	v_pk_mul_f32 v[6:7], v[4:5], v[6:7]
	ds_write2st64_b32 v3, v6, v7 offset1:2
	v_add_u32_e32 v3, 0x400, v3
	s_andn2_b64 exec, exec, s[12:13]
	s_cbranch_execnz .LBB260_808
.LBB260_809:
	s_or_b64 exec, exec, s[8:9]
	v_add_u32_e32 v2, 1, v1
	v_and_b32_e32 v3, 0x3fffffe, v2
	v_cmp_ne_u32_e32 vcc, v2, v3
	v_lshl_add_u32 v1, v3, 7, v18
	s_orn2_b64 s[8:9], vcc, exec
.LBB260_810:
	s_or_b64 exec, exec, s[6:7]
	s_and_b64 exec, exec, s[8:9]
	s_cbranch_execz .LBB260_813
; %bb.811:
	s_ashr_i32 s19, s18, 31
	s_lshl_b64 s[6:7], s[18:19], 2
	s_getpc_b64 s[8:9]
	s_add_u32 s8, s8, llvm.amdgcn.dynlds.offset.table@rel32@lo+4
	s_addc_u32 s9, s9, llvm.amdgcn.dynlds.offset.table@rel32@hi+12
	s_add_u32 s6, s8, s6
	s_addc_u32 s7, s9, s7
	s_load_dword s6, s[6:7], 0x0
	s_waitcnt lgkmcnt(0)
	v_lshl_add_u32 v2, v1, 2, s6
	s_mov_b64 s[6:7], 0
.LBB260_812:                            ; =>This Inner Loop Header: Depth=1
	ds_read_b32 v3, v2
	v_add_u32_e32 v1, 0x80, v1
	v_cmp_ge_i32_e32 vcc, v1, v0
	s_or_b64 s[6:7], vcc, s[6:7]
	s_waitcnt lgkmcnt(0)
	v_mul_f32_e32 v3, v4, v3
	ds_write_b32 v2, v3
	v_add_u32_e32 v2, 0x200, v2
	s_andn2_b64 exec, exec, s[6:7]
	s_cbranch_execnz .LBB260_812
.LBB260_813:
	s_or_b64 exec, exec, s[4:5]
	s_waitcnt lgkmcnt(0)
	s_barrier
	s_and_saveexec_b64 s[4:5], s[2:3]
	s_xor_b64 s[2:3], exec, s[4:5]
	s_cbranch_execz .LBB260_815
; %bb.814:
                                        ; implicit-def: $vgpr0
                                        ; kill: killed $vgpr0
	s_ashr_i32 s19, s18, 31
                                        ; implicit-def: $vgpr0
                                        ; kill: killed $vgpr0
                                        ; implicit-def: $vgpr12
                                        ; implicit-def: $vgpr26
                                        ; implicit-def: $vgpr48_vgpr49
                                        ; implicit-def: $vgpr52
                                        ; implicit-def: $vgpr24
                                        ; implicit-def: $vgpr19
                                        ; implicit-def: $vgpr50
                                        ; implicit-def: $vgpr0
	scratch_store_dwordx2 off, v[0:1], s32 offset:220 ; 8-byte Folded Spill
                                        ; implicit-def: $vgpr0
                                        ; kill: killed $vgpr0
                                        ; implicit-def: $vgpr0
                                        ; kill: killed $vgpr0
                                        ; implicit-def: $vgpr0
	scratch_store_dwordx2 off, v[0:1], s32 offset:316 ; 8-byte Folded Spill
                                        ; implicit-def: $vgpr0
                                        ; kill: killed $vgpr0
                                        ; implicit-def: $vgpr0_vgpr1
                                        ; kill: killed $vgpr0_vgpr1
                                        ; implicit-def: $vgpr0_vgpr1
                                        ; kill: killed $vgpr0_vgpr1
	;; [unrolled: 2-line block ×3, first 2 shown]
                                        ; implicit-def: $vgpr0
                                        ; kill: killed $vgpr0
                                        ; implicit-def: $vgpr0
                                        ; kill: killed $vgpr0
.LBB260_815:
	s_or_saveexec_b64 s[4:5], s[2:3]
	v_mov_b32_e32 v5, 0
	v_mov_b64_e32 v[38:39], s[18:19]
	v_and_b32_e32 v85, 3, v18
	v_mov_b32_e32 v4, 0
	v_mov_b32_e32 v9, 0
	;; [unrolled: 1-line block ×15, first 2 shown]
	s_xor_b64 exec, exec, s[4:5]
	s_cbranch_execz .LBB260_1621
; %bb.816:
	scratch_load_dword v1, off, s32 offset:228 ; 4-byte Folded Reload
	scratch_load_dword v2, off, s32 offset:516 ; 4-byte Folded Reload
	v_max_i32_e32 v87, v26, v24
	v_cvt_f32_u32_e32 v0, v87
	s_ashr_i32 s19, s18, 31
	s_lshl_b64 s[2:3], s[18:19], 2
	v_mov_b32_e32 v17, 0
	v_rcp_iflag_f32_e32 v0, v0
	s_getpc_b64 s[8:9]
	s_add_u32 s8, s8, llvm.amdgcn.dynlds.offset.table@rel32@lo+4
	s_addc_u32 s9, s9, llvm.amdgcn.dynlds.offset.table@rel32@hi+12
	v_and_b32_e32 v16, 60, v19
	s_mov_b32 s6, -1
	v_mul_f32_e32 v0, 0x4f7ffffe, v0
	v_cvt_u32_f32_e32 v0, v0
	s_add_u32 s8, s8, s2
	v_and_b32_e32 v86, 24, v50
	v_lshl_add_u64 v[6:7], v[48:49], 0, v[52:53]
	v_and_b32_e32 v24, 0x1f8, v50
	s_mov_b32 s7, 0xffffff
	v_mov_b32_e32 v25, v17
	v_or_b32_e32 v26, 0x1e00, v50
	v_mov_b32_e32 v27, v17
	v_mov_b32_e32 v3, v12
	s_addc_u32 s9, s9, s3
	s_mov_b64 s[12:13], 0
	s_movk_i32 s28, 0x80
	s_movk_i32 s29, 0x7f
	s_mov_b32 s40, 0x8000
	v_mov_b32_e32 v98, 0x2000
	v_mov_b32_e32 v36, 0
	;; [unrolled: 1-line block ×15, first 2 shown]
	scratch_load_dwordx2 v[4:5], off, s32 offset:492 ; 8-byte Folded Reload
	s_waitcnt vmcnt(2)
	v_add_u32_e32 v96, -1, v1
	v_sub_u32_e32 v1, 0, v87
	v_mul_lo_u32 v1, v1, v0
	v_mul_hi_u32 v1, v0, v1
	v_add_u32_e32 v38, v0, v1
	scratch_load_dword v1, off, s32 offset:216 ; 4-byte Folded Reload
	v_lshlrev_b32_e32 v0, 5, v85
	s_waitcnt vmcnt(0)
	v_lshl_or_b32 v97, v1, 7, v0
	scratch_load_dwordx2 v[0:1], off, s32 offset:500 ; 8-byte Folded Reload
	s_waitcnt vmcnt(0)
	v_lshl_add_u64 v[0:1], v[0:1], 2, v[16:17]
	v_lshl_add_u64 v[10:11], v[4:5], 0, v[0:1]
	v_mov_b32_e32 v4, 0
	v_mov_b32_e32 v5, 0
	s_branch .LBB260_819
.LBB260_817:                            ;   in Loop: Header=BB260_819 Depth=1
	s_or_b64 exec, exec, s[22:23]
	v_add_f32_e32 v0, v0, v1
	v_add_f32_e32 v29, v29, v0
	;; [unrolled: 1-line block ×21, first 2 shown]
	;;#ASMSTART
	v_pk_mul_f16 v0, v112, v13;

	;;#ASMEND
	v_add_f32_e32 v20, v20, v2
	;;#ASMSTART
	v_pk_mul_f16 v1, v102, v16;

	;;#ASMEND
	;;#ASMSTART
	v_pk_mul_f16 v2, v101, v15;

	;;#ASMEND
	;; [unrolled: 4-line block ×3, first 2 shown]
	v_add_f32_e32 v19, v53, v64
	;;#ASMSTART
	v_pk_add_f16 v0, v0, v1;

	;;#ASMEND
	v_add_f32_e32 v4, v4, v19
	;;#ASMSTART
	v_pk_add_f16 v0, v0, v2;

	;;#ASMEND
	v_add_f32_e32 v19, v55, v66
	;;#ASMSTART
	v_pk_add_f16 v0, v0, v13;

	;;#ASMEND
	v_add_f32_e32 v9, v9, v19
	v_lshrrev_b32_e32 v1, 16, v0
	v_and_b32_e32 v0, 0xffff, v0
	v_add_f32_e32 v19, v69, v70
	;;#ASMSTART
	v_cvt_f32_f16 v0, v0;
	;;#ASMEND
	v_add_f32_e32 v8, v8, v19
	v_add_f32_e32 v19, v65, v68
	;;#ASMSTART
	v_cvt_f32_f16 v1, v1;
	;;#ASMEND
	v_add_f32_e32 v21, v21, v19
	v_add_f32_e32 v0, v0, v1
	;; [unrolled: 1-line block ×3, first 2 shown]
.LBB260_818:                            ;   in Loop: Header=BB260_819 Depth=1
	s_or_b64 exec, exec, s[20:21]
	scratch_load_dword v1, off, s32 offset:216 ; 4-byte Folded Reload
	scratch_load_dword v0, off, s32 offset:228 ; 4-byte Folded Reload
	v_mov_b32_e32 v2, v22
	v_add_u32_e32 v2, 64, v2
	v_add_u32_e32 v97, 0x100, v97
	v_lshl_add_u64 v[10:11], v[10:11], 0, 8
	s_waitcnt vmcnt(1)
	v_add_u32_e32 v1, 2, v1
	s_waitcnt vmcnt(0)
	v_cmp_ge_i32_e32 vcc, v1, v0
	s_or_b64 s[12:13], vcc, s[12:13]
	scratch_store_dword off, v1, s32 offset:216 ; 4-byte Folded Spill
	s_andn2_b64 exec, exec, s[12:13]
	s_cbranch_execz .LBB260_1620
.LBB260_819:                            ; =>This Inner Loop Header: Depth=1
	scratch_load_dword v0, off, s32 offset:240 ; 4-byte Folded Reload
	scratch_load_dword v13, off, s32 offset:236 ; 4-byte Folded Reload
	v_mov_b32_e32 v22, v2
	scratch_load_dwordx2 v[14:15], off, s32 offset:220 ; 8-byte Folded Reload
	s_waitcnt vmcnt(2)
	v_mul_hi_u32 v0, v2, v0
	s_waitcnt vmcnt(1)
	v_mul_lo_u32 v1, v0, v13
	v_sub_u32_e32 v1, v2, v1
	v_add_u32_e32 v2, 1, v0
	v_cmp_ge_u32_e32 vcc, v1, v13
	s_nop 1
	v_cndmask_b32_e32 v0, v0, v2, vcc
	v_sub_u32_e32 v2, v1, v13
	v_cndmask_b32_e32 v1, v1, v2, vcc
	v_cmp_ge_u32_e32 vcc, v1, v13
	scratch_load_dword v1, off, s32 offset:232 ; 4-byte Folded Reload
	v_add_u32_e32 v2, 1, v0
	v_cndmask_b32_e32 v0, v0, v2, vcc
	s_waitcnt vmcnt(0)
	v_xor_b32_e32 v0, v0, v1
	v_sub_u32_e32 v0, v0, v1
	v_add_u32_e32 v1, v0, v14
	v_sub_u32_e32 v13, 0, v1
	v_ashrrev_i32_e32 v2, 31, v1
	v_max_i32_e32 v1, v1, v13
	v_mul_hi_u32 v13, v1, v38
	v_mul_lo_u32 v13, v13, v87
	v_sub_u32_e32 v1, v1, v13
	v_sub_u32_e32 v13, v1, v87
	v_cmp_ge_u32_e32 vcc, v1, v87
	s_nop 1
	v_cndmask_b32_e32 v1, v1, v13, vcc
	v_sub_u32_e32 v13, v1, v87
	v_cmp_ge_u32_e32 vcc, v1, v87
	s_nop 1
	v_cndmask_b32_e32 v1, v1, v13, vcc
	v_xor_b32_e32 v1, v1, v2
	v_sub_u32_e32 v1, v1, v2
	v_cmp_eq_u32_e32 vcc, 0, v1
	scratch_load_dword v1, off, s32 offset:244 ; 4-byte Folded Reload
	s_waitcnt vmcnt(0)
	v_cmp_gt_i32_e64 s[2:3], v0, v1
	s_or_b64 s[2:3], vcc, s[2:3]
	s_and_saveexec_b64 s[20:21], s[2:3]
	s_cbranch_execz .LBB260_818
; %bb.820:                              ;   in Loop: Header=BB260_819 Depth=1
	s_load_dword s2, s[8:9], 0x0
	flat_load_dword v13, v[10:11]
	v_mov_b32_e32 v19, 0
	s_waitcnt lgkmcnt(0)
	v_add_u32_e32 v0, s2, v97
	ds_read2_b64 v[48:51], v0 offset1:1
	ds_read2_b64 v[52:55], v0 offset0:2 offset1:3
	s_waitcnt lgkmcnt(0)
	;;#ASMSTART
	v_cvt_f16_f32 v0, v48;

	;;#ASMEND
	;;#ASMSTART
	v_cvt_f16_f32 v1, v49;

	;;#ASMEND
	;; [unrolled: 4-line block ×8, first 2 shown]
	scratch_load_dwordx2 v[14:15], off, s32 offset:316 ; 8-byte Folded Reload
	s_waitcnt vmcnt(0)
	v_mad_i64_i32 v[14:15], s[2:3], v13, v14, v[6:7]
	v_lshl_add_u64 v[48:49], v[14:15], 0, v[24:25]
	flat_load_dwordx2 v[52:53], v[48:49]
	scratch_load_dwordx2 v[50:51], off, s32 offset:192 ; 8-byte Folded Reload
	v_mov_b32_e32 v13, 0
	s_waitcnt vmcnt(0) lgkmcnt(0)
	v_cmp_ne_u16_sdwa s[22:23], v52, v17 src0_sel:BYTE_0 src1_sel:DWORD
	flat_load_dword v50, v[50:51]
	s_and_saveexec_b64 s[2:3], s[22:23]
	s_cbranch_execz .LBB260_826
; %bb.821:                              ;   in Loop: Header=BB260_819 Depth=1
	v_cmp_ne_u16_sdwa s[24:25], v52, s28 src0_sel:BYTE_0 src1_sel:DWORD
	v_mov_b32_e32 v13, 0x8000
	s_and_saveexec_b64 s[22:23], s[24:25]
	s_cbranch_execz .LBB260_825
; %bb.822:                              ;   in Loop: Header=BB260_819 Depth=1
	v_and_b32_e32 v16, 0x7f, v52
	v_cmp_ne_u32_e32 vcc, s29, v16
	v_mov_b32_e32 v13, 0x7c01
	s_and_saveexec_b64 s[24:25], vcc
	s_cbranch_execz .LBB260_824
; %bb.823:                              ;   in Loop: Header=BB260_819 Depth=1
	v_and_b32_e32 v13, 7, v52
	v_ffbh_u32_e32 v51, v13
	v_min_u32_e32 v51, 32, v51
	v_lshrrev_b32_e32 v39, 3, v16
	v_subrev_u32_e32 v54, 28, v51
	v_sub_u32_e32 v51, 29, v51
	v_cmp_gt_u32_e32 vcc, 8, v16
	v_lshlrev_b64 v[54:55], v54, v[52:53]
	s_nop 0
	v_cndmask_b32_e32 v16, v39, v51, vcc
	v_lshl_add_u32 v16, v16, 10, v98
	v_lshlrev_b32_e32 v39, 8, v52
	v_and_b32_e32 v51, 7, v54
	v_and_b32_e32 v16, 0xfc00, v16
	v_cndmask_b32_e32 v13, v13, v51, vcc
	v_and_or_b32 v16, v39, s40, v16
	v_lshl_or_b32 v13, v13, 7, v16
.LBB260_824:                            ;   in Loop: Header=BB260_819 Depth=1
	s_or_b64 exec, exec, s[24:25]
.LBB260_825:                            ;   in Loop: Header=BB260_819 Depth=1
	s_or_b64 exec, exec, s[22:23]
.LBB260_826:                            ;   in Loop: Header=BB260_819 Depth=1
	s_or_b64 exec, exec, s[2:3]
	v_lshrrev_b16_e32 v16, 8, v52
	v_cmp_ne_u16_e32 vcc, 0, v16
	s_and_saveexec_b64 s[2:3], vcc
	s_cbranch_execz .LBB260_832
; %bb.827:                              ;   in Loop: Header=BB260_819 Depth=1
	v_cmp_ne_u16_e32 vcc, s28, v16
	v_bfrev_b32_e32 v19, 1
	s_and_saveexec_b64 s[22:23], vcc
	s_cbranch_execz .LBB260_831
; %bb.828:                              ;   in Loop: Header=BB260_819 Depth=1
	v_and_b32_e32 v39, 0x7f, v16
	v_cmp_ne_u32_e32 vcc, s29, v39
	v_mov_b32_e32 v19, 0x7c010000
	s_and_saveexec_b64 s[24:25], vcc
	s_cbranch_execz .LBB260_830
; %bb.829:                              ;   in Loop: Header=BB260_819 Depth=1
	v_and_b32_e32 v19, 7, v16
	v_ffbh_u32_e32 v54, v19
	v_min_u32_e32 v64, 32, v54
	v_subrev_u32_e32 v54, 28, v64
	v_lshlrev_b64 v[54:55], v54, v[16:17]
	v_lshrrev_b32_e32 v51, 3, v39
	v_sub_u32_e32 v55, 29, v64
	v_cmp_gt_u32_e32 vcc, 8, v39
	v_lshlrev_b32_e32 v16, 8, v16
	s_nop 0
	v_cndmask_b32_e32 v39, v51, v55, vcc
	v_lshl_add_u32 v39, v39, 10, v98
	v_and_b32_e32 v51, 7, v54
	v_and_or_b32 v16, v16, s40, v39
	v_cndmask_b32_e32 v19, v19, v51, vcc
	v_lshlrev_b32_e32 v16, 16, v16
	v_lshl_or_b32 v19, v19, 23, v16
.LBB260_830:                            ;   in Loop: Header=BB260_819 Depth=1
	s_or_b64 exec, exec, s[24:25]
.LBB260_831:                            ;   in Loop: Header=BB260_819 Depth=1
	s_or_b64 exec, exec, s[22:23]
.LBB260_832:                            ;   in Loop: Header=BB260_819 Depth=1
	s_or_b64 exec, exec, s[2:3]
	v_lshrrev_b32_e32 v16, 16, v52
	v_cmp_ne_u16_sdwa s[22:23], v16, v17 src0_sel:BYTE_0 src1_sel:DWORD
	v_mov_b32_e32 v51, 0
	v_mov_b32_e32 v39, 0
	s_and_saveexec_b64 s[2:3], s[22:23]
	s_cbranch_execz .LBB260_838
; %bb.833:                              ;   in Loop: Header=BB260_819 Depth=1
	v_cmp_ne_u16_sdwa s[24:25], v16, s28 src0_sel:BYTE_0 src1_sel:DWORD
	v_mov_b32_e32 v39, 0x8000
	s_and_saveexec_b64 s[22:23], s[24:25]
	s_cbranch_execz .LBB260_837
; %bb.834:                              ;   in Loop: Header=BB260_819 Depth=1
	v_bfe_u32 v54, v52, 16, 7
	v_cmp_ne_u32_e32 vcc, s29, v54
	v_mov_b32_e32 v39, 0x7c01
	s_and_saveexec_b64 s[24:25], vcc
	s_cbranch_execz .LBB260_836
; %bb.835:                              ;   in Loop: Header=BB260_819 Depth=1
	v_and_b32_e32 v39, 7, v16
	v_ffbh_u32_e32 v64, v39
	v_min_u32_e32 v64, 32, v64
	v_lshrrev_b32_e32 v55, 3, v54
	v_subrev_u32_e32 v66, 28, v64
	v_sub_u32_e32 v64, 29, v64
	v_cmp_gt_u32_e32 vcc, 8, v54
	v_lshlrev_b64 v[100:101], v66, v[16:17]
	v_lshlrev_b32_e32 v16, 8, v16
	v_cndmask_b32_e32 v54, v55, v64, vcc
	v_lshl_add_u32 v54, v54, 10, v98
	v_and_b32_e32 v55, 7, v100
	v_and_b32_e32 v54, 0xfc00, v54
	v_cndmask_b32_e32 v39, v39, v55, vcc
	v_and_or_b32 v16, v16, s40, v54
	v_lshl_or_b32 v39, v39, 7, v16
.LBB260_836:                            ;   in Loop: Header=BB260_819 Depth=1
	s_or_b64 exec, exec, s[24:25]
.LBB260_837:                            ;   in Loop: Header=BB260_819 Depth=1
	s_or_b64 exec, exec, s[22:23]
.LBB260_838:                            ;   in Loop: Header=BB260_819 Depth=1
	s_or_b64 exec, exec, s[2:3]
	v_cmp_lt_u32_e32 vcc, s7, v52
	s_and_saveexec_b64 s[2:3], vcc
	s_cbranch_execz .LBB260_844
; %bb.839:                              ;   in Loop: Header=BB260_819 Depth=1
	v_lshrrev_b32_e32 v16, 24, v52
	v_cmp_ne_u32_e32 vcc, s28, v16
	v_bfrev_b32_e32 v51, 1
	s_and_saveexec_b64 s[22:23], vcc
	s_cbranch_execz .LBB260_843
; %bb.840:                              ;   in Loop: Header=BB260_819 Depth=1
	v_and_b32_e32 v54, 0x7f, v16
	v_cmp_ne_u32_e32 vcc, s29, v54
	v_mov_b32_e32 v51, 0x7c010000
	s_and_saveexec_b64 s[24:25], vcc
	s_cbranch_execz .LBB260_842
; %bb.841:                              ;   in Loop: Header=BB260_819 Depth=1
	v_and_b32_e32 v51, 7, v16
	v_ffbh_u32_e32 v64, v51
	v_min_u32_e32 v64, 32, v64
	v_lshrrev_b32_e32 v55, 3, v54
	v_subrev_u32_e32 v66, 28, v64
	v_sub_u32_e32 v64, 29, v64
	v_cmp_gt_u32_e32 vcc, 8, v54
	v_lshlrev_b64 v[100:101], v66, v[16:17]
	v_lshlrev_b32_e32 v16, 8, v16
	v_cndmask_b32_e32 v54, v55, v64, vcc
	v_lshl_add_u32 v54, v54, 10, v98
	v_and_b32_e32 v55, 7, v100
	v_and_or_b32 v16, v16, s40, v54
	v_cndmask_b32_e32 v51, v51, v55, vcc
	v_lshlrev_b32_e32 v16, 16, v16
	v_lshl_or_b32 v51, v51, 23, v16
.LBB260_842:                            ;   in Loop: Header=BB260_819 Depth=1
	s_or_b64 exec, exec, s[24:25]
.LBB260_843:                            ;   in Loop: Header=BB260_819 Depth=1
	s_or_b64 exec, exec, s[22:23]
.LBB260_844:                            ;   in Loop: Header=BB260_819 Depth=1
	s_or_b64 exec, exec, s[2:3]
	v_mov_b32_e32 v16, v53
	v_cmp_ne_u16_sdwa s[22:23], v53, v17 src0_sel:BYTE_0 src1_sel:DWORD
	v_mov_b32_e32 v55, 0
	v_mov_b32_e32 v64, 0
	s_and_saveexec_b64 s[2:3], s[22:23]
	s_cbranch_execz .LBB260_850
; %bb.845:                              ;   in Loop: Header=BB260_819 Depth=1
	v_cmp_ne_u16_sdwa s[24:25], v53, s28 src0_sel:BYTE_0 src1_sel:DWORD
	v_mov_b32_e32 v64, 0x8000
	s_and_saveexec_b64 s[22:23], s[24:25]
	s_cbranch_execz .LBB260_849
; %bb.846:                              ;   in Loop: Header=BB260_819 Depth=1
	v_and_b32_e32 v54, 0x7f, v53
	v_cmp_ne_u32_e32 vcc, s29, v54
	v_mov_b32_e32 v64, 0x7c01
	s_and_saveexec_b64 s[24:25], vcc
	s_cbranch_execz .LBB260_848
; %bb.847:                              ;   in Loop: Header=BB260_819 Depth=1
	v_and_b32_e32 v64, 7, v53
	v_ffbh_u32_e32 v80, v64
	v_min_u32_e32 v80, 32, v80
	v_lshrrev_b32_e32 v66, 3, v54
	v_subrev_u32_e32 v99, 28, v80
	v_sub_u32_e32 v80, 29, v80
	v_cmp_gt_u32_e32 vcc, 8, v54
	v_lshlrev_b64 v[100:101], v99, v[16:17]
	s_nop 0
	v_cndmask_b32_e32 v54, v66, v80, vcc
	v_lshl_add_u32 v54, v54, 10, v98
	v_lshlrev_b32_e32 v66, 8, v53
	v_and_b32_e32 v80, 7, v100
	v_and_b32_e32 v54, 0xfc00, v54
	v_cndmask_b32_e32 v64, v64, v80, vcc
	v_and_or_b32 v54, v66, s40, v54
	v_lshl_or_b32 v64, v64, 7, v54
.LBB260_848:                            ;   in Loop: Header=BB260_819 Depth=1
	s_or_b64 exec, exec, s[24:25]
.LBB260_849:                            ;   in Loop: Header=BB260_819 Depth=1
	s_or_b64 exec, exec, s[22:23]
.LBB260_850:                            ;   in Loop: Header=BB260_819 Depth=1
	s_or_b64 exec, exec, s[2:3]
	v_lshrrev_b16_e32 v16, 8, v16
	v_cmp_ne_u16_e32 vcc, 0, v16
	v_mov_b32_e32 v66, 0
	s_and_saveexec_b64 s[2:3], vcc
	s_cbranch_execz .LBB260_856
; %bb.851:                              ;   in Loop: Header=BB260_819 Depth=1
	v_cmp_ne_u16_e32 vcc, s28, v16
	v_bfrev_b32_e32 v66, 1
	s_and_saveexec_b64 s[22:23], vcc
	s_cbranch_execz .LBB260_855
; %bb.852:                              ;   in Loop: Header=BB260_819 Depth=1
	v_and_b32_e32 v54, 0x7f, v16
	v_cmp_ne_u32_e32 vcc, s29, v54
	v_mov_b32_e32 v66, 0x7c010000
	s_and_saveexec_b64 s[24:25], vcc
	s_cbranch_execz .LBB260_854
; %bb.853:                              ;   in Loop: Header=BB260_819 Depth=1
	v_and_b32_e32 v66, 7, v16
	v_ffbh_u32_e32 v99, v66
	v_min_u32_e32 v99, 32, v99
	v_lshrrev_b32_e32 v80, 3, v54
	v_subrev_u32_e32 v100, 28, v99
	v_sub_u32_e32 v99, 29, v99
	v_cmp_gt_u32_e32 vcc, 8, v54
	v_lshlrev_b64 v[100:101], v100, v[16:17]
	v_lshlrev_b32_e32 v16, 8, v16
	v_cndmask_b32_e32 v54, v80, v99, vcc
	v_lshl_add_u32 v54, v54, 10, v98
	v_and_b32_e32 v80, 7, v100
	v_and_or_b32 v16, v16, s40, v54
	v_cndmask_b32_e32 v66, v66, v80, vcc
	v_lshlrev_b32_e32 v16, 16, v16
	v_lshl_or_b32 v66, v66, 23, v16
.LBB260_854:                            ;   in Loop: Header=BB260_819 Depth=1
	s_or_b64 exec, exec, s[24:25]
.LBB260_855:                            ;   in Loop: Header=BB260_819 Depth=1
	s_or_b64 exec, exec, s[22:23]
.LBB260_856:                            ;   in Loop: Header=BB260_819 Depth=1
	s_or_b64 exec, exec, s[2:3]
	v_lshrrev_b32_e32 v16, 16, v53
	v_cmp_ne_u16_sdwa s[22:23], v16, v17 src0_sel:BYTE_0 src1_sel:DWORD
	s_and_saveexec_b64 s[2:3], s[22:23]
	s_cbranch_execz .LBB260_862
; %bb.857:                              ;   in Loop: Header=BB260_819 Depth=1
	v_cmp_ne_u16_sdwa s[24:25], v16, s28 src0_sel:BYTE_0 src1_sel:DWORD
	v_mov_b32_e32 v55, 0x8000
	s_and_saveexec_b64 s[22:23], s[24:25]
	s_cbranch_execz .LBB260_861
; %bb.858:                              ;   in Loop: Header=BB260_819 Depth=1
	v_bfe_u32 v54, v53, 16, 7
	v_cmp_ne_u32_e32 vcc, s29, v54
	v_mov_b32_e32 v55, 0x7c01
	s_and_saveexec_b64 s[24:25], vcc
	s_cbranch_execz .LBB260_860
; %bb.859:                              ;   in Loop: Header=BB260_819 Depth=1
	v_and_b32_e32 v55, 7, v16
	v_ffbh_u32_e32 v99, v55
	v_min_u32_e32 v99, 32, v99
	v_lshrrev_b32_e32 v80, 3, v54
	v_subrev_u32_e32 v100, 28, v99
	v_sub_u32_e32 v99, 29, v99
	v_cmp_gt_u32_e32 vcc, 8, v54
	v_lshlrev_b64 v[100:101], v100, v[16:17]
	v_lshlrev_b32_e32 v16, 8, v16
	v_cndmask_b32_e32 v54, v80, v99, vcc
	v_lshl_add_u32 v54, v54, 10, v98
	v_and_b32_e32 v80, 7, v100
	v_and_b32_e32 v54, 0xfc00, v54
	v_cndmask_b32_e32 v55, v55, v80, vcc
	v_and_or_b32 v16, v16, s40, v54
	v_lshl_or_b32 v55, v55, 7, v16
.LBB260_860:                            ;   in Loop: Header=BB260_819 Depth=1
	s_or_b64 exec, exec, s[24:25]
.LBB260_861:                            ;   in Loop: Header=BB260_819 Depth=1
	s_or_b64 exec, exec, s[22:23]
.LBB260_862:                            ;   in Loop: Header=BB260_819 Depth=1
	s_or_b64 exec, exec, s[2:3]
	v_cmp_lt_u64_e32 vcc, s[6:7], v[52:53]
	v_mov_b32_e32 v80, 0
	s_and_saveexec_b64 s[2:3], vcc
	s_cbranch_execz .LBB260_868
; %bb.863:                              ;   in Loop: Header=BB260_819 Depth=1
	v_lshrrev_b32_e32 v16, 24, v53
	v_cmp_ne_u32_e32 vcc, s28, v16
	v_bfrev_b32_e32 v80, 1
	s_and_saveexec_b64 s[22:23], vcc
	s_cbranch_execz .LBB260_867
; %bb.864:                              ;   in Loop: Header=BB260_819 Depth=1
	v_and_b32_e32 v52, 0x7f, v16
	v_cmp_ne_u32_e32 vcc, s29, v52
	v_mov_b32_e32 v80, 0x7c010000
	s_and_saveexec_b64 s[24:25], vcc
	s_cbranch_execz .LBB260_866
; %bb.865:                              ;   in Loop: Header=BB260_819 Depth=1
	v_and_b32_e32 v53, 7, v16
	v_ffbh_u32_e32 v80, v53
	v_min_u32_e32 v80, 32, v80
	v_lshrrev_b32_e32 v54, 3, v52
	v_subrev_u32_e32 v99, 28, v80
	v_sub_u32_e32 v80, 29, v80
	v_cmp_gt_u32_e32 vcc, 8, v52
	v_lshlrev_b64 v[100:101], v99, v[16:17]
	v_lshlrev_b32_e32 v16, 8, v16
	v_cndmask_b32_e32 v52, v54, v80, vcc
	v_lshl_add_u32 v52, v52, 10, v98
	v_and_b32_e32 v54, 7, v100
	v_and_or_b32 v16, v16, s40, v52
	v_cndmask_b32_e32 v53, v53, v54, vcc
	v_lshlrev_b32_e32 v16, 16, v16
	v_lshl_or_b32 v80, v53, 23, v16
.LBB260_866:                            ;   in Loop: Header=BB260_819 Depth=1
	s_or_b64 exec, exec, s[24:25]
.LBB260_867:                            ;   in Loop: Header=BB260_819 Depth=1
	s_or_b64 exec, exec, s[22:23]
.LBB260_868:                            ;   in Loop: Header=BB260_819 Depth=1
	s_or_b64 exec, exec, s[2:3]
	scratch_load_dword v16, off, s32 offset:216 ; 4-byte Folded Reload
	v_cvt_f32_f16_sdwa v53, v19 dst_sel:DWORD dst_unused:UNUSED_PAD src0_sel:WORD_1
	v_cvt_f32_f16_sdwa v52, v51 dst_sel:DWORD dst_unused:UNUSED_PAD src0_sel:WORD_1
	v_or_b32_e32 v13, v19, v13
	v_cvt_f32_f16_e32 v101, v13
	v_cvt_f32_f16_sdwa v103, v66 dst_sel:DWORD dst_unused:UNUSED_PAD src0_sel:WORD_1
	s_waitcnt vmcnt(0) lgkmcnt(0)
	v_pk_mul_f32 v[52:53], v[50:51], v[52:53] op_sel_hi:[0,1]
	v_cvt_pk_f16_f32 v13, v52, v53
	v_and_b32_e32 v19, 0xffff0000, v13
	v_lshlrev_b32_e32 v52, 16, v13
	v_cvt_f32_f16_sdwa v102, v80 dst_sel:DWORD dst_unused:UNUSED_PAD src0_sel:WORD_1
	v_add_u32_e32 v99, v86, v22
	v_add_u32_e32 v118, 2, v99
	v_or_b32_e32 v117, 1, v99
	v_or_b32_e32 v116, 3, v99
	;; [unrolled: 1-line block ×5, first 2 shown]
	v_cmp_eq_u32_e64 s[2:3], v96, v16
	v_or_b32_e32 v16, v51, v39
	v_cvt_f32_f16_e32 v100, v16
	v_or_b32_e32 v16, v66, v64
	v_pk_mul_f32 v[100:101], v[50:51], v[100:101] op_sel_hi:[0,1]
	v_or_b32_e32 v51, v80, v55
	v_cvt_pk_f16_f32 v13, v100, v101
	v_cvt_f32_f16_e32 v100, v51
	v_cvt_f32_f16_e32 v101, v16
	v_lshrrev_b32_e32 v39, 16, v13
	v_and_b32_e32 v54, 0xffff, v13
	v_or_b32_e32 v13, v19, v39
	v_pk_mul_f32 v[100:101], v[50:51], v[100:101] op_sel_hi:[0,1]
	v_pk_mul_f32 v[50:51], v[50:51], v[102:103] op_sel_hi:[0,1]
	v_cvt_pk_f16_f32 v53, v100, v101
	v_cvt_pk_f16_f32 v50, v50, v51
	v_and_b32_e32 v51, 0xffff0000, v50
	v_lshlrev_b32_e32 v50, 16, v50
	v_lshrrev_b32_e32 v55, 16, v53
	v_and_b32_e32 v66, 0xffff, v53
	v_or_b32_e32 v16, v52, v54
	v_or_b32_e32 v53, v51, v55
	;; [unrolled: 1-line block ×4, first 2 shown]
	s_and_saveexec_b64 s[22:23], s[2:3]
	s_cbranch_execz .LBB260_870
; %bb.869:                              ;   in Loop: Header=BB260_819 Depth=1
	v_cmp_lt_i32_e32 vcc, v99, v3
	s_nop 1
	v_cndmask_b32_e32 v13, 0, v39, vcc
	v_cmp_lt_i32_e32 vcc, v118, v12
	s_nop 1
	v_cndmask_b32_e32 v16, 0, v54, vcc
	v_cmp_lt_i32_e32 vcc, v117, v3
	s_nop 1
	v_cndmask_b32_e32 v19, 0, v19, vcc
	v_cmp_lt_i32_e32 vcc, v116, v12
	v_or_b32_e32 v13, v13, v19
	s_nop 0
	v_cndmask_b32_e32 v39, 0, v52, vcc
	v_cmp_lt_i32_e32 vcc, v115, v3
	v_or_b32_e32 v16, v16, v39
	s_nop 0
	v_cndmask_b32_e32 v19, 0, v55, vcc
	v_cmp_lt_i32_e32 vcc, v114, v12
	s_nop 1
	v_cndmask_b32_e32 v39, 0, v66, vcc
	v_cmp_lt_i32_e32 vcc, v113, v3
	;; [unrolled: 3-line block ×3, first 2 shown]
	v_or_b32_e32 v53, v19, v51
	s_nop 0
	v_cndmask_b32_e32 v50, 0, v50, vcc
	v_or_b32_e32 v64, v39, v50
.LBB260_870:                            ;   in Loop: Header=BB260_819 Depth=1
	s_or_b64 exec, exec, s[22:23]
	v_and_b32_e32 v0, 0xffff, v0
	v_lshl_or_b32 v112, v1, 16, v0
	v_and_b32_e32 v0, 0xffff, v2
	v_lshl_or_b32 v102, v18, 16, v0
	v_and_b32_e32 v0, 0xffff, v65
	v_lshl_or_b32 v101, v68, 16, v0
	v_and_b32_e32 v0, 0xffff, v69
	v_lshl_or_b32 v100, v70, 16, v0
	;;#ASMSTART
	v_pk_mul_f16 v0, v112, v13;

	;;#ASMEND
	;;#ASMSTART
	v_pk_mul_f16 v1, v102, v16;

	;;#ASMEND
	;; [unrolled: 4-line block ×4, first 2 shown]
	s_nop 0
	;;#ASMSTART
	v_pk_add_f16 v0, v0, v1;

	;;#ASMEND
	s_nop 0
	;;#ASMSTART
	v_pk_add_f16 v0, v0, v2;

	;;#ASMEND
	;; [unrolled: 5-line block ×3, first 2 shown]
	s_nop 0
	v_lshrrev_b32_e32 v1, 16, v0
	v_and_b32_e32 v0, 0xffff, v0
	;;#ASMSTART
	v_cvt_f32_f16 v119, v0;
	;;#ASMEND
	;;#ASMSTART
	v_cvt_f32_f16 v40, v1;
	;;#ASMEND
	flat_load_dwordx2 v[52:53], v[48:49] offset:512
	scratch_load_dwordx2 v[0:1], off, s32 offset:192 ; 8-byte Folded Reload
	s_waitcnt vmcnt(0) lgkmcnt(0)
	v_cmp_ne_u16_sdwa s[24:25], v52, v17 src0_sel:BYTE_0 src1_sel:DWORD
	flat_load_dword v50, v[0:1]
	v_mov_b32_e32 v1, 0
	v_mov_b32_e32 v0, 0
	s_and_saveexec_b64 s[22:23], s[24:25]
	s_cbranch_execz .LBB260_876
; %bb.871:                              ;   in Loop: Header=BB260_819 Depth=1
	v_cmp_ne_u16_sdwa s[26:27], v52, s28 src0_sel:BYTE_0 src1_sel:DWORD
	v_mov_b32_e32 v0, 0x8000
	s_and_saveexec_b64 s[24:25], s[26:27]
	s_cbranch_execz .LBB260_875
; %bb.872:                              ;   in Loop: Header=BB260_819 Depth=1
	v_and_b32_e32 v2, 0x7f, v52
	v_cmp_ne_u32_e32 vcc, s29, v2
	v_mov_b32_e32 v0, 0x7c01
	s_and_saveexec_b64 s[26:27], vcc
	s_cbranch_execz .LBB260_874
; %bb.873:                              ;   in Loop: Header=BB260_819 Depth=1
	v_and_b32_e32 v0, 7, v52
	v_ffbh_u32_e32 v16, v0
	v_min_u32_e32 v16, 32, v16
	v_lshrrev_b32_e32 v13, 3, v2
	v_subrev_u32_e32 v18, 28, v16
	v_sub_u32_e32 v16, 29, v16
	v_cmp_gt_u32_e32 vcc, 8, v2
	v_lshlrev_b64 v[18:19], v18, v[52:53]
	s_nop 0
	v_cndmask_b32_e32 v2, v13, v16, vcc
	v_lshl_add_u32 v2, v2, 10, v98
	v_lshlrev_b32_e32 v13, 8, v52
	v_and_b32_e32 v16, 7, v18
	v_and_b32_e32 v2, 0xfc00, v2
	v_cndmask_b32_e32 v0, v0, v16, vcc
	v_and_or_b32 v2, v13, s40, v2
	v_lshl_or_b32 v0, v0, 7, v2
.LBB260_874:                            ;   in Loop: Header=BB260_819 Depth=1
	s_or_b64 exec, exec, s[26:27]
.LBB260_875:                            ;   in Loop: Header=BB260_819 Depth=1
	s_or_b64 exec, exec, s[24:25]
.LBB260_876:                            ;   in Loop: Header=BB260_819 Depth=1
	s_or_b64 exec, exec, s[22:23]
	v_lshrrev_b16_e32 v16, 8, v52
	v_cmp_ne_u16_e32 vcc, 0, v16
	s_and_saveexec_b64 s[22:23], vcc
	s_cbranch_execz .LBB260_882
; %bb.877:                              ;   in Loop: Header=BB260_819 Depth=1
	v_cmp_ne_u16_e32 vcc, s28, v16
	v_bfrev_b32_e32 v1, 1
	s_and_saveexec_b64 s[24:25], vcc
	s_cbranch_execz .LBB260_881
; %bb.878:                              ;   in Loop: Header=BB260_819 Depth=1
	v_and_b32_e32 v2, 0x7f, v16
	v_cmp_ne_u32_e32 vcc, s29, v2
	v_mov_b32_e32 v1, 0x7c010000
	s_and_saveexec_b64 s[26:27], vcc
	s_cbranch_execz .LBB260_880
; %bb.879:                              ;   in Loop: Header=BB260_819 Depth=1
	v_and_b32_e32 v1, 7, v16
	v_ffbh_u32_e32 v18, v1
	v_min_u32_e32 v39, 32, v18
	v_subrev_u32_e32 v18, 28, v39
	v_lshlrev_b64 v[18:19], v18, v[16:17]
	v_lshrrev_b32_e32 v13, 3, v2
	v_sub_u32_e32 v19, 29, v39
	v_cmp_gt_u32_e32 vcc, 8, v2
	s_nop 1
	v_cndmask_b32_e32 v2, v13, v19, vcc
	v_lshlrev_b32_e32 v13, 8, v16
	v_lshl_add_u32 v2, v2, 10, v98
	v_and_b32_e32 v16, 7, v18
	v_and_or_b32 v2, v13, s40, v2
	v_cndmask_b32_e32 v1, v1, v16, vcc
	v_lshlrev_b32_e32 v2, 16, v2
	v_lshl_or_b32 v1, v1, 23, v2
.LBB260_880:                            ;   in Loop: Header=BB260_819 Depth=1
	s_or_b64 exec, exec, s[26:27]
.LBB260_881:                            ;   in Loop: Header=BB260_819 Depth=1
	s_or_b64 exec, exec, s[24:25]
.LBB260_882:                            ;   in Loop: Header=BB260_819 Depth=1
	s_or_b64 exec, exec, s[22:23]
	v_lshrrev_b32_e32 v16, 16, v52
	v_cmp_ne_u16_sdwa s[24:25], v16, v17 src0_sel:BYTE_0 src1_sel:DWORD
	v_mov_b32_e32 v13, 0
	v_mov_b32_e32 v2, 0
	s_and_saveexec_b64 s[22:23], s[24:25]
	s_cbranch_execz .LBB260_888
; %bb.883:                              ;   in Loop: Header=BB260_819 Depth=1
	v_cmp_ne_u16_sdwa s[26:27], v16, s28 src0_sel:BYTE_0 src1_sel:DWORD
	v_mov_b32_e32 v2, 0x8000
	s_and_saveexec_b64 s[24:25], s[26:27]
	s_cbranch_execz .LBB260_887
; %bb.884:                              ;   in Loop: Header=BB260_819 Depth=1
	v_bfe_u32 v18, v52, 16, 7
	v_cmp_ne_u32_e32 vcc, s29, v18
	v_mov_b32_e32 v2, 0x7c01
	s_and_saveexec_b64 s[26:27], vcc
	s_cbranch_execz .LBB260_886
; %bb.885:                              ;   in Loop: Header=BB260_819 Depth=1
	v_and_b32_e32 v2, 7, v16
	v_ffbh_u32_e32 v39, v2
	v_min_u32_e32 v39, 32, v39
	v_lshrrev_b32_e32 v19, 3, v18
	v_subrev_u32_e32 v51, 28, v39
	v_sub_u32_e32 v39, 29, v39
	v_cmp_gt_u32_e32 vcc, 8, v18
	v_lshlrev_b64 v[54:55], v51, v[16:17]
	v_lshlrev_b32_e32 v16, 8, v16
	v_cndmask_b32_e32 v18, v19, v39, vcc
	v_lshl_add_u32 v18, v18, 10, v98
	v_and_b32_e32 v19, 7, v54
	v_and_b32_e32 v18, 0xfc00, v18
	v_cndmask_b32_e32 v2, v2, v19, vcc
	v_and_or_b32 v16, v16, s40, v18
	v_lshl_or_b32 v2, v2, 7, v16
.LBB260_886:                            ;   in Loop: Header=BB260_819 Depth=1
	s_or_b64 exec, exec, s[26:27]
.LBB260_887:                            ;   in Loop: Header=BB260_819 Depth=1
	s_or_b64 exec, exec, s[24:25]
.LBB260_888:                            ;   in Loop: Header=BB260_819 Depth=1
	s_or_b64 exec, exec, s[22:23]
	v_cmp_lt_u32_e32 vcc, s7, v52
	s_and_saveexec_b64 s[22:23], vcc
	s_cbranch_execz .LBB260_894
; %bb.889:                              ;   in Loop: Header=BB260_819 Depth=1
	v_lshrrev_b32_e32 v16, 24, v52
	v_cmp_ne_u32_e32 vcc, s28, v16
	v_bfrev_b32_e32 v13, 1
	s_and_saveexec_b64 s[24:25], vcc
	s_cbranch_execz .LBB260_893
; %bb.890:                              ;   in Loop: Header=BB260_819 Depth=1
	v_and_b32_e32 v18, 0x7f, v16
	v_cmp_ne_u32_e32 vcc, s29, v18
	v_mov_b32_e32 v13, 0x7c010000
	s_and_saveexec_b64 s[26:27], vcc
	s_cbranch_execz .LBB260_892
; %bb.891:                              ;   in Loop: Header=BB260_819 Depth=1
	v_and_b32_e32 v13, 7, v16
	v_ffbh_u32_e32 v39, v13
	v_min_u32_e32 v39, 32, v39
	v_lshrrev_b32_e32 v19, 3, v18
	v_subrev_u32_e32 v51, 28, v39
	v_sub_u32_e32 v39, 29, v39
	v_cmp_gt_u32_e32 vcc, 8, v18
	v_lshlrev_b64 v[54:55], v51, v[16:17]
	v_lshlrev_b32_e32 v16, 8, v16
	v_cndmask_b32_e32 v18, v19, v39, vcc
	v_lshl_add_u32 v18, v18, 10, v98
	v_and_b32_e32 v19, 7, v54
	v_and_or_b32 v16, v16, s40, v18
	v_cndmask_b32_e32 v13, v13, v19, vcc
	v_lshlrev_b32_e32 v16, 16, v16
	v_lshl_or_b32 v13, v13, 23, v16
.LBB260_892:                            ;   in Loop: Header=BB260_819 Depth=1
	s_or_b64 exec, exec, s[26:27]
.LBB260_893:                            ;   in Loop: Header=BB260_819 Depth=1
	s_or_b64 exec, exec, s[24:25]
.LBB260_894:                            ;   in Loop: Header=BB260_819 Depth=1
	s_or_b64 exec, exec, s[22:23]
	v_mov_b32_e32 v16, v53
	v_cmp_ne_u16_sdwa s[24:25], v53, v17 src0_sel:BYTE_0 src1_sel:DWORD
	v_mov_b32_e32 v18, 0
	v_mov_b32_e32 v51, 0
	s_and_saveexec_b64 s[22:23], s[24:25]
	s_cbranch_execz .LBB260_900
; %bb.895:                              ;   in Loop: Header=BB260_819 Depth=1
	v_cmp_ne_u16_sdwa s[26:27], v53, s28 src0_sel:BYTE_0 src1_sel:DWORD
	v_mov_b32_e32 v51, 0x8000
	s_and_saveexec_b64 s[24:25], s[26:27]
	s_cbranch_execz .LBB260_899
; %bb.896:                              ;   in Loop: Header=BB260_819 Depth=1
	v_and_b32_e32 v19, 0x7f, v53
	v_cmp_ne_u32_e32 vcc, s29, v19
	v_mov_b32_e32 v51, 0x7c01
	s_and_saveexec_b64 s[26:27], vcc
	s_cbranch_execz .LBB260_898
; %bb.897:                              ;   in Loop: Header=BB260_819 Depth=1
	v_and_b32_e32 v39, 7, v53
	v_ffbh_u32_e32 v54, v39
	v_min_u32_e32 v64, 32, v54
	v_subrev_u32_e32 v54, 28, v64
	v_lshlrev_b64 v[54:55], v54, v[16:17]
	v_lshrrev_b32_e32 v51, 3, v19
	v_sub_u32_e32 v55, 29, v64
	v_cmp_gt_u32_e32 vcc, 8, v19
	v_and_b32_e32 v54, 7, v54
	s_nop 0
	v_cndmask_b32_e32 v19, v51, v55, vcc
	v_lshl_add_u32 v19, v19, 10, v98
	v_lshlrev_b32_e32 v51, 8, v53
	v_and_b32_e32 v19, 0xfc00, v19
	v_cndmask_b32_e32 v39, v39, v54, vcc
	v_and_or_b32 v19, v51, s40, v19
	v_lshl_or_b32 v51, v39, 7, v19
.LBB260_898:                            ;   in Loop: Header=BB260_819 Depth=1
	s_or_b64 exec, exec, s[26:27]
.LBB260_899:                            ;   in Loop: Header=BB260_819 Depth=1
	s_or_b64 exec, exec, s[24:25]
.LBB260_900:                            ;   in Loop: Header=BB260_819 Depth=1
	s_or_b64 exec, exec, s[22:23]
	v_lshrrev_b16_e32 v16, 8, v16
	v_cmp_ne_u16_e32 vcc, 0, v16
	v_mov_b32_e32 v55, 0
	s_and_saveexec_b64 s[22:23], vcc
	s_cbranch_execz .LBB260_906
; %bb.901:                              ;   in Loop: Header=BB260_819 Depth=1
	v_cmp_ne_u16_e32 vcc, s28, v16
	v_bfrev_b32_e32 v55, 1
	s_and_saveexec_b64 s[24:25], vcc
	s_cbranch_execz .LBB260_905
; %bb.902:                              ;   in Loop: Header=BB260_819 Depth=1
	v_and_b32_e32 v19, 0x7f, v16
	v_cmp_ne_u32_e32 vcc, s29, v19
	v_mov_b32_e32 v55, 0x7c010000
	s_and_saveexec_b64 s[26:27], vcc
	s_cbranch_execz .LBB260_904
; %bb.903:                              ;   in Loop: Header=BB260_819 Depth=1
	v_and_b32_e32 v39, 7, v16
	v_ffbh_u32_e32 v54, v39
	v_min_u32_e32 v65, 32, v54
	v_subrev_u32_e32 v54, 28, v65
	v_lshlrev_b64 v[54:55], v54, v[16:17]
	v_lshrrev_b32_e32 v64, 3, v19
	v_sub_u32_e32 v55, 29, v65
	v_cmp_gt_u32_e32 vcc, 8, v19
	v_lshlrev_b32_e32 v16, 8, v16
	v_and_b32_e32 v54, 7, v54
	v_cndmask_b32_e32 v19, v64, v55, vcc
	v_lshl_add_u32 v19, v19, 10, v98
	v_and_or_b32 v16, v16, s40, v19
	v_cndmask_b32_e32 v39, v39, v54, vcc
	v_lshlrev_b32_e32 v16, 16, v16
	v_lshl_or_b32 v55, v39, 23, v16
.LBB260_904:                            ;   in Loop: Header=BB260_819 Depth=1
	s_or_b64 exec, exec, s[26:27]
.LBB260_905:                            ;   in Loop: Header=BB260_819 Depth=1
	s_or_b64 exec, exec, s[24:25]
.LBB260_906:                            ;   in Loop: Header=BB260_819 Depth=1
	s_or_b64 exec, exec, s[22:23]
	v_lshrrev_b32_e32 v16, 16, v53
	v_cmp_ne_u16_sdwa s[24:25], v16, v17 src0_sel:BYTE_0 src1_sel:DWORD
	s_and_saveexec_b64 s[22:23], s[24:25]
	s_cbranch_execz .LBB260_912
; %bb.907:                              ;   in Loop: Header=BB260_819 Depth=1
	v_cmp_ne_u16_sdwa s[26:27], v16, s28 src0_sel:BYTE_0 src1_sel:DWORD
	v_mov_b32_e32 v18, 0x8000
	s_and_saveexec_b64 s[24:25], s[26:27]
	s_cbranch_execz .LBB260_911
; %bb.908:                              ;   in Loop: Header=BB260_819 Depth=1
	v_bfe_u32 v19, v53, 16, 7
	v_cmp_ne_u32_e32 vcc, s29, v19
	v_mov_b32_e32 v18, 0x7c01
	s_and_saveexec_b64 s[26:27], vcc
	s_cbranch_execz .LBB260_910
; %bb.909:                              ;   in Loop: Header=BB260_819 Depth=1
	v_and_b32_e32 v18, 7, v16
	v_ffbh_u32_e32 v54, v18
	v_min_u32_e32 v54, 32, v54
	v_lshrrev_b32_e32 v39, 3, v19
	v_subrev_u32_e32 v64, 28, v54
	v_sub_u32_e32 v54, 29, v54
	v_cmp_gt_u32_e32 vcc, 8, v19
	v_lshlrev_b64 v[64:65], v64, v[16:17]
	v_lshlrev_b32_e32 v16, 8, v16
	v_cndmask_b32_e32 v19, v39, v54, vcc
	v_lshl_add_u32 v19, v19, 10, v98
	v_and_b32_e32 v39, 7, v64
	v_and_b32_e32 v19, 0xfc00, v19
	v_cndmask_b32_e32 v18, v18, v39, vcc
	v_and_or_b32 v16, v16, s40, v19
	v_lshl_or_b32 v18, v18, 7, v16
.LBB260_910:                            ;   in Loop: Header=BB260_819 Depth=1
	s_or_b64 exec, exec, s[26:27]
.LBB260_911:                            ;   in Loop: Header=BB260_819 Depth=1
	s_or_b64 exec, exec, s[24:25]
.LBB260_912:                            ;   in Loop: Header=BB260_819 Depth=1
	s_or_b64 exec, exec, s[22:23]
	v_cmp_lt_u64_e32 vcc, s[6:7], v[52:53]
	v_mov_b32_e32 v52, 0
	s_and_saveexec_b64 s[22:23], vcc
	s_cbranch_execz .LBB260_918
; %bb.913:                              ;   in Loop: Header=BB260_819 Depth=1
	v_lshrrev_b32_e32 v16, 24, v53
	v_cmp_ne_u32_e32 vcc, s28, v16
	v_bfrev_b32_e32 v52, 1
	s_and_saveexec_b64 s[24:25], vcc
	s_cbranch_execz .LBB260_917
; %bb.914:                              ;   in Loop: Header=BB260_819 Depth=1
	v_and_b32_e32 v19, 0x7f, v16
	v_cmp_ne_u32_e32 vcc, s29, v19
	v_mov_b32_e32 v52, 0x7c010000
	s_and_saveexec_b64 s[26:27], vcc
	s_cbranch_execz .LBB260_916
; %bb.915:                              ;   in Loop: Header=BB260_819 Depth=1
	v_and_b32_e32 v39, 7, v16
	v_ffbh_u32_e32 v52, v39
	v_min_u32_e32 v64, 32, v52
	v_subrev_u32_e32 v52, 28, v64
	v_lshlrev_b64 v[52:53], v52, v[16:17]
	v_lshrrev_b32_e32 v54, 3, v19
	v_sub_u32_e32 v53, 29, v64
	v_cmp_gt_u32_e32 vcc, 8, v19
	v_lshlrev_b32_e32 v16, 8, v16
	v_and_b32_e32 v52, 7, v52
	v_cndmask_b32_e32 v19, v54, v53, vcc
	v_lshl_add_u32 v19, v19, 10, v98
	v_and_or_b32 v16, v16, s40, v19
	v_cndmask_b32_e32 v39, v39, v52, vcc
	v_lshlrev_b32_e32 v16, 16, v16
	v_lshl_or_b32 v52, v39, 23, v16
.LBB260_916:                            ;   in Loop: Header=BB260_819 Depth=1
	s_or_b64 exec, exec, s[26:27]
.LBB260_917:                            ;   in Loop: Header=BB260_819 Depth=1
	s_or_b64 exec, exec, s[24:25]
.LBB260_918:                            ;   in Loop: Header=BB260_819 Depth=1
	s_or_b64 exec, exec, s[22:23]
	v_cvt_f32_f16_sdwa v65, v1 dst_sel:DWORD dst_unused:UNUSED_PAD src0_sel:WORD_1
	v_cvt_f32_f16_sdwa v64, v13 dst_sel:DWORD dst_unused:UNUSED_PAD src0_sel:WORD_1
	v_or_b32_e32 v16, v1, v0
	v_or_b32_e32 v2, v13, v2
	s_waitcnt vmcnt(0) lgkmcnt(0)
	v_pk_mul_f32 v[0:1], v[50:51], v[64:65] op_sel_hi:[0,1]
	v_cvt_f32_f16_e32 v64, v2
	v_cvt_f32_f16_e32 v65, v16
	v_cvt_pk_f16_f32 v0, v0, v1
	v_and_b32_e32 v19, 0xffff0000, v0
	v_lshlrev_b32_e32 v16, 16, v0
	v_pk_mul_f32 v[0:1], v[50:51], v[64:65] op_sel_hi:[0,1]
	v_cvt_pk_f16_f32 v0, v0, v1
	v_lshrrev_b32_e32 v39, 16, v0
	v_and_b32_e32 v54, 0xffff, v0
	v_or_b32_e32 v1, v55, v51
	v_or_b32_e32 v0, v52, v18
	v_cvt_f32_f16_e32 v0, v0
	v_cvt_f32_f16_e32 v1, v1
	v_cvt_f32_f16_sdwa v65, v55 dst_sel:DWORD dst_unused:UNUSED_PAD src0_sel:WORD_1
	v_cvt_f32_f16_sdwa v64, v52 dst_sel:DWORD dst_unused:UNUSED_PAD src0_sel:WORD_1
	v_or_b32_e32 v13, v19, v39
	v_pk_mul_f32 v[0:1], v[50:51], v[0:1] op_sel_hi:[0,1]
	v_cvt_pk_f16_f32 v2, v0, v1
	v_pk_mul_f32 v[0:1], v[50:51], v[64:65] op_sel_hi:[0,1]
	v_cvt_pk_f16_f32 v0, v0, v1
	v_and_b32_e32 v51, 0xffff0000, v0
	v_lshlrev_b32_e32 v50, 16, v0
	v_lshrrev_b32_e32 v53, 16, v2
	v_and_b32_e32 v64, 0xffff, v2
	v_or_b32_e32 v52, v16, v54
	v_or_b32_e32 v55, v51, v53
	;; [unrolled: 1-line block ×3, first 2 shown]
	s_and_saveexec_b64 s[22:23], s[2:3]
	s_cbranch_execz .LBB260_920
; %bb.919:                              ;   in Loop: Header=BB260_819 Depth=1
	v_cmp_lt_i32_e32 vcc, v99, v3
	s_nop 1
	v_cndmask_b32_e32 v0, 0, v39, vcc
	v_cmp_lt_i32_e32 vcc, v118, v12
	s_nop 1
	v_cndmask_b32_e32 v1, 0, v54, vcc
	;; [unrolled: 3-line block ×3, first 2 shown]
	v_cmp_lt_i32_e32 vcc, v116, v12
	v_or_b32_e32 v13, v0, v2
	s_nop 0
	v_cndmask_b32_e32 v16, 0, v16, vcc
	v_cmp_lt_i32_e32 vcc, v115, v3
	v_or_b32_e32 v52, v1, v16
	s_nop 0
	v_cndmask_b32_e32 v0, 0, v53, vcc
	v_cmp_lt_i32_e32 vcc, v114, v12
	s_nop 1
	v_cndmask_b32_e32 v1, 0, v64, vcc
	v_cmp_lt_i32_e32 vcc, v113, v3
	s_nop 1
	v_cndmask_b32_e32 v2, 0, v51, vcc
	v_cmp_lt_i32_e32 vcc, v103, v12
	v_or_b32_e32 v55, v0, v2
	s_nop 0
	v_cndmask_b32_e32 v16, 0, v50, vcc
	v_or_b32_e32 v66, v1, v16
.LBB260_920:                            ;   in Loop: Header=BB260_819 Depth=1
	s_or_b64 exec, exec, s[22:23]
	;;#ASMSTART
	v_pk_mul_f16 v0, v112, v13;

	;;#ASMEND
	;;#ASMSTART
	v_pk_mul_f16 v1, v102, v52;

	;;#ASMEND
	;; [unrolled: 4-line block ×4, first 2 shown]
	s_nop 0
	;;#ASMSTART
	v_pk_add_f16 v0, v0, v1;

	;;#ASMEND
	s_nop 0
	;;#ASMSTART
	v_pk_add_f16 v0, v0, v2;

	;;#ASMEND
	s_nop 0
	;;#ASMSTART
	v_pk_add_f16 v0, v0, v13;

	;;#ASMEND
	s_nop 0
	v_lshrrev_b32_e32 v1, 16, v0
	v_and_b32_e32 v0, 0xffff, v0
	;;#ASMSTART
	v_cvt_f32_f16 v41, v0;
	;;#ASMEND
	;;#ASMSTART
	v_cvt_f32_f16 v42, v1;
	;;#ASMEND
	flat_load_dwordx2 v[52:53], v[48:49] offset:1024
	scratch_load_dwordx2 v[0:1], off, s32 offset:192 ; 8-byte Folded Reload
	s_waitcnt vmcnt(0) lgkmcnt(0)
	v_cmp_ne_u16_sdwa s[24:25], v52, v17 src0_sel:BYTE_0 src1_sel:DWORD
	flat_load_dword v50, v[0:1]
	v_mov_b32_e32 v1, 0
	v_mov_b32_e32 v0, 0
	s_and_saveexec_b64 s[22:23], s[24:25]
	s_cbranch_execz .LBB260_926
; %bb.921:                              ;   in Loop: Header=BB260_819 Depth=1
	v_cmp_ne_u16_sdwa s[26:27], v52, s28 src0_sel:BYTE_0 src1_sel:DWORD
	v_mov_b32_e32 v0, 0x8000
	s_and_saveexec_b64 s[24:25], s[26:27]
	s_cbranch_execz .LBB260_925
; %bb.922:                              ;   in Loop: Header=BB260_819 Depth=1
	v_and_b32_e32 v2, 0x7f, v52
	v_cmp_ne_u32_e32 vcc, s29, v2
	v_mov_b32_e32 v0, 0x7c01
	s_and_saveexec_b64 s[26:27], vcc
	s_cbranch_execz .LBB260_924
; %bb.923:                              ;   in Loop: Header=BB260_819 Depth=1
	v_and_b32_e32 v0, 7, v52
	v_ffbh_u32_e32 v16, v0
	v_min_u32_e32 v16, 32, v16
	v_lshrrev_b32_e32 v13, 3, v2
	v_subrev_u32_e32 v18, 28, v16
	v_sub_u32_e32 v16, 29, v16
	v_cmp_gt_u32_e32 vcc, 8, v2
	v_lshlrev_b64 v[18:19], v18, v[52:53]
	s_nop 0
	v_cndmask_b32_e32 v2, v13, v16, vcc
	v_lshl_add_u32 v2, v2, 10, v98
	v_lshlrev_b32_e32 v13, 8, v52
	v_and_b32_e32 v16, 7, v18
	v_and_b32_e32 v2, 0xfc00, v2
	v_cndmask_b32_e32 v0, v0, v16, vcc
	v_and_or_b32 v2, v13, s40, v2
	v_lshl_or_b32 v0, v0, 7, v2
.LBB260_924:                            ;   in Loop: Header=BB260_819 Depth=1
	s_or_b64 exec, exec, s[26:27]
.LBB260_925:                            ;   in Loop: Header=BB260_819 Depth=1
	s_or_b64 exec, exec, s[24:25]
.LBB260_926:                            ;   in Loop: Header=BB260_819 Depth=1
	s_or_b64 exec, exec, s[22:23]
	v_lshrrev_b16_e32 v16, 8, v52
	v_cmp_ne_u16_e32 vcc, 0, v16
	s_and_saveexec_b64 s[22:23], vcc
	s_cbranch_execz .LBB260_932
; %bb.927:                              ;   in Loop: Header=BB260_819 Depth=1
	v_cmp_ne_u16_e32 vcc, s28, v16
	v_bfrev_b32_e32 v1, 1
	s_and_saveexec_b64 s[24:25], vcc
	s_cbranch_execz .LBB260_931
; %bb.928:                              ;   in Loop: Header=BB260_819 Depth=1
	v_and_b32_e32 v2, 0x7f, v16
	v_cmp_ne_u32_e32 vcc, s29, v2
	v_mov_b32_e32 v1, 0x7c010000
	s_and_saveexec_b64 s[26:27], vcc
	s_cbranch_execz .LBB260_930
; %bb.929:                              ;   in Loop: Header=BB260_819 Depth=1
	v_and_b32_e32 v1, 7, v16
	v_ffbh_u32_e32 v18, v1
	v_min_u32_e32 v39, 32, v18
	v_subrev_u32_e32 v18, 28, v39
	v_lshlrev_b64 v[18:19], v18, v[16:17]
	v_lshrrev_b32_e32 v13, 3, v2
	v_sub_u32_e32 v19, 29, v39
	v_cmp_gt_u32_e32 vcc, 8, v2
	s_nop 1
	v_cndmask_b32_e32 v2, v13, v19, vcc
	v_lshlrev_b32_e32 v13, 8, v16
	v_lshl_add_u32 v2, v2, 10, v98
	v_and_b32_e32 v16, 7, v18
	v_and_or_b32 v2, v13, s40, v2
	v_cndmask_b32_e32 v1, v1, v16, vcc
	v_lshlrev_b32_e32 v2, 16, v2
	v_lshl_or_b32 v1, v1, 23, v2
.LBB260_930:                            ;   in Loop: Header=BB260_819 Depth=1
	s_or_b64 exec, exec, s[26:27]
.LBB260_931:                            ;   in Loop: Header=BB260_819 Depth=1
	s_or_b64 exec, exec, s[24:25]
.LBB260_932:                            ;   in Loop: Header=BB260_819 Depth=1
	s_or_b64 exec, exec, s[22:23]
	v_lshrrev_b32_e32 v16, 16, v52
	v_cmp_ne_u16_sdwa s[24:25], v16, v17 src0_sel:BYTE_0 src1_sel:DWORD
	v_mov_b32_e32 v13, 0
	v_mov_b32_e32 v2, 0
	s_and_saveexec_b64 s[22:23], s[24:25]
	s_cbranch_execz .LBB260_938
; %bb.933:                              ;   in Loop: Header=BB260_819 Depth=1
	v_cmp_ne_u16_sdwa s[26:27], v16, s28 src0_sel:BYTE_0 src1_sel:DWORD
	v_mov_b32_e32 v2, 0x8000
	s_and_saveexec_b64 s[24:25], s[26:27]
	s_cbranch_execz .LBB260_937
; %bb.934:                              ;   in Loop: Header=BB260_819 Depth=1
	v_bfe_u32 v18, v52, 16, 7
	v_cmp_ne_u32_e32 vcc, s29, v18
	v_mov_b32_e32 v2, 0x7c01
	s_and_saveexec_b64 s[26:27], vcc
	s_cbranch_execz .LBB260_936
; %bb.935:                              ;   in Loop: Header=BB260_819 Depth=1
	v_and_b32_e32 v2, 7, v16
	v_ffbh_u32_e32 v39, v2
	v_min_u32_e32 v39, 32, v39
	v_lshrrev_b32_e32 v19, 3, v18
	v_subrev_u32_e32 v51, 28, v39
	v_sub_u32_e32 v39, 29, v39
	v_cmp_gt_u32_e32 vcc, 8, v18
	v_lshlrev_b64 v[54:55], v51, v[16:17]
	v_lshlrev_b32_e32 v16, 8, v16
	v_cndmask_b32_e32 v18, v19, v39, vcc
	v_lshl_add_u32 v18, v18, 10, v98
	v_and_b32_e32 v19, 7, v54
	v_and_b32_e32 v18, 0xfc00, v18
	v_cndmask_b32_e32 v2, v2, v19, vcc
	v_and_or_b32 v16, v16, s40, v18
	v_lshl_or_b32 v2, v2, 7, v16
.LBB260_936:                            ;   in Loop: Header=BB260_819 Depth=1
	s_or_b64 exec, exec, s[26:27]
.LBB260_937:                            ;   in Loop: Header=BB260_819 Depth=1
	s_or_b64 exec, exec, s[24:25]
.LBB260_938:                            ;   in Loop: Header=BB260_819 Depth=1
	s_or_b64 exec, exec, s[22:23]
	v_cmp_lt_u32_e32 vcc, s7, v52
	s_and_saveexec_b64 s[22:23], vcc
	s_cbranch_execz .LBB260_944
; %bb.939:                              ;   in Loop: Header=BB260_819 Depth=1
	v_lshrrev_b32_e32 v16, 24, v52
	v_cmp_ne_u32_e32 vcc, s28, v16
	v_bfrev_b32_e32 v13, 1
	s_and_saveexec_b64 s[24:25], vcc
	s_cbranch_execz .LBB260_943
; %bb.940:                              ;   in Loop: Header=BB260_819 Depth=1
	v_and_b32_e32 v18, 0x7f, v16
	v_cmp_ne_u32_e32 vcc, s29, v18
	v_mov_b32_e32 v13, 0x7c010000
	s_and_saveexec_b64 s[26:27], vcc
	s_cbranch_execz .LBB260_942
; %bb.941:                              ;   in Loop: Header=BB260_819 Depth=1
	v_and_b32_e32 v13, 7, v16
	v_ffbh_u32_e32 v39, v13
	v_min_u32_e32 v39, 32, v39
	v_lshrrev_b32_e32 v19, 3, v18
	v_subrev_u32_e32 v51, 28, v39
	v_sub_u32_e32 v39, 29, v39
	v_cmp_gt_u32_e32 vcc, 8, v18
	v_lshlrev_b64 v[54:55], v51, v[16:17]
	v_lshlrev_b32_e32 v16, 8, v16
	v_cndmask_b32_e32 v18, v19, v39, vcc
	v_lshl_add_u32 v18, v18, 10, v98
	v_and_b32_e32 v19, 7, v54
	v_and_or_b32 v16, v16, s40, v18
	v_cndmask_b32_e32 v13, v13, v19, vcc
	v_lshlrev_b32_e32 v16, 16, v16
	v_lshl_or_b32 v13, v13, 23, v16
.LBB260_942:                            ;   in Loop: Header=BB260_819 Depth=1
	s_or_b64 exec, exec, s[26:27]
.LBB260_943:                            ;   in Loop: Header=BB260_819 Depth=1
	s_or_b64 exec, exec, s[24:25]
.LBB260_944:                            ;   in Loop: Header=BB260_819 Depth=1
	s_or_b64 exec, exec, s[22:23]
	v_mov_b32_e32 v16, v53
	v_cmp_ne_u16_sdwa s[24:25], v53, v17 src0_sel:BYTE_0 src1_sel:DWORD
	v_mov_b32_e32 v18, 0
	v_mov_b32_e32 v51, 0
	s_and_saveexec_b64 s[22:23], s[24:25]
	s_cbranch_execz .LBB260_950
; %bb.945:                              ;   in Loop: Header=BB260_819 Depth=1
	v_cmp_ne_u16_sdwa s[26:27], v53, s28 src0_sel:BYTE_0 src1_sel:DWORD
	v_mov_b32_e32 v51, 0x8000
	s_and_saveexec_b64 s[24:25], s[26:27]
	s_cbranch_execz .LBB260_949
; %bb.946:                              ;   in Loop: Header=BB260_819 Depth=1
	v_and_b32_e32 v19, 0x7f, v53
	v_cmp_ne_u32_e32 vcc, s29, v19
	v_mov_b32_e32 v51, 0x7c01
	s_and_saveexec_b64 s[26:27], vcc
	s_cbranch_execz .LBB260_948
; %bb.947:                              ;   in Loop: Header=BB260_819 Depth=1
	v_and_b32_e32 v39, 7, v53
	v_ffbh_u32_e32 v54, v39
	v_min_u32_e32 v64, 32, v54
	v_subrev_u32_e32 v54, 28, v64
	v_lshlrev_b64 v[54:55], v54, v[16:17]
	v_lshrrev_b32_e32 v51, 3, v19
	v_sub_u32_e32 v55, 29, v64
	v_cmp_gt_u32_e32 vcc, 8, v19
	v_and_b32_e32 v54, 7, v54
	s_nop 0
	v_cndmask_b32_e32 v19, v51, v55, vcc
	v_lshl_add_u32 v19, v19, 10, v98
	v_lshlrev_b32_e32 v51, 8, v53
	v_and_b32_e32 v19, 0xfc00, v19
	v_cndmask_b32_e32 v39, v39, v54, vcc
	v_and_or_b32 v19, v51, s40, v19
	v_lshl_or_b32 v51, v39, 7, v19
.LBB260_948:                            ;   in Loop: Header=BB260_819 Depth=1
	s_or_b64 exec, exec, s[26:27]
.LBB260_949:                            ;   in Loop: Header=BB260_819 Depth=1
	s_or_b64 exec, exec, s[24:25]
.LBB260_950:                            ;   in Loop: Header=BB260_819 Depth=1
	s_or_b64 exec, exec, s[22:23]
	v_lshrrev_b16_e32 v16, 8, v16
	v_cmp_ne_u16_e32 vcc, 0, v16
	v_mov_b32_e32 v55, 0
	s_and_saveexec_b64 s[22:23], vcc
	s_cbranch_execz .LBB260_956
; %bb.951:                              ;   in Loop: Header=BB260_819 Depth=1
	v_cmp_ne_u16_e32 vcc, s28, v16
	v_bfrev_b32_e32 v55, 1
	s_and_saveexec_b64 s[24:25], vcc
	s_cbranch_execz .LBB260_955
; %bb.952:                              ;   in Loop: Header=BB260_819 Depth=1
	v_and_b32_e32 v19, 0x7f, v16
	v_cmp_ne_u32_e32 vcc, s29, v19
	v_mov_b32_e32 v55, 0x7c010000
	s_and_saveexec_b64 s[26:27], vcc
	s_cbranch_execz .LBB260_954
; %bb.953:                              ;   in Loop: Header=BB260_819 Depth=1
	v_and_b32_e32 v39, 7, v16
	v_ffbh_u32_e32 v54, v39
	v_min_u32_e32 v65, 32, v54
	v_subrev_u32_e32 v54, 28, v65
	v_lshlrev_b64 v[54:55], v54, v[16:17]
	v_lshrrev_b32_e32 v64, 3, v19
	v_sub_u32_e32 v55, 29, v65
	v_cmp_gt_u32_e32 vcc, 8, v19
	v_lshlrev_b32_e32 v16, 8, v16
	v_and_b32_e32 v54, 7, v54
	v_cndmask_b32_e32 v19, v64, v55, vcc
	v_lshl_add_u32 v19, v19, 10, v98
	v_and_or_b32 v16, v16, s40, v19
	v_cndmask_b32_e32 v39, v39, v54, vcc
	v_lshlrev_b32_e32 v16, 16, v16
	v_lshl_or_b32 v55, v39, 23, v16
.LBB260_954:                            ;   in Loop: Header=BB260_819 Depth=1
	s_or_b64 exec, exec, s[26:27]
.LBB260_955:                            ;   in Loop: Header=BB260_819 Depth=1
	s_or_b64 exec, exec, s[24:25]
.LBB260_956:                            ;   in Loop: Header=BB260_819 Depth=1
	s_or_b64 exec, exec, s[22:23]
	v_lshrrev_b32_e32 v16, 16, v53
	v_cmp_ne_u16_sdwa s[24:25], v16, v17 src0_sel:BYTE_0 src1_sel:DWORD
	s_and_saveexec_b64 s[22:23], s[24:25]
	s_cbranch_execz .LBB260_962
; %bb.957:                              ;   in Loop: Header=BB260_819 Depth=1
	v_cmp_ne_u16_sdwa s[26:27], v16, s28 src0_sel:BYTE_0 src1_sel:DWORD
	v_mov_b32_e32 v18, 0x8000
	s_and_saveexec_b64 s[24:25], s[26:27]
	s_cbranch_execz .LBB260_961
; %bb.958:                              ;   in Loop: Header=BB260_819 Depth=1
	v_bfe_u32 v19, v53, 16, 7
	v_cmp_ne_u32_e32 vcc, s29, v19
	v_mov_b32_e32 v18, 0x7c01
	s_and_saveexec_b64 s[26:27], vcc
	s_cbranch_execz .LBB260_960
; %bb.959:                              ;   in Loop: Header=BB260_819 Depth=1
	v_and_b32_e32 v18, 7, v16
	v_ffbh_u32_e32 v54, v18
	v_min_u32_e32 v54, 32, v54
	v_lshrrev_b32_e32 v39, 3, v19
	v_subrev_u32_e32 v64, 28, v54
	v_sub_u32_e32 v54, 29, v54
	v_cmp_gt_u32_e32 vcc, 8, v19
	v_lshlrev_b64 v[64:65], v64, v[16:17]
	v_lshlrev_b32_e32 v16, 8, v16
	v_cndmask_b32_e32 v19, v39, v54, vcc
	v_lshl_add_u32 v19, v19, 10, v98
	v_and_b32_e32 v39, 7, v64
	v_and_b32_e32 v19, 0xfc00, v19
	v_cndmask_b32_e32 v18, v18, v39, vcc
	v_and_or_b32 v16, v16, s40, v19
	v_lshl_or_b32 v18, v18, 7, v16
.LBB260_960:                            ;   in Loop: Header=BB260_819 Depth=1
	s_or_b64 exec, exec, s[26:27]
.LBB260_961:                            ;   in Loop: Header=BB260_819 Depth=1
	s_or_b64 exec, exec, s[24:25]
.LBB260_962:                            ;   in Loop: Header=BB260_819 Depth=1
	s_or_b64 exec, exec, s[22:23]
	v_cmp_lt_u64_e32 vcc, s[6:7], v[52:53]
	v_mov_b32_e32 v52, 0
	s_and_saveexec_b64 s[22:23], vcc
	s_cbranch_execz .LBB260_968
; %bb.963:                              ;   in Loop: Header=BB260_819 Depth=1
	v_lshrrev_b32_e32 v16, 24, v53
	v_cmp_ne_u32_e32 vcc, s28, v16
	v_bfrev_b32_e32 v52, 1
	s_and_saveexec_b64 s[24:25], vcc
	s_cbranch_execz .LBB260_967
; %bb.964:                              ;   in Loop: Header=BB260_819 Depth=1
	v_and_b32_e32 v19, 0x7f, v16
	v_cmp_ne_u32_e32 vcc, s29, v19
	v_mov_b32_e32 v52, 0x7c010000
	s_and_saveexec_b64 s[26:27], vcc
	s_cbranch_execz .LBB260_966
; %bb.965:                              ;   in Loop: Header=BB260_819 Depth=1
	v_and_b32_e32 v39, 7, v16
	v_ffbh_u32_e32 v52, v39
	v_min_u32_e32 v64, 32, v52
	v_subrev_u32_e32 v52, 28, v64
	v_lshlrev_b64 v[52:53], v52, v[16:17]
	v_lshrrev_b32_e32 v54, 3, v19
	v_sub_u32_e32 v53, 29, v64
	v_cmp_gt_u32_e32 vcc, 8, v19
	v_lshlrev_b32_e32 v16, 8, v16
	v_and_b32_e32 v52, 7, v52
	v_cndmask_b32_e32 v19, v54, v53, vcc
	v_lshl_add_u32 v19, v19, 10, v98
	v_and_or_b32 v16, v16, s40, v19
	v_cndmask_b32_e32 v39, v39, v52, vcc
	v_lshlrev_b32_e32 v16, 16, v16
	v_lshl_or_b32 v52, v39, 23, v16
.LBB260_966:                            ;   in Loop: Header=BB260_819 Depth=1
	s_or_b64 exec, exec, s[26:27]
.LBB260_967:                            ;   in Loop: Header=BB260_819 Depth=1
	s_or_b64 exec, exec, s[24:25]
.LBB260_968:                            ;   in Loop: Header=BB260_819 Depth=1
	s_or_b64 exec, exec, s[22:23]
	v_cvt_f32_f16_sdwa v65, v1 dst_sel:DWORD dst_unused:UNUSED_PAD src0_sel:WORD_1
	v_cvt_f32_f16_sdwa v64, v13 dst_sel:DWORD dst_unused:UNUSED_PAD src0_sel:WORD_1
	v_or_b32_e32 v16, v1, v0
	v_or_b32_e32 v2, v13, v2
	s_waitcnt vmcnt(0) lgkmcnt(0)
	v_pk_mul_f32 v[0:1], v[50:51], v[64:65] op_sel_hi:[0,1]
	v_cvt_f32_f16_e32 v64, v2
	v_cvt_f32_f16_e32 v65, v16
	v_cvt_pk_f16_f32 v0, v0, v1
	v_and_b32_e32 v19, 0xffff0000, v0
	v_lshlrev_b32_e32 v16, 16, v0
	v_pk_mul_f32 v[0:1], v[50:51], v[64:65] op_sel_hi:[0,1]
	v_cvt_pk_f16_f32 v0, v0, v1
	v_lshrrev_b32_e32 v39, 16, v0
	v_and_b32_e32 v54, 0xffff, v0
	v_or_b32_e32 v1, v55, v51
	v_or_b32_e32 v0, v52, v18
	v_cvt_f32_f16_e32 v0, v0
	v_cvt_f32_f16_e32 v1, v1
	v_cvt_f32_f16_sdwa v65, v55 dst_sel:DWORD dst_unused:UNUSED_PAD src0_sel:WORD_1
	v_cvt_f32_f16_sdwa v64, v52 dst_sel:DWORD dst_unused:UNUSED_PAD src0_sel:WORD_1
	v_or_b32_e32 v13, v19, v39
	v_pk_mul_f32 v[0:1], v[50:51], v[0:1] op_sel_hi:[0,1]
	v_cvt_pk_f16_f32 v2, v0, v1
	v_pk_mul_f32 v[0:1], v[50:51], v[64:65] op_sel_hi:[0,1]
	v_cvt_pk_f16_f32 v0, v0, v1
	v_and_b32_e32 v51, 0xffff0000, v0
	v_lshlrev_b32_e32 v50, 16, v0
	v_lshrrev_b32_e32 v53, 16, v2
	v_and_b32_e32 v64, 0xffff, v2
	v_or_b32_e32 v52, v16, v54
	v_or_b32_e32 v55, v51, v53
	;; [unrolled: 1-line block ×3, first 2 shown]
	s_and_saveexec_b64 s[22:23], s[2:3]
	s_cbranch_execz .LBB260_970
; %bb.969:                              ;   in Loop: Header=BB260_819 Depth=1
	v_cmp_lt_i32_e32 vcc, v99, v3
	s_nop 1
	v_cndmask_b32_e32 v0, 0, v39, vcc
	v_cmp_lt_i32_e32 vcc, v118, v12
	s_nop 1
	v_cndmask_b32_e32 v1, 0, v54, vcc
	;; [unrolled: 3-line block ×3, first 2 shown]
	v_cmp_lt_i32_e32 vcc, v116, v12
	v_or_b32_e32 v13, v0, v2
	s_nop 0
	v_cndmask_b32_e32 v16, 0, v16, vcc
	v_cmp_lt_i32_e32 vcc, v115, v3
	v_or_b32_e32 v52, v1, v16
	s_nop 0
	v_cndmask_b32_e32 v0, 0, v53, vcc
	v_cmp_lt_i32_e32 vcc, v114, v12
	s_nop 1
	v_cndmask_b32_e32 v1, 0, v64, vcc
	v_cmp_lt_i32_e32 vcc, v113, v3
	;; [unrolled: 3-line block ×3, first 2 shown]
	v_or_b32_e32 v55, v0, v2
	s_nop 0
	v_cndmask_b32_e32 v16, 0, v50, vcc
	v_or_b32_e32 v66, v1, v16
.LBB260_970:                            ;   in Loop: Header=BB260_819 Depth=1
	s_or_b64 exec, exec, s[22:23]
	;;#ASMSTART
	v_pk_mul_f16 v0, v112, v13;

	;;#ASMEND
	;;#ASMSTART
	v_pk_mul_f16 v1, v102, v52;

	;;#ASMEND
	;; [unrolled: 4-line block ×4, first 2 shown]
	s_nop 0
	;;#ASMSTART
	v_pk_add_f16 v0, v0, v1;

	;;#ASMEND
	s_nop 0
	;;#ASMSTART
	v_pk_add_f16 v0, v0, v2;

	;;#ASMEND
	;; [unrolled: 5-line block ×3, first 2 shown]
	s_nop 0
	v_lshrrev_b32_e32 v1, 16, v0
	v_and_b32_e32 v0, 0xffff, v0
	;;#ASMSTART
	v_cvt_f32_f16 v43, v0;
	;;#ASMEND
	;;#ASMSTART
	v_cvt_f32_f16 v44, v1;
	;;#ASMEND
	flat_load_dwordx2 v[52:53], v[48:49] offset:1536
	scratch_load_dwordx2 v[0:1], off, s32 offset:192 ; 8-byte Folded Reload
	s_waitcnt vmcnt(0) lgkmcnt(0)
	v_cmp_ne_u16_sdwa s[24:25], v52, v17 src0_sel:BYTE_0 src1_sel:DWORD
	flat_load_dword v50, v[0:1]
	v_mov_b32_e32 v1, 0
	v_mov_b32_e32 v0, 0
	s_and_saveexec_b64 s[22:23], s[24:25]
	s_cbranch_execz .LBB260_976
; %bb.971:                              ;   in Loop: Header=BB260_819 Depth=1
	v_cmp_ne_u16_sdwa s[26:27], v52, s28 src0_sel:BYTE_0 src1_sel:DWORD
	v_mov_b32_e32 v0, 0x8000
	s_and_saveexec_b64 s[24:25], s[26:27]
	s_cbranch_execz .LBB260_975
; %bb.972:                              ;   in Loop: Header=BB260_819 Depth=1
	v_and_b32_e32 v2, 0x7f, v52
	v_cmp_ne_u32_e32 vcc, s29, v2
	v_mov_b32_e32 v0, 0x7c01
	s_and_saveexec_b64 s[26:27], vcc
	s_cbranch_execz .LBB260_974
; %bb.973:                              ;   in Loop: Header=BB260_819 Depth=1
	v_and_b32_e32 v0, 7, v52
	v_ffbh_u32_e32 v16, v0
	v_min_u32_e32 v16, 32, v16
	v_lshrrev_b32_e32 v13, 3, v2
	v_subrev_u32_e32 v18, 28, v16
	v_sub_u32_e32 v16, 29, v16
	v_cmp_gt_u32_e32 vcc, 8, v2
	v_lshlrev_b64 v[18:19], v18, v[52:53]
	s_nop 0
	v_cndmask_b32_e32 v2, v13, v16, vcc
	v_lshl_add_u32 v2, v2, 10, v98
	v_lshlrev_b32_e32 v13, 8, v52
	v_and_b32_e32 v16, 7, v18
	v_and_b32_e32 v2, 0xfc00, v2
	v_cndmask_b32_e32 v0, v0, v16, vcc
	v_and_or_b32 v2, v13, s40, v2
	v_lshl_or_b32 v0, v0, 7, v2
.LBB260_974:                            ;   in Loop: Header=BB260_819 Depth=1
	s_or_b64 exec, exec, s[26:27]
.LBB260_975:                            ;   in Loop: Header=BB260_819 Depth=1
	s_or_b64 exec, exec, s[24:25]
.LBB260_976:                            ;   in Loop: Header=BB260_819 Depth=1
	s_or_b64 exec, exec, s[22:23]
	v_lshrrev_b16_e32 v16, 8, v52
	v_cmp_ne_u16_e32 vcc, 0, v16
	s_and_saveexec_b64 s[22:23], vcc
	s_cbranch_execz .LBB260_982
; %bb.977:                              ;   in Loop: Header=BB260_819 Depth=1
	v_cmp_ne_u16_e32 vcc, s28, v16
	v_bfrev_b32_e32 v1, 1
	s_and_saveexec_b64 s[24:25], vcc
	s_cbranch_execz .LBB260_981
; %bb.978:                              ;   in Loop: Header=BB260_819 Depth=1
	v_and_b32_e32 v2, 0x7f, v16
	v_cmp_ne_u32_e32 vcc, s29, v2
	v_mov_b32_e32 v1, 0x7c010000
	s_and_saveexec_b64 s[26:27], vcc
	s_cbranch_execz .LBB260_980
; %bb.979:                              ;   in Loop: Header=BB260_819 Depth=1
	v_and_b32_e32 v1, 7, v16
	v_ffbh_u32_e32 v18, v1
	v_min_u32_e32 v39, 32, v18
	v_subrev_u32_e32 v18, 28, v39
	v_lshlrev_b64 v[18:19], v18, v[16:17]
	v_lshrrev_b32_e32 v13, 3, v2
	v_sub_u32_e32 v19, 29, v39
	v_cmp_gt_u32_e32 vcc, 8, v2
	s_nop 1
	v_cndmask_b32_e32 v2, v13, v19, vcc
	v_lshlrev_b32_e32 v13, 8, v16
	v_lshl_add_u32 v2, v2, 10, v98
	v_and_b32_e32 v16, 7, v18
	v_and_or_b32 v2, v13, s40, v2
	v_cndmask_b32_e32 v1, v1, v16, vcc
	v_lshlrev_b32_e32 v2, 16, v2
	v_lshl_or_b32 v1, v1, 23, v2
.LBB260_980:                            ;   in Loop: Header=BB260_819 Depth=1
	s_or_b64 exec, exec, s[26:27]
.LBB260_981:                            ;   in Loop: Header=BB260_819 Depth=1
	s_or_b64 exec, exec, s[24:25]
.LBB260_982:                            ;   in Loop: Header=BB260_819 Depth=1
	s_or_b64 exec, exec, s[22:23]
	v_lshrrev_b32_e32 v16, 16, v52
	v_cmp_ne_u16_sdwa s[24:25], v16, v17 src0_sel:BYTE_0 src1_sel:DWORD
	v_mov_b32_e32 v13, 0
	v_mov_b32_e32 v2, 0
	s_and_saveexec_b64 s[22:23], s[24:25]
	s_cbranch_execz .LBB260_988
; %bb.983:                              ;   in Loop: Header=BB260_819 Depth=1
	v_cmp_ne_u16_sdwa s[26:27], v16, s28 src0_sel:BYTE_0 src1_sel:DWORD
	v_mov_b32_e32 v2, 0x8000
	s_and_saveexec_b64 s[24:25], s[26:27]
	s_cbranch_execz .LBB260_987
; %bb.984:                              ;   in Loop: Header=BB260_819 Depth=1
	v_bfe_u32 v18, v52, 16, 7
	v_cmp_ne_u32_e32 vcc, s29, v18
	v_mov_b32_e32 v2, 0x7c01
	s_and_saveexec_b64 s[26:27], vcc
	s_cbranch_execz .LBB260_986
; %bb.985:                              ;   in Loop: Header=BB260_819 Depth=1
	v_and_b32_e32 v2, 7, v16
	v_ffbh_u32_e32 v39, v2
	v_min_u32_e32 v39, 32, v39
	v_lshrrev_b32_e32 v19, 3, v18
	v_subrev_u32_e32 v51, 28, v39
	v_sub_u32_e32 v39, 29, v39
	v_cmp_gt_u32_e32 vcc, 8, v18
	v_lshlrev_b64 v[54:55], v51, v[16:17]
	v_lshlrev_b32_e32 v16, 8, v16
	v_cndmask_b32_e32 v18, v19, v39, vcc
	v_lshl_add_u32 v18, v18, 10, v98
	v_and_b32_e32 v19, 7, v54
	v_and_b32_e32 v18, 0xfc00, v18
	v_cndmask_b32_e32 v2, v2, v19, vcc
	v_and_or_b32 v16, v16, s40, v18
	v_lshl_or_b32 v2, v2, 7, v16
.LBB260_986:                            ;   in Loop: Header=BB260_819 Depth=1
	s_or_b64 exec, exec, s[26:27]
.LBB260_987:                            ;   in Loop: Header=BB260_819 Depth=1
	s_or_b64 exec, exec, s[24:25]
.LBB260_988:                            ;   in Loop: Header=BB260_819 Depth=1
	s_or_b64 exec, exec, s[22:23]
	v_cmp_lt_u32_e32 vcc, s7, v52
	s_and_saveexec_b64 s[22:23], vcc
	s_cbranch_execz .LBB260_994
; %bb.989:                              ;   in Loop: Header=BB260_819 Depth=1
	v_lshrrev_b32_e32 v16, 24, v52
	v_cmp_ne_u32_e32 vcc, s28, v16
	v_bfrev_b32_e32 v13, 1
	s_and_saveexec_b64 s[24:25], vcc
	s_cbranch_execz .LBB260_993
; %bb.990:                              ;   in Loop: Header=BB260_819 Depth=1
	v_and_b32_e32 v18, 0x7f, v16
	v_cmp_ne_u32_e32 vcc, s29, v18
	v_mov_b32_e32 v13, 0x7c010000
	s_and_saveexec_b64 s[26:27], vcc
	s_cbranch_execz .LBB260_992
; %bb.991:                              ;   in Loop: Header=BB260_819 Depth=1
	v_and_b32_e32 v13, 7, v16
	v_ffbh_u32_e32 v39, v13
	v_min_u32_e32 v39, 32, v39
	v_lshrrev_b32_e32 v19, 3, v18
	v_subrev_u32_e32 v51, 28, v39
	v_sub_u32_e32 v39, 29, v39
	v_cmp_gt_u32_e32 vcc, 8, v18
	v_lshlrev_b64 v[54:55], v51, v[16:17]
	v_lshlrev_b32_e32 v16, 8, v16
	v_cndmask_b32_e32 v18, v19, v39, vcc
	v_lshl_add_u32 v18, v18, 10, v98
	v_and_b32_e32 v19, 7, v54
	v_and_or_b32 v16, v16, s40, v18
	v_cndmask_b32_e32 v13, v13, v19, vcc
	v_lshlrev_b32_e32 v16, 16, v16
	v_lshl_or_b32 v13, v13, 23, v16
.LBB260_992:                            ;   in Loop: Header=BB260_819 Depth=1
	s_or_b64 exec, exec, s[26:27]
.LBB260_993:                            ;   in Loop: Header=BB260_819 Depth=1
	s_or_b64 exec, exec, s[24:25]
.LBB260_994:                            ;   in Loop: Header=BB260_819 Depth=1
	s_or_b64 exec, exec, s[22:23]
	v_mov_b32_e32 v16, v53
	v_cmp_ne_u16_sdwa s[24:25], v53, v17 src0_sel:BYTE_0 src1_sel:DWORD
	v_mov_b32_e32 v18, 0
	v_mov_b32_e32 v51, 0
	s_and_saveexec_b64 s[22:23], s[24:25]
	s_cbranch_execz .LBB260_1000
; %bb.995:                              ;   in Loop: Header=BB260_819 Depth=1
	v_cmp_ne_u16_sdwa s[26:27], v53, s28 src0_sel:BYTE_0 src1_sel:DWORD
	v_mov_b32_e32 v51, 0x8000
	s_and_saveexec_b64 s[24:25], s[26:27]
	s_cbranch_execz .LBB260_999
; %bb.996:                              ;   in Loop: Header=BB260_819 Depth=1
	v_and_b32_e32 v19, 0x7f, v53
	v_cmp_ne_u32_e32 vcc, s29, v19
	v_mov_b32_e32 v51, 0x7c01
	s_and_saveexec_b64 s[26:27], vcc
	s_cbranch_execz .LBB260_998
; %bb.997:                              ;   in Loop: Header=BB260_819 Depth=1
	v_and_b32_e32 v39, 7, v53
	v_ffbh_u32_e32 v54, v39
	v_min_u32_e32 v64, 32, v54
	v_subrev_u32_e32 v54, 28, v64
	v_lshlrev_b64 v[54:55], v54, v[16:17]
	v_lshrrev_b32_e32 v51, 3, v19
	v_sub_u32_e32 v55, 29, v64
	v_cmp_gt_u32_e32 vcc, 8, v19
	v_and_b32_e32 v54, 7, v54
	s_nop 0
	v_cndmask_b32_e32 v19, v51, v55, vcc
	v_lshl_add_u32 v19, v19, 10, v98
	v_lshlrev_b32_e32 v51, 8, v53
	v_and_b32_e32 v19, 0xfc00, v19
	v_cndmask_b32_e32 v39, v39, v54, vcc
	v_and_or_b32 v19, v51, s40, v19
	v_lshl_or_b32 v51, v39, 7, v19
.LBB260_998:                            ;   in Loop: Header=BB260_819 Depth=1
	s_or_b64 exec, exec, s[26:27]
.LBB260_999:                            ;   in Loop: Header=BB260_819 Depth=1
	s_or_b64 exec, exec, s[24:25]
.LBB260_1000:                           ;   in Loop: Header=BB260_819 Depth=1
	s_or_b64 exec, exec, s[22:23]
	v_lshrrev_b16_e32 v16, 8, v16
	v_cmp_ne_u16_e32 vcc, 0, v16
	v_mov_b32_e32 v55, 0
	s_and_saveexec_b64 s[22:23], vcc
	s_cbranch_execz .LBB260_1006
; %bb.1001:                             ;   in Loop: Header=BB260_819 Depth=1
	v_cmp_ne_u16_e32 vcc, s28, v16
	v_bfrev_b32_e32 v55, 1
	s_and_saveexec_b64 s[24:25], vcc
	s_cbranch_execz .LBB260_1005
; %bb.1002:                             ;   in Loop: Header=BB260_819 Depth=1
	v_and_b32_e32 v19, 0x7f, v16
	v_cmp_ne_u32_e32 vcc, s29, v19
	v_mov_b32_e32 v55, 0x7c010000
	s_and_saveexec_b64 s[26:27], vcc
	s_cbranch_execz .LBB260_1004
; %bb.1003:                             ;   in Loop: Header=BB260_819 Depth=1
	v_and_b32_e32 v39, 7, v16
	v_ffbh_u32_e32 v54, v39
	v_min_u32_e32 v65, 32, v54
	v_subrev_u32_e32 v54, 28, v65
	v_lshlrev_b64 v[54:55], v54, v[16:17]
	v_lshrrev_b32_e32 v64, 3, v19
	v_sub_u32_e32 v55, 29, v65
	v_cmp_gt_u32_e32 vcc, 8, v19
	v_lshlrev_b32_e32 v16, 8, v16
	v_and_b32_e32 v54, 7, v54
	v_cndmask_b32_e32 v19, v64, v55, vcc
	v_lshl_add_u32 v19, v19, 10, v98
	v_and_or_b32 v16, v16, s40, v19
	v_cndmask_b32_e32 v39, v39, v54, vcc
	v_lshlrev_b32_e32 v16, 16, v16
	v_lshl_or_b32 v55, v39, 23, v16
.LBB260_1004:                           ;   in Loop: Header=BB260_819 Depth=1
	s_or_b64 exec, exec, s[26:27]
.LBB260_1005:                           ;   in Loop: Header=BB260_819 Depth=1
	s_or_b64 exec, exec, s[24:25]
.LBB260_1006:                           ;   in Loop: Header=BB260_819 Depth=1
	s_or_b64 exec, exec, s[22:23]
	v_lshrrev_b32_e32 v16, 16, v53
	v_cmp_ne_u16_sdwa s[24:25], v16, v17 src0_sel:BYTE_0 src1_sel:DWORD
	s_and_saveexec_b64 s[22:23], s[24:25]
	s_cbranch_execz .LBB260_1012
; %bb.1007:                             ;   in Loop: Header=BB260_819 Depth=1
	v_cmp_ne_u16_sdwa s[26:27], v16, s28 src0_sel:BYTE_0 src1_sel:DWORD
	v_mov_b32_e32 v18, 0x8000
	s_and_saveexec_b64 s[24:25], s[26:27]
	s_cbranch_execz .LBB260_1011
; %bb.1008:                             ;   in Loop: Header=BB260_819 Depth=1
	v_bfe_u32 v19, v53, 16, 7
	v_cmp_ne_u32_e32 vcc, s29, v19
	v_mov_b32_e32 v18, 0x7c01
	s_and_saveexec_b64 s[26:27], vcc
	s_cbranch_execz .LBB260_1010
; %bb.1009:                             ;   in Loop: Header=BB260_819 Depth=1
	v_and_b32_e32 v18, 7, v16
	v_ffbh_u32_e32 v54, v18
	v_min_u32_e32 v54, 32, v54
	v_lshrrev_b32_e32 v39, 3, v19
	v_subrev_u32_e32 v64, 28, v54
	v_sub_u32_e32 v54, 29, v54
	v_cmp_gt_u32_e32 vcc, 8, v19
	v_lshlrev_b64 v[64:65], v64, v[16:17]
	v_lshlrev_b32_e32 v16, 8, v16
	v_cndmask_b32_e32 v19, v39, v54, vcc
	v_lshl_add_u32 v19, v19, 10, v98
	v_and_b32_e32 v39, 7, v64
	v_and_b32_e32 v19, 0xfc00, v19
	v_cndmask_b32_e32 v18, v18, v39, vcc
	v_and_or_b32 v16, v16, s40, v19
	v_lshl_or_b32 v18, v18, 7, v16
.LBB260_1010:                           ;   in Loop: Header=BB260_819 Depth=1
	s_or_b64 exec, exec, s[26:27]
.LBB260_1011:                           ;   in Loop: Header=BB260_819 Depth=1
	s_or_b64 exec, exec, s[24:25]
.LBB260_1012:                           ;   in Loop: Header=BB260_819 Depth=1
	s_or_b64 exec, exec, s[22:23]
	v_cmp_lt_u64_e32 vcc, s[6:7], v[52:53]
	v_mov_b32_e32 v52, 0
	s_and_saveexec_b64 s[22:23], vcc
	s_cbranch_execz .LBB260_1018
; %bb.1013:                             ;   in Loop: Header=BB260_819 Depth=1
	v_lshrrev_b32_e32 v16, 24, v53
	v_cmp_ne_u32_e32 vcc, s28, v16
	v_bfrev_b32_e32 v52, 1
	s_and_saveexec_b64 s[24:25], vcc
	s_cbranch_execz .LBB260_1017
; %bb.1014:                             ;   in Loop: Header=BB260_819 Depth=1
	v_and_b32_e32 v19, 0x7f, v16
	v_cmp_ne_u32_e32 vcc, s29, v19
	v_mov_b32_e32 v52, 0x7c010000
	s_and_saveexec_b64 s[26:27], vcc
	s_cbranch_execz .LBB260_1016
; %bb.1015:                             ;   in Loop: Header=BB260_819 Depth=1
	v_and_b32_e32 v39, 7, v16
	v_ffbh_u32_e32 v52, v39
	v_min_u32_e32 v64, 32, v52
	v_subrev_u32_e32 v52, 28, v64
	v_lshlrev_b64 v[52:53], v52, v[16:17]
	v_lshrrev_b32_e32 v54, 3, v19
	v_sub_u32_e32 v53, 29, v64
	v_cmp_gt_u32_e32 vcc, 8, v19
	v_lshlrev_b32_e32 v16, 8, v16
	v_and_b32_e32 v52, 7, v52
	v_cndmask_b32_e32 v19, v54, v53, vcc
	v_lshl_add_u32 v19, v19, 10, v98
	v_and_or_b32 v16, v16, s40, v19
	v_cndmask_b32_e32 v39, v39, v52, vcc
	v_lshlrev_b32_e32 v16, 16, v16
	v_lshl_or_b32 v52, v39, 23, v16
.LBB260_1016:                           ;   in Loop: Header=BB260_819 Depth=1
	s_or_b64 exec, exec, s[26:27]
.LBB260_1017:                           ;   in Loop: Header=BB260_819 Depth=1
	s_or_b64 exec, exec, s[24:25]
.LBB260_1018:                           ;   in Loop: Header=BB260_819 Depth=1
	s_or_b64 exec, exec, s[22:23]
	v_cvt_f32_f16_sdwa v65, v1 dst_sel:DWORD dst_unused:UNUSED_PAD src0_sel:WORD_1
	v_cvt_f32_f16_sdwa v64, v13 dst_sel:DWORD dst_unused:UNUSED_PAD src0_sel:WORD_1
	v_or_b32_e32 v16, v1, v0
	v_or_b32_e32 v2, v13, v2
	s_waitcnt vmcnt(0) lgkmcnt(0)
	v_pk_mul_f32 v[0:1], v[50:51], v[64:65] op_sel_hi:[0,1]
	v_cvt_f32_f16_e32 v64, v2
	v_cvt_f32_f16_e32 v65, v16
	v_cvt_pk_f16_f32 v0, v0, v1
	v_and_b32_e32 v19, 0xffff0000, v0
	v_lshlrev_b32_e32 v16, 16, v0
	v_pk_mul_f32 v[0:1], v[50:51], v[64:65] op_sel_hi:[0,1]
	v_cvt_pk_f16_f32 v0, v0, v1
	v_lshrrev_b32_e32 v39, 16, v0
	v_and_b32_e32 v54, 0xffff, v0
	v_or_b32_e32 v1, v55, v51
	v_or_b32_e32 v0, v52, v18
	v_cvt_f32_f16_e32 v0, v0
	v_cvt_f32_f16_e32 v1, v1
	v_cvt_f32_f16_sdwa v65, v55 dst_sel:DWORD dst_unused:UNUSED_PAD src0_sel:WORD_1
	v_cvt_f32_f16_sdwa v64, v52 dst_sel:DWORD dst_unused:UNUSED_PAD src0_sel:WORD_1
	v_or_b32_e32 v13, v19, v39
	v_pk_mul_f32 v[0:1], v[50:51], v[0:1] op_sel_hi:[0,1]
	v_cvt_pk_f16_f32 v2, v0, v1
	v_pk_mul_f32 v[0:1], v[50:51], v[64:65] op_sel_hi:[0,1]
	v_cvt_pk_f16_f32 v0, v0, v1
	v_and_b32_e32 v51, 0xffff0000, v0
	v_lshlrev_b32_e32 v50, 16, v0
	v_lshrrev_b32_e32 v53, 16, v2
	v_and_b32_e32 v64, 0xffff, v2
	v_or_b32_e32 v52, v16, v54
	v_or_b32_e32 v55, v51, v53
	;; [unrolled: 1-line block ×3, first 2 shown]
	s_and_saveexec_b64 s[22:23], s[2:3]
	s_cbranch_execz .LBB260_1020
; %bb.1019:                             ;   in Loop: Header=BB260_819 Depth=1
	v_cmp_lt_i32_e32 vcc, v99, v3
	s_nop 1
	v_cndmask_b32_e32 v0, 0, v39, vcc
	v_cmp_lt_i32_e32 vcc, v118, v12
	s_nop 1
	v_cndmask_b32_e32 v1, 0, v54, vcc
	;; [unrolled: 3-line block ×3, first 2 shown]
	v_cmp_lt_i32_e32 vcc, v116, v12
	v_or_b32_e32 v13, v0, v2
	s_nop 0
	v_cndmask_b32_e32 v16, 0, v16, vcc
	v_cmp_lt_i32_e32 vcc, v115, v3
	v_or_b32_e32 v52, v1, v16
	s_nop 0
	v_cndmask_b32_e32 v0, 0, v53, vcc
	v_cmp_lt_i32_e32 vcc, v114, v12
	s_nop 1
	v_cndmask_b32_e32 v1, 0, v64, vcc
	v_cmp_lt_i32_e32 vcc, v113, v3
	;; [unrolled: 3-line block ×3, first 2 shown]
	v_or_b32_e32 v55, v0, v2
	s_nop 0
	v_cndmask_b32_e32 v16, 0, v50, vcc
	v_or_b32_e32 v66, v1, v16
.LBB260_1020:                           ;   in Loop: Header=BB260_819 Depth=1
	s_or_b64 exec, exec, s[22:23]
	;;#ASMSTART
	v_pk_mul_f16 v0, v112, v13;

	;;#ASMEND
	;;#ASMSTART
	v_pk_mul_f16 v1, v102, v52;

	;;#ASMEND
	;;#ASMSTART
	v_pk_mul_f16 v2, v101, v55;

	;;#ASMEND
	;;#ASMSTART
	v_pk_mul_f16 v13, v100, v66;

	;;#ASMEND
	s_nop 0
	;;#ASMSTART
	v_pk_add_f16 v0, v0, v1;

	;;#ASMEND
	s_nop 0
	;;#ASMSTART
	v_pk_add_f16 v0, v0, v2;

	;;#ASMEND
	;; [unrolled: 5-line block ×3, first 2 shown]
	s_nop 0
	v_lshrrev_b32_e32 v1, 16, v0
	v_and_b32_e32 v0, 0xffff, v0
	;;#ASMSTART
	v_cvt_f32_f16 v45, v0;
	;;#ASMEND
	;;#ASMSTART
	v_cvt_f32_f16 v46, v1;
	;;#ASMEND
	flat_load_dwordx2 v[52:53], v[48:49] offset:2048
	scratch_load_dwordx2 v[0:1], off, s32 offset:192 ; 8-byte Folded Reload
	s_waitcnt vmcnt(0) lgkmcnt(0)
	v_cmp_ne_u16_sdwa s[24:25], v52, v17 src0_sel:BYTE_0 src1_sel:DWORD
	flat_load_dword v50, v[0:1]
	v_mov_b32_e32 v1, 0
	v_mov_b32_e32 v0, 0
	s_and_saveexec_b64 s[22:23], s[24:25]
	s_cbranch_execz .LBB260_1026
; %bb.1021:                             ;   in Loop: Header=BB260_819 Depth=1
	v_cmp_ne_u16_sdwa s[26:27], v52, s28 src0_sel:BYTE_0 src1_sel:DWORD
	v_mov_b32_e32 v0, 0x8000
	s_and_saveexec_b64 s[24:25], s[26:27]
	s_cbranch_execz .LBB260_1025
; %bb.1022:                             ;   in Loop: Header=BB260_819 Depth=1
	v_and_b32_e32 v2, 0x7f, v52
	v_cmp_ne_u32_e32 vcc, s29, v2
	v_mov_b32_e32 v0, 0x7c01
	s_and_saveexec_b64 s[26:27], vcc
	s_cbranch_execz .LBB260_1024
; %bb.1023:                             ;   in Loop: Header=BB260_819 Depth=1
	v_and_b32_e32 v0, 7, v52
	v_ffbh_u32_e32 v16, v0
	v_min_u32_e32 v16, 32, v16
	v_lshrrev_b32_e32 v13, 3, v2
	v_subrev_u32_e32 v18, 28, v16
	v_sub_u32_e32 v16, 29, v16
	v_cmp_gt_u32_e32 vcc, 8, v2
	v_lshlrev_b64 v[18:19], v18, v[52:53]
	s_nop 0
	v_cndmask_b32_e32 v2, v13, v16, vcc
	v_lshl_add_u32 v2, v2, 10, v98
	v_lshlrev_b32_e32 v13, 8, v52
	v_and_b32_e32 v16, 7, v18
	v_and_b32_e32 v2, 0xfc00, v2
	v_cndmask_b32_e32 v0, v0, v16, vcc
	v_and_or_b32 v2, v13, s40, v2
	v_lshl_or_b32 v0, v0, 7, v2
.LBB260_1024:                           ;   in Loop: Header=BB260_819 Depth=1
	s_or_b64 exec, exec, s[26:27]
.LBB260_1025:                           ;   in Loop: Header=BB260_819 Depth=1
	s_or_b64 exec, exec, s[24:25]
.LBB260_1026:                           ;   in Loop: Header=BB260_819 Depth=1
	s_or_b64 exec, exec, s[22:23]
	v_lshrrev_b16_e32 v16, 8, v52
	v_cmp_ne_u16_e32 vcc, 0, v16
	s_and_saveexec_b64 s[22:23], vcc
	s_cbranch_execz .LBB260_1032
; %bb.1027:                             ;   in Loop: Header=BB260_819 Depth=1
	v_cmp_ne_u16_e32 vcc, s28, v16
	v_bfrev_b32_e32 v1, 1
	s_and_saveexec_b64 s[24:25], vcc
	s_cbranch_execz .LBB260_1031
; %bb.1028:                             ;   in Loop: Header=BB260_819 Depth=1
	v_and_b32_e32 v2, 0x7f, v16
	v_cmp_ne_u32_e32 vcc, s29, v2
	v_mov_b32_e32 v1, 0x7c010000
	s_and_saveexec_b64 s[26:27], vcc
	s_cbranch_execz .LBB260_1030
; %bb.1029:                             ;   in Loop: Header=BB260_819 Depth=1
	v_and_b32_e32 v1, 7, v16
	v_ffbh_u32_e32 v18, v1
	v_min_u32_e32 v39, 32, v18
	v_subrev_u32_e32 v18, 28, v39
	v_lshlrev_b64 v[18:19], v18, v[16:17]
	v_lshrrev_b32_e32 v13, 3, v2
	v_sub_u32_e32 v19, 29, v39
	v_cmp_gt_u32_e32 vcc, 8, v2
	s_nop 1
	v_cndmask_b32_e32 v2, v13, v19, vcc
	v_lshlrev_b32_e32 v13, 8, v16
	v_lshl_add_u32 v2, v2, 10, v98
	v_and_b32_e32 v16, 7, v18
	v_and_or_b32 v2, v13, s40, v2
	v_cndmask_b32_e32 v1, v1, v16, vcc
	v_lshlrev_b32_e32 v2, 16, v2
	v_lshl_or_b32 v1, v1, 23, v2
.LBB260_1030:                           ;   in Loop: Header=BB260_819 Depth=1
	s_or_b64 exec, exec, s[26:27]
.LBB260_1031:                           ;   in Loop: Header=BB260_819 Depth=1
	s_or_b64 exec, exec, s[24:25]
.LBB260_1032:                           ;   in Loop: Header=BB260_819 Depth=1
	s_or_b64 exec, exec, s[22:23]
	v_lshrrev_b32_e32 v16, 16, v52
	v_cmp_ne_u16_sdwa s[24:25], v16, v17 src0_sel:BYTE_0 src1_sel:DWORD
	v_mov_b32_e32 v13, 0
	v_mov_b32_e32 v2, 0
	s_and_saveexec_b64 s[22:23], s[24:25]
	s_cbranch_execz .LBB260_1038
; %bb.1033:                             ;   in Loop: Header=BB260_819 Depth=1
	v_cmp_ne_u16_sdwa s[26:27], v16, s28 src0_sel:BYTE_0 src1_sel:DWORD
	v_mov_b32_e32 v2, 0x8000
	s_and_saveexec_b64 s[24:25], s[26:27]
	s_cbranch_execz .LBB260_1037
; %bb.1034:                             ;   in Loop: Header=BB260_819 Depth=1
	v_bfe_u32 v18, v52, 16, 7
	v_cmp_ne_u32_e32 vcc, s29, v18
	v_mov_b32_e32 v2, 0x7c01
	s_and_saveexec_b64 s[26:27], vcc
	s_cbranch_execz .LBB260_1036
; %bb.1035:                             ;   in Loop: Header=BB260_819 Depth=1
	v_and_b32_e32 v2, 7, v16
	v_ffbh_u32_e32 v39, v2
	v_min_u32_e32 v39, 32, v39
	v_lshrrev_b32_e32 v19, 3, v18
	v_subrev_u32_e32 v51, 28, v39
	v_sub_u32_e32 v39, 29, v39
	v_cmp_gt_u32_e32 vcc, 8, v18
	v_lshlrev_b64 v[54:55], v51, v[16:17]
	v_lshlrev_b32_e32 v16, 8, v16
	v_cndmask_b32_e32 v18, v19, v39, vcc
	v_lshl_add_u32 v18, v18, 10, v98
	v_and_b32_e32 v19, 7, v54
	v_and_b32_e32 v18, 0xfc00, v18
	v_cndmask_b32_e32 v2, v2, v19, vcc
	v_and_or_b32 v16, v16, s40, v18
	v_lshl_or_b32 v2, v2, 7, v16
.LBB260_1036:                           ;   in Loop: Header=BB260_819 Depth=1
	s_or_b64 exec, exec, s[26:27]
.LBB260_1037:                           ;   in Loop: Header=BB260_819 Depth=1
	s_or_b64 exec, exec, s[24:25]
.LBB260_1038:                           ;   in Loop: Header=BB260_819 Depth=1
	s_or_b64 exec, exec, s[22:23]
	v_cmp_lt_u32_e32 vcc, s7, v52
	s_and_saveexec_b64 s[22:23], vcc
	s_cbranch_execz .LBB260_1044
; %bb.1039:                             ;   in Loop: Header=BB260_819 Depth=1
	v_lshrrev_b32_e32 v16, 24, v52
	v_cmp_ne_u32_e32 vcc, s28, v16
	v_bfrev_b32_e32 v13, 1
	s_and_saveexec_b64 s[24:25], vcc
	s_cbranch_execz .LBB260_1043
; %bb.1040:                             ;   in Loop: Header=BB260_819 Depth=1
	v_and_b32_e32 v18, 0x7f, v16
	v_cmp_ne_u32_e32 vcc, s29, v18
	v_mov_b32_e32 v13, 0x7c010000
	s_and_saveexec_b64 s[26:27], vcc
	s_cbranch_execz .LBB260_1042
; %bb.1041:                             ;   in Loop: Header=BB260_819 Depth=1
	v_and_b32_e32 v13, 7, v16
	v_ffbh_u32_e32 v39, v13
	v_min_u32_e32 v39, 32, v39
	v_lshrrev_b32_e32 v19, 3, v18
	v_subrev_u32_e32 v51, 28, v39
	v_sub_u32_e32 v39, 29, v39
	v_cmp_gt_u32_e32 vcc, 8, v18
	v_lshlrev_b64 v[54:55], v51, v[16:17]
	v_lshlrev_b32_e32 v16, 8, v16
	v_cndmask_b32_e32 v18, v19, v39, vcc
	v_lshl_add_u32 v18, v18, 10, v98
	v_and_b32_e32 v19, 7, v54
	v_and_or_b32 v16, v16, s40, v18
	v_cndmask_b32_e32 v13, v13, v19, vcc
	v_lshlrev_b32_e32 v16, 16, v16
	v_lshl_or_b32 v13, v13, 23, v16
.LBB260_1042:                           ;   in Loop: Header=BB260_819 Depth=1
	s_or_b64 exec, exec, s[26:27]
.LBB260_1043:                           ;   in Loop: Header=BB260_819 Depth=1
	s_or_b64 exec, exec, s[24:25]
.LBB260_1044:                           ;   in Loop: Header=BB260_819 Depth=1
	s_or_b64 exec, exec, s[22:23]
	v_mov_b32_e32 v16, v53
	v_cmp_ne_u16_sdwa s[24:25], v53, v17 src0_sel:BYTE_0 src1_sel:DWORD
	v_mov_b32_e32 v18, 0
	v_mov_b32_e32 v51, 0
	s_and_saveexec_b64 s[22:23], s[24:25]
	s_cbranch_execz .LBB260_1050
; %bb.1045:                             ;   in Loop: Header=BB260_819 Depth=1
	v_cmp_ne_u16_sdwa s[26:27], v53, s28 src0_sel:BYTE_0 src1_sel:DWORD
	v_mov_b32_e32 v51, 0x8000
	s_and_saveexec_b64 s[24:25], s[26:27]
	s_cbranch_execz .LBB260_1049
; %bb.1046:                             ;   in Loop: Header=BB260_819 Depth=1
	v_and_b32_e32 v19, 0x7f, v53
	v_cmp_ne_u32_e32 vcc, s29, v19
	v_mov_b32_e32 v51, 0x7c01
	s_and_saveexec_b64 s[26:27], vcc
	s_cbranch_execz .LBB260_1048
; %bb.1047:                             ;   in Loop: Header=BB260_819 Depth=1
	v_and_b32_e32 v39, 7, v53
	v_ffbh_u32_e32 v54, v39
	v_min_u32_e32 v64, 32, v54
	v_subrev_u32_e32 v54, 28, v64
	v_lshlrev_b64 v[54:55], v54, v[16:17]
	v_lshrrev_b32_e32 v51, 3, v19
	v_sub_u32_e32 v55, 29, v64
	v_cmp_gt_u32_e32 vcc, 8, v19
	v_and_b32_e32 v54, 7, v54
	s_nop 0
	v_cndmask_b32_e32 v19, v51, v55, vcc
	v_lshl_add_u32 v19, v19, 10, v98
	v_lshlrev_b32_e32 v51, 8, v53
	v_and_b32_e32 v19, 0xfc00, v19
	v_cndmask_b32_e32 v39, v39, v54, vcc
	v_and_or_b32 v19, v51, s40, v19
	v_lshl_or_b32 v51, v39, 7, v19
.LBB260_1048:                           ;   in Loop: Header=BB260_819 Depth=1
	s_or_b64 exec, exec, s[26:27]
.LBB260_1049:                           ;   in Loop: Header=BB260_819 Depth=1
	s_or_b64 exec, exec, s[24:25]
.LBB260_1050:                           ;   in Loop: Header=BB260_819 Depth=1
	s_or_b64 exec, exec, s[22:23]
	v_lshrrev_b16_e32 v16, 8, v16
	v_cmp_ne_u16_e32 vcc, 0, v16
	v_mov_b32_e32 v55, 0
	s_and_saveexec_b64 s[22:23], vcc
	s_cbranch_execz .LBB260_1056
; %bb.1051:                             ;   in Loop: Header=BB260_819 Depth=1
	v_cmp_ne_u16_e32 vcc, s28, v16
	v_bfrev_b32_e32 v55, 1
	s_and_saveexec_b64 s[24:25], vcc
	s_cbranch_execz .LBB260_1055
; %bb.1052:                             ;   in Loop: Header=BB260_819 Depth=1
	v_and_b32_e32 v19, 0x7f, v16
	v_cmp_ne_u32_e32 vcc, s29, v19
	v_mov_b32_e32 v55, 0x7c010000
	s_and_saveexec_b64 s[26:27], vcc
	s_cbranch_execz .LBB260_1054
; %bb.1053:                             ;   in Loop: Header=BB260_819 Depth=1
	v_and_b32_e32 v39, 7, v16
	v_ffbh_u32_e32 v54, v39
	v_min_u32_e32 v65, 32, v54
	v_subrev_u32_e32 v54, 28, v65
	v_lshlrev_b64 v[54:55], v54, v[16:17]
	v_lshrrev_b32_e32 v64, 3, v19
	v_sub_u32_e32 v55, 29, v65
	v_cmp_gt_u32_e32 vcc, 8, v19
	v_lshlrev_b32_e32 v16, 8, v16
	v_and_b32_e32 v54, 7, v54
	v_cndmask_b32_e32 v19, v64, v55, vcc
	v_lshl_add_u32 v19, v19, 10, v98
	v_and_or_b32 v16, v16, s40, v19
	v_cndmask_b32_e32 v39, v39, v54, vcc
	v_lshlrev_b32_e32 v16, 16, v16
	v_lshl_or_b32 v55, v39, 23, v16
.LBB260_1054:                           ;   in Loop: Header=BB260_819 Depth=1
	s_or_b64 exec, exec, s[26:27]
.LBB260_1055:                           ;   in Loop: Header=BB260_819 Depth=1
	s_or_b64 exec, exec, s[24:25]
.LBB260_1056:                           ;   in Loop: Header=BB260_819 Depth=1
	s_or_b64 exec, exec, s[22:23]
	v_lshrrev_b32_e32 v16, 16, v53
	v_cmp_ne_u16_sdwa s[24:25], v16, v17 src0_sel:BYTE_0 src1_sel:DWORD
	s_and_saveexec_b64 s[22:23], s[24:25]
	s_cbranch_execz .LBB260_1062
; %bb.1057:                             ;   in Loop: Header=BB260_819 Depth=1
	v_cmp_ne_u16_sdwa s[26:27], v16, s28 src0_sel:BYTE_0 src1_sel:DWORD
	v_mov_b32_e32 v18, 0x8000
	s_and_saveexec_b64 s[24:25], s[26:27]
	s_cbranch_execz .LBB260_1061
; %bb.1058:                             ;   in Loop: Header=BB260_819 Depth=1
	v_bfe_u32 v19, v53, 16, 7
	v_cmp_ne_u32_e32 vcc, s29, v19
	v_mov_b32_e32 v18, 0x7c01
	s_and_saveexec_b64 s[26:27], vcc
	s_cbranch_execz .LBB260_1060
; %bb.1059:                             ;   in Loop: Header=BB260_819 Depth=1
	v_and_b32_e32 v18, 7, v16
	v_ffbh_u32_e32 v54, v18
	v_min_u32_e32 v54, 32, v54
	v_lshrrev_b32_e32 v39, 3, v19
	v_subrev_u32_e32 v64, 28, v54
	v_sub_u32_e32 v54, 29, v54
	v_cmp_gt_u32_e32 vcc, 8, v19
	v_lshlrev_b64 v[64:65], v64, v[16:17]
	v_lshlrev_b32_e32 v16, 8, v16
	v_cndmask_b32_e32 v19, v39, v54, vcc
	v_lshl_add_u32 v19, v19, 10, v98
	v_and_b32_e32 v39, 7, v64
	v_and_b32_e32 v19, 0xfc00, v19
	v_cndmask_b32_e32 v18, v18, v39, vcc
	v_and_or_b32 v16, v16, s40, v19
	v_lshl_or_b32 v18, v18, 7, v16
.LBB260_1060:                           ;   in Loop: Header=BB260_819 Depth=1
	s_or_b64 exec, exec, s[26:27]
.LBB260_1061:                           ;   in Loop: Header=BB260_819 Depth=1
	s_or_b64 exec, exec, s[24:25]
.LBB260_1062:                           ;   in Loop: Header=BB260_819 Depth=1
	s_or_b64 exec, exec, s[22:23]
	v_cmp_lt_u64_e32 vcc, s[6:7], v[52:53]
	v_mov_b32_e32 v52, 0
	s_and_saveexec_b64 s[22:23], vcc
	s_cbranch_execz .LBB260_1068
; %bb.1063:                             ;   in Loop: Header=BB260_819 Depth=1
	v_lshrrev_b32_e32 v16, 24, v53
	v_cmp_ne_u32_e32 vcc, s28, v16
	v_bfrev_b32_e32 v52, 1
	s_and_saveexec_b64 s[24:25], vcc
	s_cbranch_execz .LBB260_1067
; %bb.1064:                             ;   in Loop: Header=BB260_819 Depth=1
	v_and_b32_e32 v19, 0x7f, v16
	v_cmp_ne_u32_e32 vcc, s29, v19
	v_mov_b32_e32 v52, 0x7c010000
	s_and_saveexec_b64 s[26:27], vcc
	s_cbranch_execz .LBB260_1066
; %bb.1065:                             ;   in Loop: Header=BB260_819 Depth=1
	v_and_b32_e32 v39, 7, v16
	v_ffbh_u32_e32 v52, v39
	v_min_u32_e32 v64, 32, v52
	v_subrev_u32_e32 v52, 28, v64
	v_lshlrev_b64 v[52:53], v52, v[16:17]
	v_lshrrev_b32_e32 v54, 3, v19
	v_sub_u32_e32 v53, 29, v64
	v_cmp_gt_u32_e32 vcc, 8, v19
	v_lshlrev_b32_e32 v16, 8, v16
	v_and_b32_e32 v52, 7, v52
	v_cndmask_b32_e32 v19, v54, v53, vcc
	v_lshl_add_u32 v19, v19, 10, v98
	v_and_or_b32 v16, v16, s40, v19
	v_cndmask_b32_e32 v39, v39, v52, vcc
	v_lshlrev_b32_e32 v16, 16, v16
	v_lshl_or_b32 v52, v39, 23, v16
.LBB260_1066:                           ;   in Loop: Header=BB260_819 Depth=1
	s_or_b64 exec, exec, s[26:27]
.LBB260_1067:                           ;   in Loop: Header=BB260_819 Depth=1
	s_or_b64 exec, exec, s[24:25]
.LBB260_1068:                           ;   in Loop: Header=BB260_819 Depth=1
	s_or_b64 exec, exec, s[22:23]
	v_cvt_f32_f16_sdwa v65, v1 dst_sel:DWORD dst_unused:UNUSED_PAD src0_sel:WORD_1
	v_cvt_f32_f16_sdwa v64, v13 dst_sel:DWORD dst_unused:UNUSED_PAD src0_sel:WORD_1
	v_or_b32_e32 v16, v1, v0
	v_or_b32_e32 v2, v13, v2
	s_waitcnt vmcnt(0) lgkmcnt(0)
	v_pk_mul_f32 v[0:1], v[50:51], v[64:65] op_sel_hi:[0,1]
	v_cvt_f32_f16_e32 v64, v2
	v_cvt_f32_f16_e32 v65, v16
	v_cvt_pk_f16_f32 v0, v0, v1
	v_and_b32_e32 v19, 0xffff0000, v0
	v_lshlrev_b32_e32 v16, 16, v0
	v_pk_mul_f32 v[0:1], v[50:51], v[64:65] op_sel_hi:[0,1]
	v_cvt_pk_f16_f32 v0, v0, v1
	v_lshrrev_b32_e32 v39, 16, v0
	v_and_b32_e32 v54, 0xffff, v0
	v_or_b32_e32 v1, v55, v51
	v_or_b32_e32 v0, v52, v18
	v_cvt_f32_f16_e32 v0, v0
	v_cvt_f32_f16_e32 v1, v1
	v_cvt_f32_f16_sdwa v65, v55 dst_sel:DWORD dst_unused:UNUSED_PAD src0_sel:WORD_1
	v_cvt_f32_f16_sdwa v64, v52 dst_sel:DWORD dst_unused:UNUSED_PAD src0_sel:WORD_1
	v_or_b32_e32 v13, v19, v39
	v_pk_mul_f32 v[0:1], v[50:51], v[0:1] op_sel_hi:[0,1]
	v_cvt_pk_f16_f32 v2, v0, v1
	v_pk_mul_f32 v[0:1], v[50:51], v[64:65] op_sel_hi:[0,1]
	v_cvt_pk_f16_f32 v0, v0, v1
	v_and_b32_e32 v51, 0xffff0000, v0
	v_lshlrev_b32_e32 v50, 16, v0
	v_lshrrev_b32_e32 v53, 16, v2
	v_and_b32_e32 v64, 0xffff, v2
	v_or_b32_e32 v52, v16, v54
	v_or_b32_e32 v55, v51, v53
	;; [unrolled: 1-line block ×3, first 2 shown]
	s_and_saveexec_b64 s[22:23], s[2:3]
	s_cbranch_execz .LBB260_1070
; %bb.1069:                             ;   in Loop: Header=BB260_819 Depth=1
	v_cmp_lt_i32_e32 vcc, v99, v3
	s_nop 1
	v_cndmask_b32_e32 v0, 0, v39, vcc
	v_cmp_lt_i32_e32 vcc, v118, v12
	s_nop 1
	v_cndmask_b32_e32 v1, 0, v54, vcc
	;; [unrolled: 3-line block ×3, first 2 shown]
	v_cmp_lt_i32_e32 vcc, v116, v12
	v_or_b32_e32 v13, v0, v2
	s_nop 0
	v_cndmask_b32_e32 v16, 0, v16, vcc
	v_cmp_lt_i32_e32 vcc, v115, v3
	v_or_b32_e32 v52, v1, v16
	s_nop 0
	v_cndmask_b32_e32 v0, 0, v53, vcc
	v_cmp_lt_i32_e32 vcc, v114, v12
	s_nop 1
	v_cndmask_b32_e32 v1, 0, v64, vcc
	v_cmp_lt_i32_e32 vcc, v113, v3
	;; [unrolled: 3-line block ×3, first 2 shown]
	v_or_b32_e32 v55, v0, v2
	s_nop 0
	v_cndmask_b32_e32 v16, 0, v50, vcc
	v_or_b32_e32 v66, v1, v16
.LBB260_1070:                           ;   in Loop: Header=BB260_819 Depth=1
	s_or_b64 exec, exec, s[22:23]
	;;#ASMSTART
	v_pk_mul_f16 v0, v112, v13;

	;;#ASMEND
	;;#ASMSTART
	v_pk_mul_f16 v1, v102, v52;

	;;#ASMEND
	;; [unrolled: 4-line block ×4, first 2 shown]
	s_nop 0
	;;#ASMSTART
	v_pk_add_f16 v0, v0, v1;

	;;#ASMEND
	s_nop 0
	;;#ASMSTART
	v_pk_add_f16 v0, v0, v2;

	;;#ASMEND
	s_nop 0
	;;#ASMSTART
	v_pk_add_f16 v0, v0, v13;

	;;#ASMEND
	s_nop 0
	v_lshrrev_b32_e32 v1, 16, v0
	v_and_b32_e32 v0, 0xffff, v0
	;;#ASMSTART
	v_cvt_f32_f16 v47, v0;
	;;#ASMEND
	;;#ASMSTART
	v_cvt_f32_f16 v56, v1;
	;;#ASMEND
	flat_load_dwordx2 v[52:53], v[48:49] offset:2560
	scratch_load_dwordx2 v[0:1], off, s32 offset:192 ; 8-byte Folded Reload
	s_waitcnt vmcnt(0) lgkmcnt(0)
	v_cmp_ne_u16_sdwa s[24:25], v52, v17 src0_sel:BYTE_0 src1_sel:DWORD
	flat_load_dword v50, v[0:1]
	v_mov_b32_e32 v1, 0
	v_mov_b32_e32 v0, 0
	s_and_saveexec_b64 s[22:23], s[24:25]
	s_cbranch_execz .LBB260_1076
; %bb.1071:                             ;   in Loop: Header=BB260_819 Depth=1
	v_cmp_ne_u16_sdwa s[26:27], v52, s28 src0_sel:BYTE_0 src1_sel:DWORD
	v_mov_b32_e32 v0, 0x8000
	s_and_saveexec_b64 s[24:25], s[26:27]
	s_cbranch_execz .LBB260_1075
; %bb.1072:                             ;   in Loop: Header=BB260_819 Depth=1
	v_and_b32_e32 v2, 0x7f, v52
	v_cmp_ne_u32_e32 vcc, s29, v2
	v_mov_b32_e32 v0, 0x7c01
	s_and_saveexec_b64 s[26:27], vcc
	s_cbranch_execz .LBB260_1074
; %bb.1073:                             ;   in Loop: Header=BB260_819 Depth=1
	v_and_b32_e32 v0, 7, v52
	v_ffbh_u32_e32 v16, v0
	v_min_u32_e32 v16, 32, v16
	v_lshrrev_b32_e32 v13, 3, v2
	v_subrev_u32_e32 v18, 28, v16
	v_sub_u32_e32 v16, 29, v16
	v_cmp_gt_u32_e32 vcc, 8, v2
	v_lshlrev_b64 v[18:19], v18, v[52:53]
	s_nop 0
	v_cndmask_b32_e32 v2, v13, v16, vcc
	v_lshl_add_u32 v2, v2, 10, v98
	v_lshlrev_b32_e32 v13, 8, v52
	v_and_b32_e32 v16, 7, v18
	v_and_b32_e32 v2, 0xfc00, v2
	v_cndmask_b32_e32 v0, v0, v16, vcc
	v_and_or_b32 v2, v13, s40, v2
	v_lshl_or_b32 v0, v0, 7, v2
.LBB260_1074:                           ;   in Loop: Header=BB260_819 Depth=1
	s_or_b64 exec, exec, s[26:27]
.LBB260_1075:                           ;   in Loop: Header=BB260_819 Depth=1
	s_or_b64 exec, exec, s[24:25]
.LBB260_1076:                           ;   in Loop: Header=BB260_819 Depth=1
	s_or_b64 exec, exec, s[22:23]
	v_lshrrev_b16_e32 v16, 8, v52
	v_cmp_ne_u16_e32 vcc, 0, v16
	s_and_saveexec_b64 s[22:23], vcc
	s_cbranch_execz .LBB260_1082
; %bb.1077:                             ;   in Loop: Header=BB260_819 Depth=1
	v_cmp_ne_u16_e32 vcc, s28, v16
	v_bfrev_b32_e32 v1, 1
	s_and_saveexec_b64 s[24:25], vcc
	s_cbranch_execz .LBB260_1081
; %bb.1078:                             ;   in Loop: Header=BB260_819 Depth=1
	v_and_b32_e32 v2, 0x7f, v16
	v_cmp_ne_u32_e32 vcc, s29, v2
	v_mov_b32_e32 v1, 0x7c010000
	s_and_saveexec_b64 s[26:27], vcc
	s_cbranch_execz .LBB260_1080
; %bb.1079:                             ;   in Loop: Header=BB260_819 Depth=1
	v_and_b32_e32 v1, 7, v16
	v_ffbh_u32_e32 v18, v1
	v_min_u32_e32 v39, 32, v18
	v_subrev_u32_e32 v18, 28, v39
	v_lshlrev_b64 v[18:19], v18, v[16:17]
	v_lshrrev_b32_e32 v13, 3, v2
	v_sub_u32_e32 v19, 29, v39
	v_cmp_gt_u32_e32 vcc, 8, v2
	s_nop 1
	v_cndmask_b32_e32 v2, v13, v19, vcc
	v_lshlrev_b32_e32 v13, 8, v16
	v_lshl_add_u32 v2, v2, 10, v98
	v_and_b32_e32 v16, 7, v18
	v_and_or_b32 v2, v13, s40, v2
	v_cndmask_b32_e32 v1, v1, v16, vcc
	v_lshlrev_b32_e32 v2, 16, v2
	v_lshl_or_b32 v1, v1, 23, v2
.LBB260_1080:                           ;   in Loop: Header=BB260_819 Depth=1
	s_or_b64 exec, exec, s[26:27]
.LBB260_1081:                           ;   in Loop: Header=BB260_819 Depth=1
	s_or_b64 exec, exec, s[24:25]
.LBB260_1082:                           ;   in Loop: Header=BB260_819 Depth=1
	s_or_b64 exec, exec, s[22:23]
	v_lshrrev_b32_e32 v16, 16, v52
	v_cmp_ne_u16_sdwa s[24:25], v16, v17 src0_sel:BYTE_0 src1_sel:DWORD
	v_mov_b32_e32 v13, 0
	v_mov_b32_e32 v2, 0
	s_and_saveexec_b64 s[22:23], s[24:25]
	s_cbranch_execz .LBB260_1088
; %bb.1083:                             ;   in Loop: Header=BB260_819 Depth=1
	v_cmp_ne_u16_sdwa s[26:27], v16, s28 src0_sel:BYTE_0 src1_sel:DWORD
	v_mov_b32_e32 v2, 0x8000
	s_and_saveexec_b64 s[24:25], s[26:27]
	s_cbranch_execz .LBB260_1087
; %bb.1084:                             ;   in Loop: Header=BB260_819 Depth=1
	v_bfe_u32 v18, v52, 16, 7
	v_cmp_ne_u32_e32 vcc, s29, v18
	v_mov_b32_e32 v2, 0x7c01
	s_and_saveexec_b64 s[26:27], vcc
	s_cbranch_execz .LBB260_1086
; %bb.1085:                             ;   in Loop: Header=BB260_819 Depth=1
	v_and_b32_e32 v2, 7, v16
	v_ffbh_u32_e32 v39, v2
	v_min_u32_e32 v39, 32, v39
	v_lshrrev_b32_e32 v19, 3, v18
	v_subrev_u32_e32 v51, 28, v39
	v_sub_u32_e32 v39, 29, v39
	v_cmp_gt_u32_e32 vcc, 8, v18
	v_lshlrev_b64 v[54:55], v51, v[16:17]
	v_lshlrev_b32_e32 v16, 8, v16
	v_cndmask_b32_e32 v18, v19, v39, vcc
	v_lshl_add_u32 v18, v18, 10, v98
	v_and_b32_e32 v19, 7, v54
	v_and_b32_e32 v18, 0xfc00, v18
	v_cndmask_b32_e32 v2, v2, v19, vcc
	v_and_or_b32 v16, v16, s40, v18
	v_lshl_or_b32 v2, v2, 7, v16
.LBB260_1086:                           ;   in Loop: Header=BB260_819 Depth=1
	s_or_b64 exec, exec, s[26:27]
.LBB260_1087:                           ;   in Loop: Header=BB260_819 Depth=1
	s_or_b64 exec, exec, s[24:25]
.LBB260_1088:                           ;   in Loop: Header=BB260_819 Depth=1
	s_or_b64 exec, exec, s[22:23]
	v_cmp_lt_u32_e32 vcc, s7, v52
	s_and_saveexec_b64 s[22:23], vcc
	s_cbranch_execz .LBB260_1094
; %bb.1089:                             ;   in Loop: Header=BB260_819 Depth=1
	v_lshrrev_b32_e32 v16, 24, v52
	v_cmp_ne_u32_e32 vcc, s28, v16
	v_bfrev_b32_e32 v13, 1
	s_and_saveexec_b64 s[24:25], vcc
	s_cbranch_execz .LBB260_1093
; %bb.1090:                             ;   in Loop: Header=BB260_819 Depth=1
	v_and_b32_e32 v18, 0x7f, v16
	v_cmp_ne_u32_e32 vcc, s29, v18
	v_mov_b32_e32 v13, 0x7c010000
	s_and_saveexec_b64 s[26:27], vcc
	s_cbranch_execz .LBB260_1092
; %bb.1091:                             ;   in Loop: Header=BB260_819 Depth=1
	v_and_b32_e32 v13, 7, v16
	v_ffbh_u32_e32 v39, v13
	v_min_u32_e32 v39, 32, v39
	v_lshrrev_b32_e32 v19, 3, v18
	v_subrev_u32_e32 v51, 28, v39
	v_sub_u32_e32 v39, 29, v39
	v_cmp_gt_u32_e32 vcc, 8, v18
	v_lshlrev_b64 v[54:55], v51, v[16:17]
	v_lshlrev_b32_e32 v16, 8, v16
	v_cndmask_b32_e32 v18, v19, v39, vcc
	v_lshl_add_u32 v18, v18, 10, v98
	v_and_b32_e32 v19, 7, v54
	v_and_or_b32 v16, v16, s40, v18
	v_cndmask_b32_e32 v13, v13, v19, vcc
	v_lshlrev_b32_e32 v16, 16, v16
	v_lshl_or_b32 v13, v13, 23, v16
.LBB260_1092:                           ;   in Loop: Header=BB260_819 Depth=1
	s_or_b64 exec, exec, s[26:27]
.LBB260_1093:                           ;   in Loop: Header=BB260_819 Depth=1
	s_or_b64 exec, exec, s[24:25]
.LBB260_1094:                           ;   in Loop: Header=BB260_819 Depth=1
	s_or_b64 exec, exec, s[22:23]
	v_mov_b32_e32 v16, v53
	v_cmp_ne_u16_sdwa s[24:25], v53, v17 src0_sel:BYTE_0 src1_sel:DWORD
	v_mov_b32_e32 v18, 0
	v_mov_b32_e32 v51, 0
	s_and_saveexec_b64 s[22:23], s[24:25]
	s_cbranch_execz .LBB260_1100
; %bb.1095:                             ;   in Loop: Header=BB260_819 Depth=1
	v_cmp_ne_u16_sdwa s[26:27], v53, s28 src0_sel:BYTE_0 src1_sel:DWORD
	v_mov_b32_e32 v51, 0x8000
	s_and_saveexec_b64 s[24:25], s[26:27]
	s_cbranch_execz .LBB260_1099
; %bb.1096:                             ;   in Loop: Header=BB260_819 Depth=1
	v_and_b32_e32 v19, 0x7f, v53
	v_cmp_ne_u32_e32 vcc, s29, v19
	v_mov_b32_e32 v51, 0x7c01
	s_and_saveexec_b64 s[26:27], vcc
	s_cbranch_execz .LBB260_1098
; %bb.1097:                             ;   in Loop: Header=BB260_819 Depth=1
	v_and_b32_e32 v39, 7, v53
	v_ffbh_u32_e32 v54, v39
	v_min_u32_e32 v64, 32, v54
	v_subrev_u32_e32 v54, 28, v64
	v_lshlrev_b64 v[54:55], v54, v[16:17]
	v_lshrrev_b32_e32 v51, 3, v19
	v_sub_u32_e32 v55, 29, v64
	v_cmp_gt_u32_e32 vcc, 8, v19
	v_and_b32_e32 v54, 7, v54
	s_nop 0
	v_cndmask_b32_e32 v19, v51, v55, vcc
	v_lshl_add_u32 v19, v19, 10, v98
	v_lshlrev_b32_e32 v51, 8, v53
	v_and_b32_e32 v19, 0xfc00, v19
	v_cndmask_b32_e32 v39, v39, v54, vcc
	v_and_or_b32 v19, v51, s40, v19
	v_lshl_or_b32 v51, v39, 7, v19
.LBB260_1098:                           ;   in Loop: Header=BB260_819 Depth=1
	s_or_b64 exec, exec, s[26:27]
.LBB260_1099:                           ;   in Loop: Header=BB260_819 Depth=1
	s_or_b64 exec, exec, s[24:25]
.LBB260_1100:                           ;   in Loop: Header=BB260_819 Depth=1
	s_or_b64 exec, exec, s[22:23]
	v_lshrrev_b16_e32 v16, 8, v16
	v_cmp_ne_u16_e32 vcc, 0, v16
	v_mov_b32_e32 v55, 0
	s_and_saveexec_b64 s[22:23], vcc
	s_cbranch_execz .LBB260_1106
; %bb.1101:                             ;   in Loop: Header=BB260_819 Depth=1
	v_cmp_ne_u16_e32 vcc, s28, v16
	v_bfrev_b32_e32 v55, 1
	s_and_saveexec_b64 s[24:25], vcc
	s_cbranch_execz .LBB260_1105
; %bb.1102:                             ;   in Loop: Header=BB260_819 Depth=1
	v_and_b32_e32 v19, 0x7f, v16
	v_cmp_ne_u32_e32 vcc, s29, v19
	v_mov_b32_e32 v55, 0x7c010000
	s_and_saveexec_b64 s[26:27], vcc
	s_cbranch_execz .LBB260_1104
; %bb.1103:                             ;   in Loop: Header=BB260_819 Depth=1
	v_and_b32_e32 v39, 7, v16
	v_ffbh_u32_e32 v54, v39
	v_min_u32_e32 v65, 32, v54
	v_subrev_u32_e32 v54, 28, v65
	v_lshlrev_b64 v[54:55], v54, v[16:17]
	v_lshrrev_b32_e32 v64, 3, v19
	v_sub_u32_e32 v55, 29, v65
	v_cmp_gt_u32_e32 vcc, 8, v19
	v_lshlrev_b32_e32 v16, 8, v16
	v_and_b32_e32 v54, 7, v54
	v_cndmask_b32_e32 v19, v64, v55, vcc
	v_lshl_add_u32 v19, v19, 10, v98
	v_and_or_b32 v16, v16, s40, v19
	v_cndmask_b32_e32 v39, v39, v54, vcc
	v_lshlrev_b32_e32 v16, 16, v16
	v_lshl_or_b32 v55, v39, 23, v16
.LBB260_1104:                           ;   in Loop: Header=BB260_819 Depth=1
	s_or_b64 exec, exec, s[26:27]
.LBB260_1105:                           ;   in Loop: Header=BB260_819 Depth=1
	s_or_b64 exec, exec, s[24:25]
.LBB260_1106:                           ;   in Loop: Header=BB260_819 Depth=1
	s_or_b64 exec, exec, s[22:23]
	v_lshrrev_b32_e32 v16, 16, v53
	v_cmp_ne_u16_sdwa s[24:25], v16, v17 src0_sel:BYTE_0 src1_sel:DWORD
	s_and_saveexec_b64 s[22:23], s[24:25]
	s_cbranch_execz .LBB260_1112
; %bb.1107:                             ;   in Loop: Header=BB260_819 Depth=1
	v_cmp_ne_u16_sdwa s[26:27], v16, s28 src0_sel:BYTE_0 src1_sel:DWORD
	v_mov_b32_e32 v18, 0x8000
	s_and_saveexec_b64 s[24:25], s[26:27]
	s_cbranch_execz .LBB260_1111
; %bb.1108:                             ;   in Loop: Header=BB260_819 Depth=1
	v_bfe_u32 v19, v53, 16, 7
	v_cmp_ne_u32_e32 vcc, s29, v19
	v_mov_b32_e32 v18, 0x7c01
	s_and_saveexec_b64 s[26:27], vcc
	s_cbranch_execz .LBB260_1110
; %bb.1109:                             ;   in Loop: Header=BB260_819 Depth=1
	v_and_b32_e32 v18, 7, v16
	v_ffbh_u32_e32 v54, v18
	v_min_u32_e32 v54, 32, v54
	v_lshrrev_b32_e32 v39, 3, v19
	v_subrev_u32_e32 v64, 28, v54
	v_sub_u32_e32 v54, 29, v54
	v_cmp_gt_u32_e32 vcc, 8, v19
	v_lshlrev_b64 v[64:65], v64, v[16:17]
	v_lshlrev_b32_e32 v16, 8, v16
	v_cndmask_b32_e32 v19, v39, v54, vcc
	v_lshl_add_u32 v19, v19, 10, v98
	v_and_b32_e32 v39, 7, v64
	v_and_b32_e32 v19, 0xfc00, v19
	v_cndmask_b32_e32 v18, v18, v39, vcc
	v_and_or_b32 v16, v16, s40, v19
	v_lshl_or_b32 v18, v18, 7, v16
.LBB260_1110:                           ;   in Loop: Header=BB260_819 Depth=1
	s_or_b64 exec, exec, s[26:27]
.LBB260_1111:                           ;   in Loop: Header=BB260_819 Depth=1
	s_or_b64 exec, exec, s[24:25]
.LBB260_1112:                           ;   in Loop: Header=BB260_819 Depth=1
	s_or_b64 exec, exec, s[22:23]
	v_cmp_lt_u64_e32 vcc, s[6:7], v[52:53]
	v_mov_b32_e32 v52, 0
	s_and_saveexec_b64 s[22:23], vcc
	s_cbranch_execz .LBB260_1118
; %bb.1113:                             ;   in Loop: Header=BB260_819 Depth=1
	v_lshrrev_b32_e32 v16, 24, v53
	v_cmp_ne_u32_e32 vcc, s28, v16
	v_bfrev_b32_e32 v52, 1
	s_and_saveexec_b64 s[24:25], vcc
	s_cbranch_execz .LBB260_1117
; %bb.1114:                             ;   in Loop: Header=BB260_819 Depth=1
	v_and_b32_e32 v19, 0x7f, v16
	v_cmp_ne_u32_e32 vcc, s29, v19
	v_mov_b32_e32 v52, 0x7c010000
	s_and_saveexec_b64 s[26:27], vcc
	s_cbranch_execz .LBB260_1116
; %bb.1115:                             ;   in Loop: Header=BB260_819 Depth=1
	v_and_b32_e32 v39, 7, v16
	v_ffbh_u32_e32 v52, v39
	v_min_u32_e32 v64, 32, v52
	v_subrev_u32_e32 v52, 28, v64
	v_lshlrev_b64 v[52:53], v52, v[16:17]
	v_lshrrev_b32_e32 v54, 3, v19
	v_sub_u32_e32 v53, 29, v64
	v_cmp_gt_u32_e32 vcc, 8, v19
	v_lshlrev_b32_e32 v16, 8, v16
	v_and_b32_e32 v52, 7, v52
	v_cndmask_b32_e32 v19, v54, v53, vcc
	v_lshl_add_u32 v19, v19, 10, v98
	v_and_or_b32 v16, v16, s40, v19
	v_cndmask_b32_e32 v39, v39, v52, vcc
	v_lshlrev_b32_e32 v16, 16, v16
	v_lshl_or_b32 v52, v39, 23, v16
.LBB260_1116:                           ;   in Loop: Header=BB260_819 Depth=1
	s_or_b64 exec, exec, s[26:27]
.LBB260_1117:                           ;   in Loop: Header=BB260_819 Depth=1
	s_or_b64 exec, exec, s[24:25]
.LBB260_1118:                           ;   in Loop: Header=BB260_819 Depth=1
	s_or_b64 exec, exec, s[22:23]
	v_cvt_f32_f16_sdwa v65, v1 dst_sel:DWORD dst_unused:UNUSED_PAD src0_sel:WORD_1
	v_cvt_f32_f16_sdwa v64, v13 dst_sel:DWORD dst_unused:UNUSED_PAD src0_sel:WORD_1
	v_or_b32_e32 v16, v1, v0
	v_or_b32_e32 v2, v13, v2
	s_waitcnt vmcnt(0) lgkmcnt(0)
	v_pk_mul_f32 v[0:1], v[50:51], v[64:65] op_sel_hi:[0,1]
	v_cvt_f32_f16_e32 v64, v2
	v_cvt_f32_f16_e32 v65, v16
	v_cvt_pk_f16_f32 v0, v0, v1
	v_and_b32_e32 v19, 0xffff0000, v0
	v_lshlrev_b32_e32 v16, 16, v0
	v_pk_mul_f32 v[0:1], v[50:51], v[64:65] op_sel_hi:[0,1]
	v_cvt_pk_f16_f32 v0, v0, v1
	v_lshrrev_b32_e32 v39, 16, v0
	v_and_b32_e32 v54, 0xffff, v0
	v_or_b32_e32 v1, v55, v51
	v_or_b32_e32 v0, v52, v18
	v_cvt_f32_f16_e32 v0, v0
	v_cvt_f32_f16_e32 v1, v1
	v_cvt_f32_f16_sdwa v65, v55 dst_sel:DWORD dst_unused:UNUSED_PAD src0_sel:WORD_1
	v_cvt_f32_f16_sdwa v64, v52 dst_sel:DWORD dst_unused:UNUSED_PAD src0_sel:WORD_1
	v_or_b32_e32 v13, v19, v39
	v_pk_mul_f32 v[0:1], v[50:51], v[0:1] op_sel_hi:[0,1]
	v_cvt_pk_f16_f32 v2, v0, v1
	v_pk_mul_f32 v[0:1], v[50:51], v[64:65] op_sel_hi:[0,1]
	v_cvt_pk_f16_f32 v0, v0, v1
	v_and_b32_e32 v51, 0xffff0000, v0
	v_lshlrev_b32_e32 v50, 16, v0
	v_lshrrev_b32_e32 v53, 16, v2
	v_and_b32_e32 v64, 0xffff, v2
	v_or_b32_e32 v52, v16, v54
	v_or_b32_e32 v55, v51, v53
	;; [unrolled: 1-line block ×3, first 2 shown]
	s_and_saveexec_b64 s[22:23], s[2:3]
	s_cbranch_execz .LBB260_1120
; %bb.1119:                             ;   in Loop: Header=BB260_819 Depth=1
	v_cmp_lt_i32_e32 vcc, v99, v3
	s_nop 1
	v_cndmask_b32_e32 v0, 0, v39, vcc
	v_cmp_lt_i32_e32 vcc, v118, v12
	s_nop 1
	v_cndmask_b32_e32 v1, 0, v54, vcc
	;; [unrolled: 3-line block ×3, first 2 shown]
	v_cmp_lt_i32_e32 vcc, v116, v12
	v_or_b32_e32 v13, v0, v2
	s_nop 0
	v_cndmask_b32_e32 v16, 0, v16, vcc
	v_cmp_lt_i32_e32 vcc, v115, v3
	v_or_b32_e32 v52, v1, v16
	s_nop 0
	v_cndmask_b32_e32 v0, 0, v53, vcc
	v_cmp_lt_i32_e32 vcc, v114, v12
	s_nop 1
	v_cndmask_b32_e32 v1, 0, v64, vcc
	v_cmp_lt_i32_e32 vcc, v113, v3
	;; [unrolled: 3-line block ×3, first 2 shown]
	v_or_b32_e32 v55, v0, v2
	s_nop 0
	v_cndmask_b32_e32 v16, 0, v50, vcc
	v_or_b32_e32 v66, v1, v16
.LBB260_1120:                           ;   in Loop: Header=BB260_819 Depth=1
	s_or_b64 exec, exec, s[22:23]
	;;#ASMSTART
	v_pk_mul_f16 v0, v112, v13;

	;;#ASMEND
	;;#ASMSTART
	v_pk_mul_f16 v1, v102, v52;

	;;#ASMEND
	;; [unrolled: 4-line block ×4, first 2 shown]
	s_nop 0
	;;#ASMSTART
	v_pk_add_f16 v0, v0, v1;

	;;#ASMEND
	s_nop 0
	;;#ASMSTART
	v_pk_add_f16 v0, v0, v2;

	;;#ASMEND
	;; [unrolled: 5-line block ×3, first 2 shown]
	s_nop 0
	v_lshrrev_b32_e32 v1, 16, v0
	v_and_b32_e32 v0, 0xffff, v0
	;;#ASMSTART
	v_cvt_f32_f16 v57, v0;
	;;#ASMEND
	;;#ASMSTART
	v_cvt_f32_f16 v58, v1;
	;;#ASMEND
	flat_load_dwordx2 v[52:53], v[48:49] offset:3072
	scratch_load_dwordx2 v[0:1], off, s32 offset:192 ; 8-byte Folded Reload
	s_waitcnt vmcnt(0) lgkmcnt(0)
	v_cmp_ne_u16_sdwa s[24:25], v52, v17 src0_sel:BYTE_0 src1_sel:DWORD
	flat_load_dword v50, v[0:1]
	v_mov_b32_e32 v1, 0
	v_mov_b32_e32 v0, 0
	s_and_saveexec_b64 s[22:23], s[24:25]
	s_cbranch_execz .LBB260_1126
; %bb.1121:                             ;   in Loop: Header=BB260_819 Depth=1
	v_cmp_ne_u16_sdwa s[26:27], v52, s28 src0_sel:BYTE_0 src1_sel:DWORD
	v_mov_b32_e32 v0, 0x8000
	s_and_saveexec_b64 s[24:25], s[26:27]
	s_cbranch_execz .LBB260_1125
; %bb.1122:                             ;   in Loop: Header=BB260_819 Depth=1
	v_and_b32_e32 v2, 0x7f, v52
	v_cmp_ne_u32_e32 vcc, s29, v2
	v_mov_b32_e32 v0, 0x7c01
	s_and_saveexec_b64 s[26:27], vcc
	s_cbranch_execz .LBB260_1124
; %bb.1123:                             ;   in Loop: Header=BB260_819 Depth=1
	v_and_b32_e32 v0, 7, v52
	v_ffbh_u32_e32 v16, v0
	v_min_u32_e32 v16, 32, v16
	v_lshrrev_b32_e32 v13, 3, v2
	v_subrev_u32_e32 v18, 28, v16
	v_sub_u32_e32 v16, 29, v16
	v_cmp_gt_u32_e32 vcc, 8, v2
	v_lshlrev_b64 v[18:19], v18, v[52:53]
	s_nop 0
	v_cndmask_b32_e32 v2, v13, v16, vcc
	v_lshl_add_u32 v2, v2, 10, v98
	v_lshlrev_b32_e32 v13, 8, v52
	v_and_b32_e32 v16, 7, v18
	v_and_b32_e32 v2, 0xfc00, v2
	v_cndmask_b32_e32 v0, v0, v16, vcc
	v_and_or_b32 v2, v13, s40, v2
	v_lshl_or_b32 v0, v0, 7, v2
.LBB260_1124:                           ;   in Loop: Header=BB260_819 Depth=1
	s_or_b64 exec, exec, s[26:27]
.LBB260_1125:                           ;   in Loop: Header=BB260_819 Depth=1
	s_or_b64 exec, exec, s[24:25]
.LBB260_1126:                           ;   in Loop: Header=BB260_819 Depth=1
	s_or_b64 exec, exec, s[22:23]
	v_lshrrev_b16_e32 v16, 8, v52
	v_cmp_ne_u16_e32 vcc, 0, v16
	s_and_saveexec_b64 s[22:23], vcc
	s_cbranch_execz .LBB260_1132
; %bb.1127:                             ;   in Loop: Header=BB260_819 Depth=1
	v_cmp_ne_u16_e32 vcc, s28, v16
	v_bfrev_b32_e32 v1, 1
	s_and_saveexec_b64 s[24:25], vcc
	s_cbranch_execz .LBB260_1131
; %bb.1128:                             ;   in Loop: Header=BB260_819 Depth=1
	v_and_b32_e32 v2, 0x7f, v16
	v_cmp_ne_u32_e32 vcc, s29, v2
	v_mov_b32_e32 v1, 0x7c010000
	s_and_saveexec_b64 s[26:27], vcc
	s_cbranch_execz .LBB260_1130
; %bb.1129:                             ;   in Loop: Header=BB260_819 Depth=1
	v_and_b32_e32 v1, 7, v16
	v_ffbh_u32_e32 v18, v1
	v_min_u32_e32 v39, 32, v18
	v_subrev_u32_e32 v18, 28, v39
	v_lshlrev_b64 v[18:19], v18, v[16:17]
	v_lshrrev_b32_e32 v13, 3, v2
	v_sub_u32_e32 v19, 29, v39
	v_cmp_gt_u32_e32 vcc, 8, v2
	s_nop 1
	v_cndmask_b32_e32 v2, v13, v19, vcc
	v_lshlrev_b32_e32 v13, 8, v16
	v_lshl_add_u32 v2, v2, 10, v98
	v_and_b32_e32 v16, 7, v18
	v_and_or_b32 v2, v13, s40, v2
	v_cndmask_b32_e32 v1, v1, v16, vcc
	v_lshlrev_b32_e32 v2, 16, v2
	v_lshl_or_b32 v1, v1, 23, v2
.LBB260_1130:                           ;   in Loop: Header=BB260_819 Depth=1
	s_or_b64 exec, exec, s[26:27]
.LBB260_1131:                           ;   in Loop: Header=BB260_819 Depth=1
	s_or_b64 exec, exec, s[24:25]
.LBB260_1132:                           ;   in Loop: Header=BB260_819 Depth=1
	s_or_b64 exec, exec, s[22:23]
	v_lshrrev_b32_e32 v16, 16, v52
	v_cmp_ne_u16_sdwa s[24:25], v16, v17 src0_sel:BYTE_0 src1_sel:DWORD
	v_mov_b32_e32 v13, 0
	v_mov_b32_e32 v2, 0
	s_and_saveexec_b64 s[22:23], s[24:25]
	s_cbranch_execz .LBB260_1138
; %bb.1133:                             ;   in Loop: Header=BB260_819 Depth=1
	v_cmp_ne_u16_sdwa s[26:27], v16, s28 src0_sel:BYTE_0 src1_sel:DWORD
	v_mov_b32_e32 v2, 0x8000
	s_and_saveexec_b64 s[24:25], s[26:27]
	s_cbranch_execz .LBB260_1137
; %bb.1134:                             ;   in Loop: Header=BB260_819 Depth=1
	v_bfe_u32 v18, v52, 16, 7
	v_cmp_ne_u32_e32 vcc, s29, v18
	v_mov_b32_e32 v2, 0x7c01
	s_and_saveexec_b64 s[26:27], vcc
	s_cbranch_execz .LBB260_1136
; %bb.1135:                             ;   in Loop: Header=BB260_819 Depth=1
	v_and_b32_e32 v2, 7, v16
	v_ffbh_u32_e32 v39, v2
	v_min_u32_e32 v39, 32, v39
	v_lshrrev_b32_e32 v19, 3, v18
	v_subrev_u32_e32 v51, 28, v39
	v_sub_u32_e32 v39, 29, v39
	v_cmp_gt_u32_e32 vcc, 8, v18
	v_lshlrev_b64 v[54:55], v51, v[16:17]
	v_lshlrev_b32_e32 v16, 8, v16
	v_cndmask_b32_e32 v18, v19, v39, vcc
	v_lshl_add_u32 v18, v18, 10, v98
	v_and_b32_e32 v19, 7, v54
	v_and_b32_e32 v18, 0xfc00, v18
	v_cndmask_b32_e32 v2, v2, v19, vcc
	v_and_or_b32 v16, v16, s40, v18
	v_lshl_or_b32 v2, v2, 7, v16
.LBB260_1136:                           ;   in Loop: Header=BB260_819 Depth=1
	s_or_b64 exec, exec, s[26:27]
.LBB260_1137:                           ;   in Loop: Header=BB260_819 Depth=1
	s_or_b64 exec, exec, s[24:25]
.LBB260_1138:                           ;   in Loop: Header=BB260_819 Depth=1
	s_or_b64 exec, exec, s[22:23]
	v_cmp_lt_u32_e32 vcc, s7, v52
	s_and_saveexec_b64 s[22:23], vcc
	s_cbranch_execz .LBB260_1144
; %bb.1139:                             ;   in Loop: Header=BB260_819 Depth=1
	v_lshrrev_b32_e32 v16, 24, v52
	v_cmp_ne_u32_e32 vcc, s28, v16
	v_bfrev_b32_e32 v13, 1
	s_and_saveexec_b64 s[24:25], vcc
	s_cbranch_execz .LBB260_1143
; %bb.1140:                             ;   in Loop: Header=BB260_819 Depth=1
	v_and_b32_e32 v18, 0x7f, v16
	v_cmp_ne_u32_e32 vcc, s29, v18
	v_mov_b32_e32 v13, 0x7c010000
	s_and_saveexec_b64 s[26:27], vcc
	s_cbranch_execz .LBB260_1142
; %bb.1141:                             ;   in Loop: Header=BB260_819 Depth=1
	v_and_b32_e32 v13, 7, v16
	v_ffbh_u32_e32 v39, v13
	v_min_u32_e32 v39, 32, v39
	v_lshrrev_b32_e32 v19, 3, v18
	v_subrev_u32_e32 v51, 28, v39
	v_sub_u32_e32 v39, 29, v39
	v_cmp_gt_u32_e32 vcc, 8, v18
	v_lshlrev_b64 v[54:55], v51, v[16:17]
	v_lshlrev_b32_e32 v16, 8, v16
	v_cndmask_b32_e32 v18, v19, v39, vcc
	v_lshl_add_u32 v18, v18, 10, v98
	v_and_b32_e32 v19, 7, v54
	v_and_or_b32 v16, v16, s40, v18
	v_cndmask_b32_e32 v13, v13, v19, vcc
	v_lshlrev_b32_e32 v16, 16, v16
	v_lshl_or_b32 v13, v13, 23, v16
.LBB260_1142:                           ;   in Loop: Header=BB260_819 Depth=1
	s_or_b64 exec, exec, s[26:27]
.LBB260_1143:                           ;   in Loop: Header=BB260_819 Depth=1
	s_or_b64 exec, exec, s[24:25]
.LBB260_1144:                           ;   in Loop: Header=BB260_819 Depth=1
	s_or_b64 exec, exec, s[22:23]
	v_mov_b32_e32 v16, v53
	v_cmp_ne_u16_sdwa s[24:25], v53, v17 src0_sel:BYTE_0 src1_sel:DWORD
	v_mov_b32_e32 v18, 0
	v_mov_b32_e32 v51, 0
	s_and_saveexec_b64 s[22:23], s[24:25]
	s_cbranch_execz .LBB260_1150
; %bb.1145:                             ;   in Loop: Header=BB260_819 Depth=1
	v_cmp_ne_u16_sdwa s[26:27], v53, s28 src0_sel:BYTE_0 src1_sel:DWORD
	v_mov_b32_e32 v51, 0x8000
	s_and_saveexec_b64 s[24:25], s[26:27]
	s_cbranch_execz .LBB260_1149
; %bb.1146:                             ;   in Loop: Header=BB260_819 Depth=1
	v_and_b32_e32 v19, 0x7f, v53
	v_cmp_ne_u32_e32 vcc, s29, v19
	v_mov_b32_e32 v51, 0x7c01
	s_and_saveexec_b64 s[26:27], vcc
	s_cbranch_execz .LBB260_1148
; %bb.1147:                             ;   in Loop: Header=BB260_819 Depth=1
	v_and_b32_e32 v39, 7, v53
	v_ffbh_u32_e32 v54, v39
	v_min_u32_e32 v64, 32, v54
	v_subrev_u32_e32 v54, 28, v64
	v_lshlrev_b64 v[54:55], v54, v[16:17]
	v_lshrrev_b32_e32 v51, 3, v19
	v_sub_u32_e32 v55, 29, v64
	v_cmp_gt_u32_e32 vcc, 8, v19
	v_and_b32_e32 v54, 7, v54
	s_nop 0
	v_cndmask_b32_e32 v19, v51, v55, vcc
	v_lshl_add_u32 v19, v19, 10, v98
	v_lshlrev_b32_e32 v51, 8, v53
	v_and_b32_e32 v19, 0xfc00, v19
	v_cndmask_b32_e32 v39, v39, v54, vcc
	v_and_or_b32 v19, v51, s40, v19
	v_lshl_or_b32 v51, v39, 7, v19
.LBB260_1148:                           ;   in Loop: Header=BB260_819 Depth=1
	s_or_b64 exec, exec, s[26:27]
.LBB260_1149:                           ;   in Loop: Header=BB260_819 Depth=1
	s_or_b64 exec, exec, s[24:25]
.LBB260_1150:                           ;   in Loop: Header=BB260_819 Depth=1
	s_or_b64 exec, exec, s[22:23]
	v_lshrrev_b16_e32 v16, 8, v16
	v_cmp_ne_u16_e32 vcc, 0, v16
	v_mov_b32_e32 v55, 0
	s_and_saveexec_b64 s[22:23], vcc
	s_cbranch_execz .LBB260_1156
; %bb.1151:                             ;   in Loop: Header=BB260_819 Depth=1
	v_cmp_ne_u16_e32 vcc, s28, v16
	v_bfrev_b32_e32 v55, 1
	s_and_saveexec_b64 s[24:25], vcc
	s_cbranch_execz .LBB260_1155
; %bb.1152:                             ;   in Loop: Header=BB260_819 Depth=1
	v_and_b32_e32 v19, 0x7f, v16
	v_cmp_ne_u32_e32 vcc, s29, v19
	v_mov_b32_e32 v55, 0x7c010000
	s_and_saveexec_b64 s[26:27], vcc
	s_cbranch_execz .LBB260_1154
; %bb.1153:                             ;   in Loop: Header=BB260_819 Depth=1
	v_and_b32_e32 v39, 7, v16
	v_ffbh_u32_e32 v54, v39
	v_min_u32_e32 v65, 32, v54
	v_subrev_u32_e32 v54, 28, v65
	v_lshlrev_b64 v[54:55], v54, v[16:17]
	v_lshrrev_b32_e32 v64, 3, v19
	v_sub_u32_e32 v55, 29, v65
	v_cmp_gt_u32_e32 vcc, 8, v19
	v_lshlrev_b32_e32 v16, 8, v16
	v_and_b32_e32 v54, 7, v54
	v_cndmask_b32_e32 v19, v64, v55, vcc
	v_lshl_add_u32 v19, v19, 10, v98
	v_and_or_b32 v16, v16, s40, v19
	v_cndmask_b32_e32 v39, v39, v54, vcc
	v_lshlrev_b32_e32 v16, 16, v16
	v_lshl_or_b32 v55, v39, 23, v16
.LBB260_1154:                           ;   in Loop: Header=BB260_819 Depth=1
	s_or_b64 exec, exec, s[26:27]
.LBB260_1155:                           ;   in Loop: Header=BB260_819 Depth=1
	s_or_b64 exec, exec, s[24:25]
.LBB260_1156:                           ;   in Loop: Header=BB260_819 Depth=1
	s_or_b64 exec, exec, s[22:23]
	v_lshrrev_b32_e32 v16, 16, v53
	v_cmp_ne_u16_sdwa s[24:25], v16, v17 src0_sel:BYTE_0 src1_sel:DWORD
	s_and_saveexec_b64 s[22:23], s[24:25]
	s_cbranch_execz .LBB260_1162
; %bb.1157:                             ;   in Loop: Header=BB260_819 Depth=1
	v_cmp_ne_u16_sdwa s[26:27], v16, s28 src0_sel:BYTE_0 src1_sel:DWORD
	v_mov_b32_e32 v18, 0x8000
	s_and_saveexec_b64 s[24:25], s[26:27]
	s_cbranch_execz .LBB260_1161
; %bb.1158:                             ;   in Loop: Header=BB260_819 Depth=1
	v_bfe_u32 v19, v53, 16, 7
	v_cmp_ne_u32_e32 vcc, s29, v19
	v_mov_b32_e32 v18, 0x7c01
	s_and_saveexec_b64 s[26:27], vcc
	s_cbranch_execz .LBB260_1160
; %bb.1159:                             ;   in Loop: Header=BB260_819 Depth=1
	v_and_b32_e32 v18, 7, v16
	v_ffbh_u32_e32 v54, v18
	v_min_u32_e32 v54, 32, v54
	v_lshrrev_b32_e32 v39, 3, v19
	v_subrev_u32_e32 v64, 28, v54
	v_sub_u32_e32 v54, 29, v54
	v_cmp_gt_u32_e32 vcc, 8, v19
	v_lshlrev_b64 v[64:65], v64, v[16:17]
	v_lshlrev_b32_e32 v16, 8, v16
	v_cndmask_b32_e32 v19, v39, v54, vcc
	v_lshl_add_u32 v19, v19, 10, v98
	v_and_b32_e32 v39, 7, v64
	v_and_b32_e32 v19, 0xfc00, v19
	v_cndmask_b32_e32 v18, v18, v39, vcc
	v_and_or_b32 v16, v16, s40, v19
	v_lshl_or_b32 v18, v18, 7, v16
.LBB260_1160:                           ;   in Loop: Header=BB260_819 Depth=1
	s_or_b64 exec, exec, s[26:27]
.LBB260_1161:                           ;   in Loop: Header=BB260_819 Depth=1
	s_or_b64 exec, exec, s[24:25]
.LBB260_1162:                           ;   in Loop: Header=BB260_819 Depth=1
	s_or_b64 exec, exec, s[22:23]
	v_cmp_lt_u64_e32 vcc, s[6:7], v[52:53]
	v_mov_b32_e32 v52, 0
	s_and_saveexec_b64 s[22:23], vcc
	s_cbranch_execz .LBB260_1168
; %bb.1163:                             ;   in Loop: Header=BB260_819 Depth=1
	v_lshrrev_b32_e32 v16, 24, v53
	v_cmp_ne_u32_e32 vcc, s28, v16
	v_bfrev_b32_e32 v52, 1
	s_and_saveexec_b64 s[24:25], vcc
	s_cbranch_execz .LBB260_1167
; %bb.1164:                             ;   in Loop: Header=BB260_819 Depth=1
	v_and_b32_e32 v19, 0x7f, v16
	v_cmp_ne_u32_e32 vcc, s29, v19
	v_mov_b32_e32 v52, 0x7c010000
	s_and_saveexec_b64 s[26:27], vcc
	s_cbranch_execz .LBB260_1166
; %bb.1165:                             ;   in Loop: Header=BB260_819 Depth=1
	v_and_b32_e32 v39, 7, v16
	v_ffbh_u32_e32 v52, v39
	v_min_u32_e32 v64, 32, v52
	v_subrev_u32_e32 v52, 28, v64
	v_lshlrev_b64 v[52:53], v52, v[16:17]
	v_lshrrev_b32_e32 v54, 3, v19
	v_sub_u32_e32 v53, 29, v64
	v_cmp_gt_u32_e32 vcc, 8, v19
	v_lshlrev_b32_e32 v16, 8, v16
	v_and_b32_e32 v52, 7, v52
	v_cndmask_b32_e32 v19, v54, v53, vcc
	v_lshl_add_u32 v19, v19, 10, v98
	v_and_or_b32 v16, v16, s40, v19
	v_cndmask_b32_e32 v39, v39, v52, vcc
	v_lshlrev_b32_e32 v16, 16, v16
	v_lshl_or_b32 v52, v39, 23, v16
.LBB260_1166:                           ;   in Loop: Header=BB260_819 Depth=1
	s_or_b64 exec, exec, s[26:27]
.LBB260_1167:                           ;   in Loop: Header=BB260_819 Depth=1
	s_or_b64 exec, exec, s[24:25]
.LBB260_1168:                           ;   in Loop: Header=BB260_819 Depth=1
	s_or_b64 exec, exec, s[22:23]
	v_cvt_f32_f16_sdwa v65, v1 dst_sel:DWORD dst_unused:UNUSED_PAD src0_sel:WORD_1
	v_cvt_f32_f16_sdwa v64, v13 dst_sel:DWORD dst_unused:UNUSED_PAD src0_sel:WORD_1
	v_or_b32_e32 v16, v1, v0
	v_or_b32_e32 v2, v13, v2
	s_waitcnt vmcnt(0) lgkmcnt(0)
	v_pk_mul_f32 v[0:1], v[50:51], v[64:65] op_sel_hi:[0,1]
	v_cvt_f32_f16_e32 v64, v2
	v_cvt_f32_f16_e32 v65, v16
	v_cvt_pk_f16_f32 v0, v0, v1
	v_and_b32_e32 v19, 0xffff0000, v0
	v_lshlrev_b32_e32 v16, 16, v0
	v_pk_mul_f32 v[0:1], v[50:51], v[64:65] op_sel_hi:[0,1]
	v_cvt_pk_f16_f32 v0, v0, v1
	v_lshrrev_b32_e32 v39, 16, v0
	v_and_b32_e32 v54, 0xffff, v0
	v_or_b32_e32 v1, v55, v51
	v_or_b32_e32 v0, v52, v18
	v_cvt_f32_f16_e32 v0, v0
	v_cvt_f32_f16_e32 v1, v1
	v_cvt_f32_f16_sdwa v65, v55 dst_sel:DWORD dst_unused:UNUSED_PAD src0_sel:WORD_1
	v_cvt_f32_f16_sdwa v64, v52 dst_sel:DWORD dst_unused:UNUSED_PAD src0_sel:WORD_1
	v_or_b32_e32 v13, v19, v39
	v_pk_mul_f32 v[0:1], v[50:51], v[0:1] op_sel_hi:[0,1]
	v_cvt_pk_f16_f32 v2, v0, v1
	v_pk_mul_f32 v[0:1], v[50:51], v[64:65] op_sel_hi:[0,1]
	v_cvt_pk_f16_f32 v0, v0, v1
	v_and_b32_e32 v51, 0xffff0000, v0
	v_lshlrev_b32_e32 v50, 16, v0
	v_lshrrev_b32_e32 v53, 16, v2
	v_and_b32_e32 v64, 0xffff, v2
	v_or_b32_e32 v52, v16, v54
	v_or_b32_e32 v55, v51, v53
	v_or_b32_e32 v66, v50, v64
	s_and_saveexec_b64 s[22:23], s[2:3]
	s_cbranch_execz .LBB260_1170
; %bb.1169:                             ;   in Loop: Header=BB260_819 Depth=1
	v_cmp_lt_i32_e32 vcc, v99, v3
	s_nop 1
	v_cndmask_b32_e32 v0, 0, v39, vcc
	v_cmp_lt_i32_e32 vcc, v118, v12
	s_nop 1
	v_cndmask_b32_e32 v1, 0, v54, vcc
	;; [unrolled: 3-line block ×3, first 2 shown]
	v_cmp_lt_i32_e32 vcc, v116, v12
	v_or_b32_e32 v13, v0, v2
	s_nop 0
	v_cndmask_b32_e32 v16, 0, v16, vcc
	v_cmp_lt_i32_e32 vcc, v115, v3
	v_or_b32_e32 v52, v1, v16
	s_nop 0
	v_cndmask_b32_e32 v0, 0, v53, vcc
	v_cmp_lt_i32_e32 vcc, v114, v12
	s_nop 1
	v_cndmask_b32_e32 v1, 0, v64, vcc
	v_cmp_lt_i32_e32 vcc, v113, v3
	;; [unrolled: 3-line block ×3, first 2 shown]
	v_or_b32_e32 v55, v0, v2
	s_nop 0
	v_cndmask_b32_e32 v16, 0, v50, vcc
	v_or_b32_e32 v66, v1, v16
.LBB260_1170:                           ;   in Loop: Header=BB260_819 Depth=1
	s_or_b64 exec, exec, s[22:23]
	;;#ASMSTART
	v_pk_mul_f16 v0, v112, v13;

	;;#ASMEND
	;;#ASMSTART
	v_pk_mul_f16 v1, v102, v52;

	;;#ASMEND
	;; [unrolled: 4-line block ×4, first 2 shown]
	s_nop 0
	;;#ASMSTART
	v_pk_add_f16 v0, v0, v1;

	;;#ASMEND
	s_nop 0
	;;#ASMSTART
	v_pk_add_f16 v0, v0, v2;

	;;#ASMEND
	;; [unrolled: 5-line block ×3, first 2 shown]
	s_nop 0
	v_lshrrev_b32_e32 v1, 16, v0
	v_and_b32_e32 v0, 0xffff, v0
	;;#ASMSTART
	v_cvt_f32_f16 v59, v0;
	;;#ASMEND
	;;#ASMSTART
	v_cvt_f32_f16 v60, v1;
	;;#ASMEND
	flat_load_dwordx2 v[52:53], v[48:49] offset:3584
	scratch_load_dwordx2 v[0:1], off, s32 offset:192 ; 8-byte Folded Reload
	s_waitcnt vmcnt(0) lgkmcnt(0)
	v_cmp_ne_u16_sdwa s[24:25], v52, v17 src0_sel:BYTE_0 src1_sel:DWORD
	flat_load_dword v50, v[0:1]
	v_mov_b32_e32 v1, 0
	v_mov_b32_e32 v0, 0
	s_and_saveexec_b64 s[22:23], s[24:25]
	s_cbranch_execz .LBB260_1176
; %bb.1171:                             ;   in Loop: Header=BB260_819 Depth=1
	v_cmp_ne_u16_sdwa s[26:27], v52, s28 src0_sel:BYTE_0 src1_sel:DWORD
	v_mov_b32_e32 v0, 0x8000
	s_and_saveexec_b64 s[24:25], s[26:27]
	s_cbranch_execz .LBB260_1175
; %bb.1172:                             ;   in Loop: Header=BB260_819 Depth=1
	v_and_b32_e32 v2, 0x7f, v52
	v_cmp_ne_u32_e32 vcc, s29, v2
	v_mov_b32_e32 v0, 0x7c01
	s_and_saveexec_b64 s[26:27], vcc
	s_cbranch_execz .LBB260_1174
; %bb.1173:                             ;   in Loop: Header=BB260_819 Depth=1
	v_and_b32_e32 v0, 7, v52
	v_ffbh_u32_e32 v16, v0
	v_min_u32_e32 v16, 32, v16
	v_lshrrev_b32_e32 v13, 3, v2
	v_subrev_u32_e32 v18, 28, v16
	v_sub_u32_e32 v16, 29, v16
	v_cmp_gt_u32_e32 vcc, 8, v2
	v_lshlrev_b64 v[18:19], v18, v[52:53]
	s_nop 0
	v_cndmask_b32_e32 v2, v13, v16, vcc
	v_lshl_add_u32 v2, v2, 10, v98
	v_lshlrev_b32_e32 v13, 8, v52
	v_and_b32_e32 v16, 7, v18
	v_and_b32_e32 v2, 0xfc00, v2
	v_cndmask_b32_e32 v0, v0, v16, vcc
	v_and_or_b32 v2, v13, s40, v2
	v_lshl_or_b32 v0, v0, 7, v2
.LBB260_1174:                           ;   in Loop: Header=BB260_819 Depth=1
	s_or_b64 exec, exec, s[26:27]
.LBB260_1175:                           ;   in Loop: Header=BB260_819 Depth=1
	s_or_b64 exec, exec, s[24:25]
.LBB260_1176:                           ;   in Loop: Header=BB260_819 Depth=1
	s_or_b64 exec, exec, s[22:23]
	v_lshrrev_b16_e32 v16, 8, v52
	v_cmp_ne_u16_e32 vcc, 0, v16
	s_and_saveexec_b64 s[22:23], vcc
	s_cbranch_execz .LBB260_1182
; %bb.1177:                             ;   in Loop: Header=BB260_819 Depth=1
	v_cmp_ne_u16_e32 vcc, s28, v16
	v_bfrev_b32_e32 v1, 1
	s_and_saveexec_b64 s[24:25], vcc
	s_cbranch_execz .LBB260_1181
; %bb.1178:                             ;   in Loop: Header=BB260_819 Depth=1
	v_and_b32_e32 v2, 0x7f, v16
	v_cmp_ne_u32_e32 vcc, s29, v2
	v_mov_b32_e32 v1, 0x7c010000
	s_and_saveexec_b64 s[26:27], vcc
	s_cbranch_execz .LBB260_1180
; %bb.1179:                             ;   in Loop: Header=BB260_819 Depth=1
	v_and_b32_e32 v1, 7, v16
	v_ffbh_u32_e32 v18, v1
	v_min_u32_e32 v39, 32, v18
	v_subrev_u32_e32 v18, 28, v39
	v_lshlrev_b64 v[18:19], v18, v[16:17]
	v_lshrrev_b32_e32 v13, 3, v2
	v_sub_u32_e32 v19, 29, v39
	v_cmp_gt_u32_e32 vcc, 8, v2
	s_nop 1
	v_cndmask_b32_e32 v2, v13, v19, vcc
	v_lshlrev_b32_e32 v13, 8, v16
	v_lshl_add_u32 v2, v2, 10, v98
	v_and_b32_e32 v16, 7, v18
	v_and_or_b32 v2, v13, s40, v2
	v_cndmask_b32_e32 v1, v1, v16, vcc
	v_lshlrev_b32_e32 v2, 16, v2
	v_lshl_or_b32 v1, v1, 23, v2
.LBB260_1180:                           ;   in Loop: Header=BB260_819 Depth=1
	s_or_b64 exec, exec, s[26:27]
.LBB260_1181:                           ;   in Loop: Header=BB260_819 Depth=1
	s_or_b64 exec, exec, s[24:25]
.LBB260_1182:                           ;   in Loop: Header=BB260_819 Depth=1
	s_or_b64 exec, exec, s[22:23]
	v_lshrrev_b32_e32 v16, 16, v52
	v_cmp_ne_u16_sdwa s[24:25], v16, v17 src0_sel:BYTE_0 src1_sel:DWORD
	v_mov_b32_e32 v13, 0
	v_mov_b32_e32 v2, 0
	s_and_saveexec_b64 s[22:23], s[24:25]
	s_cbranch_execz .LBB260_1188
; %bb.1183:                             ;   in Loop: Header=BB260_819 Depth=1
	v_cmp_ne_u16_sdwa s[26:27], v16, s28 src0_sel:BYTE_0 src1_sel:DWORD
	v_mov_b32_e32 v2, 0x8000
	s_and_saveexec_b64 s[24:25], s[26:27]
	s_cbranch_execz .LBB260_1187
; %bb.1184:                             ;   in Loop: Header=BB260_819 Depth=1
	v_bfe_u32 v18, v52, 16, 7
	v_cmp_ne_u32_e32 vcc, s29, v18
	v_mov_b32_e32 v2, 0x7c01
	s_and_saveexec_b64 s[26:27], vcc
	s_cbranch_execz .LBB260_1186
; %bb.1185:                             ;   in Loop: Header=BB260_819 Depth=1
	v_and_b32_e32 v2, 7, v16
	v_ffbh_u32_e32 v39, v2
	v_min_u32_e32 v39, 32, v39
	v_lshrrev_b32_e32 v19, 3, v18
	v_subrev_u32_e32 v51, 28, v39
	v_sub_u32_e32 v39, 29, v39
	v_cmp_gt_u32_e32 vcc, 8, v18
	v_lshlrev_b64 v[54:55], v51, v[16:17]
	v_lshlrev_b32_e32 v16, 8, v16
	v_cndmask_b32_e32 v18, v19, v39, vcc
	v_lshl_add_u32 v18, v18, 10, v98
	v_and_b32_e32 v19, 7, v54
	v_and_b32_e32 v18, 0xfc00, v18
	v_cndmask_b32_e32 v2, v2, v19, vcc
	v_and_or_b32 v16, v16, s40, v18
	v_lshl_or_b32 v2, v2, 7, v16
.LBB260_1186:                           ;   in Loop: Header=BB260_819 Depth=1
	s_or_b64 exec, exec, s[26:27]
.LBB260_1187:                           ;   in Loop: Header=BB260_819 Depth=1
	s_or_b64 exec, exec, s[24:25]
.LBB260_1188:                           ;   in Loop: Header=BB260_819 Depth=1
	s_or_b64 exec, exec, s[22:23]
	v_cmp_lt_u32_e32 vcc, s7, v52
	s_and_saveexec_b64 s[22:23], vcc
	s_cbranch_execz .LBB260_1194
; %bb.1189:                             ;   in Loop: Header=BB260_819 Depth=1
	v_lshrrev_b32_e32 v16, 24, v52
	v_cmp_ne_u32_e32 vcc, s28, v16
	v_bfrev_b32_e32 v13, 1
	s_and_saveexec_b64 s[24:25], vcc
	s_cbranch_execz .LBB260_1193
; %bb.1190:                             ;   in Loop: Header=BB260_819 Depth=1
	v_and_b32_e32 v18, 0x7f, v16
	v_cmp_ne_u32_e32 vcc, s29, v18
	v_mov_b32_e32 v13, 0x7c010000
	s_and_saveexec_b64 s[26:27], vcc
	s_cbranch_execz .LBB260_1192
; %bb.1191:                             ;   in Loop: Header=BB260_819 Depth=1
	v_and_b32_e32 v13, 7, v16
	v_ffbh_u32_e32 v39, v13
	v_min_u32_e32 v39, 32, v39
	v_lshrrev_b32_e32 v19, 3, v18
	v_subrev_u32_e32 v51, 28, v39
	v_sub_u32_e32 v39, 29, v39
	v_cmp_gt_u32_e32 vcc, 8, v18
	v_lshlrev_b64 v[54:55], v51, v[16:17]
	v_lshlrev_b32_e32 v16, 8, v16
	v_cndmask_b32_e32 v18, v19, v39, vcc
	v_lshl_add_u32 v18, v18, 10, v98
	v_and_b32_e32 v19, 7, v54
	v_and_or_b32 v16, v16, s40, v18
	v_cndmask_b32_e32 v13, v13, v19, vcc
	v_lshlrev_b32_e32 v16, 16, v16
	v_lshl_or_b32 v13, v13, 23, v16
.LBB260_1192:                           ;   in Loop: Header=BB260_819 Depth=1
	s_or_b64 exec, exec, s[26:27]
.LBB260_1193:                           ;   in Loop: Header=BB260_819 Depth=1
	s_or_b64 exec, exec, s[24:25]
.LBB260_1194:                           ;   in Loop: Header=BB260_819 Depth=1
	s_or_b64 exec, exec, s[22:23]
	v_mov_b32_e32 v16, v53
	v_cmp_ne_u16_sdwa s[24:25], v53, v17 src0_sel:BYTE_0 src1_sel:DWORD
	v_mov_b32_e32 v18, 0
	v_mov_b32_e32 v51, 0
	s_and_saveexec_b64 s[22:23], s[24:25]
	s_cbranch_execz .LBB260_1200
; %bb.1195:                             ;   in Loop: Header=BB260_819 Depth=1
	v_cmp_ne_u16_sdwa s[26:27], v53, s28 src0_sel:BYTE_0 src1_sel:DWORD
	v_mov_b32_e32 v51, 0x8000
	s_and_saveexec_b64 s[24:25], s[26:27]
	s_cbranch_execz .LBB260_1199
; %bb.1196:                             ;   in Loop: Header=BB260_819 Depth=1
	v_and_b32_e32 v19, 0x7f, v53
	v_cmp_ne_u32_e32 vcc, s29, v19
	v_mov_b32_e32 v51, 0x7c01
	s_and_saveexec_b64 s[26:27], vcc
	s_cbranch_execz .LBB260_1198
; %bb.1197:                             ;   in Loop: Header=BB260_819 Depth=1
	v_and_b32_e32 v39, 7, v53
	v_ffbh_u32_e32 v54, v39
	v_min_u32_e32 v64, 32, v54
	v_subrev_u32_e32 v54, 28, v64
	v_lshlrev_b64 v[54:55], v54, v[16:17]
	v_lshrrev_b32_e32 v51, 3, v19
	v_sub_u32_e32 v55, 29, v64
	v_cmp_gt_u32_e32 vcc, 8, v19
	v_and_b32_e32 v54, 7, v54
	s_nop 0
	v_cndmask_b32_e32 v19, v51, v55, vcc
	v_lshl_add_u32 v19, v19, 10, v98
	v_lshlrev_b32_e32 v51, 8, v53
	v_and_b32_e32 v19, 0xfc00, v19
	v_cndmask_b32_e32 v39, v39, v54, vcc
	v_and_or_b32 v19, v51, s40, v19
	v_lshl_or_b32 v51, v39, 7, v19
.LBB260_1198:                           ;   in Loop: Header=BB260_819 Depth=1
	s_or_b64 exec, exec, s[26:27]
.LBB260_1199:                           ;   in Loop: Header=BB260_819 Depth=1
	s_or_b64 exec, exec, s[24:25]
.LBB260_1200:                           ;   in Loop: Header=BB260_819 Depth=1
	s_or_b64 exec, exec, s[22:23]
	v_lshrrev_b16_e32 v16, 8, v16
	v_cmp_ne_u16_e32 vcc, 0, v16
	v_mov_b32_e32 v55, 0
	s_and_saveexec_b64 s[22:23], vcc
	s_cbranch_execz .LBB260_1206
; %bb.1201:                             ;   in Loop: Header=BB260_819 Depth=1
	v_cmp_ne_u16_e32 vcc, s28, v16
	v_bfrev_b32_e32 v55, 1
	s_and_saveexec_b64 s[24:25], vcc
	s_cbranch_execz .LBB260_1205
; %bb.1202:                             ;   in Loop: Header=BB260_819 Depth=1
	v_and_b32_e32 v19, 0x7f, v16
	v_cmp_ne_u32_e32 vcc, s29, v19
	v_mov_b32_e32 v55, 0x7c010000
	s_and_saveexec_b64 s[26:27], vcc
	s_cbranch_execz .LBB260_1204
; %bb.1203:                             ;   in Loop: Header=BB260_819 Depth=1
	v_and_b32_e32 v39, 7, v16
	v_ffbh_u32_e32 v54, v39
	v_min_u32_e32 v65, 32, v54
	v_subrev_u32_e32 v54, 28, v65
	v_lshlrev_b64 v[54:55], v54, v[16:17]
	v_lshrrev_b32_e32 v64, 3, v19
	v_sub_u32_e32 v55, 29, v65
	v_cmp_gt_u32_e32 vcc, 8, v19
	v_lshlrev_b32_e32 v16, 8, v16
	v_and_b32_e32 v54, 7, v54
	v_cndmask_b32_e32 v19, v64, v55, vcc
	v_lshl_add_u32 v19, v19, 10, v98
	v_and_or_b32 v16, v16, s40, v19
	v_cndmask_b32_e32 v39, v39, v54, vcc
	v_lshlrev_b32_e32 v16, 16, v16
	v_lshl_or_b32 v55, v39, 23, v16
.LBB260_1204:                           ;   in Loop: Header=BB260_819 Depth=1
	s_or_b64 exec, exec, s[26:27]
.LBB260_1205:                           ;   in Loop: Header=BB260_819 Depth=1
	s_or_b64 exec, exec, s[24:25]
.LBB260_1206:                           ;   in Loop: Header=BB260_819 Depth=1
	s_or_b64 exec, exec, s[22:23]
	v_lshrrev_b32_e32 v16, 16, v53
	v_cmp_ne_u16_sdwa s[24:25], v16, v17 src0_sel:BYTE_0 src1_sel:DWORD
	s_and_saveexec_b64 s[22:23], s[24:25]
	s_cbranch_execz .LBB260_1212
; %bb.1207:                             ;   in Loop: Header=BB260_819 Depth=1
	v_cmp_ne_u16_sdwa s[26:27], v16, s28 src0_sel:BYTE_0 src1_sel:DWORD
	v_mov_b32_e32 v18, 0x8000
	s_and_saveexec_b64 s[24:25], s[26:27]
	s_cbranch_execz .LBB260_1211
; %bb.1208:                             ;   in Loop: Header=BB260_819 Depth=1
	v_bfe_u32 v19, v53, 16, 7
	v_cmp_ne_u32_e32 vcc, s29, v19
	v_mov_b32_e32 v18, 0x7c01
	s_and_saveexec_b64 s[26:27], vcc
	s_cbranch_execz .LBB260_1210
; %bb.1209:                             ;   in Loop: Header=BB260_819 Depth=1
	v_and_b32_e32 v18, 7, v16
	v_ffbh_u32_e32 v54, v18
	v_min_u32_e32 v54, 32, v54
	v_lshrrev_b32_e32 v39, 3, v19
	v_subrev_u32_e32 v64, 28, v54
	v_sub_u32_e32 v54, 29, v54
	v_cmp_gt_u32_e32 vcc, 8, v19
	v_lshlrev_b64 v[64:65], v64, v[16:17]
	v_lshlrev_b32_e32 v16, 8, v16
	v_cndmask_b32_e32 v19, v39, v54, vcc
	v_lshl_add_u32 v19, v19, 10, v98
	v_and_b32_e32 v39, 7, v64
	v_and_b32_e32 v19, 0xfc00, v19
	v_cndmask_b32_e32 v18, v18, v39, vcc
	v_and_or_b32 v16, v16, s40, v19
	v_lshl_or_b32 v18, v18, 7, v16
.LBB260_1210:                           ;   in Loop: Header=BB260_819 Depth=1
	s_or_b64 exec, exec, s[26:27]
.LBB260_1211:                           ;   in Loop: Header=BB260_819 Depth=1
	s_or_b64 exec, exec, s[24:25]
.LBB260_1212:                           ;   in Loop: Header=BB260_819 Depth=1
	s_or_b64 exec, exec, s[22:23]
	v_cmp_lt_u64_e32 vcc, s[6:7], v[52:53]
	v_mov_b32_e32 v52, 0
	s_and_saveexec_b64 s[22:23], vcc
	s_cbranch_execz .LBB260_1218
; %bb.1213:                             ;   in Loop: Header=BB260_819 Depth=1
	v_lshrrev_b32_e32 v16, 24, v53
	v_cmp_ne_u32_e32 vcc, s28, v16
	v_bfrev_b32_e32 v52, 1
	s_and_saveexec_b64 s[24:25], vcc
	s_cbranch_execz .LBB260_1217
; %bb.1214:                             ;   in Loop: Header=BB260_819 Depth=1
	v_and_b32_e32 v19, 0x7f, v16
	v_cmp_ne_u32_e32 vcc, s29, v19
	v_mov_b32_e32 v52, 0x7c010000
	s_and_saveexec_b64 s[26:27], vcc
	s_cbranch_execz .LBB260_1216
; %bb.1215:                             ;   in Loop: Header=BB260_819 Depth=1
	v_and_b32_e32 v39, 7, v16
	v_ffbh_u32_e32 v52, v39
	v_min_u32_e32 v64, 32, v52
	v_subrev_u32_e32 v52, 28, v64
	v_lshlrev_b64 v[52:53], v52, v[16:17]
	v_lshrrev_b32_e32 v54, 3, v19
	v_sub_u32_e32 v53, 29, v64
	v_cmp_gt_u32_e32 vcc, 8, v19
	v_lshlrev_b32_e32 v16, 8, v16
	v_and_b32_e32 v52, 7, v52
	v_cndmask_b32_e32 v19, v54, v53, vcc
	v_lshl_add_u32 v19, v19, 10, v98
	v_and_or_b32 v16, v16, s40, v19
	v_cndmask_b32_e32 v39, v39, v52, vcc
	v_lshlrev_b32_e32 v16, 16, v16
	v_lshl_or_b32 v52, v39, 23, v16
.LBB260_1216:                           ;   in Loop: Header=BB260_819 Depth=1
	s_or_b64 exec, exec, s[26:27]
.LBB260_1217:                           ;   in Loop: Header=BB260_819 Depth=1
	s_or_b64 exec, exec, s[24:25]
.LBB260_1218:                           ;   in Loop: Header=BB260_819 Depth=1
	s_or_b64 exec, exec, s[22:23]
	v_cvt_f32_f16_sdwa v65, v1 dst_sel:DWORD dst_unused:UNUSED_PAD src0_sel:WORD_1
	v_cvt_f32_f16_sdwa v64, v13 dst_sel:DWORD dst_unused:UNUSED_PAD src0_sel:WORD_1
	v_or_b32_e32 v16, v1, v0
	v_or_b32_e32 v2, v13, v2
	s_waitcnt vmcnt(0) lgkmcnt(0)
	v_pk_mul_f32 v[0:1], v[50:51], v[64:65] op_sel_hi:[0,1]
	v_cvt_f32_f16_e32 v64, v2
	v_cvt_f32_f16_e32 v65, v16
	v_cvt_pk_f16_f32 v0, v0, v1
	v_and_b32_e32 v19, 0xffff0000, v0
	v_lshlrev_b32_e32 v16, 16, v0
	v_pk_mul_f32 v[0:1], v[50:51], v[64:65] op_sel_hi:[0,1]
	v_cvt_pk_f16_f32 v0, v0, v1
	v_lshrrev_b32_e32 v39, 16, v0
	v_and_b32_e32 v54, 0xffff, v0
	v_or_b32_e32 v1, v55, v51
	v_or_b32_e32 v0, v52, v18
	v_cvt_f32_f16_e32 v0, v0
	v_cvt_f32_f16_e32 v1, v1
	v_cvt_f32_f16_sdwa v65, v55 dst_sel:DWORD dst_unused:UNUSED_PAD src0_sel:WORD_1
	v_cvt_f32_f16_sdwa v64, v52 dst_sel:DWORD dst_unused:UNUSED_PAD src0_sel:WORD_1
	v_or_b32_e32 v13, v19, v39
	v_pk_mul_f32 v[0:1], v[50:51], v[0:1] op_sel_hi:[0,1]
	v_cvt_pk_f16_f32 v2, v0, v1
	v_pk_mul_f32 v[0:1], v[50:51], v[64:65] op_sel_hi:[0,1]
	v_cvt_pk_f16_f32 v0, v0, v1
	v_and_b32_e32 v51, 0xffff0000, v0
	v_lshlrev_b32_e32 v50, 16, v0
	v_lshrrev_b32_e32 v53, 16, v2
	v_and_b32_e32 v64, 0xffff, v2
	v_or_b32_e32 v52, v16, v54
	v_or_b32_e32 v55, v51, v53
	v_or_b32_e32 v66, v50, v64
	s_and_saveexec_b64 s[22:23], s[2:3]
	s_cbranch_execz .LBB260_1220
; %bb.1219:                             ;   in Loop: Header=BB260_819 Depth=1
	v_cmp_lt_i32_e32 vcc, v99, v3
	s_nop 1
	v_cndmask_b32_e32 v0, 0, v39, vcc
	v_cmp_lt_i32_e32 vcc, v118, v12
	s_nop 1
	v_cndmask_b32_e32 v1, 0, v54, vcc
	;; [unrolled: 3-line block ×3, first 2 shown]
	v_cmp_lt_i32_e32 vcc, v116, v12
	v_or_b32_e32 v13, v0, v2
	s_nop 0
	v_cndmask_b32_e32 v16, 0, v16, vcc
	v_cmp_lt_i32_e32 vcc, v115, v3
	v_or_b32_e32 v52, v1, v16
	s_nop 0
	v_cndmask_b32_e32 v0, 0, v53, vcc
	v_cmp_lt_i32_e32 vcc, v114, v12
	s_nop 1
	v_cndmask_b32_e32 v1, 0, v64, vcc
	v_cmp_lt_i32_e32 vcc, v113, v3
	;; [unrolled: 3-line block ×3, first 2 shown]
	v_or_b32_e32 v55, v0, v2
	s_nop 0
	v_cndmask_b32_e32 v16, 0, v50, vcc
	v_or_b32_e32 v66, v1, v16
.LBB260_1220:                           ;   in Loop: Header=BB260_819 Depth=1
	s_or_b64 exec, exec, s[22:23]
	;;#ASMSTART
	v_pk_mul_f16 v0, v112, v13;

	;;#ASMEND
	;;#ASMSTART
	v_pk_mul_f16 v1, v102, v52;

	;;#ASMEND
	;; [unrolled: 4-line block ×4, first 2 shown]
	s_nop 0
	;;#ASMSTART
	v_pk_add_f16 v0, v0, v1;

	;;#ASMEND
	s_nop 0
	;;#ASMSTART
	v_pk_add_f16 v0, v0, v2;

	;;#ASMEND
	;; [unrolled: 5-line block ×3, first 2 shown]
	s_nop 0
	v_lshrrev_b32_e32 v1, 16, v0
	v_and_b32_e32 v0, 0xffff, v0
	;;#ASMSTART
	v_cvt_f32_f16 v61, v0;
	;;#ASMEND
	v_add_co_u32_e32 v0, vcc, 0x1000, v48
	;;#ASMSTART
	v_cvt_f32_f16 v62, v1;
	;;#ASMEND
	s_nop 1
	v_addc_co_u32_e32 v1, vcc, 0, v49, vcc
	flat_load_dwordx2 v[52:53], v[0:1]
	s_nop 0
	scratch_load_dwordx2 v[0:1], off, s32 offset:192 ; 8-byte Folded Reload
	s_waitcnt vmcnt(0) lgkmcnt(0)
	v_cmp_ne_u16_sdwa s[24:25], v52, v17 src0_sel:BYTE_0 src1_sel:DWORD
	flat_load_dword v50, v[0:1]
	v_mov_b32_e32 v1, 0
	v_mov_b32_e32 v0, 0
	s_and_saveexec_b64 s[22:23], s[24:25]
	s_cbranch_execz .LBB260_1226
; %bb.1221:                             ;   in Loop: Header=BB260_819 Depth=1
	v_cmp_ne_u16_sdwa s[26:27], v52, s28 src0_sel:BYTE_0 src1_sel:DWORD
	v_mov_b32_e32 v0, 0x8000
	s_and_saveexec_b64 s[24:25], s[26:27]
	s_cbranch_execz .LBB260_1225
; %bb.1222:                             ;   in Loop: Header=BB260_819 Depth=1
	v_and_b32_e32 v2, 0x7f, v52
	v_cmp_ne_u32_e32 vcc, s29, v2
	v_mov_b32_e32 v0, 0x7c01
	s_and_saveexec_b64 s[26:27], vcc
	s_cbranch_execz .LBB260_1224
; %bb.1223:                             ;   in Loop: Header=BB260_819 Depth=1
	v_and_b32_e32 v0, 7, v52
	v_ffbh_u32_e32 v16, v0
	v_min_u32_e32 v16, 32, v16
	v_lshrrev_b32_e32 v13, 3, v2
	v_subrev_u32_e32 v18, 28, v16
	v_sub_u32_e32 v16, 29, v16
	v_cmp_gt_u32_e32 vcc, 8, v2
	v_lshlrev_b64 v[18:19], v18, v[52:53]
	s_nop 0
	v_cndmask_b32_e32 v2, v13, v16, vcc
	v_lshl_add_u32 v2, v2, 10, v98
	v_lshlrev_b32_e32 v13, 8, v52
	v_and_b32_e32 v16, 7, v18
	v_and_b32_e32 v2, 0xfc00, v2
	v_cndmask_b32_e32 v0, v0, v16, vcc
	v_and_or_b32 v2, v13, s40, v2
	v_lshl_or_b32 v0, v0, 7, v2
.LBB260_1224:                           ;   in Loop: Header=BB260_819 Depth=1
	s_or_b64 exec, exec, s[26:27]
.LBB260_1225:                           ;   in Loop: Header=BB260_819 Depth=1
	s_or_b64 exec, exec, s[24:25]
.LBB260_1226:                           ;   in Loop: Header=BB260_819 Depth=1
	s_or_b64 exec, exec, s[22:23]
	v_lshrrev_b16_e32 v16, 8, v52
	v_cmp_ne_u16_e32 vcc, 0, v16
	s_and_saveexec_b64 s[22:23], vcc
	s_cbranch_execz .LBB260_1232
; %bb.1227:                             ;   in Loop: Header=BB260_819 Depth=1
	v_cmp_ne_u16_e32 vcc, s28, v16
	v_bfrev_b32_e32 v1, 1
	s_and_saveexec_b64 s[24:25], vcc
	s_cbranch_execz .LBB260_1231
; %bb.1228:                             ;   in Loop: Header=BB260_819 Depth=1
	v_and_b32_e32 v2, 0x7f, v16
	v_cmp_ne_u32_e32 vcc, s29, v2
	v_mov_b32_e32 v1, 0x7c010000
	s_and_saveexec_b64 s[26:27], vcc
	s_cbranch_execz .LBB260_1230
; %bb.1229:                             ;   in Loop: Header=BB260_819 Depth=1
	v_and_b32_e32 v1, 7, v16
	v_ffbh_u32_e32 v18, v1
	v_min_u32_e32 v39, 32, v18
	v_subrev_u32_e32 v18, 28, v39
	v_lshlrev_b64 v[18:19], v18, v[16:17]
	v_lshrrev_b32_e32 v13, 3, v2
	v_sub_u32_e32 v19, 29, v39
	v_cmp_gt_u32_e32 vcc, 8, v2
	s_nop 1
	v_cndmask_b32_e32 v2, v13, v19, vcc
	v_lshlrev_b32_e32 v13, 8, v16
	v_lshl_add_u32 v2, v2, 10, v98
	v_and_b32_e32 v16, 7, v18
	v_and_or_b32 v2, v13, s40, v2
	v_cndmask_b32_e32 v1, v1, v16, vcc
	v_lshlrev_b32_e32 v2, 16, v2
	v_lshl_or_b32 v1, v1, 23, v2
.LBB260_1230:                           ;   in Loop: Header=BB260_819 Depth=1
	s_or_b64 exec, exec, s[26:27]
.LBB260_1231:                           ;   in Loop: Header=BB260_819 Depth=1
	s_or_b64 exec, exec, s[24:25]
.LBB260_1232:                           ;   in Loop: Header=BB260_819 Depth=1
	s_or_b64 exec, exec, s[22:23]
	v_lshrrev_b32_e32 v16, 16, v52
	v_cmp_ne_u16_sdwa s[24:25], v16, v17 src0_sel:BYTE_0 src1_sel:DWORD
	v_mov_b32_e32 v13, 0
	v_mov_b32_e32 v2, 0
	s_and_saveexec_b64 s[22:23], s[24:25]
	s_cbranch_execz .LBB260_1238
; %bb.1233:                             ;   in Loop: Header=BB260_819 Depth=1
	v_cmp_ne_u16_sdwa s[26:27], v16, s28 src0_sel:BYTE_0 src1_sel:DWORD
	v_mov_b32_e32 v2, 0x8000
	s_and_saveexec_b64 s[24:25], s[26:27]
	s_cbranch_execz .LBB260_1237
; %bb.1234:                             ;   in Loop: Header=BB260_819 Depth=1
	v_bfe_u32 v18, v52, 16, 7
	v_cmp_ne_u32_e32 vcc, s29, v18
	v_mov_b32_e32 v2, 0x7c01
	s_and_saveexec_b64 s[26:27], vcc
	s_cbranch_execz .LBB260_1236
; %bb.1235:                             ;   in Loop: Header=BB260_819 Depth=1
	v_and_b32_e32 v2, 7, v16
	v_ffbh_u32_e32 v39, v2
	v_min_u32_e32 v39, 32, v39
	v_lshrrev_b32_e32 v19, 3, v18
	v_subrev_u32_e32 v51, 28, v39
	v_sub_u32_e32 v39, 29, v39
	v_cmp_gt_u32_e32 vcc, 8, v18
	v_lshlrev_b64 v[54:55], v51, v[16:17]
	v_lshlrev_b32_e32 v16, 8, v16
	v_cndmask_b32_e32 v18, v19, v39, vcc
	v_lshl_add_u32 v18, v18, 10, v98
	v_and_b32_e32 v19, 7, v54
	v_and_b32_e32 v18, 0xfc00, v18
	v_cndmask_b32_e32 v2, v2, v19, vcc
	v_and_or_b32 v16, v16, s40, v18
	v_lshl_or_b32 v2, v2, 7, v16
.LBB260_1236:                           ;   in Loop: Header=BB260_819 Depth=1
	s_or_b64 exec, exec, s[26:27]
.LBB260_1237:                           ;   in Loop: Header=BB260_819 Depth=1
	s_or_b64 exec, exec, s[24:25]
.LBB260_1238:                           ;   in Loop: Header=BB260_819 Depth=1
	s_or_b64 exec, exec, s[22:23]
	v_cmp_lt_u32_e32 vcc, s7, v52
	s_and_saveexec_b64 s[22:23], vcc
	s_cbranch_execz .LBB260_1244
; %bb.1239:                             ;   in Loop: Header=BB260_819 Depth=1
	v_lshrrev_b32_e32 v16, 24, v52
	v_cmp_ne_u32_e32 vcc, s28, v16
	v_bfrev_b32_e32 v13, 1
	s_and_saveexec_b64 s[24:25], vcc
	s_cbranch_execz .LBB260_1243
; %bb.1240:                             ;   in Loop: Header=BB260_819 Depth=1
	v_and_b32_e32 v18, 0x7f, v16
	v_cmp_ne_u32_e32 vcc, s29, v18
	v_mov_b32_e32 v13, 0x7c010000
	s_and_saveexec_b64 s[26:27], vcc
	s_cbranch_execz .LBB260_1242
; %bb.1241:                             ;   in Loop: Header=BB260_819 Depth=1
	v_and_b32_e32 v13, 7, v16
	v_ffbh_u32_e32 v39, v13
	v_min_u32_e32 v39, 32, v39
	v_lshrrev_b32_e32 v19, 3, v18
	v_subrev_u32_e32 v51, 28, v39
	v_sub_u32_e32 v39, 29, v39
	v_cmp_gt_u32_e32 vcc, 8, v18
	v_lshlrev_b64 v[54:55], v51, v[16:17]
	v_lshlrev_b32_e32 v16, 8, v16
	v_cndmask_b32_e32 v18, v19, v39, vcc
	v_lshl_add_u32 v18, v18, 10, v98
	v_and_b32_e32 v19, 7, v54
	v_and_or_b32 v16, v16, s40, v18
	v_cndmask_b32_e32 v13, v13, v19, vcc
	v_lshlrev_b32_e32 v16, 16, v16
	v_lshl_or_b32 v13, v13, 23, v16
.LBB260_1242:                           ;   in Loop: Header=BB260_819 Depth=1
	s_or_b64 exec, exec, s[26:27]
.LBB260_1243:                           ;   in Loop: Header=BB260_819 Depth=1
	s_or_b64 exec, exec, s[24:25]
.LBB260_1244:                           ;   in Loop: Header=BB260_819 Depth=1
	s_or_b64 exec, exec, s[22:23]
	v_mov_b32_e32 v16, v53
	v_cmp_ne_u16_sdwa s[24:25], v53, v17 src0_sel:BYTE_0 src1_sel:DWORD
	v_mov_b32_e32 v18, 0
	v_mov_b32_e32 v51, 0
	s_and_saveexec_b64 s[22:23], s[24:25]
	s_cbranch_execz .LBB260_1250
; %bb.1245:                             ;   in Loop: Header=BB260_819 Depth=1
	v_cmp_ne_u16_sdwa s[26:27], v53, s28 src0_sel:BYTE_0 src1_sel:DWORD
	v_mov_b32_e32 v51, 0x8000
	s_and_saveexec_b64 s[24:25], s[26:27]
	s_cbranch_execz .LBB260_1249
; %bb.1246:                             ;   in Loop: Header=BB260_819 Depth=1
	v_and_b32_e32 v19, 0x7f, v53
	v_cmp_ne_u32_e32 vcc, s29, v19
	v_mov_b32_e32 v51, 0x7c01
	s_and_saveexec_b64 s[26:27], vcc
	s_cbranch_execz .LBB260_1248
; %bb.1247:                             ;   in Loop: Header=BB260_819 Depth=1
	v_and_b32_e32 v39, 7, v53
	v_ffbh_u32_e32 v54, v39
	v_min_u32_e32 v64, 32, v54
	v_subrev_u32_e32 v54, 28, v64
	v_lshlrev_b64 v[54:55], v54, v[16:17]
	v_lshrrev_b32_e32 v51, 3, v19
	v_sub_u32_e32 v55, 29, v64
	v_cmp_gt_u32_e32 vcc, 8, v19
	v_and_b32_e32 v54, 7, v54
	s_nop 0
	v_cndmask_b32_e32 v19, v51, v55, vcc
	v_lshl_add_u32 v19, v19, 10, v98
	v_lshlrev_b32_e32 v51, 8, v53
	v_and_b32_e32 v19, 0xfc00, v19
	v_cndmask_b32_e32 v39, v39, v54, vcc
	v_and_or_b32 v19, v51, s40, v19
	v_lshl_or_b32 v51, v39, 7, v19
.LBB260_1248:                           ;   in Loop: Header=BB260_819 Depth=1
	s_or_b64 exec, exec, s[26:27]
.LBB260_1249:                           ;   in Loop: Header=BB260_819 Depth=1
	s_or_b64 exec, exec, s[24:25]
.LBB260_1250:                           ;   in Loop: Header=BB260_819 Depth=1
	s_or_b64 exec, exec, s[22:23]
	v_lshrrev_b16_e32 v16, 8, v16
	v_cmp_ne_u16_e32 vcc, 0, v16
	v_mov_b32_e32 v55, 0
	s_and_saveexec_b64 s[22:23], vcc
	s_cbranch_execz .LBB260_1256
; %bb.1251:                             ;   in Loop: Header=BB260_819 Depth=1
	v_cmp_ne_u16_e32 vcc, s28, v16
	v_bfrev_b32_e32 v55, 1
	s_and_saveexec_b64 s[24:25], vcc
	s_cbranch_execz .LBB260_1255
; %bb.1252:                             ;   in Loop: Header=BB260_819 Depth=1
	v_and_b32_e32 v19, 0x7f, v16
	v_cmp_ne_u32_e32 vcc, s29, v19
	v_mov_b32_e32 v55, 0x7c010000
	s_and_saveexec_b64 s[26:27], vcc
	s_cbranch_execz .LBB260_1254
; %bb.1253:                             ;   in Loop: Header=BB260_819 Depth=1
	v_and_b32_e32 v39, 7, v16
	v_ffbh_u32_e32 v54, v39
	v_min_u32_e32 v65, 32, v54
	v_subrev_u32_e32 v54, 28, v65
	v_lshlrev_b64 v[54:55], v54, v[16:17]
	v_lshrrev_b32_e32 v64, 3, v19
	v_sub_u32_e32 v55, 29, v65
	v_cmp_gt_u32_e32 vcc, 8, v19
	v_lshlrev_b32_e32 v16, 8, v16
	v_and_b32_e32 v54, 7, v54
	v_cndmask_b32_e32 v19, v64, v55, vcc
	v_lshl_add_u32 v19, v19, 10, v98
	v_and_or_b32 v16, v16, s40, v19
	v_cndmask_b32_e32 v39, v39, v54, vcc
	v_lshlrev_b32_e32 v16, 16, v16
	v_lshl_or_b32 v55, v39, 23, v16
.LBB260_1254:                           ;   in Loop: Header=BB260_819 Depth=1
	s_or_b64 exec, exec, s[26:27]
.LBB260_1255:                           ;   in Loop: Header=BB260_819 Depth=1
	s_or_b64 exec, exec, s[24:25]
.LBB260_1256:                           ;   in Loop: Header=BB260_819 Depth=1
	s_or_b64 exec, exec, s[22:23]
	v_lshrrev_b32_e32 v16, 16, v53
	v_cmp_ne_u16_sdwa s[24:25], v16, v17 src0_sel:BYTE_0 src1_sel:DWORD
	s_and_saveexec_b64 s[22:23], s[24:25]
	s_cbranch_execz .LBB260_1262
; %bb.1257:                             ;   in Loop: Header=BB260_819 Depth=1
	v_cmp_ne_u16_sdwa s[26:27], v16, s28 src0_sel:BYTE_0 src1_sel:DWORD
	v_mov_b32_e32 v18, 0x8000
	s_and_saveexec_b64 s[24:25], s[26:27]
	s_cbranch_execz .LBB260_1261
; %bb.1258:                             ;   in Loop: Header=BB260_819 Depth=1
	v_bfe_u32 v19, v53, 16, 7
	v_cmp_ne_u32_e32 vcc, s29, v19
	v_mov_b32_e32 v18, 0x7c01
	s_and_saveexec_b64 s[26:27], vcc
	s_cbranch_execz .LBB260_1260
; %bb.1259:                             ;   in Loop: Header=BB260_819 Depth=1
	v_and_b32_e32 v18, 7, v16
	v_ffbh_u32_e32 v54, v18
	v_min_u32_e32 v54, 32, v54
	v_lshrrev_b32_e32 v39, 3, v19
	v_subrev_u32_e32 v64, 28, v54
	v_sub_u32_e32 v54, 29, v54
	v_cmp_gt_u32_e32 vcc, 8, v19
	v_lshlrev_b64 v[64:65], v64, v[16:17]
	v_lshlrev_b32_e32 v16, 8, v16
	v_cndmask_b32_e32 v19, v39, v54, vcc
	v_lshl_add_u32 v19, v19, 10, v98
	v_and_b32_e32 v39, 7, v64
	v_and_b32_e32 v19, 0xfc00, v19
	v_cndmask_b32_e32 v18, v18, v39, vcc
	v_and_or_b32 v16, v16, s40, v19
	v_lshl_or_b32 v18, v18, 7, v16
.LBB260_1260:                           ;   in Loop: Header=BB260_819 Depth=1
	s_or_b64 exec, exec, s[26:27]
.LBB260_1261:                           ;   in Loop: Header=BB260_819 Depth=1
	s_or_b64 exec, exec, s[24:25]
.LBB260_1262:                           ;   in Loop: Header=BB260_819 Depth=1
	s_or_b64 exec, exec, s[22:23]
	v_cmp_lt_u64_e32 vcc, s[6:7], v[52:53]
	v_mov_b32_e32 v52, 0
	s_and_saveexec_b64 s[22:23], vcc
	s_cbranch_execz .LBB260_1268
; %bb.1263:                             ;   in Loop: Header=BB260_819 Depth=1
	v_lshrrev_b32_e32 v16, 24, v53
	v_cmp_ne_u32_e32 vcc, s28, v16
	v_bfrev_b32_e32 v52, 1
	s_and_saveexec_b64 s[24:25], vcc
	s_cbranch_execz .LBB260_1267
; %bb.1264:                             ;   in Loop: Header=BB260_819 Depth=1
	v_and_b32_e32 v19, 0x7f, v16
	v_cmp_ne_u32_e32 vcc, s29, v19
	v_mov_b32_e32 v52, 0x7c010000
	s_and_saveexec_b64 s[26:27], vcc
	s_cbranch_execz .LBB260_1266
; %bb.1265:                             ;   in Loop: Header=BB260_819 Depth=1
	v_and_b32_e32 v39, 7, v16
	v_ffbh_u32_e32 v52, v39
	v_min_u32_e32 v64, 32, v52
	v_subrev_u32_e32 v52, 28, v64
	v_lshlrev_b64 v[52:53], v52, v[16:17]
	v_lshrrev_b32_e32 v54, 3, v19
	v_sub_u32_e32 v53, 29, v64
	v_cmp_gt_u32_e32 vcc, 8, v19
	v_lshlrev_b32_e32 v16, 8, v16
	v_and_b32_e32 v52, 7, v52
	v_cndmask_b32_e32 v19, v54, v53, vcc
	v_lshl_add_u32 v19, v19, 10, v98
	v_and_or_b32 v16, v16, s40, v19
	v_cndmask_b32_e32 v39, v39, v52, vcc
	v_lshlrev_b32_e32 v16, 16, v16
	v_lshl_or_b32 v52, v39, 23, v16
.LBB260_1266:                           ;   in Loop: Header=BB260_819 Depth=1
	s_or_b64 exec, exec, s[26:27]
.LBB260_1267:                           ;   in Loop: Header=BB260_819 Depth=1
	s_or_b64 exec, exec, s[24:25]
.LBB260_1268:                           ;   in Loop: Header=BB260_819 Depth=1
	s_or_b64 exec, exec, s[22:23]
	v_cvt_f32_f16_sdwa v65, v1 dst_sel:DWORD dst_unused:UNUSED_PAD src0_sel:WORD_1
	v_cvt_f32_f16_sdwa v64, v13 dst_sel:DWORD dst_unused:UNUSED_PAD src0_sel:WORD_1
	v_or_b32_e32 v16, v1, v0
	v_or_b32_e32 v2, v13, v2
	s_waitcnt vmcnt(0) lgkmcnt(0)
	v_pk_mul_f32 v[0:1], v[50:51], v[64:65] op_sel_hi:[0,1]
	v_cvt_f32_f16_e32 v64, v2
	v_cvt_f32_f16_e32 v65, v16
	v_cvt_pk_f16_f32 v0, v0, v1
	v_and_b32_e32 v19, 0xffff0000, v0
	v_lshlrev_b32_e32 v16, 16, v0
	v_pk_mul_f32 v[0:1], v[50:51], v[64:65] op_sel_hi:[0,1]
	v_cvt_pk_f16_f32 v0, v0, v1
	v_lshrrev_b32_e32 v39, 16, v0
	v_and_b32_e32 v54, 0xffff, v0
	v_or_b32_e32 v1, v55, v51
	v_or_b32_e32 v0, v52, v18
	v_cvt_f32_f16_e32 v0, v0
	v_cvt_f32_f16_e32 v1, v1
	v_cvt_f32_f16_sdwa v65, v55 dst_sel:DWORD dst_unused:UNUSED_PAD src0_sel:WORD_1
	v_cvt_f32_f16_sdwa v64, v52 dst_sel:DWORD dst_unused:UNUSED_PAD src0_sel:WORD_1
	v_or_b32_e32 v13, v19, v39
	v_pk_mul_f32 v[0:1], v[50:51], v[0:1] op_sel_hi:[0,1]
	v_cvt_pk_f16_f32 v2, v0, v1
	v_pk_mul_f32 v[0:1], v[50:51], v[64:65] op_sel_hi:[0,1]
	v_cvt_pk_f16_f32 v0, v0, v1
	v_and_b32_e32 v51, 0xffff0000, v0
	v_lshlrev_b32_e32 v50, 16, v0
	v_lshrrev_b32_e32 v53, 16, v2
	v_and_b32_e32 v64, 0xffff, v2
	v_or_b32_e32 v52, v16, v54
	v_or_b32_e32 v55, v51, v53
	;; [unrolled: 1-line block ×3, first 2 shown]
	s_and_saveexec_b64 s[22:23], s[2:3]
	s_cbranch_execz .LBB260_1270
; %bb.1269:                             ;   in Loop: Header=BB260_819 Depth=1
	v_cmp_lt_i32_e32 vcc, v99, v3
	s_nop 1
	v_cndmask_b32_e32 v0, 0, v39, vcc
	v_cmp_lt_i32_e32 vcc, v118, v12
	s_nop 1
	v_cndmask_b32_e32 v1, 0, v54, vcc
	;; [unrolled: 3-line block ×3, first 2 shown]
	v_cmp_lt_i32_e32 vcc, v116, v12
	v_or_b32_e32 v13, v0, v2
	s_nop 0
	v_cndmask_b32_e32 v16, 0, v16, vcc
	v_cmp_lt_i32_e32 vcc, v115, v3
	v_or_b32_e32 v52, v1, v16
	s_nop 0
	v_cndmask_b32_e32 v0, 0, v53, vcc
	v_cmp_lt_i32_e32 vcc, v114, v12
	s_nop 1
	v_cndmask_b32_e32 v1, 0, v64, vcc
	v_cmp_lt_i32_e32 vcc, v113, v3
	;; [unrolled: 3-line block ×3, first 2 shown]
	v_or_b32_e32 v55, v0, v2
	s_nop 0
	v_cndmask_b32_e32 v16, 0, v50, vcc
	v_or_b32_e32 v66, v1, v16
.LBB260_1270:                           ;   in Loop: Header=BB260_819 Depth=1
	s_or_b64 exec, exec, s[22:23]
	;;#ASMSTART
	v_pk_mul_f16 v0, v112, v13;

	;;#ASMEND
	;;#ASMSTART
	v_pk_mul_f16 v1, v102, v52;

	;;#ASMEND
	;; [unrolled: 4-line block ×4, first 2 shown]
	s_nop 0
	;;#ASMSTART
	v_pk_add_f16 v0, v0, v1;

	;;#ASMEND
	s_nop 0
	;;#ASMSTART
	v_pk_add_f16 v0, v0, v2;

	;;#ASMEND
	;; [unrolled: 5-line block ×3, first 2 shown]
	s_nop 0
	v_lshrrev_b32_e32 v1, 16, v0
	v_and_b32_e32 v0, 0xffff, v0
	;;#ASMSTART
	v_cvt_f32_f16 v63, v0;
	;;#ASMEND
	v_add_co_u32_e32 v0, vcc, 0x1000, v48
	;;#ASMSTART
	v_cvt_f32_f16 v72, v1;
	;;#ASMEND
	s_nop 1
	v_addc_co_u32_e32 v1, vcc, 0, v49, vcc
	flat_load_dwordx2 v[52:53], v[0:1] offset:512
	s_nop 0
	scratch_load_dwordx2 v[0:1], off, s32 offset:192 ; 8-byte Folded Reload
	s_waitcnt vmcnt(0) lgkmcnt(0)
	v_cmp_ne_u16_sdwa s[24:25], v52, v17 src0_sel:BYTE_0 src1_sel:DWORD
	flat_load_dword v50, v[0:1]
	v_mov_b32_e32 v1, 0
	v_mov_b32_e32 v0, 0
	s_and_saveexec_b64 s[22:23], s[24:25]
	s_cbranch_execz .LBB260_1276
; %bb.1271:                             ;   in Loop: Header=BB260_819 Depth=1
	v_cmp_ne_u16_sdwa s[26:27], v52, s28 src0_sel:BYTE_0 src1_sel:DWORD
	v_mov_b32_e32 v0, 0x8000
	s_and_saveexec_b64 s[24:25], s[26:27]
	s_cbranch_execz .LBB260_1275
; %bb.1272:                             ;   in Loop: Header=BB260_819 Depth=1
	v_and_b32_e32 v2, 0x7f, v52
	v_cmp_ne_u32_e32 vcc, s29, v2
	v_mov_b32_e32 v0, 0x7c01
	s_and_saveexec_b64 s[26:27], vcc
	s_cbranch_execz .LBB260_1274
; %bb.1273:                             ;   in Loop: Header=BB260_819 Depth=1
	v_and_b32_e32 v0, 7, v52
	v_ffbh_u32_e32 v16, v0
	v_min_u32_e32 v16, 32, v16
	v_lshrrev_b32_e32 v13, 3, v2
	v_subrev_u32_e32 v18, 28, v16
	v_sub_u32_e32 v16, 29, v16
	v_cmp_gt_u32_e32 vcc, 8, v2
	v_lshlrev_b64 v[18:19], v18, v[52:53]
	s_nop 0
	v_cndmask_b32_e32 v2, v13, v16, vcc
	v_lshl_add_u32 v2, v2, 10, v98
	v_lshlrev_b32_e32 v13, 8, v52
	v_and_b32_e32 v16, 7, v18
	v_and_b32_e32 v2, 0xfc00, v2
	v_cndmask_b32_e32 v0, v0, v16, vcc
	v_and_or_b32 v2, v13, s40, v2
	v_lshl_or_b32 v0, v0, 7, v2
.LBB260_1274:                           ;   in Loop: Header=BB260_819 Depth=1
	s_or_b64 exec, exec, s[26:27]
.LBB260_1275:                           ;   in Loop: Header=BB260_819 Depth=1
	s_or_b64 exec, exec, s[24:25]
.LBB260_1276:                           ;   in Loop: Header=BB260_819 Depth=1
	s_or_b64 exec, exec, s[22:23]
	v_lshrrev_b16_e32 v16, 8, v52
	v_cmp_ne_u16_e32 vcc, 0, v16
	s_and_saveexec_b64 s[22:23], vcc
	s_cbranch_execz .LBB260_1282
; %bb.1277:                             ;   in Loop: Header=BB260_819 Depth=1
	v_cmp_ne_u16_e32 vcc, s28, v16
	v_bfrev_b32_e32 v1, 1
	s_and_saveexec_b64 s[24:25], vcc
	s_cbranch_execz .LBB260_1281
; %bb.1278:                             ;   in Loop: Header=BB260_819 Depth=1
	v_and_b32_e32 v2, 0x7f, v16
	v_cmp_ne_u32_e32 vcc, s29, v2
	v_mov_b32_e32 v1, 0x7c010000
	s_and_saveexec_b64 s[26:27], vcc
	s_cbranch_execz .LBB260_1280
; %bb.1279:                             ;   in Loop: Header=BB260_819 Depth=1
	v_and_b32_e32 v1, 7, v16
	v_ffbh_u32_e32 v18, v1
	v_min_u32_e32 v39, 32, v18
	v_subrev_u32_e32 v18, 28, v39
	v_lshlrev_b64 v[18:19], v18, v[16:17]
	v_lshrrev_b32_e32 v13, 3, v2
	v_sub_u32_e32 v19, 29, v39
	v_cmp_gt_u32_e32 vcc, 8, v2
	s_nop 1
	v_cndmask_b32_e32 v2, v13, v19, vcc
	v_lshlrev_b32_e32 v13, 8, v16
	v_lshl_add_u32 v2, v2, 10, v98
	v_and_b32_e32 v16, 7, v18
	v_and_or_b32 v2, v13, s40, v2
	v_cndmask_b32_e32 v1, v1, v16, vcc
	v_lshlrev_b32_e32 v2, 16, v2
	v_lshl_or_b32 v1, v1, 23, v2
.LBB260_1280:                           ;   in Loop: Header=BB260_819 Depth=1
	s_or_b64 exec, exec, s[26:27]
.LBB260_1281:                           ;   in Loop: Header=BB260_819 Depth=1
	s_or_b64 exec, exec, s[24:25]
.LBB260_1282:                           ;   in Loop: Header=BB260_819 Depth=1
	s_or_b64 exec, exec, s[22:23]
	v_lshrrev_b32_e32 v16, 16, v52
	v_cmp_ne_u16_sdwa s[24:25], v16, v17 src0_sel:BYTE_0 src1_sel:DWORD
	v_mov_b32_e32 v13, 0
	v_mov_b32_e32 v2, 0
	s_and_saveexec_b64 s[22:23], s[24:25]
	s_cbranch_execz .LBB260_1288
; %bb.1283:                             ;   in Loop: Header=BB260_819 Depth=1
	v_cmp_ne_u16_sdwa s[26:27], v16, s28 src0_sel:BYTE_0 src1_sel:DWORD
	v_mov_b32_e32 v2, 0x8000
	s_and_saveexec_b64 s[24:25], s[26:27]
	s_cbranch_execz .LBB260_1287
; %bb.1284:                             ;   in Loop: Header=BB260_819 Depth=1
	v_bfe_u32 v18, v52, 16, 7
	v_cmp_ne_u32_e32 vcc, s29, v18
	v_mov_b32_e32 v2, 0x7c01
	s_and_saveexec_b64 s[26:27], vcc
	s_cbranch_execz .LBB260_1286
; %bb.1285:                             ;   in Loop: Header=BB260_819 Depth=1
	v_and_b32_e32 v2, 7, v16
	v_ffbh_u32_e32 v39, v2
	v_min_u32_e32 v39, 32, v39
	v_lshrrev_b32_e32 v19, 3, v18
	v_subrev_u32_e32 v51, 28, v39
	v_sub_u32_e32 v39, 29, v39
	v_cmp_gt_u32_e32 vcc, 8, v18
	v_lshlrev_b64 v[54:55], v51, v[16:17]
	v_lshlrev_b32_e32 v16, 8, v16
	v_cndmask_b32_e32 v18, v19, v39, vcc
	v_lshl_add_u32 v18, v18, 10, v98
	v_and_b32_e32 v19, 7, v54
	v_and_b32_e32 v18, 0xfc00, v18
	v_cndmask_b32_e32 v2, v2, v19, vcc
	v_and_or_b32 v16, v16, s40, v18
	v_lshl_or_b32 v2, v2, 7, v16
.LBB260_1286:                           ;   in Loop: Header=BB260_819 Depth=1
	s_or_b64 exec, exec, s[26:27]
.LBB260_1287:                           ;   in Loop: Header=BB260_819 Depth=1
	s_or_b64 exec, exec, s[24:25]
.LBB260_1288:                           ;   in Loop: Header=BB260_819 Depth=1
	s_or_b64 exec, exec, s[22:23]
	v_cmp_lt_u32_e32 vcc, s7, v52
	s_and_saveexec_b64 s[22:23], vcc
	s_cbranch_execz .LBB260_1294
; %bb.1289:                             ;   in Loop: Header=BB260_819 Depth=1
	v_lshrrev_b32_e32 v16, 24, v52
	v_cmp_ne_u32_e32 vcc, s28, v16
	v_bfrev_b32_e32 v13, 1
	s_and_saveexec_b64 s[24:25], vcc
	s_cbranch_execz .LBB260_1293
; %bb.1290:                             ;   in Loop: Header=BB260_819 Depth=1
	v_and_b32_e32 v18, 0x7f, v16
	v_cmp_ne_u32_e32 vcc, s29, v18
	v_mov_b32_e32 v13, 0x7c010000
	s_and_saveexec_b64 s[26:27], vcc
	s_cbranch_execz .LBB260_1292
; %bb.1291:                             ;   in Loop: Header=BB260_819 Depth=1
	v_and_b32_e32 v13, 7, v16
	v_ffbh_u32_e32 v39, v13
	v_min_u32_e32 v39, 32, v39
	v_lshrrev_b32_e32 v19, 3, v18
	v_subrev_u32_e32 v51, 28, v39
	v_sub_u32_e32 v39, 29, v39
	v_cmp_gt_u32_e32 vcc, 8, v18
	v_lshlrev_b64 v[54:55], v51, v[16:17]
	v_lshlrev_b32_e32 v16, 8, v16
	v_cndmask_b32_e32 v18, v19, v39, vcc
	v_lshl_add_u32 v18, v18, 10, v98
	v_and_b32_e32 v19, 7, v54
	v_and_or_b32 v16, v16, s40, v18
	v_cndmask_b32_e32 v13, v13, v19, vcc
	v_lshlrev_b32_e32 v16, 16, v16
	v_lshl_or_b32 v13, v13, 23, v16
.LBB260_1292:                           ;   in Loop: Header=BB260_819 Depth=1
	s_or_b64 exec, exec, s[26:27]
.LBB260_1293:                           ;   in Loop: Header=BB260_819 Depth=1
	s_or_b64 exec, exec, s[24:25]
.LBB260_1294:                           ;   in Loop: Header=BB260_819 Depth=1
	s_or_b64 exec, exec, s[22:23]
	v_mov_b32_e32 v16, v53
	v_cmp_ne_u16_sdwa s[24:25], v53, v17 src0_sel:BYTE_0 src1_sel:DWORD
	v_mov_b32_e32 v18, 0
	v_mov_b32_e32 v51, 0
	s_and_saveexec_b64 s[22:23], s[24:25]
	s_cbranch_execz .LBB260_1300
; %bb.1295:                             ;   in Loop: Header=BB260_819 Depth=1
	v_cmp_ne_u16_sdwa s[26:27], v53, s28 src0_sel:BYTE_0 src1_sel:DWORD
	v_mov_b32_e32 v51, 0x8000
	s_and_saveexec_b64 s[24:25], s[26:27]
	s_cbranch_execz .LBB260_1299
; %bb.1296:                             ;   in Loop: Header=BB260_819 Depth=1
	v_and_b32_e32 v19, 0x7f, v53
	v_cmp_ne_u32_e32 vcc, s29, v19
	v_mov_b32_e32 v51, 0x7c01
	s_and_saveexec_b64 s[26:27], vcc
	s_cbranch_execz .LBB260_1298
; %bb.1297:                             ;   in Loop: Header=BB260_819 Depth=1
	v_and_b32_e32 v39, 7, v53
	v_ffbh_u32_e32 v54, v39
	v_min_u32_e32 v64, 32, v54
	v_subrev_u32_e32 v54, 28, v64
	v_lshlrev_b64 v[54:55], v54, v[16:17]
	v_lshrrev_b32_e32 v51, 3, v19
	v_sub_u32_e32 v55, 29, v64
	v_cmp_gt_u32_e32 vcc, 8, v19
	v_and_b32_e32 v54, 7, v54
	s_nop 0
	v_cndmask_b32_e32 v19, v51, v55, vcc
	v_lshl_add_u32 v19, v19, 10, v98
	v_lshlrev_b32_e32 v51, 8, v53
	v_and_b32_e32 v19, 0xfc00, v19
	v_cndmask_b32_e32 v39, v39, v54, vcc
	v_and_or_b32 v19, v51, s40, v19
	v_lshl_or_b32 v51, v39, 7, v19
.LBB260_1298:                           ;   in Loop: Header=BB260_819 Depth=1
	s_or_b64 exec, exec, s[26:27]
.LBB260_1299:                           ;   in Loop: Header=BB260_819 Depth=1
	s_or_b64 exec, exec, s[24:25]
.LBB260_1300:                           ;   in Loop: Header=BB260_819 Depth=1
	s_or_b64 exec, exec, s[22:23]
	v_lshrrev_b16_e32 v16, 8, v16
	v_cmp_ne_u16_e32 vcc, 0, v16
	v_mov_b32_e32 v55, 0
	s_and_saveexec_b64 s[22:23], vcc
	s_cbranch_execz .LBB260_1306
; %bb.1301:                             ;   in Loop: Header=BB260_819 Depth=1
	v_cmp_ne_u16_e32 vcc, s28, v16
	v_bfrev_b32_e32 v55, 1
	s_and_saveexec_b64 s[24:25], vcc
	s_cbranch_execz .LBB260_1305
; %bb.1302:                             ;   in Loop: Header=BB260_819 Depth=1
	v_and_b32_e32 v19, 0x7f, v16
	v_cmp_ne_u32_e32 vcc, s29, v19
	v_mov_b32_e32 v55, 0x7c010000
	s_and_saveexec_b64 s[26:27], vcc
	s_cbranch_execz .LBB260_1304
; %bb.1303:                             ;   in Loop: Header=BB260_819 Depth=1
	v_and_b32_e32 v39, 7, v16
	v_ffbh_u32_e32 v54, v39
	v_min_u32_e32 v65, 32, v54
	v_subrev_u32_e32 v54, 28, v65
	v_lshlrev_b64 v[54:55], v54, v[16:17]
	v_lshrrev_b32_e32 v64, 3, v19
	v_sub_u32_e32 v55, 29, v65
	v_cmp_gt_u32_e32 vcc, 8, v19
	v_lshlrev_b32_e32 v16, 8, v16
	v_and_b32_e32 v54, 7, v54
	v_cndmask_b32_e32 v19, v64, v55, vcc
	v_lshl_add_u32 v19, v19, 10, v98
	v_and_or_b32 v16, v16, s40, v19
	v_cndmask_b32_e32 v39, v39, v54, vcc
	v_lshlrev_b32_e32 v16, 16, v16
	v_lshl_or_b32 v55, v39, 23, v16
.LBB260_1304:                           ;   in Loop: Header=BB260_819 Depth=1
	s_or_b64 exec, exec, s[26:27]
.LBB260_1305:                           ;   in Loop: Header=BB260_819 Depth=1
	s_or_b64 exec, exec, s[24:25]
.LBB260_1306:                           ;   in Loop: Header=BB260_819 Depth=1
	s_or_b64 exec, exec, s[22:23]
	v_lshrrev_b32_e32 v16, 16, v53
	v_cmp_ne_u16_sdwa s[24:25], v16, v17 src0_sel:BYTE_0 src1_sel:DWORD
	s_and_saveexec_b64 s[22:23], s[24:25]
	s_cbranch_execz .LBB260_1312
; %bb.1307:                             ;   in Loop: Header=BB260_819 Depth=1
	v_cmp_ne_u16_sdwa s[26:27], v16, s28 src0_sel:BYTE_0 src1_sel:DWORD
	v_mov_b32_e32 v18, 0x8000
	s_and_saveexec_b64 s[24:25], s[26:27]
	s_cbranch_execz .LBB260_1311
; %bb.1308:                             ;   in Loop: Header=BB260_819 Depth=1
	v_bfe_u32 v19, v53, 16, 7
	v_cmp_ne_u32_e32 vcc, s29, v19
	v_mov_b32_e32 v18, 0x7c01
	s_and_saveexec_b64 s[26:27], vcc
	s_cbranch_execz .LBB260_1310
; %bb.1309:                             ;   in Loop: Header=BB260_819 Depth=1
	v_and_b32_e32 v18, 7, v16
	v_ffbh_u32_e32 v54, v18
	v_min_u32_e32 v54, 32, v54
	v_lshrrev_b32_e32 v39, 3, v19
	v_subrev_u32_e32 v64, 28, v54
	v_sub_u32_e32 v54, 29, v54
	v_cmp_gt_u32_e32 vcc, 8, v19
	v_lshlrev_b64 v[64:65], v64, v[16:17]
	v_lshlrev_b32_e32 v16, 8, v16
	v_cndmask_b32_e32 v19, v39, v54, vcc
	v_lshl_add_u32 v19, v19, 10, v98
	v_and_b32_e32 v39, 7, v64
	v_and_b32_e32 v19, 0xfc00, v19
	v_cndmask_b32_e32 v18, v18, v39, vcc
	v_and_or_b32 v16, v16, s40, v19
	v_lshl_or_b32 v18, v18, 7, v16
.LBB260_1310:                           ;   in Loop: Header=BB260_819 Depth=1
	s_or_b64 exec, exec, s[26:27]
.LBB260_1311:                           ;   in Loop: Header=BB260_819 Depth=1
	s_or_b64 exec, exec, s[24:25]
.LBB260_1312:                           ;   in Loop: Header=BB260_819 Depth=1
	s_or_b64 exec, exec, s[22:23]
	v_cmp_lt_u64_e32 vcc, s[6:7], v[52:53]
	v_mov_b32_e32 v52, 0
	s_and_saveexec_b64 s[22:23], vcc
	s_cbranch_execz .LBB260_1318
; %bb.1313:                             ;   in Loop: Header=BB260_819 Depth=1
	v_lshrrev_b32_e32 v16, 24, v53
	v_cmp_ne_u32_e32 vcc, s28, v16
	v_bfrev_b32_e32 v52, 1
	s_and_saveexec_b64 s[24:25], vcc
	s_cbranch_execz .LBB260_1317
; %bb.1314:                             ;   in Loop: Header=BB260_819 Depth=1
	v_and_b32_e32 v19, 0x7f, v16
	v_cmp_ne_u32_e32 vcc, s29, v19
	v_mov_b32_e32 v52, 0x7c010000
	s_and_saveexec_b64 s[26:27], vcc
	s_cbranch_execz .LBB260_1316
; %bb.1315:                             ;   in Loop: Header=BB260_819 Depth=1
	v_and_b32_e32 v39, 7, v16
	v_ffbh_u32_e32 v52, v39
	v_min_u32_e32 v64, 32, v52
	v_subrev_u32_e32 v52, 28, v64
	v_lshlrev_b64 v[52:53], v52, v[16:17]
	v_lshrrev_b32_e32 v54, 3, v19
	v_sub_u32_e32 v53, 29, v64
	v_cmp_gt_u32_e32 vcc, 8, v19
	v_lshlrev_b32_e32 v16, 8, v16
	v_and_b32_e32 v52, 7, v52
	v_cndmask_b32_e32 v19, v54, v53, vcc
	v_lshl_add_u32 v19, v19, 10, v98
	v_and_or_b32 v16, v16, s40, v19
	v_cndmask_b32_e32 v39, v39, v52, vcc
	v_lshlrev_b32_e32 v16, 16, v16
	v_lshl_or_b32 v52, v39, 23, v16
.LBB260_1316:                           ;   in Loop: Header=BB260_819 Depth=1
	s_or_b64 exec, exec, s[26:27]
.LBB260_1317:                           ;   in Loop: Header=BB260_819 Depth=1
	s_or_b64 exec, exec, s[24:25]
.LBB260_1318:                           ;   in Loop: Header=BB260_819 Depth=1
	s_or_b64 exec, exec, s[22:23]
	v_cvt_f32_f16_sdwa v65, v1 dst_sel:DWORD dst_unused:UNUSED_PAD src0_sel:WORD_1
	v_cvt_f32_f16_sdwa v64, v13 dst_sel:DWORD dst_unused:UNUSED_PAD src0_sel:WORD_1
	v_or_b32_e32 v16, v1, v0
	v_or_b32_e32 v2, v13, v2
	s_waitcnt vmcnt(0) lgkmcnt(0)
	v_pk_mul_f32 v[0:1], v[50:51], v[64:65] op_sel_hi:[0,1]
	v_cvt_f32_f16_e32 v64, v2
	v_cvt_f32_f16_e32 v65, v16
	v_cvt_pk_f16_f32 v0, v0, v1
	v_and_b32_e32 v19, 0xffff0000, v0
	v_lshlrev_b32_e32 v16, 16, v0
	v_pk_mul_f32 v[0:1], v[50:51], v[64:65] op_sel_hi:[0,1]
	v_cvt_pk_f16_f32 v0, v0, v1
	v_lshrrev_b32_e32 v39, 16, v0
	v_and_b32_e32 v54, 0xffff, v0
	v_or_b32_e32 v1, v55, v51
	v_or_b32_e32 v0, v52, v18
	v_cvt_f32_f16_e32 v0, v0
	v_cvt_f32_f16_e32 v1, v1
	v_cvt_f32_f16_sdwa v65, v55 dst_sel:DWORD dst_unused:UNUSED_PAD src0_sel:WORD_1
	v_cvt_f32_f16_sdwa v64, v52 dst_sel:DWORD dst_unused:UNUSED_PAD src0_sel:WORD_1
	v_or_b32_e32 v13, v19, v39
	v_pk_mul_f32 v[0:1], v[50:51], v[0:1] op_sel_hi:[0,1]
	v_cvt_pk_f16_f32 v2, v0, v1
	v_pk_mul_f32 v[0:1], v[50:51], v[64:65] op_sel_hi:[0,1]
	v_cvt_pk_f16_f32 v0, v0, v1
	v_and_b32_e32 v51, 0xffff0000, v0
	v_lshlrev_b32_e32 v50, 16, v0
	v_lshrrev_b32_e32 v53, 16, v2
	v_and_b32_e32 v64, 0xffff, v2
	v_or_b32_e32 v52, v16, v54
	v_or_b32_e32 v55, v51, v53
	;; [unrolled: 1-line block ×3, first 2 shown]
	s_and_saveexec_b64 s[22:23], s[2:3]
	s_cbranch_execz .LBB260_1320
; %bb.1319:                             ;   in Loop: Header=BB260_819 Depth=1
	v_cmp_lt_i32_e32 vcc, v99, v3
	s_nop 1
	v_cndmask_b32_e32 v0, 0, v39, vcc
	v_cmp_lt_i32_e32 vcc, v118, v12
	s_nop 1
	v_cndmask_b32_e32 v1, 0, v54, vcc
	;; [unrolled: 3-line block ×3, first 2 shown]
	v_cmp_lt_i32_e32 vcc, v116, v12
	v_or_b32_e32 v13, v0, v2
	s_nop 0
	v_cndmask_b32_e32 v16, 0, v16, vcc
	v_cmp_lt_i32_e32 vcc, v115, v3
	v_or_b32_e32 v52, v1, v16
	s_nop 0
	v_cndmask_b32_e32 v0, 0, v53, vcc
	v_cmp_lt_i32_e32 vcc, v114, v12
	s_nop 1
	v_cndmask_b32_e32 v1, 0, v64, vcc
	v_cmp_lt_i32_e32 vcc, v113, v3
	;; [unrolled: 3-line block ×3, first 2 shown]
	v_or_b32_e32 v55, v0, v2
	s_nop 0
	v_cndmask_b32_e32 v16, 0, v50, vcc
	v_or_b32_e32 v66, v1, v16
.LBB260_1320:                           ;   in Loop: Header=BB260_819 Depth=1
	s_or_b64 exec, exec, s[22:23]
	;;#ASMSTART
	v_pk_mul_f16 v0, v112, v13;

	;;#ASMEND
	;;#ASMSTART
	v_pk_mul_f16 v1, v102, v52;

	;;#ASMEND
	;; [unrolled: 4-line block ×4, first 2 shown]
	v_add_co_u32_e32 v18, vcc, 0x1000, v48
	;;#ASMSTART
	v_pk_add_f16 v0, v0, v1;

	;;#ASMEND
	s_nop 0
	;;#ASMSTART
	v_pk_add_f16 v0, v0, v2;

	;;#ASMEND
	s_nop 0
	v_addc_co_u32_e32 v19, vcc, 0, v49, vcc
	;;#ASMSTART
	v_pk_add_f16 v0, v0, v13;

	;;#ASMEND
	v_mov_b32_e32 v13, 0
	v_lshrrev_b32_e32 v1, 16, v0
	v_and_b32_e32 v0, 0xffff, v0
	;;#ASMSTART
	v_cvt_f32_f16 v0, v0;
	;;#ASMEND
	;;#ASMSTART
	v_cvt_f32_f16 v1, v1;
	;;#ASMEND
	flat_load_dwordx2 v[52:53], v[18:19] offset:1024
	s_nop 0
	scratch_load_dwordx2 v[18:19], off, s32 offset:192 ; 8-byte Folded Reload
	v_mov_b32_e32 v2, 0
	s_waitcnt vmcnt(0) lgkmcnt(0)
	v_cmp_ne_u16_sdwa s[24:25], v52, v17 src0_sel:BYTE_0 src1_sel:DWORD
	flat_load_dword v50, v[18:19]
	s_and_saveexec_b64 s[22:23], s[24:25]
	s_cbranch_execz .LBB260_1326
; %bb.1321:                             ;   in Loop: Header=BB260_819 Depth=1
	v_cmp_ne_u16_sdwa s[26:27], v52, s28 src0_sel:BYTE_0 src1_sel:DWORD
	v_mov_b32_e32 v2, 0x8000
	s_and_saveexec_b64 s[24:25], s[26:27]
	s_cbranch_execz .LBB260_1325
; %bb.1322:                             ;   in Loop: Header=BB260_819 Depth=1
	v_and_b32_e32 v16, 0x7f, v52
	v_cmp_ne_u32_e32 vcc, s29, v16
	v_mov_b32_e32 v2, 0x7c01
	s_and_saveexec_b64 s[26:27], vcc
	s_cbranch_execz .LBB260_1324
; %bb.1323:                             ;   in Loop: Header=BB260_819 Depth=1
	v_and_b32_e32 v2, 7, v52
	v_ffbh_u32_e32 v18, v2
	v_min_u32_e32 v51, 32, v18
	v_subrev_u32_e32 v18, 28, v51
	v_lshlrev_b64 v[18:19], v18, v[52:53]
	v_lshrrev_b32_e32 v39, 3, v16
	v_sub_u32_e32 v19, 29, v51
	v_cmp_gt_u32_e32 vcc, 8, v16
	v_and_b32_e32 v18, 7, v18
	s_nop 0
	v_cndmask_b32_e32 v16, v39, v19, vcc
	v_lshl_add_u32 v16, v16, 10, v98
	v_lshlrev_b32_e32 v19, 8, v52
	v_and_b32_e32 v16, 0xfc00, v16
	v_cndmask_b32_e32 v2, v2, v18, vcc
	v_and_or_b32 v16, v19, s40, v16
	v_lshl_or_b32 v2, v2, 7, v16
.LBB260_1324:                           ;   in Loop: Header=BB260_819 Depth=1
	s_or_b64 exec, exec, s[26:27]
.LBB260_1325:                           ;   in Loop: Header=BB260_819 Depth=1
	s_or_b64 exec, exec, s[24:25]
.LBB260_1326:                           ;   in Loop: Header=BB260_819 Depth=1
	s_or_b64 exec, exec, s[22:23]
	v_lshrrev_b16_e32 v16, 8, v52
	v_cmp_ne_u16_e32 vcc, 0, v16
	s_and_saveexec_b64 s[22:23], vcc
	s_cbranch_execz .LBB260_1332
; %bb.1327:                             ;   in Loop: Header=BB260_819 Depth=1
	v_cmp_ne_u16_e32 vcc, s28, v16
	v_bfrev_b32_e32 v13, 1
	s_and_saveexec_b64 s[24:25], vcc
	s_cbranch_execz .LBB260_1331
; %bb.1328:                             ;   in Loop: Header=BB260_819 Depth=1
	v_and_b32_e32 v18, 0x7f, v16
	v_cmp_ne_u32_e32 vcc, s29, v18
	v_mov_b32_e32 v13, 0x7c010000
	s_and_saveexec_b64 s[26:27], vcc
	s_cbranch_execz .LBB260_1330
; %bb.1329:                             ;   in Loop: Header=BB260_819 Depth=1
	v_and_b32_e32 v13, 7, v16
	v_ffbh_u32_e32 v39, v13
	v_min_u32_e32 v39, 32, v39
	v_lshrrev_b32_e32 v19, 3, v18
	v_subrev_u32_e32 v51, 28, v39
	v_sub_u32_e32 v39, 29, v39
	v_cmp_gt_u32_e32 vcc, 8, v18
	v_lshlrev_b64 v[54:55], v51, v[16:17]
	v_lshlrev_b32_e32 v16, 8, v16
	v_cndmask_b32_e32 v18, v19, v39, vcc
	v_lshl_add_u32 v18, v18, 10, v98
	v_and_b32_e32 v19, 7, v54
	v_and_or_b32 v16, v16, s40, v18
	v_cndmask_b32_e32 v13, v13, v19, vcc
	v_lshlrev_b32_e32 v16, 16, v16
	v_lshl_or_b32 v13, v13, 23, v16
.LBB260_1330:                           ;   in Loop: Header=BB260_819 Depth=1
	s_or_b64 exec, exec, s[26:27]
.LBB260_1331:                           ;   in Loop: Header=BB260_819 Depth=1
	s_or_b64 exec, exec, s[24:25]
.LBB260_1332:                           ;   in Loop: Header=BB260_819 Depth=1
	s_or_b64 exec, exec, s[22:23]
	v_lshrrev_b32_e32 v16, 16, v52
	v_cmp_ne_u16_sdwa s[24:25], v16, v17 src0_sel:BYTE_0 src1_sel:DWORD
	v_mov_b32_e32 v19, 0
	v_mov_b32_e32 v18, 0
	s_and_saveexec_b64 s[22:23], s[24:25]
	s_cbranch_execz .LBB260_1338
; %bb.1333:                             ;   in Loop: Header=BB260_819 Depth=1
	v_cmp_ne_u16_sdwa s[26:27], v16, s28 src0_sel:BYTE_0 src1_sel:DWORD
	v_mov_b32_e32 v18, 0x8000
	s_and_saveexec_b64 s[24:25], s[26:27]
	s_cbranch_execz .LBB260_1337
; %bb.1334:                             ;   in Loop: Header=BB260_819 Depth=1
	v_bfe_u32 v39, v52, 16, 7
	v_cmp_ne_u32_e32 vcc, s29, v39
	v_mov_b32_e32 v18, 0x7c01
	s_and_saveexec_b64 s[26:27], vcc
	s_cbranch_execz .LBB260_1336
; %bb.1335:                             ;   in Loop: Header=BB260_819 Depth=1
	v_and_b32_e32 v18, 7, v16
	v_ffbh_u32_e32 v54, v18
	v_min_u32_e32 v64, 32, v54
	v_subrev_u32_e32 v54, 28, v64
	v_lshlrev_b64 v[54:55], v54, v[16:17]
	v_lshrrev_b32_e32 v51, 3, v39
	v_sub_u32_e32 v55, 29, v64
	v_cmp_gt_u32_e32 vcc, 8, v39
	v_lshlrev_b32_e32 v16, 8, v16
	s_nop 0
	v_cndmask_b32_e32 v39, v51, v55, vcc
	v_lshl_add_u32 v39, v39, 10, v98
	v_and_b32_e32 v51, 7, v54
	v_and_b32_e32 v39, 0xfc00, v39
	v_cndmask_b32_e32 v18, v18, v51, vcc
	v_and_or_b32 v16, v16, s40, v39
	v_lshl_or_b32 v18, v18, 7, v16
.LBB260_1336:                           ;   in Loop: Header=BB260_819 Depth=1
	s_or_b64 exec, exec, s[26:27]
.LBB260_1337:                           ;   in Loop: Header=BB260_819 Depth=1
	s_or_b64 exec, exec, s[24:25]
.LBB260_1338:                           ;   in Loop: Header=BB260_819 Depth=1
	s_or_b64 exec, exec, s[22:23]
	v_cmp_lt_u32_e32 vcc, s7, v52
	s_and_saveexec_b64 s[22:23], vcc
	s_cbranch_execz .LBB260_1344
; %bb.1339:                             ;   in Loop: Header=BB260_819 Depth=1
	v_lshrrev_b32_e32 v16, 24, v52
	v_cmp_ne_u32_e32 vcc, s28, v16
	v_bfrev_b32_e32 v19, 1
	s_and_saveexec_b64 s[24:25], vcc
	s_cbranch_execz .LBB260_1343
; %bb.1340:                             ;   in Loop: Header=BB260_819 Depth=1
	v_and_b32_e32 v39, 0x7f, v16
	v_cmp_ne_u32_e32 vcc, s29, v39
	v_mov_b32_e32 v19, 0x7c010000
	s_and_saveexec_b64 s[26:27], vcc
	s_cbranch_execz .LBB260_1342
; %bb.1341:                             ;   in Loop: Header=BB260_819 Depth=1
	v_and_b32_e32 v19, 7, v16
	v_ffbh_u32_e32 v54, v19
	v_min_u32_e32 v64, 32, v54
	v_subrev_u32_e32 v54, 28, v64
	v_lshlrev_b64 v[54:55], v54, v[16:17]
	v_lshrrev_b32_e32 v51, 3, v39
	v_sub_u32_e32 v55, 29, v64
	v_cmp_gt_u32_e32 vcc, 8, v39
	v_lshlrev_b32_e32 v16, 8, v16
	s_nop 0
	v_cndmask_b32_e32 v39, v51, v55, vcc
	v_lshl_add_u32 v39, v39, 10, v98
	v_and_b32_e32 v51, 7, v54
	v_and_or_b32 v16, v16, s40, v39
	v_cndmask_b32_e32 v19, v19, v51, vcc
	v_lshlrev_b32_e32 v16, 16, v16
	v_lshl_or_b32 v19, v19, 23, v16
.LBB260_1342:                           ;   in Loop: Header=BB260_819 Depth=1
	s_or_b64 exec, exec, s[26:27]
.LBB260_1343:                           ;   in Loop: Header=BB260_819 Depth=1
	s_or_b64 exec, exec, s[24:25]
.LBB260_1344:                           ;   in Loop: Header=BB260_819 Depth=1
	s_or_b64 exec, exec, s[22:23]
	v_mov_b32_e32 v16, v53
	v_cmp_ne_u16_sdwa s[24:25], v53, v17 src0_sel:BYTE_0 src1_sel:DWORD
	v_mov_b32_e32 v51, 0
	v_mov_b32_e32 v55, 0
	s_and_saveexec_b64 s[22:23], s[24:25]
	s_cbranch_execz .LBB260_1350
; %bb.1345:                             ;   in Loop: Header=BB260_819 Depth=1
	v_cmp_ne_u16_sdwa s[26:27], v53, s28 src0_sel:BYTE_0 src1_sel:DWORD
	v_mov_b32_e32 v55, 0x8000
	s_and_saveexec_b64 s[24:25], s[26:27]
	s_cbranch_execz .LBB260_1349
; %bb.1346:                             ;   in Loop: Header=BB260_819 Depth=1
	v_and_b32_e32 v39, 0x7f, v53
	v_cmp_ne_u32_e32 vcc, s29, v39
	v_mov_b32_e32 v55, 0x7c01
	s_and_saveexec_b64 s[26:27], vcc
	s_cbranch_execz .LBB260_1348
; %bb.1347:                             ;   in Loop: Header=BB260_819 Depth=1
	v_and_b32_e32 v64, 7, v53
	v_ffbh_u32_e32 v54, v64
	v_min_u32_e32 v66, 32, v54
	v_subrev_u32_e32 v54, 28, v66
	v_lshlrev_b64 v[54:55], v54, v[16:17]
	v_lshrrev_b32_e32 v65, 3, v39
	v_sub_u32_e32 v55, 29, v66
	v_cmp_gt_u32_e32 vcc, 8, v39
	v_and_b32_e32 v54, 7, v54
	s_nop 0
	v_cndmask_b32_e32 v39, v65, v55, vcc
	v_lshl_add_u32 v39, v39, 10, v98
	v_lshlrev_b32_e32 v55, 8, v53
	v_and_b32_e32 v39, 0xfc00, v39
	v_cndmask_b32_e32 v54, v64, v54, vcc
	v_and_or_b32 v39, v55, s40, v39
	v_lshl_or_b32 v55, v54, 7, v39
.LBB260_1348:                           ;   in Loop: Header=BB260_819 Depth=1
	s_or_b64 exec, exec, s[26:27]
.LBB260_1349:                           ;   in Loop: Header=BB260_819 Depth=1
	s_or_b64 exec, exec, s[24:25]
.LBB260_1350:                           ;   in Loop: Header=BB260_819 Depth=1
	s_or_b64 exec, exec, s[22:23]
	v_lshrrev_b16_e32 v16, 8, v16
	v_cmp_ne_u16_e32 vcc, 0, v16
	v_mov_b32_e32 v64, 0
	s_and_saveexec_b64 s[22:23], vcc
	s_cbranch_execz .LBB260_1356
; %bb.1351:                             ;   in Loop: Header=BB260_819 Depth=1
	v_cmp_ne_u16_e32 vcc, s28, v16
	v_bfrev_b32_e32 v64, 1
	s_and_saveexec_b64 s[24:25], vcc
	s_cbranch_execz .LBB260_1355
; %bb.1352:                             ;   in Loop: Header=BB260_819 Depth=1
	v_and_b32_e32 v39, 0x7f, v16
	v_cmp_ne_u32_e32 vcc, s29, v39
	v_mov_b32_e32 v64, 0x7c010000
	s_and_saveexec_b64 s[26:27], vcc
	s_cbranch_execz .LBB260_1354
; %bb.1353:                             ;   in Loop: Header=BB260_819 Depth=1
	v_and_b32_e32 v54, 7, v16
	v_ffbh_u32_e32 v64, v54
	v_min_u32_e32 v68, 32, v64
	v_subrev_u32_e32 v64, 28, v68
	v_lshlrev_b64 v[64:65], v64, v[16:17]
	v_lshrrev_b32_e32 v66, 3, v39
	v_sub_u32_e32 v65, 29, v68
	v_cmp_gt_u32_e32 vcc, 8, v39
	v_lshlrev_b32_e32 v16, 8, v16
	v_and_b32_e32 v64, 7, v64
	v_cndmask_b32_e32 v39, v66, v65, vcc
	v_lshl_add_u32 v39, v39, 10, v98
	v_and_or_b32 v16, v16, s40, v39
	v_cndmask_b32_e32 v54, v54, v64, vcc
	v_lshlrev_b32_e32 v16, 16, v16
	v_lshl_or_b32 v64, v54, 23, v16
.LBB260_1354:                           ;   in Loop: Header=BB260_819 Depth=1
	s_or_b64 exec, exec, s[26:27]
.LBB260_1355:                           ;   in Loop: Header=BB260_819 Depth=1
	s_or_b64 exec, exec, s[24:25]
.LBB260_1356:                           ;   in Loop: Header=BB260_819 Depth=1
	s_or_b64 exec, exec, s[22:23]
	v_lshrrev_b32_e32 v16, 16, v53
	v_cmp_ne_u16_sdwa s[24:25], v16, v17 src0_sel:BYTE_0 src1_sel:DWORD
	s_and_saveexec_b64 s[22:23], s[24:25]
	s_cbranch_execz .LBB260_1362
; %bb.1357:                             ;   in Loop: Header=BB260_819 Depth=1
	v_cmp_ne_u16_sdwa s[26:27], v16, s28 src0_sel:BYTE_0 src1_sel:DWORD
	v_mov_b32_e32 v51, 0x8000
	s_and_saveexec_b64 s[24:25], s[26:27]
	s_cbranch_execz .LBB260_1361
; %bb.1358:                             ;   in Loop: Header=BB260_819 Depth=1
	v_bfe_u32 v39, v53, 16, 7
	v_cmp_ne_u32_e32 vcc, s29, v39
	v_mov_b32_e32 v51, 0x7c01
	s_and_saveexec_b64 s[26:27], vcc
	s_cbranch_execz .LBB260_1360
; %bb.1359:                             ;   in Loop: Header=BB260_819 Depth=1
	v_and_b32_e32 v51, 7, v16
	v_ffbh_u32_e32 v65, v51
	v_min_u32_e32 v65, 32, v65
	v_lshrrev_b32_e32 v54, 3, v39
	v_subrev_u32_e32 v66, 28, v65
	v_sub_u32_e32 v65, 29, v65
	v_cmp_gt_u32_e32 vcc, 8, v39
	v_lshlrev_b64 v[68:69], v66, v[16:17]
	v_lshlrev_b32_e32 v16, 8, v16
	v_cndmask_b32_e32 v39, v54, v65, vcc
	v_lshl_add_u32 v39, v39, 10, v98
	v_and_b32_e32 v54, 7, v68
	v_and_b32_e32 v39, 0xfc00, v39
	v_cndmask_b32_e32 v51, v51, v54, vcc
	v_and_or_b32 v16, v16, s40, v39
	v_lshl_or_b32 v51, v51, 7, v16
.LBB260_1360:                           ;   in Loop: Header=BB260_819 Depth=1
	s_or_b64 exec, exec, s[26:27]
.LBB260_1361:                           ;   in Loop: Header=BB260_819 Depth=1
	s_or_b64 exec, exec, s[24:25]
.LBB260_1362:                           ;   in Loop: Header=BB260_819 Depth=1
	s_or_b64 exec, exec, s[22:23]
	v_cmp_lt_u64_e32 vcc, s[6:7], v[52:53]
	v_mov_b32_e32 v52, 0
	s_and_saveexec_b64 s[22:23], vcc
	s_cbranch_execz .LBB260_1368
; %bb.1363:                             ;   in Loop: Header=BB260_819 Depth=1
	v_lshrrev_b32_e32 v16, 24, v53
	v_cmp_ne_u32_e32 vcc, s28, v16
	v_bfrev_b32_e32 v52, 1
	s_and_saveexec_b64 s[24:25], vcc
	s_cbranch_execz .LBB260_1367
; %bb.1364:                             ;   in Loop: Header=BB260_819 Depth=1
	v_and_b32_e32 v39, 0x7f, v16
	v_cmp_ne_u32_e32 vcc, s29, v39
	v_mov_b32_e32 v52, 0x7c010000
	s_and_saveexec_b64 s[26:27], vcc
	s_cbranch_execz .LBB260_1366
; %bb.1365:                             ;   in Loop: Header=BB260_819 Depth=1
	v_and_b32_e32 v54, 7, v16
	v_ffbh_u32_e32 v52, v54
	v_min_u32_e32 v66, 32, v52
	v_subrev_u32_e32 v52, 28, v66
	v_lshlrev_b64 v[52:53], v52, v[16:17]
	v_lshrrev_b32_e32 v65, 3, v39
	v_sub_u32_e32 v53, 29, v66
	v_cmp_gt_u32_e32 vcc, 8, v39
	v_lshlrev_b32_e32 v16, 8, v16
	v_and_b32_e32 v52, 7, v52
	v_cndmask_b32_e32 v39, v65, v53, vcc
	v_lshl_add_u32 v39, v39, 10, v98
	v_and_or_b32 v16, v16, s40, v39
	v_cndmask_b32_e32 v52, v54, v52, vcc
	v_lshlrev_b32_e32 v16, 16, v16
	v_lshl_or_b32 v52, v52, 23, v16
.LBB260_1366:                           ;   in Loop: Header=BB260_819 Depth=1
	s_or_b64 exec, exec, s[26:27]
.LBB260_1367:                           ;   in Loop: Header=BB260_819 Depth=1
	s_or_b64 exec, exec, s[24:25]
.LBB260_1368:                           ;   in Loop: Header=BB260_819 Depth=1
	s_or_b64 exec, exec, s[22:23]
	v_cvt_f32_f16_sdwa v69, v13 dst_sel:DWORD dst_unused:UNUSED_PAD src0_sel:WORD_1
	v_cvt_f32_f16_sdwa v68, v19 dst_sel:DWORD dst_unused:UNUSED_PAD src0_sel:WORD_1
	v_or_b32_e32 v2, v13, v2
	v_or_b32_e32 v13, v19, v18
	v_cvt_f32_f16_sdwa v65, v64 dst_sel:DWORD dst_unused:UNUSED_PAD src0_sel:WORD_1
	s_waitcnt vmcnt(0) lgkmcnt(0)
	v_pk_mul_f32 v[18:19], v[50:51], v[68:69] op_sel_hi:[0,1]
	v_cvt_f32_f16_e32 v68, v13
	v_cvt_f32_f16_e32 v69, v2
	v_cvt_pk_f16_f32 v2, v18, v19
	v_and_b32_e32 v19, 0xffff0000, v2
	v_lshlrev_b32_e32 v16, 16, v2
	v_pk_mul_f32 v[68:69], v[50:51], v[68:69] op_sel_hi:[0,1]
	v_cvt_pk_f16_f32 v2, v68, v69
	v_lshrrev_b32_e32 v39, 16, v2
	v_and_b32_e32 v54, 0xffff, v2
	v_or_b32_e32 v2, v64, v55
	v_or_b32_e32 v18, v52, v51
	v_cvt_f32_f16_e32 v68, v18
	v_cvt_f32_f16_e32 v69, v2
	v_cvt_f32_f16_sdwa v64, v52 dst_sel:DWORD dst_unused:UNUSED_PAD src0_sel:WORD_1
	v_or_b32_e32 v13, v19, v39
	v_or_b32_e32 v52, v16, v54
	v_pk_mul_f32 v[68:69], v[50:51], v[68:69] op_sel_hi:[0,1]
	v_pk_mul_f32 v[50:51], v[50:51], v[64:65] op_sel_hi:[0,1]
	v_cvt_pk_f16_f32 v2, v68, v69
	v_cvt_pk_f16_f32 v18, v50, v51
	v_and_b32_e32 v51, 0xffff0000, v18
	v_lshlrev_b32_e32 v50, 16, v18
	v_lshrrev_b32_e32 v53, 16, v2
	v_and_b32_e32 v64, 0xffff, v2
	v_or_b32_e32 v55, v51, v53
	v_or_b32_e32 v66, v50, v64
	s_and_saveexec_b64 s[22:23], s[2:3]
	s_cbranch_execz .LBB260_1370
; %bb.1369:                             ;   in Loop: Header=BB260_819 Depth=1
	v_cmp_lt_i32_e32 vcc, v99, v3
	s_nop 1
	v_cndmask_b32_e32 v2, 0, v39, vcc
	v_cmp_lt_i32_e32 vcc, v118, v12
	s_nop 1
	v_cndmask_b32_e32 v18, 0, v54, vcc
	;; [unrolled: 3-line block ×3, first 2 shown]
	v_cmp_lt_i32_e32 vcc, v116, v12
	v_or_b32_e32 v13, v2, v13
	s_nop 0
	v_cndmask_b32_e32 v16, 0, v16, vcc
	v_cmp_lt_i32_e32 vcc, v115, v3
	v_or_b32_e32 v52, v18, v16
	s_nop 0
	v_cndmask_b32_e32 v2, 0, v53, vcc
	v_cmp_lt_i32_e32 vcc, v114, v12
	s_nop 1
	v_cndmask_b32_e32 v16, 0, v64, vcc
	v_cmp_lt_i32_e32 vcc, v113, v3
	;; [unrolled: 3-line block ×3, first 2 shown]
	v_or_b32_e32 v55, v2, v18
	s_nop 0
	v_cndmask_b32_e32 v19, 0, v50, vcc
	v_or_b32_e32 v66, v16, v19
.LBB260_1370:                           ;   in Loop: Header=BB260_819 Depth=1
	s_or_b64 exec, exec, s[22:23]
	;;#ASMSTART
	v_pk_mul_f16 v2, v112, v13;

	;;#ASMEND
	;;#ASMSTART
	v_pk_mul_f16 v13, v102, v52;

	;;#ASMEND
	;; [unrolled: 4-line block ×4, first 2 shown]
	v_add_co_u32_e32 v50, vcc, 0x1000, v48
	;;#ASMSTART
	v_pk_add_f16 v2, v2, v13;

	;;#ASMEND
	v_mov_b32_e32 v19, 0
	;;#ASMSTART
	v_pk_add_f16 v2, v2, v16;

	;;#ASMEND
	s_nop 0
	v_addc_co_u32_e32 v51, vcc, 0, v49, vcc
	;;#ASMSTART
	v_pk_add_f16 v2, v2, v18;

	;;#ASMEND
	s_nop 0
	v_lshrrev_b32_e32 v13, 16, v2
	v_and_b32_e32 v2, 0xffff, v2
	;;#ASMSTART
	v_cvt_f32_f16 v2, v2;
	;;#ASMEND
	;;#ASMSTART
	v_cvt_f32_f16 v18, v13;
	;;#ASMEND
	flat_load_dwordx2 v[52:53], v[50:51] offset:1536
	s_nop 0
	scratch_load_dwordx2 v[50:51], off, s32 offset:192 ; 8-byte Folded Reload
	v_mov_b32_e32 v13, 0
	s_waitcnt vmcnt(0) lgkmcnt(0)
	v_cmp_ne_u16_sdwa s[24:25], v52, v17 src0_sel:BYTE_0 src1_sel:DWORD
	flat_load_dword v50, v[50:51]
	s_and_saveexec_b64 s[22:23], s[24:25]
	s_cbranch_execz .LBB260_1376
; %bb.1371:                             ;   in Loop: Header=BB260_819 Depth=1
	v_cmp_ne_u16_sdwa s[26:27], v52, s28 src0_sel:BYTE_0 src1_sel:DWORD
	v_mov_b32_e32 v13, 0x8000
	s_and_saveexec_b64 s[24:25], s[26:27]
	s_cbranch_execz .LBB260_1375
; %bb.1372:                             ;   in Loop: Header=BB260_819 Depth=1
	v_and_b32_e32 v16, 0x7f, v52
	v_cmp_ne_u32_e32 vcc, s29, v16
	v_mov_b32_e32 v13, 0x7c01
	s_and_saveexec_b64 s[26:27], vcc
	s_cbranch_execz .LBB260_1374
; %bb.1373:                             ;   in Loop: Header=BB260_819 Depth=1
	v_and_b32_e32 v13, 7, v52
	v_ffbh_u32_e32 v51, v13
	v_min_u32_e32 v51, 32, v51
	v_lshrrev_b32_e32 v39, 3, v16
	v_subrev_u32_e32 v54, 28, v51
	v_sub_u32_e32 v51, 29, v51
	v_cmp_gt_u32_e32 vcc, 8, v16
	v_lshlrev_b64 v[54:55], v54, v[52:53]
	s_nop 0
	v_cndmask_b32_e32 v16, v39, v51, vcc
	v_lshl_add_u32 v16, v16, 10, v98
	v_lshlrev_b32_e32 v39, 8, v52
	v_and_b32_e32 v51, 7, v54
	v_and_b32_e32 v16, 0xfc00, v16
	v_cndmask_b32_e32 v13, v13, v51, vcc
	v_and_or_b32 v16, v39, s40, v16
	v_lshl_or_b32 v13, v13, 7, v16
.LBB260_1374:                           ;   in Loop: Header=BB260_819 Depth=1
	s_or_b64 exec, exec, s[26:27]
.LBB260_1375:                           ;   in Loop: Header=BB260_819 Depth=1
	s_or_b64 exec, exec, s[24:25]
.LBB260_1376:                           ;   in Loop: Header=BB260_819 Depth=1
	s_or_b64 exec, exec, s[22:23]
	v_lshrrev_b16_e32 v16, 8, v52
	v_cmp_ne_u16_e32 vcc, 0, v16
	s_and_saveexec_b64 s[22:23], vcc
	s_cbranch_execz .LBB260_1382
; %bb.1377:                             ;   in Loop: Header=BB260_819 Depth=1
	v_cmp_ne_u16_e32 vcc, s28, v16
	v_bfrev_b32_e32 v19, 1
	s_and_saveexec_b64 s[24:25], vcc
	s_cbranch_execz .LBB260_1381
; %bb.1378:                             ;   in Loop: Header=BB260_819 Depth=1
	v_and_b32_e32 v39, 0x7f, v16
	v_cmp_ne_u32_e32 vcc, s29, v39
	v_mov_b32_e32 v19, 0x7c010000
	s_and_saveexec_b64 s[26:27], vcc
	s_cbranch_execz .LBB260_1380
; %bb.1379:                             ;   in Loop: Header=BB260_819 Depth=1
	v_and_b32_e32 v19, 7, v16
	v_ffbh_u32_e32 v54, v19
	v_min_u32_e32 v64, 32, v54
	v_subrev_u32_e32 v54, 28, v64
	v_lshlrev_b64 v[54:55], v54, v[16:17]
	v_lshrrev_b32_e32 v51, 3, v39
	v_sub_u32_e32 v55, 29, v64
	v_cmp_gt_u32_e32 vcc, 8, v39
	v_lshlrev_b32_e32 v16, 8, v16
	s_nop 0
	v_cndmask_b32_e32 v39, v51, v55, vcc
	v_lshl_add_u32 v39, v39, 10, v98
	v_and_b32_e32 v51, 7, v54
	v_and_or_b32 v16, v16, s40, v39
	v_cndmask_b32_e32 v19, v19, v51, vcc
	v_lshlrev_b32_e32 v16, 16, v16
	v_lshl_or_b32 v19, v19, 23, v16
.LBB260_1380:                           ;   in Loop: Header=BB260_819 Depth=1
	s_or_b64 exec, exec, s[26:27]
.LBB260_1381:                           ;   in Loop: Header=BB260_819 Depth=1
	s_or_b64 exec, exec, s[24:25]
.LBB260_1382:                           ;   in Loop: Header=BB260_819 Depth=1
	s_or_b64 exec, exec, s[22:23]
	v_lshrrev_b32_e32 v16, 16, v52
	v_cmp_ne_u16_sdwa s[24:25], v16, v17 src0_sel:BYTE_0 src1_sel:DWORD
	v_mov_b32_e32 v51, 0
	v_mov_b32_e32 v39, 0
	s_and_saveexec_b64 s[22:23], s[24:25]
	s_cbranch_execz .LBB260_1388
; %bb.1383:                             ;   in Loop: Header=BB260_819 Depth=1
	v_cmp_ne_u16_sdwa s[26:27], v16, s28 src0_sel:BYTE_0 src1_sel:DWORD
	v_mov_b32_e32 v39, 0x8000
	s_and_saveexec_b64 s[24:25], s[26:27]
	s_cbranch_execz .LBB260_1387
; %bb.1384:                             ;   in Loop: Header=BB260_819 Depth=1
	v_bfe_u32 v54, v52, 16, 7
	v_cmp_ne_u32_e32 vcc, s29, v54
	v_mov_b32_e32 v39, 0x7c01
	s_and_saveexec_b64 s[26:27], vcc
	s_cbranch_execz .LBB260_1386
; %bb.1385:                             ;   in Loop: Header=BB260_819 Depth=1
	v_and_b32_e32 v39, 7, v16
	v_ffbh_u32_e32 v64, v39
	v_min_u32_e32 v66, 32, v64
	v_subrev_u32_e32 v64, 28, v66
	v_lshlrev_b64 v[64:65], v64, v[16:17]
	v_lshrrev_b32_e32 v55, 3, v54
	v_sub_u32_e32 v65, 29, v66
	v_cmp_gt_u32_e32 vcc, 8, v54
	v_lshlrev_b32_e32 v16, 8, v16
	s_nop 0
	v_cndmask_b32_e32 v54, v55, v65, vcc
	v_lshl_add_u32 v54, v54, 10, v98
	v_and_b32_e32 v55, 7, v64
	v_and_b32_e32 v54, 0xfc00, v54
	v_cndmask_b32_e32 v39, v39, v55, vcc
	v_and_or_b32 v16, v16, s40, v54
	v_lshl_or_b32 v39, v39, 7, v16
.LBB260_1386:                           ;   in Loop: Header=BB260_819 Depth=1
	s_or_b64 exec, exec, s[26:27]
.LBB260_1387:                           ;   in Loop: Header=BB260_819 Depth=1
	s_or_b64 exec, exec, s[24:25]
.LBB260_1388:                           ;   in Loop: Header=BB260_819 Depth=1
	s_or_b64 exec, exec, s[22:23]
	v_cmp_lt_u32_e32 vcc, s7, v52
	s_and_saveexec_b64 s[22:23], vcc
	s_cbranch_execz .LBB260_1394
; %bb.1389:                             ;   in Loop: Header=BB260_819 Depth=1
	v_lshrrev_b32_e32 v16, 24, v52
	v_cmp_ne_u32_e32 vcc, s28, v16
	v_bfrev_b32_e32 v51, 1
	s_and_saveexec_b64 s[24:25], vcc
	s_cbranch_execz .LBB260_1393
; %bb.1390:                             ;   in Loop: Header=BB260_819 Depth=1
	v_and_b32_e32 v54, 0x7f, v16
	v_cmp_ne_u32_e32 vcc, s29, v54
	v_mov_b32_e32 v51, 0x7c010000
	s_and_saveexec_b64 s[26:27], vcc
	s_cbranch_execz .LBB260_1392
; %bb.1391:                             ;   in Loop: Header=BB260_819 Depth=1
	v_and_b32_e32 v51, 7, v16
	v_ffbh_u32_e32 v64, v51
	v_min_u32_e32 v66, 32, v64
	v_subrev_u32_e32 v64, 28, v66
	v_lshlrev_b64 v[64:65], v64, v[16:17]
	v_lshrrev_b32_e32 v55, 3, v54
	v_sub_u32_e32 v65, 29, v66
	v_cmp_gt_u32_e32 vcc, 8, v54
	v_lshlrev_b32_e32 v16, 8, v16
	s_nop 0
	v_cndmask_b32_e32 v54, v55, v65, vcc
	v_lshl_add_u32 v54, v54, 10, v98
	v_and_b32_e32 v55, 7, v64
	v_and_or_b32 v16, v16, s40, v54
	v_cndmask_b32_e32 v51, v51, v55, vcc
	v_lshlrev_b32_e32 v16, 16, v16
	v_lshl_or_b32 v51, v51, 23, v16
.LBB260_1392:                           ;   in Loop: Header=BB260_819 Depth=1
	s_or_b64 exec, exec, s[26:27]
.LBB260_1393:                           ;   in Loop: Header=BB260_819 Depth=1
	s_or_b64 exec, exec, s[24:25]
.LBB260_1394:                           ;   in Loop: Header=BB260_819 Depth=1
	s_or_b64 exec, exec, s[22:23]
	v_mov_b32_e32 v16, v53
	v_cmp_ne_u16_sdwa s[24:25], v53, v17 src0_sel:BYTE_0 src1_sel:DWORD
	v_mov_b32_e32 v55, 0
	v_mov_b32_e32 v64, 0
	s_and_saveexec_b64 s[22:23], s[24:25]
	s_cbranch_execz .LBB260_1400
; %bb.1395:                             ;   in Loop: Header=BB260_819 Depth=1
	v_cmp_ne_u16_sdwa s[26:27], v53, s28 src0_sel:BYTE_0 src1_sel:DWORD
	v_mov_b32_e32 v64, 0x8000
	s_and_saveexec_b64 s[24:25], s[26:27]
	s_cbranch_execz .LBB260_1399
; %bb.1396:                             ;   in Loop: Header=BB260_819 Depth=1
	v_and_b32_e32 v54, 0x7f, v53
	v_cmp_ne_u32_e32 vcc, s29, v54
	v_mov_b32_e32 v64, 0x7c01
	s_and_saveexec_b64 s[26:27], vcc
	s_cbranch_execz .LBB260_1398
; %bb.1397:                             ;   in Loop: Header=BB260_819 Depth=1
	v_and_b32_e32 v66, 7, v53
	v_ffbh_u32_e32 v64, v66
	v_min_u32_e32 v69, 32, v64
	v_subrev_u32_e32 v64, 28, v69
	v_lshlrev_b64 v[64:65], v64, v[16:17]
	v_lshrrev_b32_e32 v68, 3, v54
	v_sub_u32_e32 v65, 29, v69
	v_cmp_gt_u32_e32 vcc, 8, v54
	v_and_b32_e32 v64, 7, v64
	s_nop 0
	v_cndmask_b32_e32 v54, v68, v65, vcc
	v_lshl_add_u32 v54, v54, 10, v98
	v_lshlrev_b32_e32 v65, 8, v53
	v_and_b32_e32 v54, 0xfc00, v54
	v_cndmask_b32_e32 v64, v66, v64, vcc
	v_and_or_b32 v54, v65, s40, v54
	v_lshl_or_b32 v64, v64, 7, v54
.LBB260_1398:                           ;   in Loop: Header=BB260_819 Depth=1
	s_or_b64 exec, exec, s[26:27]
.LBB260_1399:                           ;   in Loop: Header=BB260_819 Depth=1
	s_or_b64 exec, exec, s[24:25]
.LBB260_1400:                           ;   in Loop: Header=BB260_819 Depth=1
	s_or_b64 exec, exec, s[22:23]
	v_lshrrev_b16_e32 v16, 8, v16
	v_cmp_ne_u16_e32 vcc, 0, v16
	v_mov_b32_e32 v65, 0
	s_and_saveexec_b64 s[22:23], vcc
	s_cbranch_execz .LBB260_1406
; %bb.1401:                             ;   in Loop: Header=BB260_819 Depth=1
	v_cmp_ne_u16_e32 vcc, s28, v16
	v_bfrev_b32_e32 v65, 1
	s_and_saveexec_b64 s[24:25], vcc
	s_cbranch_execz .LBB260_1405
; %bb.1402:                             ;   in Loop: Header=BB260_819 Depth=1
	v_and_b32_e32 v54, 0x7f, v16
	v_cmp_ne_u32_e32 vcc, s29, v54
	v_mov_b32_e32 v65, 0x7c010000
	s_and_saveexec_b64 s[26:27], vcc
	s_cbranch_execz .LBB260_1404
; %bb.1403:                             ;   in Loop: Header=BB260_819 Depth=1
	v_and_b32_e32 v65, 7, v16
	v_ffbh_u32_e32 v68, v65
	v_min_u32_e32 v70, 32, v68
	v_subrev_u32_e32 v68, 28, v70
	v_lshlrev_b64 v[68:69], v68, v[16:17]
	v_lshrrev_b32_e32 v66, 3, v54
	v_sub_u32_e32 v69, 29, v70
	v_cmp_gt_u32_e32 vcc, 8, v54
	v_lshlrev_b32_e32 v16, 8, v16
	s_nop 0
	v_cndmask_b32_e32 v54, v66, v69, vcc
	v_lshl_add_u32 v54, v54, 10, v98
	v_and_b32_e32 v66, 7, v68
	v_and_or_b32 v16, v16, s40, v54
	v_cndmask_b32_e32 v65, v65, v66, vcc
	v_lshlrev_b32_e32 v16, 16, v16
	v_lshl_or_b32 v65, v65, 23, v16
.LBB260_1404:                           ;   in Loop: Header=BB260_819 Depth=1
	s_or_b64 exec, exec, s[26:27]
.LBB260_1405:                           ;   in Loop: Header=BB260_819 Depth=1
	s_or_b64 exec, exec, s[24:25]
.LBB260_1406:                           ;   in Loop: Header=BB260_819 Depth=1
	s_or_b64 exec, exec, s[22:23]
	v_lshrrev_b32_e32 v16, 16, v53
	v_cmp_ne_u16_sdwa s[24:25], v16, v17 src0_sel:BYTE_0 src1_sel:DWORD
	s_and_saveexec_b64 s[22:23], s[24:25]
	s_cbranch_execz .LBB260_1412
; %bb.1407:                             ;   in Loop: Header=BB260_819 Depth=1
	v_cmp_ne_u16_sdwa s[26:27], v16, s28 src0_sel:BYTE_0 src1_sel:DWORD
	v_mov_b32_e32 v55, 0x8000
	s_and_saveexec_b64 s[24:25], s[26:27]
	s_cbranch_execz .LBB260_1411
; %bb.1408:                             ;   in Loop: Header=BB260_819 Depth=1
	v_bfe_u32 v54, v53, 16, 7
	v_cmp_ne_u32_e32 vcc, s29, v54
	v_mov_b32_e32 v55, 0x7c01
	s_and_saveexec_b64 s[26:27], vcc
	s_cbranch_execz .LBB260_1410
; %bb.1409:                             ;   in Loop: Header=BB260_819 Depth=1
	v_and_b32_e32 v55, 7, v16
	v_ffbh_u32_e32 v68, v55
	v_min_u32_e32 v70, 32, v68
	v_subrev_u32_e32 v68, 28, v70
	v_lshlrev_b64 v[68:69], v68, v[16:17]
	v_lshrrev_b32_e32 v66, 3, v54
	v_sub_u32_e32 v69, 29, v70
	v_cmp_gt_u32_e32 vcc, 8, v54
	v_lshlrev_b32_e32 v16, 8, v16
	s_nop 0
	v_cndmask_b32_e32 v54, v66, v69, vcc
	v_lshl_add_u32 v54, v54, 10, v98
	v_and_b32_e32 v66, 7, v68
	v_and_b32_e32 v54, 0xfc00, v54
	v_cndmask_b32_e32 v55, v55, v66, vcc
	v_and_or_b32 v16, v16, s40, v54
	v_lshl_or_b32 v55, v55, 7, v16
.LBB260_1410:                           ;   in Loop: Header=BB260_819 Depth=1
	s_or_b64 exec, exec, s[26:27]
.LBB260_1411:                           ;   in Loop: Header=BB260_819 Depth=1
	s_or_b64 exec, exec, s[24:25]
.LBB260_1412:                           ;   in Loop: Header=BB260_819 Depth=1
	s_or_b64 exec, exec, s[22:23]
	v_cmp_lt_u64_e32 vcc, s[6:7], v[52:53]
	v_mov_b32_e32 v52, 0
	s_and_saveexec_b64 s[22:23], vcc
	s_cbranch_execz .LBB260_1418
; %bb.1413:                             ;   in Loop: Header=BB260_819 Depth=1
	v_lshrrev_b32_e32 v16, 24, v53
	v_cmp_ne_u32_e32 vcc, s28, v16
	v_bfrev_b32_e32 v52, 1
	s_and_saveexec_b64 s[24:25], vcc
	s_cbranch_execz .LBB260_1417
; %bb.1414:                             ;   in Loop: Header=BB260_819 Depth=1
	v_and_b32_e32 v53, 0x7f, v16
	v_cmp_ne_u32_e32 vcc, s29, v53
	v_mov_b32_e32 v52, 0x7c010000
	s_and_saveexec_b64 s[26:27], vcc
	s_cbranch_execz .LBB260_1416
; %bb.1415:                             ;   in Loop: Header=BB260_819 Depth=1
	v_and_b32_e32 v52, 7, v16
	v_ffbh_u32_e32 v66, v52
	v_min_u32_e32 v66, 32, v66
	v_lshrrev_b32_e32 v54, 3, v53
	v_subrev_u32_e32 v68, 28, v66
	v_sub_u32_e32 v66, 29, v66
	v_cmp_gt_u32_e32 vcc, 8, v53
	v_lshlrev_b64 v[68:69], v68, v[16:17]
	v_lshlrev_b32_e32 v16, 8, v16
	v_cndmask_b32_e32 v53, v54, v66, vcc
	v_lshl_add_u32 v53, v53, 10, v98
	v_and_b32_e32 v54, 7, v68
	v_and_or_b32 v16, v16, s40, v53
	v_cndmask_b32_e32 v52, v52, v54, vcc
	v_lshlrev_b32_e32 v16, 16, v16
	v_lshl_or_b32 v52, v52, 23, v16
.LBB260_1416:                           ;   in Loop: Header=BB260_819 Depth=1
	s_or_b64 exec, exec, s[26:27]
.LBB260_1417:                           ;   in Loop: Header=BB260_819 Depth=1
	s_or_b64 exec, exec, s[24:25]
.LBB260_1418:                           ;   in Loop: Header=BB260_819 Depth=1
	s_or_b64 exec, exec, s[22:23]
	v_cvt_f32_f16_sdwa v69, v19 dst_sel:DWORD dst_unused:UNUSED_PAD src0_sel:WORD_1
	v_cvt_f32_f16_sdwa v68, v51 dst_sel:DWORD dst_unused:UNUSED_PAD src0_sel:WORD_1
	v_or_b32_e32 v13, v19, v13
	v_or_b32_e32 v16, v51, v39
	v_cvt_f32_f16_e32 v74, v16
	v_cvt_f32_f16_e32 v75, v13
	s_waitcnt vmcnt(0) lgkmcnt(0)
	v_pk_mul_f32 v[68:69], v[50:51], v[68:69] op_sel_hi:[0,1]
	v_cvt_pk_f16_f32 v13, v68, v69
	v_or_b32_e32 v53, v52, v55
	v_pk_mul_f32 v[68:69], v[50:51], v[74:75] op_sel_hi:[0,1]
	v_or_b32_e32 v51, v65, v64
	v_and_b32_e32 v19, 0xffff0000, v13
	v_lshlrev_b32_e32 v16, 16, v13
	v_cvt_pk_f16_f32 v13, v68, v69
	v_cvt_f32_f16_e32 v68, v53
	v_cvt_f32_f16_e32 v69, v51
	v_cvt_f32_f16_sdwa v65, v65 dst_sel:DWORD dst_unused:UNUSED_PAD src0_sel:WORD_1
	v_cvt_f32_f16_sdwa v64, v52 dst_sel:DWORD dst_unused:UNUSED_PAD src0_sel:WORD_1
	v_lshrrev_b32_e32 v39, 16, v13
	v_pk_mul_f32 v[68:69], v[50:51], v[68:69] op_sel_hi:[0,1]
	v_cvt_pk_f16_f32 v55, v68, v69
	v_pk_mul_f32 v[50:51], v[50:51], v[64:65] op_sel_hi:[0,1]
	v_cvt_pk_f16_f32 v50, v50, v51
	v_and_b32_e32 v54, 0xffff, v13
	v_and_b32_e32 v51, 0xffff0000, v50
	v_lshlrev_b32_e32 v50, 16, v50
	v_lshrrev_b32_e32 v53, 16, v55
	v_and_b32_e32 v64, 0xffff, v55
	v_or_b32_e32 v13, v19, v39
	v_or_b32_e32 v52, v16, v54
	v_or_b32_e32 v55, v51, v53
	v_or_b32_e32 v66, v50, v64
	s_and_saveexec_b64 s[22:23], s[2:3]
	s_cbranch_execz .LBB260_1420
; %bb.1419:                             ;   in Loop: Header=BB260_819 Depth=1
	v_cmp_lt_i32_e32 vcc, v99, v3
	s_nop 1
	v_cndmask_b32_e32 v13, 0, v39, vcc
	v_cmp_lt_i32_e32 vcc, v118, v12
	s_nop 1
	v_cndmask_b32_e32 v39, 0, v54, vcc
	;; [unrolled: 3-line block ×3, first 2 shown]
	v_cmp_lt_i32_e32 vcc, v116, v12
	v_or_b32_e32 v13, v13, v19
	s_nop 0
	v_cndmask_b32_e32 v16, 0, v16, vcc
	v_cmp_lt_i32_e32 vcc, v115, v3
	v_or_b32_e32 v52, v39, v16
	s_nop 0
	v_cndmask_b32_e32 v16, 0, v53, vcc
	v_cmp_lt_i32_e32 vcc, v114, v12
	s_nop 1
	v_cndmask_b32_e32 v19, 0, v64, vcc
	v_cmp_lt_i32_e32 vcc, v113, v3
	;; [unrolled: 3-line block ×3, first 2 shown]
	v_or_b32_e32 v55, v16, v39
	s_nop 0
	v_cndmask_b32_e32 v50, 0, v50, vcc
	v_or_b32_e32 v66, v19, v50
.LBB260_1420:                           ;   in Loop: Header=BB260_819 Depth=1
	s_or_b64 exec, exec, s[22:23]
	;;#ASMSTART
	v_pk_mul_f16 v13, v112, v13;

	;;#ASMEND
	;;#ASMSTART
	v_pk_mul_f16 v16, v102, v52;

	;;#ASMEND
	;; [unrolled: 4-line block ×4, first 2 shown]
	v_add_co_u32_e32 v50, vcc, 0x1000, v48
	;;#ASMSTART
	v_pk_add_f16 v13, v13, v16;

	;;#ASMEND
	s_nop 0
	;;#ASMSTART
	v_pk_add_f16 v13, v13, v19;

	;;#ASMEND
	s_nop 0
	v_addc_co_u32_e32 v51, vcc, 0, v49, vcc
	;;#ASMSTART
	v_pk_add_f16 v13, v13, v39;

	;;#ASMEND
	v_mov_b32_e32 v19, 0
	v_lshrrev_b32_e32 v16, 16, v13
	v_and_b32_e32 v13, 0xffff, v13
	;;#ASMSTART
	v_cvt_f32_f16 v65, v13;
	;;#ASMEND
	;;#ASMSTART
	v_cvt_f32_f16 v68, v16;
	;;#ASMEND
	flat_load_dwordx2 v[52:53], v[50:51] offset:2048
	s_nop 0
	scratch_load_dwordx2 v[50:51], off, s32 offset:192 ; 8-byte Folded Reload
	v_mov_b32_e32 v13, 0
	s_waitcnt vmcnt(0) lgkmcnt(0)
	v_cmp_ne_u16_sdwa s[24:25], v52, v17 src0_sel:BYTE_0 src1_sel:DWORD
	flat_load_dword v50, v[50:51]
	s_and_saveexec_b64 s[22:23], s[24:25]
	s_cbranch_execz .LBB260_1426
; %bb.1421:                             ;   in Loop: Header=BB260_819 Depth=1
	v_cmp_ne_u16_sdwa s[26:27], v52, s28 src0_sel:BYTE_0 src1_sel:DWORD
	v_mov_b32_e32 v13, 0x8000
	s_and_saveexec_b64 s[24:25], s[26:27]
	s_cbranch_execz .LBB260_1425
; %bb.1422:                             ;   in Loop: Header=BB260_819 Depth=1
	v_and_b32_e32 v16, 0x7f, v52
	v_cmp_ne_u32_e32 vcc, s29, v16
	v_mov_b32_e32 v13, 0x7c01
	s_and_saveexec_b64 s[26:27], vcc
	s_cbranch_execz .LBB260_1424
; %bb.1423:                             ;   in Loop: Header=BB260_819 Depth=1
	v_and_b32_e32 v13, 7, v52
	v_ffbh_u32_e32 v51, v13
	v_min_u32_e32 v51, 32, v51
	v_lshrrev_b32_e32 v39, 3, v16
	v_subrev_u32_e32 v54, 28, v51
	v_sub_u32_e32 v51, 29, v51
	v_cmp_gt_u32_e32 vcc, 8, v16
	v_lshlrev_b64 v[54:55], v54, v[52:53]
	s_nop 0
	v_cndmask_b32_e32 v16, v39, v51, vcc
	v_lshl_add_u32 v16, v16, 10, v98
	v_lshlrev_b32_e32 v39, 8, v52
	v_and_b32_e32 v51, 7, v54
	v_and_b32_e32 v16, 0xfc00, v16
	v_cndmask_b32_e32 v13, v13, v51, vcc
	v_and_or_b32 v16, v39, s40, v16
	v_lshl_or_b32 v13, v13, 7, v16
.LBB260_1424:                           ;   in Loop: Header=BB260_819 Depth=1
	s_or_b64 exec, exec, s[26:27]
.LBB260_1425:                           ;   in Loop: Header=BB260_819 Depth=1
	s_or_b64 exec, exec, s[24:25]
.LBB260_1426:                           ;   in Loop: Header=BB260_819 Depth=1
	s_or_b64 exec, exec, s[22:23]
	v_lshrrev_b16_e32 v16, 8, v52
	v_cmp_ne_u16_e32 vcc, 0, v16
	s_and_saveexec_b64 s[22:23], vcc
	s_cbranch_execz .LBB260_1432
; %bb.1427:                             ;   in Loop: Header=BB260_819 Depth=1
	v_cmp_ne_u16_e32 vcc, s28, v16
	v_bfrev_b32_e32 v19, 1
	s_and_saveexec_b64 s[24:25], vcc
	s_cbranch_execz .LBB260_1431
; %bb.1428:                             ;   in Loop: Header=BB260_819 Depth=1
	v_and_b32_e32 v39, 0x7f, v16
	v_cmp_ne_u32_e32 vcc, s29, v39
	v_mov_b32_e32 v19, 0x7c010000
	s_and_saveexec_b64 s[26:27], vcc
	s_cbranch_execz .LBB260_1430
; %bb.1429:                             ;   in Loop: Header=BB260_819 Depth=1
	v_and_b32_e32 v19, 7, v16
	v_ffbh_u32_e32 v54, v19
	v_min_u32_e32 v64, 32, v54
	v_subrev_u32_e32 v54, 28, v64
	v_lshlrev_b64 v[54:55], v54, v[16:17]
	v_lshrrev_b32_e32 v51, 3, v39
	v_sub_u32_e32 v55, 29, v64
	v_cmp_gt_u32_e32 vcc, 8, v39
	v_lshlrev_b32_e32 v16, 8, v16
	s_nop 0
	v_cndmask_b32_e32 v39, v51, v55, vcc
	v_lshl_add_u32 v39, v39, 10, v98
	v_and_b32_e32 v51, 7, v54
	v_and_or_b32 v16, v16, s40, v39
	v_cndmask_b32_e32 v19, v19, v51, vcc
	v_lshlrev_b32_e32 v16, 16, v16
	v_lshl_or_b32 v19, v19, 23, v16
.LBB260_1430:                           ;   in Loop: Header=BB260_819 Depth=1
	s_or_b64 exec, exec, s[26:27]
.LBB260_1431:                           ;   in Loop: Header=BB260_819 Depth=1
	s_or_b64 exec, exec, s[24:25]
.LBB260_1432:                           ;   in Loop: Header=BB260_819 Depth=1
	s_or_b64 exec, exec, s[22:23]
	v_lshrrev_b32_e32 v16, 16, v52
	v_cmp_ne_u16_sdwa s[24:25], v16, v17 src0_sel:BYTE_0 src1_sel:DWORD
	v_mov_b32_e32 v51, 0
	v_mov_b32_e32 v39, 0
	s_and_saveexec_b64 s[22:23], s[24:25]
	s_cbranch_execz .LBB260_1438
; %bb.1433:                             ;   in Loop: Header=BB260_819 Depth=1
	v_cmp_ne_u16_sdwa s[26:27], v16, s28 src0_sel:BYTE_0 src1_sel:DWORD
	v_mov_b32_e32 v39, 0x8000
	s_and_saveexec_b64 s[24:25], s[26:27]
	s_cbranch_execz .LBB260_1437
; %bb.1434:                             ;   in Loop: Header=BB260_819 Depth=1
	v_bfe_u32 v54, v52, 16, 7
	v_cmp_ne_u32_e32 vcc, s29, v54
	v_mov_b32_e32 v39, 0x7c01
	s_and_saveexec_b64 s[26:27], vcc
	s_cbranch_execz .LBB260_1436
; %bb.1435:                             ;   in Loop: Header=BB260_819 Depth=1
	v_and_b32_e32 v39, 7, v16
	v_ffbh_u32_e32 v64, v39
	v_min_u32_e32 v64, 32, v64
	v_lshrrev_b32_e32 v55, 3, v54
	v_subrev_u32_e32 v66, 28, v64
	v_sub_u32_e32 v64, 29, v64
	v_cmp_gt_u32_e32 vcc, 8, v54
	v_lshlrev_b64 v[74:75], v66, v[16:17]
	v_lshlrev_b32_e32 v16, 8, v16
	v_cndmask_b32_e32 v54, v55, v64, vcc
	v_lshl_add_u32 v54, v54, 10, v98
	v_and_b32_e32 v55, 7, v74
	v_and_b32_e32 v54, 0xfc00, v54
	v_cndmask_b32_e32 v39, v39, v55, vcc
	v_and_or_b32 v16, v16, s40, v54
	v_lshl_or_b32 v39, v39, 7, v16
.LBB260_1436:                           ;   in Loop: Header=BB260_819 Depth=1
	s_or_b64 exec, exec, s[26:27]
.LBB260_1437:                           ;   in Loop: Header=BB260_819 Depth=1
	s_or_b64 exec, exec, s[24:25]
.LBB260_1438:                           ;   in Loop: Header=BB260_819 Depth=1
	s_or_b64 exec, exec, s[22:23]
	v_cmp_lt_u32_e32 vcc, s7, v52
	s_and_saveexec_b64 s[22:23], vcc
	s_cbranch_execz .LBB260_1444
; %bb.1439:                             ;   in Loop: Header=BB260_819 Depth=1
	v_lshrrev_b32_e32 v16, 24, v52
	v_cmp_ne_u32_e32 vcc, s28, v16
	v_bfrev_b32_e32 v51, 1
	s_and_saveexec_b64 s[24:25], vcc
	s_cbranch_execz .LBB260_1443
; %bb.1440:                             ;   in Loop: Header=BB260_819 Depth=1
	v_and_b32_e32 v54, 0x7f, v16
	v_cmp_ne_u32_e32 vcc, s29, v54
	v_mov_b32_e32 v51, 0x7c010000
	s_and_saveexec_b64 s[26:27], vcc
	s_cbranch_execz .LBB260_1442
; %bb.1441:                             ;   in Loop: Header=BB260_819 Depth=1
	v_and_b32_e32 v51, 7, v16
	v_ffbh_u32_e32 v64, v51
	v_min_u32_e32 v64, 32, v64
	v_lshrrev_b32_e32 v55, 3, v54
	v_subrev_u32_e32 v66, 28, v64
	v_sub_u32_e32 v64, 29, v64
	v_cmp_gt_u32_e32 vcc, 8, v54
	v_lshlrev_b64 v[74:75], v66, v[16:17]
	v_lshlrev_b32_e32 v16, 8, v16
	v_cndmask_b32_e32 v54, v55, v64, vcc
	v_lshl_add_u32 v54, v54, 10, v98
	v_and_b32_e32 v55, 7, v74
	v_and_or_b32 v16, v16, s40, v54
	v_cndmask_b32_e32 v51, v51, v55, vcc
	v_lshlrev_b32_e32 v16, 16, v16
	v_lshl_or_b32 v51, v51, 23, v16
.LBB260_1442:                           ;   in Loop: Header=BB260_819 Depth=1
	s_or_b64 exec, exec, s[26:27]
.LBB260_1443:                           ;   in Loop: Header=BB260_819 Depth=1
	s_or_b64 exec, exec, s[24:25]
.LBB260_1444:                           ;   in Loop: Header=BB260_819 Depth=1
	s_or_b64 exec, exec, s[22:23]
	v_mov_b32_e32 v16, v53
	v_cmp_ne_u16_sdwa s[24:25], v53, v17 src0_sel:BYTE_0 src1_sel:DWORD
	v_mov_b32_e32 v55, 0
	v_mov_b32_e32 v64, 0
	s_and_saveexec_b64 s[22:23], s[24:25]
	s_cbranch_execz .LBB260_1450
; %bb.1445:                             ;   in Loop: Header=BB260_819 Depth=1
	v_cmp_ne_u16_sdwa s[26:27], v53, s28 src0_sel:BYTE_0 src1_sel:DWORD
	v_mov_b32_e32 v64, 0x8000
	s_and_saveexec_b64 s[24:25], s[26:27]
	s_cbranch_execz .LBB260_1449
; %bb.1446:                             ;   in Loop: Header=BB260_819 Depth=1
	v_and_b32_e32 v54, 0x7f, v53
	v_cmp_ne_u32_e32 vcc, s29, v54
	v_mov_b32_e32 v64, 0x7c01
	s_and_saveexec_b64 s[26:27], vcc
	s_cbranch_execz .LBB260_1448
; %bb.1447:                             ;   in Loop: Header=BB260_819 Depth=1
	v_and_b32_e32 v64, 7, v53
	v_ffbh_u32_e32 v69, v64
	v_min_u32_e32 v69, 32, v69
	v_lshrrev_b32_e32 v66, 3, v54
	v_subrev_u32_e32 v70, 28, v69
	v_sub_u32_e32 v69, 29, v69
	v_cmp_gt_u32_e32 vcc, 8, v54
	v_lshlrev_b64 v[74:75], v70, v[16:17]
	s_nop 0
	v_cndmask_b32_e32 v54, v66, v69, vcc
	v_lshl_add_u32 v54, v54, 10, v98
	v_lshlrev_b32_e32 v66, 8, v53
	v_and_b32_e32 v69, 7, v74
	v_and_b32_e32 v54, 0xfc00, v54
	v_cndmask_b32_e32 v64, v64, v69, vcc
	v_and_or_b32 v54, v66, s40, v54
	v_lshl_or_b32 v64, v64, 7, v54
.LBB260_1448:                           ;   in Loop: Header=BB260_819 Depth=1
	s_or_b64 exec, exec, s[26:27]
.LBB260_1449:                           ;   in Loop: Header=BB260_819 Depth=1
	s_or_b64 exec, exec, s[24:25]
.LBB260_1450:                           ;   in Loop: Header=BB260_819 Depth=1
	s_or_b64 exec, exec, s[22:23]
	v_lshrrev_b16_e32 v16, 8, v16
	v_cmp_ne_u16_e32 vcc, 0, v16
	v_mov_b32_e32 v66, 0
	s_and_saveexec_b64 s[22:23], vcc
	s_cbranch_execz .LBB260_1456
; %bb.1451:                             ;   in Loop: Header=BB260_819 Depth=1
	v_cmp_ne_u16_e32 vcc, s28, v16
	v_bfrev_b32_e32 v66, 1
	s_and_saveexec_b64 s[24:25], vcc
	s_cbranch_execz .LBB260_1455
; %bb.1452:                             ;   in Loop: Header=BB260_819 Depth=1
	v_and_b32_e32 v54, 0x7f, v16
	v_cmp_ne_u32_e32 vcc, s29, v54
	v_mov_b32_e32 v66, 0x7c010000
	s_and_saveexec_b64 s[26:27], vcc
	s_cbranch_execz .LBB260_1454
; %bb.1453:                             ;   in Loop: Header=BB260_819 Depth=1
	v_and_b32_e32 v66, 7, v16
	v_ffbh_u32_e32 v70, v66
	v_min_u32_e32 v70, 32, v70
	v_lshrrev_b32_e32 v69, 3, v54
	v_subrev_u32_e32 v80, 28, v70
	v_sub_u32_e32 v70, 29, v70
	v_cmp_gt_u32_e32 vcc, 8, v54
	v_lshlrev_b64 v[74:75], v80, v[16:17]
	v_lshlrev_b32_e32 v16, 8, v16
	v_cndmask_b32_e32 v54, v69, v70, vcc
	v_lshl_add_u32 v54, v54, 10, v98
	v_and_b32_e32 v69, 7, v74
	v_and_or_b32 v16, v16, s40, v54
	v_cndmask_b32_e32 v66, v66, v69, vcc
	v_lshlrev_b32_e32 v16, 16, v16
	v_lshl_or_b32 v66, v66, 23, v16
.LBB260_1454:                           ;   in Loop: Header=BB260_819 Depth=1
	s_or_b64 exec, exec, s[26:27]
.LBB260_1455:                           ;   in Loop: Header=BB260_819 Depth=1
	s_or_b64 exec, exec, s[24:25]
.LBB260_1456:                           ;   in Loop: Header=BB260_819 Depth=1
	s_or_b64 exec, exec, s[22:23]
	v_lshrrev_b32_e32 v16, 16, v53
	v_cmp_ne_u16_sdwa s[24:25], v16, v17 src0_sel:BYTE_0 src1_sel:DWORD
	s_and_saveexec_b64 s[22:23], s[24:25]
	s_cbranch_execz .LBB260_1462
; %bb.1457:                             ;   in Loop: Header=BB260_819 Depth=1
	v_cmp_ne_u16_sdwa s[26:27], v16, s28 src0_sel:BYTE_0 src1_sel:DWORD
	v_mov_b32_e32 v55, 0x8000
	s_and_saveexec_b64 s[24:25], s[26:27]
	s_cbranch_execz .LBB260_1461
; %bb.1458:                             ;   in Loop: Header=BB260_819 Depth=1
	v_bfe_u32 v54, v53, 16, 7
	v_cmp_ne_u32_e32 vcc, s29, v54
	v_mov_b32_e32 v55, 0x7c01
	s_and_saveexec_b64 s[26:27], vcc
	s_cbranch_execz .LBB260_1460
; %bb.1459:                             ;   in Loop: Header=BB260_819 Depth=1
	v_and_b32_e32 v55, 7, v16
	v_ffbh_u32_e32 v70, v55
	v_min_u32_e32 v70, 32, v70
	v_lshrrev_b32_e32 v69, 3, v54
	v_subrev_u32_e32 v80, 28, v70
	v_sub_u32_e32 v70, 29, v70
	v_cmp_gt_u32_e32 vcc, 8, v54
	v_lshlrev_b64 v[74:75], v80, v[16:17]
	v_lshlrev_b32_e32 v16, 8, v16
	v_cndmask_b32_e32 v54, v69, v70, vcc
	v_lshl_add_u32 v54, v54, 10, v98
	v_and_b32_e32 v69, 7, v74
	v_and_b32_e32 v54, 0xfc00, v54
	v_cndmask_b32_e32 v55, v55, v69, vcc
	v_and_or_b32 v16, v16, s40, v54
	v_lshl_or_b32 v55, v55, 7, v16
.LBB260_1460:                           ;   in Loop: Header=BB260_819 Depth=1
	s_or_b64 exec, exec, s[26:27]
.LBB260_1461:                           ;   in Loop: Header=BB260_819 Depth=1
	s_or_b64 exec, exec, s[24:25]
.LBB260_1462:                           ;   in Loop: Header=BB260_819 Depth=1
	s_or_b64 exec, exec, s[22:23]
	v_cmp_lt_u64_e32 vcc, s[6:7], v[52:53]
	v_mov_b32_e32 v52, 0
	s_and_saveexec_b64 s[22:23], vcc
	s_cbranch_execz .LBB260_1468
; %bb.1463:                             ;   in Loop: Header=BB260_819 Depth=1
	v_lshrrev_b32_e32 v16, 24, v53
	v_cmp_ne_u32_e32 vcc, s28, v16
	v_bfrev_b32_e32 v52, 1
	s_and_saveexec_b64 s[24:25], vcc
	s_cbranch_execz .LBB260_1467
; %bb.1464:                             ;   in Loop: Header=BB260_819 Depth=1
	v_and_b32_e32 v53, 0x7f, v16
	v_cmp_ne_u32_e32 vcc, s29, v53
	v_mov_b32_e32 v52, 0x7c010000
	s_and_saveexec_b64 s[26:27], vcc
	s_cbranch_execz .LBB260_1466
; %bb.1465:                             ;   in Loop: Header=BB260_819 Depth=1
	v_and_b32_e32 v52, 7, v16
	v_ffbh_u32_e32 v69, v52
	v_min_u32_e32 v69, 32, v69
	v_lshrrev_b32_e32 v54, 3, v53
	v_subrev_u32_e32 v70, 28, v69
	v_sub_u32_e32 v69, 29, v69
	v_cmp_gt_u32_e32 vcc, 8, v53
	v_lshlrev_b64 v[74:75], v70, v[16:17]
	v_lshlrev_b32_e32 v16, 8, v16
	v_cndmask_b32_e32 v53, v54, v69, vcc
	v_lshl_add_u32 v53, v53, 10, v98
	v_and_b32_e32 v54, 7, v74
	v_and_or_b32 v16, v16, s40, v53
	v_cndmask_b32_e32 v52, v52, v54, vcc
	v_lshlrev_b32_e32 v16, 16, v16
	v_lshl_or_b32 v52, v52, 23, v16
.LBB260_1466:                           ;   in Loop: Header=BB260_819 Depth=1
	s_or_b64 exec, exec, s[26:27]
.LBB260_1467:                           ;   in Loop: Header=BB260_819 Depth=1
	s_or_b64 exec, exec, s[24:25]
.LBB260_1468:                           ;   in Loop: Header=BB260_819 Depth=1
	s_or_b64 exec, exec, s[22:23]
	v_cvt_f32_f16_sdwa v75, v19 dst_sel:DWORD dst_unused:UNUSED_PAD src0_sel:WORD_1
	v_cvt_f32_f16_sdwa v74, v51 dst_sel:DWORD dst_unused:UNUSED_PAD src0_sel:WORD_1
	v_or_b32_e32 v13, v19, v13
	v_or_b32_e32 v16, v51, v39
	v_cvt_f32_f16_e32 v76, v16
	v_cvt_f32_f16_e32 v77, v13
	s_waitcnt vmcnt(0) lgkmcnt(0)
	v_pk_mul_f32 v[74:75], v[50:51], v[74:75] op_sel_hi:[0,1]
	v_cvt_pk_f16_f32 v13, v74, v75
	v_or_b32_e32 v53, v52, v55
	v_pk_mul_f32 v[74:75], v[50:51], v[76:77] op_sel_hi:[0,1]
	v_or_b32_e32 v51, v66, v64
	v_and_b32_e32 v19, 0xffff0000, v13
	v_lshlrev_b32_e32 v16, 16, v13
	v_cvt_pk_f16_f32 v13, v74, v75
	v_cvt_f32_f16_e32 v74, v53
	v_cvt_f32_f16_e32 v75, v51
	v_cvt_f32_f16_sdwa v77, v66 dst_sel:DWORD dst_unused:UNUSED_PAD src0_sel:WORD_1
	v_cvt_f32_f16_sdwa v76, v52 dst_sel:DWORD dst_unused:UNUSED_PAD src0_sel:WORD_1
	v_lshrrev_b32_e32 v39, 16, v13
	v_pk_mul_f32 v[74:75], v[50:51], v[74:75] op_sel_hi:[0,1]
	v_cvt_pk_f16_f32 v55, v74, v75
	v_pk_mul_f32 v[50:51], v[50:51], v[76:77] op_sel_hi:[0,1]
	v_cvt_pk_f16_f32 v50, v50, v51
	v_and_b32_e32 v54, 0xffff, v13
	v_and_b32_e32 v51, 0xffff0000, v50
	v_lshlrev_b32_e32 v50, 16, v50
	v_lshrrev_b32_e32 v53, 16, v55
	v_and_b32_e32 v64, 0xffff, v55
	v_or_b32_e32 v13, v19, v39
	v_or_b32_e32 v52, v16, v54
	;; [unrolled: 1-line block ×4, first 2 shown]
	s_and_saveexec_b64 s[22:23], s[2:3]
	s_cbranch_execz .LBB260_1470
; %bb.1469:                             ;   in Loop: Header=BB260_819 Depth=1
	v_cmp_lt_i32_e32 vcc, v99, v3
	s_nop 1
	v_cndmask_b32_e32 v13, 0, v39, vcc
	v_cmp_lt_i32_e32 vcc, v118, v12
	s_nop 1
	v_cndmask_b32_e32 v39, 0, v54, vcc
	;; [unrolled: 3-line block ×3, first 2 shown]
	v_cmp_lt_i32_e32 vcc, v116, v12
	v_or_b32_e32 v13, v13, v19
	s_nop 0
	v_cndmask_b32_e32 v16, 0, v16, vcc
	v_cmp_lt_i32_e32 vcc, v115, v3
	v_or_b32_e32 v52, v39, v16
	s_nop 0
	v_cndmask_b32_e32 v16, 0, v53, vcc
	v_cmp_lt_i32_e32 vcc, v114, v12
	s_nop 1
	v_cndmask_b32_e32 v19, 0, v64, vcc
	v_cmp_lt_i32_e32 vcc, v113, v3
	;; [unrolled: 3-line block ×3, first 2 shown]
	v_or_b32_e32 v55, v16, v39
	s_nop 0
	v_cndmask_b32_e32 v50, 0, v50, vcc
	v_or_b32_e32 v66, v19, v50
.LBB260_1470:                           ;   in Loop: Header=BB260_819 Depth=1
	s_or_b64 exec, exec, s[22:23]
	;;#ASMSTART
	v_pk_mul_f16 v13, v112, v13;

	;;#ASMEND
	;;#ASMSTART
	v_pk_mul_f16 v16, v102, v52;

	;;#ASMEND
	;; [unrolled: 4-line block ×4, first 2 shown]
	v_add_co_u32_e32 v50, vcc, 0x1000, v48
	;;#ASMSTART
	v_pk_add_f16 v13, v13, v16;

	;;#ASMEND
	s_nop 0
	;;#ASMSTART
	v_pk_add_f16 v13, v13, v19;

	;;#ASMEND
	s_nop 0
	v_addc_co_u32_e32 v51, vcc, 0, v49, vcc
	;;#ASMSTART
	v_pk_add_f16 v13, v13, v39;

	;;#ASMEND
	v_mov_b32_e32 v19, 0
	v_lshrrev_b32_e32 v16, 16, v13
	v_and_b32_e32 v13, 0xffff, v13
	;;#ASMSTART
	v_cvt_f32_f16 v69, v13;
	;;#ASMEND
	;;#ASMSTART
	v_cvt_f32_f16 v70, v16;
	;;#ASMEND
	flat_load_dwordx2 v[52:53], v[50:51] offset:2560
	s_nop 0
	scratch_load_dwordx2 v[50:51], off, s32 offset:192 ; 8-byte Folded Reload
	v_mov_b32_e32 v13, 0
	s_waitcnt vmcnt(0) lgkmcnt(0)
	v_cmp_ne_u16_sdwa s[24:25], v52, v17 src0_sel:BYTE_0 src1_sel:DWORD
	flat_load_dword v50, v[50:51]
	s_and_saveexec_b64 s[22:23], s[24:25]
	s_cbranch_execz .LBB260_1476
; %bb.1471:                             ;   in Loop: Header=BB260_819 Depth=1
	v_cmp_ne_u16_sdwa s[26:27], v52, s28 src0_sel:BYTE_0 src1_sel:DWORD
	v_mov_b32_e32 v13, 0x8000
	s_and_saveexec_b64 s[24:25], s[26:27]
	s_cbranch_execz .LBB260_1475
; %bb.1472:                             ;   in Loop: Header=BB260_819 Depth=1
	v_and_b32_e32 v16, 0x7f, v52
	v_cmp_ne_u32_e32 vcc, s29, v16
	v_mov_b32_e32 v13, 0x7c01
	s_and_saveexec_b64 s[26:27], vcc
	s_cbranch_execz .LBB260_1474
; %bb.1473:                             ;   in Loop: Header=BB260_819 Depth=1
	v_and_b32_e32 v13, 7, v52
	v_ffbh_u32_e32 v51, v13
	v_min_u32_e32 v51, 32, v51
	v_lshrrev_b32_e32 v39, 3, v16
	v_subrev_u32_e32 v54, 28, v51
	v_sub_u32_e32 v51, 29, v51
	v_cmp_gt_u32_e32 vcc, 8, v16
	v_lshlrev_b64 v[54:55], v54, v[52:53]
	s_nop 0
	v_cndmask_b32_e32 v16, v39, v51, vcc
	v_lshl_add_u32 v16, v16, 10, v98
	v_lshlrev_b32_e32 v39, 8, v52
	v_and_b32_e32 v51, 7, v54
	v_and_b32_e32 v16, 0xfc00, v16
	v_cndmask_b32_e32 v13, v13, v51, vcc
	v_and_or_b32 v16, v39, s40, v16
	v_lshl_or_b32 v13, v13, 7, v16
.LBB260_1474:                           ;   in Loop: Header=BB260_819 Depth=1
	s_or_b64 exec, exec, s[26:27]
.LBB260_1475:                           ;   in Loop: Header=BB260_819 Depth=1
	s_or_b64 exec, exec, s[24:25]
.LBB260_1476:                           ;   in Loop: Header=BB260_819 Depth=1
	s_or_b64 exec, exec, s[22:23]
	v_lshrrev_b16_e32 v16, 8, v52
	v_cmp_ne_u16_e32 vcc, 0, v16
	s_and_saveexec_b64 s[22:23], vcc
	s_cbranch_execz .LBB260_1482
; %bb.1477:                             ;   in Loop: Header=BB260_819 Depth=1
	v_cmp_ne_u16_e32 vcc, s28, v16
	v_bfrev_b32_e32 v19, 1
	s_and_saveexec_b64 s[24:25], vcc
	s_cbranch_execz .LBB260_1481
; %bb.1478:                             ;   in Loop: Header=BB260_819 Depth=1
	v_and_b32_e32 v39, 0x7f, v16
	v_cmp_ne_u32_e32 vcc, s29, v39
	v_mov_b32_e32 v19, 0x7c010000
	s_and_saveexec_b64 s[26:27], vcc
	s_cbranch_execz .LBB260_1480
; %bb.1479:                             ;   in Loop: Header=BB260_819 Depth=1
	v_and_b32_e32 v19, 7, v16
	v_ffbh_u32_e32 v54, v19
	v_min_u32_e32 v64, 32, v54
	v_subrev_u32_e32 v54, 28, v64
	v_lshlrev_b64 v[54:55], v54, v[16:17]
	v_lshrrev_b32_e32 v51, 3, v39
	v_sub_u32_e32 v55, 29, v64
	v_cmp_gt_u32_e32 vcc, 8, v39
	v_lshlrev_b32_e32 v16, 8, v16
	s_nop 0
	v_cndmask_b32_e32 v39, v51, v55, vcc
	v_lshl_add_u32 v39, v39, 10, v98
	v_and_b32_e32 v51, 7, v54
	v_and_or_b32 v16, v16, s40, v39
	v_cndmask_b32_e32 v19, v19, v51, vcc
	v_lshlrev_b32_e32 v16, 16, v16
	v_lshl_or_b32 v19, v19, 23, v16
.LBB260_1480:                           ;   in Loop: Header=BB260_819 Depth=1
	s_or_b64 exec, exec, s[26:27]
.LBB260_1481:                           ;   in Loop: Header=BB260_819 Depth=1
	s_or_b64 exec, exec, s[24:25]
.LBB260_1482:                           ;   in Loop: Header=BB260_819 Depth=1
	s_or_b64 exec, exec, s[22:23]
	v_lshrrev_b32_e32 v16, 16, v52
	v_cmp_ne_u16_sdwa s[24:25], v16, v17 src0_sel:BYTE_0 src1_sel:DWORD
	v_mov_b32_e32 v51, 0
	v_mov_b32_e32 v39, 0
	s_and_saveexec_b64 s[22:23], s[24:25]
	s_cbranch_execz .LBB260_1488
; %bb.1483:                             ;   in Loop: Header=BB260_819 Depth=1
	v_cmp_ne_u16_sdwa s[26:27], v16, s28 src0_sel:BYTE_0 src1_sel:DWORD
	v_mov_b32_e32 v39, 0x8000
	s_and_saveexec_b64 s[24:25], s[26:27]
	s_cbranch_execz .LBB260_1487
; %bb.1484:                             ;   in Loop: Header=BB260_819 Depth=1
	v_bfe_u32 v54, v52, 16, 7
	v_cmp_ne_u32_e32 vcc, s29, v54
	v_mov_b32_e32 v39, 0x7c01
	s_and_saveexec_b64 s[26:27], vcc
	s_cbranch_execz .LBB260_1486
; %bb.1485:                             ;   in Loop: Header=BB260_819 Depth=1
	v_and_b32_e32 v39, 7, v16
	v_ffbh_u32_e32 v64, v39
	v_min_u32_e32 v64, 32, v64
	v_lshrrev_b32_e32 v55, 3, v54
	v_subrev_u32_e32 v66, 28, v64
	v_sub_u32_e32 v64, 29, v64
	v_cmp_gt_u32_e32 vcc, 8, v54
	v_lshlrev_b64 v[74:75], v66, v[16:17]
	v_lshlrev_b32_e32 v16, 8, v16
	v_cndmask_b32_e32 v54, v55, v64, vcc
	v_lshl_add_u32 v54, v54, 10, v98
	v_and_b32_e32 v55, 7, v74
	v_and_b32_e32 v54, 0xfc00, v54
	v_cndmask_b32_e32 v39, v39, v55, vcc
	v_and_or_b32 v16, v16, s40, v54
	v_lshl_or_b32 v39, v39, 7, v16
.LBB260_1486:                           ;   in Loop: Header=BB260_819 Depth=1
	s_or_b64 exec, exec, s[26:27]
.LBB260_1487:                           ;   in Loop: Header=BB260_819 Depth=1
	s_or_b64 exec, exec, s[24:25]
.LBB260_1488:                           ;   in Loop: Header=BB260_819 Depth=1
	s_or_b64 exec, exec, s[22:23]
	v_cmp_lt_u32_e32 vcc, s7, v52
	s_and_saveexec_b64 s[22:23], vcc
	s_cbranch_execz .LBB260_1494
; %bb.1489:                             ;   in Loop: Header=BB260_819 Depth=1
	v_lshrrev_b32_e32 v16, 24, v52
	v_cmp_ne_u32_e32 vcc, s28, v16
	v_bfrev_b32_e32 v51, 1
	s_and_saveexec_b64 s[24:25], vcc
	s_cbranch_execz .LBB260_1493
; %bb.1490:                             ;   in Loop: Header=BB260_819 Depth=1
	v_and_b32_e32 v54, 0x7f, v16
	v_cmp_ne_u32_e32 vcc, s29, v54
	v_mov_b32_e32 v51, 0x7c010000
	s_and_saveexec_b64 s[26:27], vcc
	s_cbranch_execz .LBB260_1492
; %bb.1491:                             ;   in Loop: Header=BB260_819 Depth=1
	v_and_b32_e32 v51, 7, v16
	v_ffbh_u32_e32 v64, v51
	v_min_u32_e32 v64, 32, v64
	v_lshrrev_b32_e32 v55, 3, v54
	v_subrev_u32_e32 v66, 28, v64
	v_sub_u32_e32 v64, 29, v64
	v_cmp_gt_u32_e32 vcc, 8, v54
	v_lshlrev_b64 v[74:75], v66, v[16:17]
	v_lshlrev_b32_e32 v16, 8, v16
	v_cndmask_b32_e32 v54, v55, v64, vcc
	v_lshl_add_u32 v54, v54, 10, v98
	v_and_b32_e32 v55, 7, v74
	v_and_or_b32 v16, v16, s40, v54
	v_cndmask_b32_e32 v51, v51, v55, vcc
	v_lshlrev_b32_e32 v16, 16, v16
	v_lshl_or_b32 v51, v51, 23, v16
.LBB260_1492:                           ;   in Loop: Header=BB260_819 Depth=1
	s_or_b64 exec, exec, s[26:27]
.LBB260_1493:                           ;   in Loop: Header=BB260_819 Depth=1
	s_or_b64 exec, exec, s[24:25]
.LBB260_1494:                           ;   in Loop: Header=BB260_819 Depth=1
	s_or_b64 exec, exec, s[22:23]
	v_mov_b32_e32 v16, v53
	v_cmp_ne_u16_sdwa s[24:25], v53, v17 src0_sel:BYTE_0 src1_sel:DWORD
	v_mov_b32_e32 v55, 0
	v_mov_b32_e32 v64, 0
	s_and_saveexec_b64 s[22:23], s[24:25]
	s_cbranch_execz .LBB260_1500
; %bb.1495:                             ;   in Loop: Header=BB260_819 Depth=1
	v_cmp_ne_u16_sdwa s[26:27], v53, s28 src0_sel:BYTE_0 src1_sel:DWORD
	v_mov_b32_e32 v64, 0x8000
	s_and_saveexec_b64 s[24:25], s[26:27]
	s_cbranch_execz .LBB260_1499
; %bb.1496:                             ;   in Loop: Header=BB260_819 Depth=1
	v_and_b32_e32 v54, 0x7f, v53
	v_cmp_ne_u32_e32 vcc, s29, v54
	v_mov_b32_e32 v64, 0x7c01
	s_and_saveexec_b64 s[26:27], vcc
	s_cbranch_execz .LBB260_1498
; %bb.1497:                             ;   in Loop: Header=BB260_819 Depth=1
	v_and_b32_e32 v64, 7, v53
	v_ffbh_u32_e32 v80, v64
	v_min_u32_e32 v80, 32, v80
	v_lshrrev_b32_e32 v66, 3, v54
	v_subrev_u32_e32 v73, 28, v80
	v_sub_u32_e32 v80, 29, v80
	v_cmp_gt_u32_e32 vcc, 8, v54
	v_lshlrev_b64 v[74:75], v73, v[16:17]
	s_nop 0
	v_cndmask_b32_e32 v54, v66, v80, vcc
	v_lshl_add_u32 v54, v54, 10, v98
	v_lshlrev_b32_e32 v66, 8, v53
	v_and_b32_e32 v80, 7, v74
	v_and_b32_e32 v54, 0xfc00, v54
	v_cndmask_b32_e32 v64, v64, v80, vcc
	v_and_or_b32 v54, v66, s40, v54
	v_lshl_or_b32 v64, v64, 7, v54
.LBB260_1498:                           ;   in Loop: Header=BB260_819 Depth=1
	s_or_b64 exec, exec, s[26:27]
.LBB260_1499:                           ;   in Loop: Header=BB260_819 Depth=1
	s_or_b64 exec, exec, s[24:25]
.LBB260_1500:                           ;   in Loop: Header=BB260_819 Depth=1
	s_or_b64 exec, exec, s[22:23]
	v_lshrrev_b16_e32 v16, 8, v16
	v_cmp_ne_u16_e32 vcc, 0, v16
	v_mov_b32_e32 v66, 0
	s_and_saveexec_b64 s[22:23], vcc
	s_cbranch_execz .LBB260_1506
; %bb.1501:                             ;   in Loop: Header=BB260_819 Depth=1
	v_cmp_ne_u16_e32 vcc, s28, v16
	v_bfrev_b32_e32 v66, 1
	s_and_saveexec_b64 s[24:25], vcc
	s_cbranch_execz .LBB260_1505
; %bb.1502:                             ;   in Loop: Header=BB260_819 Depth=1
	v_and_b32_e32 v54, 0x7f, v16
	v_cmp_ne_u32_e32 vcc, s29, v54
	v_mov_b32_e32 v66, 0x7c010000
	s_and_saveexec_b64 s[26:27], vcc
	s_cbranch_execz .LBB260_1504
; %bb.1503:                             ;   in Loop: Header=BB260_819 Depth=1
	v_and_b32_e32 v66, 7, v16
	v_ffbh_u32_e32 v73, v66
	v_min_u32_e32 v73, 32, v73
	v_lshrrev_b32_e32 v80, 3, v54
	v_subrev_u32_e32 v74, 28, v73
	v_sub_u32_e32 v73, 29, v73
	v_cmp_gt_u32_e32 vcc, 8, v54
	v_lshlrev_b64 v[74:75], v74, v[16:17]
	v_lshlrev_b32_e32 v16, 8, v16
	v_cndmask_b32_e32 v54, v80, v73, vcc
	v_lshl_add_u32 v54, v54, 10, v98
	v_and_b32_e32 v80, 7, v74
	v_and_or_b32 v16, v16, s40, v54
	v_cndmask_b32_e32 v66, v66, v80, vcc
	v_lshlrev_b32_e32 v16, 16, v16
	v_lshl_or_b32 v66, v66, 23, v16
.LBB260_1504:                           ;   in Loop: Header=BB260_819 Depth=1
	s_or_b64 exec, exec, s[26:27]
.LBB260_1505:                           ;   in Loop: Header=BB260_819 Depth=1
	s_or_b64 exec, exec, s[24:25]
.LBB260_1506:                           ;   in Loop: Header=BB260_819 Depth=1
	s_or_b64 exec, exec, s[22:23]
	v_lshrrev_b32_e32 v16, 16, v53
	v_cmp_ne_u16_sdwa s[24:25], v16, v17 src0_sel:BYTE_0 src1_sel:DWORD
	s_and_saveexec_b64 s[22:23], s[24:25]
	s_cbranch_execz .LBB260_1512
; %bb.1507:                             ;   in Loop: Header=BB260_819 Depth=1
	v_cmp_ne_u16_sdwa s[26:27], v16, s28 src0_sel:BYTE_0 src1_sel:DWORD
	v_mov_b32_e32 v55, 0x8000
	s_and_saveexec_b64 s[24:25], s[26:27]
	s_cbranch_execz .LBB260_1511
; %bb.1508:                             ;   in Loop: Header=BB260_819 Depth=1
	v_bfe_u32 v54, v53, 16, 7
	v_cmp_ne_u32_e32 vcc, s29, v54
	v_mov_b32_e32 v55, 0x7c01
	s_and_saveexec_b64 s[26:27], vcc
	s_cbranch_execz .LBB260_1510
; %bb.1509:                             ;   in Loop: Header=BB260_819 Depth=1
	v_and_b32_e32 v55, 7, v16
	v_ffbh_u32_e32 v73, v55
	v_min_u32_e32 v73, 32, v73
	v_lshrrev_b32_e32 v80, 3, v54
	v_subrev_u32_e32 v74, 28, v73
	v_sub_u32_e32 v73, 29, v73
	v_cmp_gt_u32_e32 vcc, 8, v54
	v_lshlrev_b64 v[74:75], v74, v[16:17]
	v_lshlrev_b32_e32 v16, 8, v16
	v_cndmask_b32_e32 v54, v80, v73, vcc
	v_lshl_add_u32 v54, v54, 10, v98
	v_and_b32_e32 v80, 7, v74
	v_and_b32_e32 v54, 0xfc00, v54
	v_cndmask_b32_e32 v55, v55, v80, vcc
	v_and_or_b32 v16, v16, s40, v54
	v_lshl_or_b32 v55, v55, 7, v16
.LBB260_1510:                           ;   in Loop: Header=BB260_819 Depth=1
	s_or_b64 exec, exec, s[26:27]
.LBB260_1511:                           ;   in Loop: Header=BB260_819 Depth=1
	s_or_b64 exec, exec, s[24:25]
.LBB260_1512:                           ;   in Loop: Header=BB260_819 Depth=1
	s_or_b64 exec, exec, s[22:23]
	v_cmp_lt_u64_e32 vcc, s[6:7], v[52:53]
	v_mov_b32_e32 v52, 0
	s_and_saveexec_b64 s[22:23], vcc
	s_cbranch_execz .LBB260_1518
; %bb.1513:                             ;   in Loop: Header=BB260_819 Depth=1
	v_lshrrev_b32_e32 v16, 24, v53
	v_cmp_ne_u32_e32 vcc, s28, v16
	v_bfrev_b32_e32 v52, 1
	s_and_saveexec_b64 s[24:25], vcc
	s_cbranch_execz .LBB260_1517
; %bb.1514:                             ;   in Loop: Header=BB260_819 Depth=1
	v_and_b32_e32 v53, 0x7f, v16
	v_cmp_ne_u32_e32 vcc, s29, v53
	v_mov_b32_e32 v52, 0x7c010000
	s_and_saveexec_b64 s[26:27], vcc
	s_cbranch_execz .LBB260_1516
; %bb.1515:                             ;   in Loop: Header=BB260_819 Depth=1
	v_and_b32_e32 v52, 7, v16
	v_ffbh_u32_e32 v80, v52
	v_min_u32_e32 v80, 32, v80
	v_lshrrev_b32_e32 v54, 3, v53
	v_subrev_u32_e32 v73, 28, v80
	v_sub_u32_e32 v80, 29, v80
	v_cmp_gt_u32_e32 vcc, 8, v53
	v_lshlrev_b64 v[74:75], v73, v[16:17]
	v_lshlrev_b32_e32 v16, 8, v16
	v_cndmask_b32_e32 v53, v54, v80, vcc
	v_lshl_add_u32 v53, v53, 10, v98
	v_and_b32_e32 v54, 7, v74
	v_and_or_b32 v16, v16, s40, v53
	v_cndmask_b32_e32 v52, v52, v54, vcc
	v_lshlrev_b32_e32 v16, 16, v16
	v_lshl_or_b32 v52, v52, 23, v16
.LBB260_1516:                           ;   in Loop: Header=BB260_819 Depth=1
	s_or_b64 exec, exec, s[26:27]
.LBB260_1517:                           ;   in Loop: Header=BB260_819 Depth=1
	s_or_b64 exec, exec, s[24:25]
.LBB260_1518:                           ;   in Loop: Header=BB260_819 Depth=1
	s_or_b64 exec, exec, s[22:23]
	v_cvt_f32_f16_sdwa v75, v19 dst_sel:DWORD dst_unused:UNUSED_PAD src0_sel:WORD_1
	v_cvt_f32_f16_sdwa v74, v51 dst_sel:DWORD dst_unused:UNUSED_PAD src0_sel:WORD_1
	v_or_b32_e32 v13, v19, v13
	v_or_b32_e32 v16, v51, v39
	v_cvt_f32_f16_e32 v76, v16
	v_cvt_f32_f16_e32 v77, v13
	s_waitcnt vmcnt(0) lgkmcnt(0)
	v_pk_mul_f32 v[74:75], v[50:51], v[74:75] op_sel_hi:[0,1]
	v_cvt_pk_f16_f32 v13, v74, v75
	v_or_b32_e32 v53, v52, v55
	v_pk_mul_f32 v[74:75], v[50:51], v[76:77] op_sel_hi:[0,1]
	v_or_b32_e32 v51, v66, v64
	v_and_b32_e32 v19, 0xffff0000, v13
	v_lshlrev_b32_e32 v16, 16, v13
	v_cvt_pk_f16_f32 v13, v74, v75
	v_cvt_f32_f16_e32 v74, v53
	v_cvt_f32_f16_e32 v75, v51
	v_cvt_f32_f16_sdwa v77, v66 dst_sel:DWORD dst_unused:UNUSED_PAD src0_sel:WORD_1
	v_cvt_f32_f16_sdwa v76, v52 dst_sel:DWORD dst_unused:UNUSED_PAD src0_sel:WORD_1
	v_lshrrev_b32_e32 v39, 16, v13
	v_pk_mul_f32 v[74:75], v[50:51], v[74:75] op_sel_hi:[0,1]
	v_cvt_pk_f16_f32 v55, v74, v75
	v_pk_mul_f32 v[50:51], v[50:51], v[76:77] op_sel_hi:[0,1]
	v_cvt_pk_f16_f32 v50, v50, v51
	v_and_b32_e32 v54, 0xffff, v13
	v_and_b32_e32 v51, 0xffff0000, v50
	v_lshlrev_b32_e32 v50, 16, v50
	v_lshrrev_b32_e32 v53, 16, v55
	v_and_b32_e32 v64, 0xffff, v55
	v_or_b32_e32 v13, v19, v39
	v_or_b32_e32 v52, v16, v54
	;; [unrolled: 1-line block ×4, first 2 shown]
	s_and_saveexec_b64 s[22:23], s[2:3]
	s_cbranch_execz .LBB260_1520
; %bb.1519:                             ;   in Loop: Header=BB260_819 Depth=1
	v_cmp_lt_i32_e32 vcc, v99, v3
	s_nop 1
	v_cndmask_b32_e32 v13, 0, v39, vcc
	v_cmp_lt_i32_e32 vcc, v118, v12
	s_nop 1
	v_cndmask_b32_e32 v39, 0, v54, vcc
	;; [unrolled: 3-line block ×3, first 2 shown]
	v_cmp_lt_i32_e32 vcc, v116, v12
	v_or_b32_e32 v13, v13, v19
	s_nop 0
	v_cndmask_b32_e32 v16, 0, v16, vcc
	v_cmp_lt_i32_e32 vcc, v115, v3
	v_or_b32_e32 v52, v39, v16
	s_nop 0
	v_cndmask_b32_e32 v16, 0, v53, vcc
	v_cmp_lt_i32_e32 vcc, v114, v12
	s_nop 1
	v_cndmask_b32_e32 v19, 0, v64, vcc
	v_cmp_lt_i32_e32 vcc, v113, v3
	;; [unrolled: 3-line block ×3, first 2 shown]
	v_or_b32_e32 v55, v16, v39
	s_nop 0
	v_cndmask_b32_e32 v50, 0, v50, vcc
	v_or_b32_e32 v66, v19, v50
.LBB260_1520:                           ;   in Loop: Header=BB260_819 Depth=1
	s_or_b64 exec, exec, s[22:23]
	;;#ASMSTART
	v_pk_mul_f16 v13, v112, v13;

	;;#ASMEND
	;;#ASMSTART
	v_pk_mul_f16 v16, v102, v52;

	;;#ASMEND
	;; [unrolled: 4-line block ×4, first 2 shown]
	v_add_co_u32_e32 v48, vcc, 0x1000, v48
	;;#ASMSTART
	v_pk_add_f16 v13, v13, v16;

	;;#ASMEND
	s_nop 0
	;;#ASMSTART
	v_pk_add_f16 v13, v13, v19;

	;;#ASMEND
	s_nop 0
	v_addc_co_u32_e32 v49, vcc, 0, v49, vcc
	;;#ASMSTART
	v_pk_add_f16 v13, v13, v39;

	;;#ASMEND
	v_mov_b32_e32 v19, 0
	v_lshrrev_b32_e32 v16, 16, v13
	v_and_b32_e32 v13, 0xffff, v13
	;;#ASMSTART
	v_cvt_f32_f16 v55, v13;
	;;#ASMEND
	;;#ASMSTART
	v_cvt_f32_f16 v66, v16;
	;;#ASMEND
	flat_load_dwordx2 v[50:51], v[48:49] offset:3072
	s_nop 0
	scratch_load_dwordx2 v[48:49], off, s32 offset:192 ; 8-byte Folded Reload
	v_mov_b32_e32 v13, 0
	s_waitcnt vmcnt(0) lgkmcnt(0)
	v_cmp_ne_u16_sdwa s[24:25], v50, v17 src0_sel:BYTE_0 src1_sel:DWORD
	flat_load_dword v48, v[48:49]
	s_and_saveexec_b64 s[22:23], s[24:25]
	s_cbranch_execz .LBB260_1526
; %bb.1521:                             ;   in Loop: Header=BB260_819 Depth=1
	v_cmp_ne_u16_sdwa s[26:27], v50, s28 src0_sel:BYTE_0 src1_sel:DWORD
	v_mov_b32_e32 v13, 0x8000
	s_and_saveexec_b64 s[24:25], s[26:27]
	s_cbranch_execz .LBB260_1525
; %bb.1522:                             ;   in Loop: Header=BB260_819 Depth=1
	v_and_b32_e32 v16, 0x7f, v50
	v_cmp_ne_u32_e32 vcc, s29, v16
	v_mov_b32_e32 v13, 0x7c01
	s_and_saveexec_b64 s[26:27], vcc
	s_cbranch_execz .LBB260_1524
; %bb.1523:                             ;   in Loop: Header=BB260_819 Depth=1
	v_and_b32_e32 v13, 7, v50
	v_ffbh_u32_e32 v49, v13
	v_min_u32_e32 v49, 32, v49
	v_lshrrev_b32_e32 v39, 3, v16
	v_subrev_u32_e32 v52, 28, v49
	v_sub_u32_e32 v49, 29, v49
	v_cmp_gt_u32_e32 vcc, 8, v16
	v_lshlrev_b64 v[52:53], v52, v[50:51]
	s_nop 0
	v_cndmask_b32_e32 v16, v39, v49, vcc
	v_lshl_add_u32 v16, v16, 10, v98
	v_lshlrev_b32_e32 v39, 8, v50
	v_and_b32_e32 v49, 7, v52
	v_and_b32_e32 v16, 0xfc00, v16
	v_cndmask_b32_e32 v13, v13, v49, vcc
	v_and_or_b32 v16, v39, s40, v16
	v_lshl_or_b32 v13, v13, 7, v16
.LBB260_1524:                           ;   in Loop: Header=BB260_819 Depth=1
	s_or_b64 exec, exec, s[26:27]
.LBB260_1525:                           ;   in Loop: Header=BB260_819 Depth=1
	s_or_b64 exec, exec, s[24:25]
.LBB260_1526:                           ;   in Loop: Header=BB260_819 Depth=1
	s_or_b64 exec, exec, s[22:23]
	v_lshrrev_b16_e32 v16, 8, v50
	v_cmp_ne_u16_e32 vcc, 0, v16
	s_and_saveexec_b64 s[22:23], vcc
	s_cbranch_execz .LBB260_1532
; %bb.1527:                             ;   in Loop: Header=BB260_819 Depth=1
	v_cmp_ne_u16_e32 vcc, s28, v16
	v_bfrev_b32_e32 v19, 1
	s_and_saveexec_b64 s[24:25], vcc
	s_cbranch_execz .LBB260_1531
; %bb.1528:                             ;   in Loop: Header=BB260_819 Depth=1
	v_and_b32_e32 v39, 0x7f, v16
	v_cmp_ne_u32_e32 vcc, s29, v39
	v_mov_b32_e32 v19, 0x7c010000
	s_and_saveexec_b64 s[26:27], vcc
	s_cbranch_execz .LBB260_1530
; %bb.1529:                             ;   in Loop: Header=BB260_819 Depth=1
	v_and_b32_e32 v19, 7, v16
	v_ffbh_u32_e32 v52, v19
	v_min_u32_e32 v54, 32, v52
	v_subrev_u32_e32 v52, 28, v54
	v_lshlrev_b64 v[52:53], v52, v[16:17]
	v_lshrrev_b32_e32 v49, 3, v39
	v_sub_u32_e32 v53, 29, v54
	v_cmp_gt_u32_e32 vcc, 8, v39
	v_lshlrev_b32_e32 v16, 8, v16
	s_nop 0
	v_cndmask_b32_e32 v39, v49, v53, vcc
	v_lshl_add_u32 v39, v39, 10, v98
	v_and_b32_e32 v49, 7, v52
	v_and_or_b32 v16, v16, s40, v39
	v_cndmask_b32_e32 v19, v19, v49, vcc
	v_lshlrev_b32_e32 v16, 16, v16
	v_lshl_or_b32 v19, v19, 23, v16
.LBB260_1530:                           ;   in Loop: Header=BB260_819 Depth=1
	s_or_b64 exec, exec, s[26:27]
.LBB260_1531:                           ;   in Loop: Header=BB260_819 Depth=1
	s_or_b64 exec, exec, s[24:25]
.LBB260_1532:                           ;   in Loop: Header=BB260_819 Depth=1
	s_or_b64 exec, exec, s[22:23]
	v_lshrrev_b32_e32 v16, 16, v50
	v_cmp_ne_u16_sdwa s[24:25], v16, v17 src0_sel:BYTE_0 src1_sel:DWORD
	v_mov_b32_e32 v49, 0
	v_mov_b32_e32 v39, 0
	s_and_saveexec_b64 s[22:23], s[24:25]
	s_cbranch_execz .LBB260_1538
; %bb.1533:                             ;   in Loop: Header=BB260_819 Depth=1
	v_cmp_ne_u16_sdwa s[26:27], v16, s28 src0_sel:BYTE_0 src1_sel:DWORD
	v_mov_b32_e32 v39, 0x8000
	s_and_saveexec_b64 s[24:25], s[26:27]
	s_cbranch_execz .LBB260_1537
; %bb.1534:                             ;   in Loop: Header=BB260_819 Depth=1
	v_bfe_u32 v52, v50, 16, 7
	v_cmp_ne_u32_e32 vcc, s29, v52
	v_mov_b32_e32 v39, 0x7c01
	s_and_saveexec_b64 s[26:27], vcc
	s_cbranch_execz .LBB260_1536
; %bb.1535:                             ;   in Loop: Header=BB260_819 Depth=1
	v_and_b32_e32 v39, 7, v16
	v_ffbh_u32_e32 v54, v39
	v_min_u32_e32 v54, 32, v54
	v_lshrrev_b32_e32 v53, 3, v52
	v_subrev_u32_e32 v64, 28, v54
	v_sub_u32_e32 v54, 29, v54
	v_cmp_gt_u32_e32 vcc, 8, v52
	v_lshlrev_b64 v[74:75], v64, v[16:17]
	v_lshlrev_b32_e32 v16, 8, v16
	v_cndmask_b32_e32 v52, v53, v54, vcc
	v_lshl_add_u32 v52, v52, 10, v98
	v_and_b32_e32 v53, 7, v74
	v_and_b32_e32 v52, 0xfc00, v52
	v_cndmask_b32_e32 v39, v39, v53, vcc
	v_and_or_b32 v16, v16, s40, v52
	v_lshl_or_b32 v39, v39, 7, v16
.LBB260_1536:                           ;   in Loop: Header=BB260_819 Depth=1
	s_or_b64 exec, exec, s[26:27]
.LBB260_1537:                           ;   in Loop: Header=BB260_819 Depth=1
	s_or_b64 exec, exec, s[24:25]
.LBB260_1538:                           ;   in Loop: Header=BB260_819 Depth=1
	s_or_b64 exec, exec, s[22:23]
	v_cmp_lt_u32_e32 vcc, s7, v50
	s_and_saveexec_b64 s[22:23], vcc
	s_cbranch_execz .LBB260_1544
; %bb.1539:                             ;   in Loop: Header=BB260_819 Depth=1
	v_lshrrev_b32_e32 v16, 24, v50
	v_cmp_ne_u32_e32 vcc, s28, v16
	v_bfrev_b32_e32 v49, 1
	s_and_saveexec_b64 s[24:25], vcc
	s_cbranch_execz .LBB260_1543
; %bb.1540:                             ;   in Loop: Header=BB260_819 Depth=1
	v_and_b32_e32 v52, 0x7f, v16
	v_cmp_ne_u32_e32 vcc, s29, v52
	v_mov_b32_e32 v49, 0x7c010000
	s_and_saveexec_b64 s[26:27], vcc
	s_cbranch_execz .LBB260_1542
; %bb.1541:                             ;   in Loop: Header=BB260_819 Depth=1
	v_and_b32_e32 v49, 7, v16
	v_ffbh_u32_e32 v54, v49
	v_min_u32_e32 v54, 32, v54
	v_lshrrev_b32_e32 v53, 3, v52
	v_subrev_u32_e32 v64, 28, v54
	v_sub_u32_e32 v54, 29, v54
	v_cmp_gt_u32_e32 vcc, 8, v52
	v_lshlrev_b64 v[74:75], v64, v[16:17]
	v_lshlrev_b32_e32 v16, 8, v16
	v_cndmask_b32_e32 v52, v53, v54, vcc
	v_lshl_add_u32 v52, v52, 10, v98
	v_and_b32_e32 v53, 7, v74
	v_and_or_b32 v16, v16, s40, v52
	v_cndmask_b32_e32 v49, v49, v53, vcc
	v_lshlrev_b32_e32 v16, 16, v16
	v_lshl_or_b32 v49, v49, 23, v16
.LBB260_1542:                           ;   in Loop: Header=BB260_819 Depth=1
	s_or_b64 exec, exec, s[26:27]
.LBB260_1543:                           ;   in Loop: Header=BB260_819 Depth=1
	s_or_b64 exec, exec, s[24:25]
.LBB260_1544:                           ;   in Loop: Header=BB260_819 Depth=1
	s_or_b64 exec, exec, s[22:23]
	v_mov_b32_e32 v16, v51
	v_cmp_ne_u16_sdwa s[24:25], v51, v17 src0_sel:BYTE_0 src1_sel:DWORD
	v_mov_b32_e32 v53, 0
	v_mov_b32_e32 v54, 0
	s_and_saveexec_b64 s[22:23], s[24:25]
	s_cbranch_execz .LBB260_1550
; %bb.1545:                             ;   in Loop: Header=BB260_819 Depth=1
	v_cmp_ne_u16_sdwa s[26:27], v51, s28 src0_sel:BYTE_0 src1_sel:DWORD
	v_mov_b32_e32 v54, 0x8000
	s_and_saveexec_b64 s[24:25], s[26:27]
	s_cbranch_execz .LBB260_1549
; %bb.1546:                             ;   in Loop: Header=BB260_819 Depth=1
	v_and_b32_e32 v52, 0x7f, v51
	v_cmp_ne_u32_e32 vcc, s29, v52
	v_mov_b32_e32 v54, 0x7c01
	s_and_saveexec_b64 s[26:27], vcc
	s_cbranch_execz .LBB260_1548
; %bb.1547:                             ;   in Loop: Header=BB260_819 Depth=1
	v_and_b32_e32 v54, 7, v51
	v_ffbh_u32_e32 v80, v54
	v_min_u32_e32 v80, 32, v80
	v_lshrrev_b32_e32 v64, 3, v52
	v_subrev_u32_e32 v73, 28, v80
	v_sub_u32_e32 v80, 29, v80
	v_cmp_gt_u32_e32 vcc, 8, v52
	v_lshlrev_b64 v[74:75], v73, v[16:17]
	s_nop 0
	v_cndmask_b32_e32 v52, v64, v80, vcc
	v_lshl_add_u32 v52, v52, 10, v98
	v_lshlrev_b32_e32 v64, 8, v51
	v_and_b32_e32 v80, 7, v74
	v_and_b32_e32 v52, 0xfc00, v52
	v_cndmask_b32_e32 v54, v54, v80, vcc
	v_and_or_b32 v52, v64, s40, v52
	v_lshl_or_b32 v54, v54, 7, v52
.LBB260_1548:                           ;   in Loop: Header=BB260_819 Depth=1
	s_or_b64 exec, exec, s[26:27]
.LBB260_1549:                           ;   in Loop: Header=BB260_819 Depth=1
	s_or_b64 exec, exec, s[24:25]
.LBB260_1550:                           ;   in Loop: Header=BB260_819 Depth=1
	s_or_b64 exec, exec, s[22:23]
	v_lshrrev_b16_e32 v16, 8, v16
	v_cmp_ne_u16_e32 vcc, 0, v16
	v_mov_b32_e32 v64, 0
	s_and_saveexec_b64 s[22:23], vcc
	s_cbranch_execz .LBB260_1556
; %bb.1551:                             ;   in Loop: Header=BB260_819 Depth=1
	v_cmp_ne_u16_e32 vcc, s28, v16
	v_bfrev_b32_e32 v64, 1
	s_and_saveexec_b64 s[24:25], vcc
	s_cbranch_execz .LBB260_1555
; %bb.1552:                             ;   in Loop: Header=BB260_819 Depth=1
	v_and_b32_e32 v52, 0x7f, v16
	v_cmp_ne_u32_e32 vcc, s29, v52
	v_mov_b32_e32 v64, 0x7c010000
	s_and_saveexec_b64 s[26:27], vcc
	s_cbranch_execz .LBB260_1554
; %bb.1553:                             ;   in Loop: Header=BB260_819 Depth=1
	v_and_b32_e32 v64, 7, v16
	v_ffbh_u32_e32 v73, v64
	v_min_u32_e32 v73, 32, v73
	v_lshrrev_b32_e32 v80, 3, v52
	v_subrev_u32_e32 v74, 28, v73
	v_sub_u32_e32 v73, 29, v73
	v_cmp_gt_u32_e32 vcc, 8, v52
	v_lshlrev_b64 v[74:75], v74, v[16:17]
	v_lshlrev_b32_e32 v16, 8, v16
	v_cndmask_b32_e32 v52, v80, v73, vcc
	v_lshl_add_u32 v52, v52, 10, v98
	v_and_b32_e32 v80, 7, v74
	v_and_or_b32 v16, v16, s40, v52
	v_cndmask_b32_e32 v64, v64, v80, vcc
	v_lshlrev_b32_e32 v16, 16, v16
	v_lshl_or_b32 v64, v64, 23, v16
.LBB260_1554:                           ;   in Loop: Header=BB260_819 Depth=1
	s_or_b64 exec, exec, s[26:27]
.LBB260_1555:                           ;   in Loop: Header=BB260_819 Depth=1
	s_or_b64 exec, exec, s[24:25]
.LBB260_1556:                           ;   in Loop: Header=BB260_819 Depth=1
	s_or_b64 exec, exec, s[22:23]
	v_lshrrev_b32_e32 v16, 16, v51
	v_cmp_ne_u16_sdwa s[24:25], v16, v17 src0_sel:BYTE_0 src1_sel:DWORD
	s_and_saveexec_b64 s[22:23], s[24:25]
	s_cbranch_execz .LBB260_1562
; %bb.1557:                             ;   in Loop: Header=BB260_819 Depth=1
	v_cmp_ne_u16_sdwa s[26:27], v16, s28 src0_sel:BYTE_0 src1_sel:DWORD
	v_mov_b32_e32 v53, 0x8000
	s_and_saveexec_b64 s[24:25], s[26:27]
	s_cbranch_execz .LBB260_1561
; %bb.1558:                             ;   in Loop: Header=BB260_819 Depth=1
	v_bfe_u32 v52, v51, 16, 7
	v_cmp_ne_u32_e32 vcc, s29, v52
	v_mov_b32_e32 v53, 0x7c01
	s_and_saveexec_b64 s[26:27], vcc
	s_cbranch_execz .LBB260_1560
; %bb.1559:                             ;   in Loop: Header=BB260_819 Depth=1
	v_and_b32_e32 v53, 7, v16
	v_ffbh_u32_e32 v73, v53
	v_min_u32_e32 v73, 32, v73
	v_lshrrev_b32_e32 v80, 3, v52
	v_subrev_u32_e32 v74, 28, v73
	v_sub_u32_e32 v73, 29, v73
	v_cmp_gt_u32_e32 vcc, 8, v52
	v_lshlrev_b64 v[74:75], v74, v[16:17]
	v_lshlrev_b32_e32 v16, 8, v16
	v_cndmask_b32_e32 v52, v80, v73, vcc
	v_lshl_add_u32 v52, v52, 10, v98
	v_and_b32_e32 v80, 7, v74
	v_and_b32_e32 v52, 0xfc00, v52
	v_cndmask_b32_e32 v53, v53, v80, vcc
	v_and_or_b32 v16, v16, s40, v52
	v_lshl_or_b32 v53, v53, 7, v16
.LBB260_1560:                           ;   in Loop: Header=BB260_819 Depth=1
	s_or_b64 exec, exec, s[26:27]
.LBB260_1561:                           ;   in Loop: Header=BB260_819 Depth=1
	s_or_b64 exec, exec, s[24:25]
.LBB260_1562:                           ;   in Loop: Header=BB260_819 Depth=1
	s_or_b64 exec, exec, s[22:23]
	v_cmp_lt_u64_e32 vcc, s[6:7], v[50:51]
	v_mov_b32_e32 v50, 0
	s_and_saveexec_b64 s[22:23], vcc
	s_cbranch_execz .LBB260_1568
; %bb.1563:                             ;   in Loop: Header=BB260_819 Depth=1
	v_lshrrev_b32_e32 v16, 24, v51
	v_cmp_ne_u32_e32 vcc, s28, v16
	v_bfrev_b32_e32 v50, 1
	s_and_saveexec_b64 s[24:25], vcc
	s_cbranch_execz .LBB260_1567
; %bb.1564:                             ;   in Loop: Header=BB260_819 Depth=1
	v_and_b32_e32 v51, 0x7f, v16
	v_cmp_ne_u32_e32 vcc, s29, v51
	v_mov_b32_e32 v50, 0x7c010000
	s_and_saveexec_b64 s[26:27], vcc
	s_cbranch_execz .LBB260_1566
; %bb.1565:                             ;   in Loop: Header=BB260_819 Depth=1
	v_and_b32_e32 v50, 7, v16
	v_ffbh_u32_e32 v80, v50
	v_min_u32_e32 v80, 32, v80
	v_lshrrev_b32_e32 v52, 3, v51
	v_subrev_u32_e32 v73, 28, v80
	v_sub_u32_e32 v80, 29, v80
	v_cmp_gt_u32_e32 vcc, 8, v51
	v_lshlrev_b64 v[74:75], v73, v[16:17]
	v_lshlrev_b32_e32 v16, 8, v16
	v_cndmask_b32_e32 v51, v52, v80, vcc
	v_lshl_add_u32 v51, v51, 10, v98
	v_and_b32_e32 v52, 7, v74
	v_and_or_b32 v16, v16, s40, v51
	v_cndmask_b32_e32 v50, v50, v52, vcc
	v_lshlrev_b32_e32 v16, 16, v16
	v_lshl_or_b32 v50, v50, 23, v16
.LBB260_1566:                           ;   in Loop: Header=BB260_819 Depth=1
	s_or_b64 exec, exec, s[26:27]
.LBB260_1567:                           ;   in Loop: Header=BB260_819 Depth=1
	s_or_b64 exec, exec, s[24:25]
.LBB260_1568:                           ;   in Loop: Header=BB260_819 Depth=1
	s_or_b64 exec, exec, s[22:23]
	v_cvt_f32_f16_sdwa v75, v19 dst_sel:DWORD dst_unused:UNUSED_PAD src0_sel:WORD_1
	v_cvt_f32_f16_sdwa v74, v49 dst_sel:DWORD dst_unused:UNUSED_PAD src0_sel:WORD_1
	v_or_b32_e32 v13, v19, v13
	v_or_b32_e32 v16, v49, v39
	v_cvt_f32_f16_e32 v76, v16
	v_cvt_f32_f16_e32 v77, v13
	s_waitcnt vmcnt(0) lgkmcnt(0)
	v_pk_mul_f32 v[74:75], v[48:49], v[74:75] op_sel_hi:[0,1]
	v_cvt_pk_f16_f32 v13, v74, v75
	v_or_b32_e32 v51, v50, v53
	v_pk_mul_f32 v[74:75], v[48:49], v[76:77] op_sel_hi:[0,1]
	v_or_b32_e32 v49, v64, v54
	v_and_b32_e32 v19, 0xffff0000, v13
	v_lshlrev_b32_e32 v16, 16, v13
	v_cvt_pk_f16_f32 v13, v74, v75
	v_cvt_f32_f16_e32 v74, v51
	v_cvt_f32_f16_e32 v75, v49
	v_cvt_f32_f16_sdwa v77, v64 dst_sel:DWORD dst_unused:UNUSED_PAD src0_sel:WORD_1
	v_cvt_f32_f16_sdwa v76, v50 dst_sel:DWORD dst_unused:UNUSED_PAD src0_sel:WORD_1
	v_lshrrev_b32_e32 v39, 16, v13
	v_pk_mul_f32 v[74:75], v[48:49], v[74:75] op_sel_hi:[0,1]
	v_cvt_pk_f16_f32 v53, v74, v75
	v_pk_mul_f32 v[48:49], v[48:49], v[76:77] op_sel_hi:[0,1]
	v_cvt_pk_f16_f32 v48, v48, v49
	v_and_b32_e32 v52, 0xffff, v13
	v_and_b32_e32 v49, 0xffff0000, v48
	v_lshlrev_b32_e32 v48, 16, v48
	v_lshrrev_b32_e32 v51, 16, v53
	v_and_b32_e32 v54, 0xffff, v53
	v_or_b32_e32 v13, v19, v39
	v_or_b32_e32 v50, v16, v52
	;; [unrolled: 1-line block ×4, first 2 shown]
	s_and_saveexec_b64 s[22:23], s[2:3]
	s_cbranch_execz .LBB260_1570
; %bb.1569:                             ;   in Loop: Header=BB260_819 Depth=1
	v_cmp_lt_i32_e32 vcc, v99, v3
	s_nop 1
	v_cndmask_b32_e32 v13, 0, v39, vcc
	v_cmp_lt_i32_e32 vcc, v118, v12
	s_nop 1
	v_cndmask_b32_e32 v39, 0, v52, vcc
	;; [unrolled: 3-line block ×3, first 2 shown]
	v_cmp_lt_i32_e32 vcc, v116, v12
	v_or_b32_e32 v13, v13, v19
	s_nop 0
	v_cndmask_b32_e32 v16, 0, v16, vcc
	v_cmp_lt_i32_e32 vcc, v115, v3
	v_or_b32_e32 v50, v39, v16
	s_nop 0
	v_cndmask_b32_e32 v16, 0, v51, vcc
	v_cmp_lt_i32_e32 vcc, v114, v12
	s_nop 1
	v_cndmask_b32_e32 v19, 0, v54, vcc
	v_cmp_lt_i32_e32 vcc, v113, v3
	;; [unrolled: 3-line block ×3, first 2 shown]
	v_or_b32_e32 v53, v16, v39
	s_nop 0
	v_cndmask_b32_e32 v48, 0, v48, vcc
	v_or_b32_e32 v64, v19, v48
.LBB260_1570:                           ;   in Loop: Header=BB260_819 Depth=1
	s_or_b64 exec, exec, s[22:23]
	;;#ASMSTART
	v_pk_mul_f16 v13, v112, v13;

	;;#ASMEND
	;;#ASMSTART
	v_pk_mul_f16 v16, v102, v50;

	;;#ASMEND
	;; [unrolled: 4-line block ×4, first 2 shown]
	v_lshl_add_u64 v[14:15], v[14:15], 0, v[26:27]
	;;#ASMSTART
	v_pk_add_f16 v13, v13, v16;

	;;#ASMEND
	s_nop 0
	;;#ASMSTART
	v_pk_add_f16 v13, v13, v19;

	;;#ASMEND
	s_nop 0
	;; [unrolled: 5-line block ×3, first 2 shown]
	v_lshrrev_b32_e32 v16, 16, v13
	v_and_b32_e32 v13, 0xffff, v13
	;;#ASMSTART
	v_cvt_f32_f16 v53, v13;
	;;#ASMEND
	;;#ASMSTART
	v_cvt_f32_f16 v64, v16;
	;;#ASMEND
	flat_load_dwordx2 v[48:49], v[14:15]
	s_nop 0
	scratch_load_dwordx2 v[14:15], off, s32 offset:192 ; 8-byte Folded Reload
	v_mov_b32_e32 v13, 0
	s_waitcnt vmcnt(0) lgkmcnt(0)
	v_cmp_ne_u16_sdwa s[24:25], v48, v17 src0_sel:BYTE_0 src1_sel:DWORD
	flat_load_dword v14, v[14:15]
	v_mov_b32_e32 v15, 0
	s_and_saveexec_b64 s[22:23], s[24:25]
	s_cbranch_execz .LBB260_1576
; %bb.1571:                             ;   in Loop: Header=BB260_819 Depth=1
	v_cmp_ne_u16_sdwa s[26:27], v48, s28 src0_sel:BYTE_0 src1_sel:DWORD
	v_mov_b32_e32 v13, 0x8000
	s_and_saveexec_b64 s[24:25], s[26:27]
	s_cbranch_execz .LBB260_1575
; %bb.1572:                             ;   in Loop: Header=BB260_819 Depth=1
	v_and_b32_e32 v16, 0x7f, v48
	v_cmp_ne_u32_e32 vcc, s29, v16
	v_mov_b32_e32 v13, 0x7c01
	s_and_saveexec_b64 s[26:27], vcc
	s_cbranch_execz .LBB260_1574
; %bb.1573:                             ;   in Loop: Header=BB260_819 Depth=1
	v_and_b32_e32 v13, 7, v48
	v_ffbh_u32_e32 v39, v13
	v_min_u32_e32 v39, 32, v39
	v_lshrrev_b32_e32 v19, 3, v16
	v_subrev_u32_e32 v50, 28, v39
	v_sub_u32_e32 v39, 29, v39
	v_cmp_gt_u32_e32 vcc, 8, v16
	v_lshlrev_b64 v[50:51], v50, v[48:49]
	s_nop 0
	v_cndmask_b32_e32 v16, v19, v39, vcc
	v_lshl_add_u32 v16, v16, 10, v98
	v_lshlrev_b32_e32 v19, 8, v48
	v_and_b32_e32 v39, 7, v50
	v_and_b32_e32 v16, 0xfc00, v16
	v_cndmask_b32_e32 v13, v13, v39, vcc
	v_and_or_b32 v16, v19, s40, v16
	v_lshl_or_b32 v13, v13, 7, v16
.LBB260_1574:                           ;   in Loop: Header=BB260_819 Depth=1
	s_or_b64 exec, exec, s[26:27]
.LBB260_1575:                           ;   in Loop: Header=BB260_819 Depth=1
	s_or_b64 exec, exec, s[24:25]
.LBB260_1576:                           ;   in Loop: Header=BB260_819 Depth=1
	s_or_b64 exec, exec, s[22:23]
	v_lshrrev_b16_e32 v16, 8, v48
	v_cmp_ne_u16_e32 vcc, 0, v16
	s_and_saveexec_b64 s[22:23], vcc
	s_cbranch_execz .LBB260_1582
; %bb.1577:                             ;   in Loop: Header=BB260_819 Depth=1
	v_cmp_ne_u16_e32 vcc, s28, v16
	v_bfrev_b32_e32 v15, 1
	s_and_saveexec_b64 s[24:25], vcc
	s_cbranch_execz .LBB260_1581
; %bb.1578:                             ;   in Loop: Header=BB260_819 Depth=1
	v_and_b32_e32 v19, 0x7f, v16
	v_cmp_ne_u32_e32 vcc, s29, v19
	v_mov_b32_e32 v15, 0x7c010000
	s_and_saveexec_b64 s[26:27], vcc
	s_cbranch_execz .LBB260_1580
; %bb.1579:                             ;   in Loop: Header=BB260_819 Depth=1
	v_and_b32_e32 v15, 7, v16
	v_ffbh_u32_e32 v50, v15
	v_min_u32_e32 v52, 32, v50
	v_subrev_u32_e32 v50, 28, v52
	v_lshlrev_b64 v[50:51], v50, v[16:17]
	v_lshrrev_b32_e32 v39, 3, v19
	v_sub_u32_e32 v51, 29, v52
	v_cmp_gt_u32_e32 vcc, 8, v19
	v_lshlrev_b32_e32 v16, 8, v16
	s_nop 0
	v_cndmask_b32_e32 v19, v39, v51, vcc
	v_lshl_add_u32 v19, v19, 10, v98
	v_and_b32_e32 v39, 7, v50
	v_and_or_b32 v16, v16, s40, v19
	v_cndmask_b32_e32 v15, v15, v39, vcc
	v_lshlrev_b32_e32 v16, 16, v16
	v_lshl_or_b32 v15, v15, 23, v16
.LBB260_1580:                           ;   in Loop: Header=BB260_819 Depth=1
	s_or_b64 exec, exec, s[26:27]
.LBB260_1581:                           ;   in Loop: Header=BB260_819 Depth=1
	s_or_b64 exec, exec, s[24:25]
.LBB260_1582:                           ;   in Loop: Header=BB260_819 Depth=1
	s_or_b64 exec, exec, s[22:23]
	v_lshrrev_b32_e32 v16, 16, v48
	v_cmp_ne_u16_sdwa s[24:25], v16, v17 src0_sel:BYTE_0 src1_sel:DWORD
	v_mov_b32_e32 v39, 0
	v_mov_b32_e32 v19, 0
	s_and_saveexec_b64 s[22:23], s[24:25]
	s_cbranch_execz .LBB260_1588
; %bb.1583:                             ;   in Loop: Header=BB260_819 Depth=1
	v_cmp_ne_u16_sdwa s[26:27], v16, s28 src0_sel:BYTE_0 src1_sel:DWORD
	v_mov_b32_e32 v19, 0x8000
	s_and_saveexec_b64 s[24:25], s[26:27]
	s_cbranch_execz .LBB260_1587
; %bb.1584:                             ;   in Loop: Header=BB260_819 Depth=1
	v_bfe_u32 v50, v48, 16, 7
	v_cmp_ne_u32_e32 vcc, s29, v50
	v_mov_b32_e32 v19, 0x7c01
	s_and_saveexec_b64 s[26:27], vcc
	s_cbranch_execz .LBB260_1586
; %bb.1585:                             ;   in Loop: Header=BB260_819 Depth=1
	v_and_b32_e32 v19, 7, v16
	v_ffbh_u32_e32 v52, v19
	v_min_u32_e32 v52, 32, v52
	v_lshrrev_b32_e32 v51, 3, v50
	v_subrev_u32_e32 v54, 28, v52
	v_sub_u32_e32 v52, 29, v52
	v_cmp_gt_u32_e32 vcc, 8, v50
	v_lshlrev_b64 v[74:75], v54, v[16:17]
	v_lshlrev_b32_e32 v16, 8, v16
	v_cndmask_b32_e32 v50, v51, v52, vcc
	v_lshl_add_u32 v50, v50, 10, v98
	v_and_b32_e32 v51, 7, v74
	v_and_b32_e32 v50, 0xfc00, v50
	v_cndmask_b32_e32 v19, v19, v51, vcc
	v_and_or_b32 v16, v16, s40, v50
	v_lshl_or_b32 v19, v19, 7, v16
.LBB260_1586:                           ;   in Loop: Header=BB260_819 Depth=1
	s_or_b64 exec, exec, s[26:27]
.LBB260_1587:                           ;   in Loop: Header=BB260_819 Depth=1
	s_or_b64 exec, exec, s[24:25]
.LBB260_1588:                           ;   in Loop: Header=BB260_819 Depth=1
	s_or_b64 exec, exec, s[22:23]
	v_cmp_lt_u32_e32 vcc, s7, v48
	s_and_saveexec_b64 s[22:23], vcc
	s_cbranch_execz .LBB260_1594
; %bb.1589:                             ;   in Loop: Header=BB260_819 Depth=1
	v_lshrrev_b32_e32 v16, 24, v48
	v_cmp_ne_u32_e32 vcc, s28, v16
	v_bfrev_b32_e32 v39, 1
	s_and_saveexec_b64 s[24:25], vcc
	s_cbranch_execz .LBB260_1593
; %bb.1590:                             ;   in Loop: Header=BB260_819 Depth=1
	v_and_b32_e32 v50, 0x7f, v16
	v_cmp_ne_u32_e32 vcc, s29, v50
	v_mov_b32_e32 v39, 0x7c010000
	s_and_saveexec_b64 s[26:27], vcc
	s_cbranch_execz .LBB260_1592
; %bb.1591:                             ;   in Loop: Header=BB260_819 Depth=1
	v_and_b32_e32 v39, 7, v16
	v_ffbh_u32_e32 v52, v39
	v_min_u32_e32 v52, 32, v52
	v_lshrrev_b32_e32 v51, 3, v50
	v_subrev_u32_e32 v54, 28, v52
	v_sub_u32_e32 v52, 29, v52
	v_cmp_gt_u32_e32 vcc, 8, v50
	v_lshlrev_b64 v[74:75], v54, v[16:17]
	v_lshlrev_b32_e32 v16, 8, v16
	v_cndmask_b32_e32 v50, v51, v52, vcc
	v_lshl_add_u32 v50, v50, 10, v98
	v_and_b32_e32 v51, 7, v74
	v_and_or_b32 v16, v16, s40, v50
	v_cndmask_b32_e32 v39, v39, v51, vcc
	v_lshlrev_b32_e32 v16, 16, v16
	v_lshl_or_b32 v39, v39, 23, v16
.LBB260_1592:                           ;   in Loop: Header=BB260_819 Depth=1
	s_or_b64 exec, exec, s[26:27]
.LBB260_1593:                           ;   in Loop: Header=BB260_819 Depth=1
	s_or_b64 exec, exec, s[24:25]
.LBB260_1594:                           ;   in Loop: Header=BB260_819 Depth=1
	s_or_b64 exec, exec, s[22:23]
	v_mov_b32_e32 v16, v49
	v_cmp_ne_u16_sdwa s[24:25], v49, v17 src0_sel:BYTE_0 src1_sel:DWORD
	v_mov_b32_e32 v51, 0
	v_mov_b32_e32 v52, 0
	s_and_saveexec_b64 s[22:23], s[24:25]
	s_cbranch_execz .LBB260_1600
; %bb.1595:                             ;   in Loop: Header=BB260_819 Depth=1
	v_cmp_ne_u16_sdwa s[26:27], v49, s28 src0_sel:BYTE_0 src1_sel:DWORD
	v_mov_b32_e32 v52, 0x8000
	s_and_saveexec_b64 s[24:25], s[26:27]
	s_cbranch_execz .LBB260_1599
; %bb.1596:                             ;   in Loop: Header=BB260_819 Depth=1
	v_and_b32_e32 v50, 0x7f, v49
	v_cmp_ne_u32_e32 vcc, s29, v50
	v_mov_b32_e32 v52, 0x7c01
	s_and_saveexec_b64 s[26:27], vcc
	s_cbranch_execz .LBB260_1598
; %bb.1597:                             ;   in Loop: Header=BB260_819 Depth=1
	v_and_b32_e32 v52, 7, v49
	v_ffbh_u32_e32 v80, v52
	v_min_u32_e32 v80, 32, v80
	v_lshrrev_b32_e32 v54, 3, v50
	v_subrev_u32_e32 v73, 28, v80
	v_sub_u32_e32 v80, 29, v80
	v_cmp_gt_u32_e32 vcc, 8, v50
	v_lshlrev_b64 v[74:75], v73, v[16:17]
	s_nop 0
	v_cndmask_b32_e32 v50, v54, v80, vcc
	v_lshl_add_u32 v50, v50, 10, v98
	v_lshlrev_b32_e32 v54, 8, v49
	v_and_b32_e32 v80, 7, v74
	v_and_b32_e32 v50, 0xfc00, v50
	v_cndmask_b32_e32 v52, v52, v80, vcc
	v_and_or_b32 v50, v54, s40, v50
	v_lshl_or_b32 v52, v52, 7, v50
.LBB260_1598:                           ;   in Loop: Header=BB260_819 Depth=1
	s_or_b64 exec, exec, s[26:27]
.LBB260_1599:                           ;   in Loop: Header=BB260_819 Depth=1
	s_or_b64 exec, exec, s[24:25]
.LBB260_1600:                           ;   in Loop: Header=BB260_819 Depth=1
	s_or_b64 exec, exec, s[22:23]
	v_lshrrev_b16_e32 v16, 8, v16
	v_cmp_ne_u16_e32 vcc, 0, v16
	v_mov_b32_e32 v54, 0
	s_and_saveexec_b64 s[22:23], vcc
	s_cbranch_execz .LBB260_1606
; %bb.1601:                             ;   in Loop: Header=BB260_819 Depth=1
	v_cmp_ne_u16_e32 vcc, s28, v16
	v_bfrev_b32_e32 v54, 1
	s_and_saveexec_b64 s[24:25], vcc
	s_cbranch_execz .LBB260_1605
; %bb.1602:                             ;   in Loop: Header=BB260_819 Depth=1
	v_and_b32_e32 v50, 0x7f, v16
	v_cmp_ne_u32_e32 vcc, s29, v50
	v_mov_b32_e32 v54, 0x7c010000
	s_and_saveexec_b64 s[26:27], vcc
	s_cbranch_execz .LBB260_1604
; %bb.1603:                             ;   in Loop: Header=BB260_819 Depth=1
	v_and_b32_e32 v54, 7, v16
	v_ffbh_u32_e32 v73, v54
	v_min_u32_e32 v73, 32, v73
	v_lshrrev_b32_e32 v80, 3, v50
	v_subrev_u32_e32 v74, 28, v73
	v_sub_u32_e32 v73, 29, v73
	v_cmp_gt_u32_e32 vcc, 8, v50
	v_lshlrev_b64 v[74:75], v74, v[16:17]
	v_lshlrev_b32_e32 v16, 8, v16
	v_cndmask_b32_e32 v50, v80, v73, vcc
	v_lshl_add_u32 v50, v50, 10, v98
	v_and_b32_e32 v80, 7, v74
	v_and_or_b32 v16, v16, s40, v50
	v_cndmask_b32_e32 v54, v54, v80, vcc
	v_lshlrev_b32_e32 v16, 16, v16
	v_lshl_or_b32 v54, v54, 23, v16
.LBB260_1604:                           ;   in Loop: Header=BB260_819 Depth=1
	s_or_b64 exec, exec, s[26:27]
.LBB260_1605:                           ;   in Loop: Header=BB260_819 Depth=1
	s_or_b64 exec, exec, s[24:25]
.LBB260_1606:                           ;   in Loop: Header=BB260_819 Depth=1
	s_or_b64 exec, exec, s[22:23]
	v_lshrrev_b32_e32 v16, 16, v49
	v_cmp_ne_u16_sdwa s[24:25], v16, v17 src0_sel:BYTE_0 src1_sel:DWORD
	s_and_saveexec_b64 s[22:23], s[24:25]
	s_cbranch_execz .LBB260_1612
; %bb.1607:                             ;   in Loop: Header=BB260_819 Depth=1
	v_cmp_ne_u16_sdwa s[26:27], v16, s28 src0_sel:BYTE_0 src1_sel:DWORD
	v_mov_b32_e32 v51, 0x8000
	s_and_saveexec_b64 s[24:25], s[26:27]
	s_cbranch_execz .LBB260_1611
; %bb.1608:                             ;   in Loop: Header=BB260_819 Depth=1
	v_bfe_u32 v50, v49, 16, 7
	v_cmp_ne_u32_e32 vcc, s29, v50
	v_mov_b32_e32 v51, 0x7c01
	s_and_saveexec_b64 s[26:27], vcc
	s_cbranch_execz .LBB260_1610
; %bb.1609:                             ;   in Loop: Header=BB260_819 Depth=1
	v_and_b32_e32 v51, 7, v16
	v_ffbh_u32_e32 v73, v51
	v_min_u32_e32 v73, 32, v73
	v_lshrrev_b32_e32 v80, 3, v50
	v_subrev_u32_e32 v74, 28, v73
	v_sub_u32_e32 v73, 29, v73
	v_cmp_gt_u32_e32 vcc, 8, v50
	v_lshlrev_b64 v[74:75], v74, v[16:17]
	v_lshlrev_b32_e32 v16, 8, v16
	v_cndmask_b32_e32 v50, v80, v73, vcc
	v_lshl_add_u32 v50, v50, 10, v98
	v_and_b32_e32 v80, 7, v74
	v_and_b32_e32 v50, 0xfc00, v50
	v_cndmask_b32_e32 v51, v51, v80, vcc
	v_and_or_b32 v16, v16, s40, v50
	v_lshl_or_b32 v51, v51, 7, v16
.LBB260_1610:                           ;   in Loop: Header=BB260_819 Depth=1
	s_or_b64 exec, exec, s[26:27]
.LBB260_1611:                           ;   in Loop: Header=BB260_819 Depth=1
	s_or_b64 exec, exec, s[24:25]
.LBB260_1612:                           ;   in Loop: Header=BB260_819 Depth=1
	s_or_b64 exec, exec, s[22:23]
	v_cmp_lt_u64_e32 vcc, s[6:7], v[48:49]
	v_mov_b32_e32 v80, 0
	s_and_saveexec_b64 s[22:23], vcc
	s_cbranch_execz .LBB260_1618
; %bb.1613:                             ;   in Loop: Header=BB260_819 Depth=1
	v_lshrrev_b32_e32 v16, 24, v49
	v_cmp_ne_u32_e32 vcc, s28, v16
	v_bfrev_b32_e32 v80, 1
	s_and_saveexec_b64 s[24:25], vcc
	s_cbranch_execz .LBB260_1617
; %bb.1614:                             ;   in Loop: Header=BB260_819 Depth=1
	v_and_b32_e32 v48, 0x7f, v16
	v_cmp_ne_u32_e32 vcc, s29, v48
	v_mov_b32_e32 v80, 0x7c010000
	s_and_saveexec_b64 s[26:27], vcc
	s_cbranch_execz .LBB260_1616
; %bb.1615:                             ;   in Loop: Header=BB260_819 Depth=1
	v_and_b32_e32 v49, 7, v16
	v_ffbh_u32_e32 v80, v49
	v_min_u32_e32 v80, 32, v80
	v_lshrrev_b32_e32 v50, 3, v48
	v_subrev_u32_e32 v73, 28, v80
	v_sub_u32_e32 v80, 29, v80
	v_cmp_gt_u32_e32 vcc, 8, v48
	v_lshlrev_b64 v[74:75], v73, v[16:17]
	v_lshlrev_b32_e32 v16, 8, v16
	v_cndmask_b32_e32 v48, v50, v80, vcc
	v_lshl_add_u32 v48, v48, 10, v98
	v_and_b32_e32 v50, 7, v74
	v_and_or_b32 v16, v16, s40, v48
	v_cndmask_b32_e32 v49, v49, v50, vcc
	v_lshlrev_b32_e32 v16, 16, v16
	v_lshl_or_b32 v80, v49, 23, v16
.LBB260_1616:                           ;   in Loop: Header=BB260_819 Depth=1
	s_or_b64 exec, exec, s[26:27]
.LBB260_1617:                           ;   in Loop: Header=BB260_819 Depth=1
	s_or_b64 exec, exec, s[24:25]
.LBB260_1618:                           ;   in Loop: Header=BB260_819 Depth=1
	s_or_b64 exec, exec, s[22:23]
	v_cvt_f32_f16_sdwa v49, v15 dst_sel:DWORD dst_unused:UNUSED_PAD src0_sel:WORD_1
	v_cvt_f32_f16_sdwa v48, v39 dst_sel:DWORD dst_unused:UNUSED_PAD src0_sel:WORD_1
	v_or_b32_e32 v13, v15, v13
	v_or_b32_e32 v15, v39, v19
	v_cvt_f32_f16_e32 v74, v15
	v_cvt_f32_f16_e32 v75, v13
	s_waitcnt vmcnt(0) lgkmcnt(0)
	v_pk_mul_f32 v[48:49], v[14:15], v[48:49] op_sel_hi:[0,1]
	v_cvt_pk_f16_f32 v13, v48, v49
	v_or_b32_e32 v16, v80, v51
	v_pk_mul_f32 v[74:75], v[14:15], v[74:75] op_sel_hi:[0,1]
	v_or_b32_e32 v15, v54, v52
	v_and_b32_e32 v19, 0xffff0000, v13
	v_lshlrev_b32_e32 v48, 16, v13
	v_cvt_pk_f16_f32 v13, v74, v75
	v_cvt_f32_f16_e32 v74, v16
	v_cvt_f32_f16_e32 v75, v15
	v_cvt_f32_f16_sdwa v77, v54 dst_sel:DWORD dst_unused:UNUSED_PAD src0_sel:WORD_1
	v_cvt_f32_f16_sdwa v76, v80 dst_sel:DWORD dst_unused:UNUSED_PAD src0_sel:WORD_1
	v_lshrrev_b32_e32 v39, 16, v13
	v_pk_mul_f32 v[74:75], v[14:15], v[74:75] op_sel_hi:[0,1]
	v_cvt_pk_f16_f32 v54, v74, v75
	v_pk_mul_f32 v[14:15], v[14:15], v[76:77] op_sel_hi:[0,1]
	v_cvt_pk_f16_f32 v14, v14, v15
	v_and_b32_e32 v50, 0xffff, v13
	v_and_b32_e32 v49, 0xffff0000, v14
	v_lshlrev_b32_e32 v52, 16, v14
	v_lshrrev_b32_e32 v51, 16, v54
	v_and_b32_e32 v54, 0xffff, v54
	v_or_b32_e32 v13, v19, v39
	v_or_b32_e32 v16, v48, v50
	;; [unrolled: 1-line block ×4, first 2 shown]
	s_and_saveexec_b64 s[22:23], s[2:3]
	s_cbranch_execz .LBB260_817
; %bb.1619:                             ;   in Loop: Header=BB260_819 Depth=1
	v_cmp_lt_i32_e32 vcc, v99, v3
	s_nop 1
	v_cndmask_b32_e32 v13, 0, v39, vcc
	v_cmp_lt_i32_e32 vcc, v118, v12
	s_nop 1
	v_cndmask_b32_e32 v14, 0, v50, vcc
	;; [unrolled: 3-line block ×3, first 2 shown]
	v_cmp_lt_i32_e32 vcc, v116, v12
	v_or_b32_e32 v13, v13, v15
	s_nop 0
	v_cndmask_b32_e32 v16, 0, v48, vcc
	v_cmp_lt_i32_e32 vcc, v115, v3
	v_or_b32_e32 v16, v14, v16
	s_nop 0
	v_cndmask_b32_e32 v14, 0, v51, vcc
	v_cmp_lt_i32_e32 vcc, v114, v12
	s_nop 1
	v_cndmask_b32_e32 v19, 0, v54, vcc
	v_cmp_lt_i32_e32 vcc, v113, v3
	;; [unrolled: 3-line block ×3, first 2 shown]
	v_or_b32_e32 v15, v14, v15
	s_nop 0
	v_cndmask_b32_e32 v39, 0, v52, vcc
	v_or_b32_e32 v14, v19, v39
	s_branch .LBB260_817
.LBB260_1620:
	s_or_b64 exec, exec, s[12:13]
	v_mov_b64_e32 v[38:39], s[18:19]
.LBB260_1621:
	s_or_b64 exec, exec, s[4:5]
	s_getpc_b64 s[2:3]
	s_add_u32 s2, s2, llvm.amdgcn.dynlds.offset.table@rel32@lo+4
	s_addc_u32 s3, s3, llvm.amdgcn.dynlds.offset.table@rel32@hi+12
	v_lshl_add_u64 v[0:1], v[38:39], 2, s[2:3]
	s_barrier
	global_load_dword v22, v[0:1], off
	ds_bpermute_b32 v0, v83, v36
	ds_bpermute_b32 v1, v83, v37
	;; [unrolled: 1-line block ×6, first 2 shown]
	s_waitcnt lgkmcnt(4)
	v_pk_add_f32 v[0:1], v[36:37], v[0:1]
	ds_bpermute_b32 v2, v84, v0
	ds_bpermute_b32 v3, v84, v1
	;; [unrolled: 1-line block ×4, first 2 shown]
	s_waitcnt lgkmcnt(2)
	v_pk_add_f32 v[6:7], v[0:1], v[2:3]
	v_pk_add_f32 v[0:1], v[34:35], v[10:11]
	;; [unrolled: 1-line block ×3, first 2 shown]
	ds_bpermute_b32 v12, v83, v30
	ds_bpermute_b32 v13, v83, v31
	ds_bpermute_b32 v2, v84, v0
	ds_bpermute_b32 v3, v84, v1
	ds_bpermute_b32 v16, v84, v10
	ds_bpermute_b32 v17, v84, v11
	s_waitcnt lgkmcnt(4)
	v_pk_add_f32 v[18:19], v[30:31], v[12:13]
	ds_bpermute_b32 v30, v83, v20
	ds_bpermute_b32 v31, v83, v21
	v_pk_add_f32 v[26:27], v[28:29], v[14:15]
	s_waitcnt lgkmcnt(4)
	v_pk_add_f32 v[14:15], v[0:1], v[2:3]
	ds_bpermute_b32 v24, v84, v18
	ds_bpermute_b32 v25, v84, v19
	s_waitcnt lgkmcnt(2)
	v_pk_add_f32 v[0:1], v[20:21], v[30:31]
	v_pk_add_f32 v[12:13], v[10:11], v[16:17]
	ds_bpermute_b32 v16, v83, v8
	ds_bpermute_b32 v17, v83, v9
	;; [unrolled: 1-line block ×4, first 2 shown]
	s_waitcnt lgkmcnt(4)
	v_pk_add_f32 v[10:11], v[18:19], v[24:25]
	ds_bpermute_b32 v28, v84, v26
	s_waitcnt lgkmcnt(3)
	v_pk_add_f32 v[24:25], v[8:9], v[16:17]
	ds_bpermute_b32 v29, v84, v27
	s_waitcnt lgkmcnt(2)
	v_pk_add_f32 v[8:9], v[0:1], v[20:21]
	scratch_load_dword v20, off, s32 offset:488 ; 4-byte Folded Reload
	ds_bpermute_b32 v18, v83, v4
	ds_bpermute_b32 v19, v83, v5
	s_waitcnt lgkmcnt(2)
	v_pk_add_f32 v[2:3], v[26:27], v[28:29]
	ds_bpermute_b32 v26, v84, v24
	ds_bpermute_b32 v27, v84, v25
	s_waitcnt lgkmcnt(2)
	v_pk_add_f32 v[16:17], v[4:5], v[18:19]
	;; [unrolled: 4-line block ×3, first 2 shown]
	s_waitcnt vmcnt(0)
	v_and_b32_e32 v0, 0x3c3, v20
	v_cmp_ne_u32_e32 vcc, 64, v0
	s_and_saveexec_b64 s[2:3], vcc
	s_xor_b64 s[2:3], exec, s[2:3]
; %bb.1622:
                                        ; implicit-def: $vgpr82
; %bb.1623:
	s_or_saveexec_b64 s[2:3], s[2:3]
	s_waitcnt lgkmcnt(0)
	v_pk_add_f32 v[16:17], v[16:17], v[18:19]
	s_xor_b64 exec, exec, s[2:3]
	s_cbranch_execz .LBB260_1625
; %bb.1624:
	v_add_u32_e32 v1, v22, v82
	ds_write2_b32 v1, v6, v7 offset1:16
	ds_write2_b32 v1, v14, v15 offset0:32 offset1:48
	ds_write2_b32 v1, v12, v13 offset0:64 offset1:80
	;; [unrolled: 1-line block ×7, first 2 shown]
.LBB260_1625:
	s_or_b64 exec, exec, s[2:3]
	v_lshrrev_b32_e32 v1, 2, v20
	s_waitcnt lgkmcnt(0)
	s_barrier
	s_and_saveexec_b64 s[2:3], s[0:1]
	s_cbranch_execz .LBB260_1644
; %bb.1626:
	v_cmp_eq_u32_e32 vcc, 0, v85
	v_lshl_add_u32 v18, v1, 2, v22
	s_and_saveexec_b64 s[0:1], vcc
	s_cbranch_execnz .LBB260_1647
; %bb.1627:
	s_or_b64 exec, exec, s[0:1]
	s_and_saveexec_b64 s[0:1], vcc
	s_cbranch_execnz .LBB260_1648
.LBB260_1628:
	s_or_b64 exec, exec, s[0:1]
	s_and_saveexec_b64 s[0:1], vcc
	s_cbranch_execnz .LBB260_1649
.LBB260_1629:
	s_or_b64 exec, exec, s[0:1]
	s_and_saveexec_b64 s[0:1], vcc
	s_cbranch_execnz .LBB260_1650
.LBB260_1630:
	s_or_b64 exec, exec, s[0:1]
	s_and_saveexec_b64 s[0:1], vcc
	s_cbranch_execnz .LBB260_1651
.LBB260_1631:
	s_or_b64 exec, exec, s[0:1]
	s_and_saveexec_b64 s[0:1], vcc
	s_cbranch_execnz .LBB260_1652
.LBB260_1632:
	s_or_b64 exec, exec, s[0:1]
	s_and_saveexec_b64 s[0:1], vcc
	s_cbranch_execnz .LBB260_1653
.LBB260_1633:
	s_or_b64 exec, exec, s[0:1]
	s_and_saveexec_b64 s[0:1], vcc
	s_cbranch_execnz .LBB260_1654
.LBB260_1634:
	s_or_b64 exec, exec, s[0:1]
	s_and_saveexec_b64 s[0:1], vcc
	s_cbranch_execnz .LBB260_1655
.LBB260_1635:
	s_or_b64 exec, exec, s[0:1]
	s_and_saveexec_b64 s[0:1], vcc
	s_cbranch_execnz .LBB260_1656
.LBB260_1636:
	s_or_b64 exec, exec, s[0:1]
	s_and_saveexec_b64 s[0:1], vcc
	s_cbranch_execnz .LBB260_1657
.LBB260_1637:
	s_or_b64 exec, exec, s[0:1]
	s_and_saveexec_b64 s[0:1], vcc
	s_cbranch_execnz .LBB260_1658
.LBB260_1638:
	s_or_b64 exec, exec, s[0:1]
	s_and_saveexec_b64 s[0:1], vcc
	s_cbranch_execnz .LBB260_1659
.LBB260_1639:
	s_or_b64 exec, exec, s[0:1]
	s_and_saveexec_b64 s[0:1], vcc
	s_cbranch_execnz .LBB260_1660
.LBB260_1640:
	s_or_b64 exec, exec, s[0:1]
	s_and_saveexec_b64 s[0:1], vcc
	s_cbranch_execnz .LBB260_1661
.LBB260_1641:
	s_or_b64 exec, exec, s[0:1]
	s_and_saveexec_b64 s[0:1], vcc
	s_cbranch_execz .LBB260_1643
.LBB260_1642:
	ds_read_b32 v18, v18 offset:960
	s_waitcnt lgkmcnt(0)
	v_add_f32_e32 v17, v18, v17
.LBB260_1643:
	s_or_b64 exec, exec, s[0:1]
.LBB260_1644:
	s_or_b64 exec, exec, s[2:3]
	v_cmp_eq_u32_e32 vcc, 0, v0
	s_barrier
	s_and_saveexec_b64 s[0:1], vcc
	s_cbranch_execz .LBB260_1646
; %bb.1645:
	scratch_load_dwordx2 v[18:19], off, s32 offset:508 ; 8-byte Folded Reload
	s_and_b32 s2, 0xffff, s17
	s_cmp_lg_u32 s2, 0
	s_cselect_b64 s[2:3], -1, 0
	s_cmp_lg_u64 s[2:3], 0
	s_addc_u32 s4, s15, 0
	s_mul_i32 s2, s10, s4
	s_mul_i32 s2, s2, s11
	s_lshl_b32 s2, s2, 8
	s_ashr_i32 s3, s2, 31
	v_lshlrev_b32_e32 v0, 1, v1
	v_mov_b32_e32 v1, 0
	;;#ASMSTART
	v_cvt_f16_f32 v6, v6;

	;;#ASMEND
	s_waitcnt vmcnt(0)
	v_lshl_add_u64 v[18:19], s[2:3], 1, v[18:19]
	s_mul_i32 s2, s16, s4
	s_ashr_i32 s3, s2, 31
	v_lshl_add_u64 v[18:19], s[2:3], 1, v[18:19]
	s_lshl_b32 s2, s14, 8
	s_ashr_i32 s3, s2, 31
	v_lshl_add_u64 v[18:19], s[2:3], 1, v[18:19]
	v_lshl_add_u64 v[0:1], v[18:19], 0, v[0:1]
	flat_store_short v[0:1], v6
	;;#ASMSTART
	v_cvt_f16_f32 v6, v7;

	;;#ASMEND
	flat_store_short v[0:1], v6 offset:32
	;;#ASMSTART
	v_cvt_f16_f32 v6, v14;

	;;#ASMEND
	flat_store_short v[0:1], v6 offset:64
	;;#ASMSTART
	v_cvt_f16_f32 v6, v15;

	;;#ASMEND
	flat_store_short v[0:1], v6 offset:96
	;;#ASMSTART
	v_cvt_f16_f32 v6, v12;

	;;#ASMEND
	flat_store_short v[0:1], v6 offset:128
	;;#ASMSTART
	v_cvt_f16_f32 v6, v13;

	;;#ASMEND
	flat_store_short v[0:1], v6 offset:160
	;;#ASMSTART
	v_cvt_f16_f32 v6, v10;

	;;#ASMEND
	flat_store_short v[0:1], v6 offset:192
	;;#ASMSTART
	v_cvt_f16_f32 v6, v11;

	;;#ASMEND
	flat_store_short v[0:1], v6 offset:224
	;;#ASMSTART
	v_cvt_f16_f32 v2, v2;

	;;#ASMEND
	flat_store_short v[0:1], v2 offset:256
	;;#ASMSTART
	v_cvt_f16_f32 v2, v3;

	;;#ASMEND
	flat_store_short v[0:1], v2 offset:288
	;;#ASMSTART
	v_cvt_f16_f32 v2, v8;

	;;#ASMEND
	flat_store_short v[0:1], v2 offset:320
	;;#ASMSTART
	v_cvt_f16_f32 v2, v9;

	;;#ASMEND
	flat_store_short v[0:1], v2 offset:352
	;;#ASMSTART
	v_cvt_f16_f32 v2, v4;

	;;#ASMEND
	flat_store_short v[0:1], v2 offset:384
	;;#ASMSTART
	v_cvt_f16_f32 v2, v5;

	;;#ASMEND
	flat_store_short v[0:1], v2 offset:416
	;;#ASMSTART
	v_cvt_f16_f32 v2, v16;

	;;#ASMEND
	flat_store_short v[0:1], v2 offset:448
	;;#ASMSTART
	v_cvt_f16_f32 v2, v17;

	;;#ASMEND
	flat_store_short v[0:1], v2 offset:480
.LBB260_1646:
	s_or_b64 exec, exec, s[0:1]
	scratch_load_dword v127, off, s32       ; 4-byte Folded Reload
	scratch_load_dword v126, off, s32 offset:4 ; 4-byte Folded Reload
	scratch_load_dword v125, off, s32 offset:8 ; 4-byte Folded Reload
	;; [unrolled: 1-line block ×47, first 2 shown]
	s_waitcnt vmcnt(0) lgkmcnt(0)
	s_setpc_b64 s[30:31]
.LBB260_1647:
	ds_read_b32 v19, v18
	s_waitcnt lgkmcnt(0)
	v_add_f32_e32 v6, v19, v6
	s_or_b64 exec, exec, s[0:1]
	s_and_saveexec_b64 s[0:1], vcc
	s_cbranch_execz .LBB260_1628
.LBB260_1648:
	ds_read_b32 v19, v18 offset:64
	s_waitcnt lgkmcnt(0)
	v_add_f32_e32 v7, v19, v7
	s_or_b64 exec, exec, s[0:1]
	s_and_saveexec_b64 s[0:1], vcc
	s_cbranch_execz .LBB260_1629
.LBB260_1649:
	ds_read_b32 v19, v18 offset:128
	s_waitcnt lgkmcnt(0)
	v_add_f32_e32 v14, v19, v14
	s_or_b64 exec, exec, s[0:1]
	s_and_saveexec_b64 s[0:1], vcc
	s_cbranch_execz .LBB260_1630
.LBB260_1650:
	ds_read_b32 v19, v18 offset:192
	s_waitcnt lgkmcnt(0)
	v_add_f32_e32 v15, v19, v15
	s_or_b64 exec, exec, s[0:1]
	s_and_saveexec_b64 s[0:1], vcc
	s_cbranch_execz .LBB260_1631
.LBB260_1651:
	ds_read_b32 v19, v18 offset:256
	s_waitcnt lgkmcnt(0)
	v_add_f32_e32 v12, v19, v12
	s_or_b64 exec, exec, s[0:1]
	s_and_saveexec_b64 s[0:1], vcc
	s_cbranch_execz .LBB260_1632
.LBB260_1652:
	ds_read_b32 v19, v18 offset:320
	s_waitcnt lgkmcnt(0)
	v_add_f32_e32 v13, v19, v13
	s_or_b64 exec, exec, s[0:1]
	s_and_saveexec_b64 s[0:1], vcc
	s_cbranch_execz .LBB260_1633
.LBB260_1653:
	ds_read_b32 v19, v18 offset:384
	s_waitcnt lgkmcnt(0)
	v_add_f32_e32 v10, v19, v10
	s_or_b64 exec, exec, s[0:1]
	s_and_saveexec_b64 s[0:1], vcc
	s_cbranch_execz .LBB260_1634
.LBB260_1654:
	ds_read_b32 v19, v18 offset:448
	s_waitcnt lgkmcnt(0)
	v_add_f32_e32 v11, v19, v11
	s_or_b64 exec, exec, s[0:1]
	s_and_saveexec_b64 s[0:1], vcc
	s_cbranch_execz .LBB260_1635
.LBB260_1655:
	ds_read_b32 v19, v18 offset:512
	s_waitcnt lgkmcnt(0)
	v_add_f32_e32 v2, v19, v2
	s_or_b64 exec, exec, s[0:1]
	s_and_saveexec_b64 s[0:1], vcc
	s_cbranch_execz .LBB260_1636
.LBB260_1656:
	ds_read_b32 v19, v18 offset:576
	s_waitcnt lgkmcnt(0)
	v_add_f32_e32 v3, v19, v3
	s_or_b64 exec, exec, s[0:1]
	s_and_saveexec_b64 s[0:1], vcc
	s_cbranch_execz .LBB260_1637
.LBB260_1657:
	ds_read_b32 v19, v18 offset:640
	s_waitcnt lgkmcnt(0)
	v_add_f32_e32 v8, v19, v8
	s_or_b64 exec, exec, s[0:1]
	s_and_saveexec_b64 s[0:1], vcc
	s_cbranch_execz .LBB260_1638
.LBB260_1658:
	ds_read_b32 v19, v18 offset:704
	s_waitcnt lgkmcnt(0)
	v_add_f32_e32 v9, v19, v9
	s_or_b64 exec, exec, s[0:1]
	s_and_saveexec_b64 s[0:1], vcc
	s_cbranch_execz .LBB260_1639
.LBB260_1659:
	ds_read_b32 v19, v18 offset:768
	s_waitcnt lgkmcnt(0)
	v_add_f32_e32 v4, v19, v4
	s_or_b64 exec, exec, s[0:1]
	s_and_saveexec_b64 s[0:1], vcc
	s_cbranch_execz .LBB260_1640
.LBB260_1660:
	ds_read_b32 v19, v18 offset:832
	s_waitcnt lgkmcnt(0)
	v_add_f32_e32 v5, v19, v5
	s_or_b64 exec, exec, s[0:1]
	s_and_saveexec_b64 s[0:1], vcc
	s_cbranch_execz .LBB260_1641
.LBB260_1661:
	ds_read_b32 v19, v18 offset:896
	s_waitcnt lgkmcnt(0)
	v_add_f32_e32 v16, v19, v16
	s_or_b64 exec, exec, s[0:1]
	s_and_saveexec_b64 s[0:1], vcc
	s_cbranch_execnz .LBB260_1642
	s_branch .LBB260_1643
.Lfunc_end260:
	.size	_ZN4vllm22paged_attention_kernelIthLi256ELi32ELi128ELNS_18Fp8KVCacheDataTypeE1ELb1ELi0EEEvPfS2_PT_PKS3_PKT0_S9_ifPKiSB_iPKfiiiSD_SD_iiiii, .Lfunc_end260-_ZN4vllm22paged_attention_kernelIthLi256ELi32ELi128ELNS_18Fp8KVCacheDataTypeE1ELb1ELi0EEEvPfS2_PT_PKS3_PKT0_S9_ifPKiSB_iPKfiiiSD_SD_iiiii
                                        ; -- End function
	.set .L_ZN4vllm22paged_attention_kernelIthLi256ELi32ELi128ELNS_18Fp8KVCacheDataTypeE1ELb1ELi0EEEvPfS2_PT_PKS3_PKT0_S9_ifPKiSB_iPKfiiiSD_SD_iiiii.num_vgpr, 128
	.set .L_ZN4vllm22paged_attention_kernelIthLi256ELi32ELi128ELNS_18Fp8KVCacheDataTypeE1ELb1ELi0EEEvPfS2_PT_PKS3_PKT0_S9_ifPKiSB_iPKfiiiSD_SD_iiiii.num_agpr, 0
	.set .L_ZN4vllm22paged_attention_kernelIthLi256ELi32ELi128ELNS_18Fp8KVCacheDataTypeE1ELb1ELi0EEEvPfS2_PT_PKS3_PKT0_S9_ifPKiSB_iPKfiiiSD_SD_iiiii.numbered_sgpr, 76
	.set .L_ZN4vllm22paged_attention_kernelIthLi256ELi32ELi128ELNS_18Fp8KVCacheDataTypeE1ELb1ELi0EEEvPfS2_PT_PKS3_PKT0_S9_ifPKiSB_iPKfiiiSD_SD_iiiii.num_named_barrier, 0
	.set .L_ZN4vllm22paged_attention_kernelIthLi256ELi32ELi128ELNS_18Fp8KVCacheDataTypeE1ELb1ELi0EEEvPfS2_PT_PKS3_PKT0_S9_ifPKiSB_iPKfiiiSD_SD_iiiii.private_seg_size, 560
	.set .L_ZN4vllm22paged_attention_kernelIthLi256ELi32ELi128ELNS_18Fp8KVCacheDataTypeE1ELb1ELi0EEEvPfS2_PT_PKS3_PKT0_S9_ifPKiSB_iPKfiiiSD_SD_iiiii.uses_vcc, 1
	.set .L_ZN4vllm22paged_attention_kernelIthLi256ELi32ELi128ELNS_18Fp8KVCacheDataTypeE1ELb1ELi0EEEvPfS2_PT_PKS3_PKT0_S9_ifPKiSB_iPKfiiiSD_SD_iiiii.uses_flat_scratch, 0
	.set .L_ZN4vllm22paged_attention_kernelIthLi256ELi32ELi128ELNS_18Fp8KVCacheDataTypeE1ELb1ELi0EEEvPfS2_PT_PKS3_PKT0_S9_ifPKiSB_iPKfiiiSD_SD_iiiii.has_dyn_sized_stack, 0
	.set .L_ZN4vllm22paged_attention_kernelIthLi256ELi32ELi128ELNS_18Fp8KVCacheDataTypeE1ELb1ELi0EEEvPfS2_PT_PKS3_PKT0_S9_ifPKiSB_iPKfiiiSD_SD_iiiii.has_recursion, 0
	.set .L_ZN4vllm22paged_attention_kernelIthLi256ELi32ELi128ELNS_18Fp8KVCacheDataTypeE1ELb1ELi0EEEvPfS2_PT_PKS3_PKT0_S9_ifPKiSB_iPKfiiiSD_SD_iiiii.has_indirect_call, 0
	.section	.AMDGPU.csdata,"",@progbits
; Function info:
; codeLenInByte = 72240
; TotalNumSgprs: 82
; NumVgprs: 128
; NumAgprs: 0
; TotalNumVgprs: 128
; ScratchSize: 560
; MemoryBound: 0
	.section	.text._ZN4vllm25paged_attention_v1_kernelIthLi256ELi32ELi128ELNS_18Fp8KVCacheDataTypeE1ELb1EEEvPT_PKS2_PKT0_S8_ifPKiSA_iPKfiiiSC_SC_iiiii,"axG",@progbits,_ZN4vllm25paged_attention_v1_kernelIthLi256ELi32ELi128ELNS_18Fp8KVCacheDataTypeE1ELb1EEEvPT_PKS2_PKT0_S8_ifPKiSA_iPKfiiiSC_SC_iiiii,comdat
	.protected	_ZN4vllm25paged_attention_v1_kernelIthLi256ELi32ELi128ELNS_18Fp8KVCacheDataTypeE1ELb1EEEvPT_PKS2_PKT0_S8_ifPKiSA_iPKfiiiSC_SC_iiiii ; -- Begin function _ZN4vllm25paged_attention_v1_kernelIthLi256ELi32ELi128ELNS_18Fp8KVCacheDataTypeE1ELb1EEEvPT_PKS2_PKT0_S8_ifPKiSA_iPKfiiiSC_SC_iiiii
	.globl	_ZN4vllm25paged_attention_v1_kernelIthLi256ELi32ELi128ELNS_18Fp8KVCacheDataTypeE1ELb1EEEvPT_PKS2_PKT0_S8_ifPKiSA_iPKfiiiSC_SC_iiiii
	.p2align	8
	.type	_ZN4vllm25paged_attention_v1_kernelIthLi256ELi32ELi128ELNS_18Fp8KVCacheDataTypeE1ELb1EEEvPT_PKS2_PKT0_S8_ifPKiSA_iPKfiiiSC_SC_iiiii,@function
_ZN4vllm25paged_attention_v1_kernelIthLi256ELi32ELi128ELNS_18Fp8KVCacheDataTypeE1ELb1EEEvPT_PKS2_PKT0_S8_ifPKiSA_iPKfiiiSC_SC_iiiii: ; @_ZN4vllm25paged_attention_v1_kernelIthLi256ELi32ELi128ELNS_18Fp8KVCacheDataTypeE1ELb1EEEvPT_PKS2_PKT0_S8_ifPKiSA_iPKfiiiSC_SC_iiiii
; %bb.0:
	s_load_dwordx8 s[16:23], s[0:1], 0x0
	s_load_dwordx4 s[36:39], s[0:1], 0x20
	s_load_dwordx2 s[6:7], s[0:1], 0x30
	s_load_dword s5, s[0:1], 0x38
	s_load_dwordx2 s[10:11], s[0:1], 0x40
	s_load_dwordx8 s[24:31], s[0:1], 0x48
	s_waitcnt lgkmcnt(0)
	s_load_dword s27, s[0:1], 0x78
	s_load_dwordx4 s[40:43], s[0:1], 0x68
	s_add_u32 s8, s0, 0x80
	s_addc_u32 s9, s1, 0
	s_getpc_b64 s[0:1]
	s_add_u32 s0, s0, _ZN4vllm22paged_attention_kernelIthLi256ELi32ELi128ELNS_18Fp8KVCacheDataTypeE1ELb1ELi0EEEvPfS2_PT_PKS3_PKT0_S9_ifPKiSB_iPKfiiiSD_SD_iiiii@rel32@lo+4
	s_addc_u32 s1, s1, _ZN4vllm22paged_attention_kernelIthLi256ELi32ELi128ELNS_18Fp8KVCacheDataTypeE1ELb1ELi0EEEvPfS2_PT_PKS3_PKT0_S9_ifPKiSB_iPKfiiiSD_SD_iiiii@rel32@hi+12
	s_mov_b32 s12, s2
	s_mov_b32 s13, s3
	;; [unrolled: 1-line block ×4, first 2 shown]
	v_mov_b32_e32 v31, v0
	v_mov_b32_e32 v0, s16
	;; [unrolled: 1-line block ×25, first 2 shown]
	s_waitcnt lgkmcnt(0)
	v_mov_b32_e32 v24, s40
	v_mov_b32_e32 v25, s41
	;; [unrolled: 1-line block ×5, first 2 shown]
	s_mov_b32 s32, 0
	s_swappc_b64 s[30:31], s[0:1]
	s_endpgm
	.section	.rodata,"a",@progbits
	.p2align	6, 0x0
	.amdhsa_kernel _ZN4vllm25paged_attention_v1_kernelIthLi256ELi32ELi128ELNS_18Fp8KVCacheDataTypeE1ELb1EEEvPT_PKS2_PKT0_S8_ifPKiSA_iPKfiiiSC_SC_iiiii
		.amdhsa_group_segment_fixed_size 528
		.amdhsa_private_segment_fixed_size 560
		.amdhsa_kernarg_size 384
		.amdhsa_user_sgpr_count 2
		.amdhsa_user_sgpr_dispatch_ptr 0
		.amdhsa_user_sgpr_queue_ptr 0
		.amdhsa_user_sgpr_kernarg_segment_ptr 1
		.amdhsa_user_sgpr_dispatch_id 0
		.amdhsa_user_sgpr_kernarg_preload_length 0
		.amdhsa_user_sgpr_kernarg_preload_offset 0
		.amdhsa_user_sgpr_private_segment_size 0
		.amdhsa_uses_dynamic_stack 0
		.amdhsa_enable_private_segment 1
		.amdhsa_system_sgpr_workgroup_id_x 1
		.amdhsa_system_sgpr_workgroup_id_y 1
		.amdhsa_system_sgpr_workgroup_id_z 1
		.amdhsa_system_sgpr_workgroup_info 0
		.amdhsa_system_vgpr_workitem_id 0
		.amdhsa_next_free_vgpr 128
		.amdhsa_next_free_sgpr 76
		.amdhsa_accum_offset 128
		.amdhsa_reserve_vcc 1
		.amdhsa_float_round_mode_32 0
		.amdhsa_float_round_mode_16_64 0
		.amdhsa_float_denorm_mode_32 3
		.amdhsa_float_denorm_mode_16_64 3
		.amdhsa_dx10_clamp 1
		.amdhsa_ieee_mode 1
		.amdhsa_fp16_overflow 0
		.amdhsa_tg_split 0
		.amdhsa_exception_fp_ieee_invalid_op 0
		.amdhsa_exception_fp_denorm_src 0
		.amdhsa_exception_fp_ieee_div_zero 0
		.amdhsa_exception_fp_ieee_overflow 0
		.amdhsa_exception_fp_ieee_underflow 0
		.amdhsa_exception_fp_ieee_inexact 0
		.amdhsa_exception_int_div_zero 0
	.end_amdhsa_kernel
	.section	.text._ZN4vllm25paged_attention_v1_kernelIthLi256ELi32ELi128ELNS_18Fp8KVCacheDataTypeE1ELb1EEEvPT_PKS2_PKT0_S8_ifPKiSA_iPKfiiiSC_SC_iiiii,"axG",@progbits,_ZN4vllm25paged_attention_v1_kernelIthLi256ELi32ELi128ELNS_18Fp8KVCacheDataTypeE1ELb1EEEvPT_PKS2_PKT0_S8_ifPKiSA_iPKfiiiSC_SC_iiiii,comdat
.Lfunc_end261:
	.size	_ZN4vllm25paged_attention_v1_kernelIthLi256ELi32ELi128ELNS_18Fp8KVCacheDataTypeE1ELb1EEEvPT_PKS2_PKT0_S8_ifPKiSA_iPKfiiiSC_SC_iiiii, .Lfunc_end261-_ZN4vllm25paged_attention_v1_kernelIthLi256ELi32ELi128ELNS_18Fp8KVCacheDataTypeE1ELb1EEEvPT_PKS2_PKT0_S8_ifPKiSA_iPKfiiiSC_SC_iiiii
                                        ; -- End function
	.set _ZN4vllm25paged_attention_v1_kernelIthLi256ELi32ELi128ELNS_18Fp8KVCacheDataTypeE1ELb1EEEvPT_PKS2_PKT0_S8_ifPKiSA_iPKfiiiSC_SC_iiiii.num_vgpr, max(32, .L_ZN4vllm22paged_attention_kernelIthLi256ELi32ELi128ELNS_18Fp8KVCacheDataTypeE1ELb1ELi0EEEvPfS2_PT_PKS3_PKT0_S9_ifPKiSB_iPKfiiiSD_SD_iiiii.num_vgpr)
	.set _ZN4vllm25paged_attention_v1_kernelIthLi256ELi32ELi128ELNS_18Fp8KVCacheDataTypeE1ELb1EEEvPT_PKS2_PKT0_S8_ifPKiSA_iPKfiiiSC_SC_iiiii.num_agpr, max(0, .L_ZN4vllm22paged_attention_kernelIthLi256ELi32ELi128ELNS_18Fp8KVCacheDataTypeE1ELb1ELi0EEEvPfS2_PT_PKS3_PKT0_S9_ifPKiSB_iPKfiiiSD_SD_iiiii.num_agpr)
	.set _ZN4vllm25paged_attention_v1_kernelIthLi256ELi32ELi128ELNS_18Fp8KVCacheDataTypeE1ELb1EEEvPT_PKS2_PKT0_S8_ifPKiSA_iPKfiiiSC_SC_iiiii.numbered_sgpr, max(44, .L_ZN4vllm22paged_attention_kernelIthLi256ELi32ELi128ELNS_18Fp8KVCacheDataTypeE1ELb1ELi0EEEvPfS2_PT_PKS3_PKT0_S9_ifPKiSB_iPKfiiiSD_SD_iiiii.numbered_sgpr)
	.set _ZN4vllm25paged_attention_v1_kernelIthLi256ELi32ELi128ELNS_18Fp8KVCacheDataTypeE1ELb1EEEvPT_PKS2_PKT0_S8_ifPKiSA_iPKfiiiSC_SC_iiiii.num_named_barrier, max(0, .L_ZN4vllm22paged_attention_kernelIthLi256ELi32ELi128ELNS_18Fp8KVCacheDataTypeE1ELb1ELi0EEEvPfS2_PT_PKS3_PKT0_S9_ifPKiSB_iPKfiiiSD_SD_iiiii.num_named_barrier)
	.set _ZN4vllm25paged_attention_v1_kernelIthLi256ELi32ELi128ELNS_18Fp8KVCacheDataTypeE1ELb1EEEvPT_PKS2_PKT0_S8_ifPKiSA_iPKfiiiSC_SC_iiiii.private_seg_size, 0+max(.L_ZN4vllm22paged_attention_kernelIthLi256ELi32ELi128ELNS_18Fp8KVCacheDataTypeE1ELb1ELi0EEEvPfS2_PT_PKS3_PKT0_S9_ifPKiSB_iPKfiiiSD_SD_iiiii.private_seg_size)
	.set _ZN4vllm25paged_attention_v1_kernelIthLi256ELi32ELi128ELNS_18Fp8KVCacheDataTypeE1ELb1EEEvPT_PKS2_PKT0_S8_ifPKiSA_iPKfiiiSC_SC_iiiii.uses_vcc, or(1, .L_ZN4vllm22paged_attention_kernelIthLi256ELi32ELi128ELNS_18Fp8KVCacheDataTypeE1ELb1ELi0EEEvPfS2_PT_PKS3_PKT0_S9_ifPKiSB_iPKfiiiSD_SD_iiiii.uses_vcc)
	.set _ZN4vllm25paged_attention_v1_kernelIthLi256ELi32ELi128ELNS_18Fp8KVCacheDataTypeE1ELb1EEEvPT_PKS2_PKT0_S8_ifPKiSA_iPKfiiiSC_SC_iiiii.uses_flat_scratch, or(0, .L_ZN4vllm22paged_attention_kernelIthLi256ELi32ELi128ELNS_18Fp8KVCacheDataTypeE1ELb1ELi0EEEvPfS2_PT_PKS3_PKT0_S9_ifPKiSB_iPKfiiiSD_SD_iiiii.uses_flat_scratch)
	.set _ZN4vllm25paged_attention_v1_kernelIthLi256ELi32ELi128ELNS_18Fp8KVCacheDataTypeE1ELb1EEEvPT_PKS2_PKT0_S8_ifPKiSA_iPKfiiiSC_SC_iiiii.has_dyn_sized_stack, or(0, .L_ZN4vllm22paged_attention_kernelIthLi256ELi32ELi128ELNS_18Fp8KVCacheDataTypeE1ELb1ELi0EEEvPfS2_PT_PKS3_PKT0_S9_ifPKiSB_iPKfiiiSD_SD_iiiii.has_dyn_sized_stack)
	.set _ZN4vllm25paged_attention_v1_kernelIthLi256ELi32ELi128ELNS_18Fp8KVCacheDataTypeE1ELb1EEEvPT_PKS2_PKT0_S8_ifPKiSA_iPKfiiiSC_SC_iiiii.has_recursion, or(0, .L_ZN4vllm22paged_attention_kernelIthLi256ELi32ELi128ELNS_18Fp8KVCacheDataTypeE1ELb1ELi0EEEvPfS2_PT_PKS3_PKT0_S9_ifPKiSB_iPKfiiiSD_SD_iiiii.has_recursion)
	.set _ZN4vllm25paged_attention_v1_kernelIthLi256ELi32ELi128ELNS_18Fp8KVCacheDataTypeE1ELb1EEEvPT_PKS2_PKT0_S8_ifPKiSA_iPKfiiiSC_SC_iiiii.has_indirect_call, or(0, .L_ZN4vllm22paged_attention_kernelIthLi256ELi32ELi128ELNS_18Fp8KVCacheDataTypeE1ELb1ELi0EEEvPfS2_PT_PKS3_PKT0_S9_ifPKiSB_iPKfiiiSD_SD_iiiii.has_indirect_call)
	.section	.AMDGPU.csdata,"",@progbits
; Kernel info:
; codeLenInByte = 252
; TotalNumSgprs: 82
; NumVgprs: 128
; NumAgprs: 0
; TotalNumVgprs: 128
; ScratchSize: 560
; MemoryBound: 0
; FloatMode: 240
; IeeeMode: 1
; LDSByteSize: 528 bytes/workgroup (compile time only)
; SGPRBlocks: 10
; VGPRBlocks: 15
; NumSGPRsForWavesPerEU: 82
; NumVGPRsForWavesPerEU: 128
; AccumOffset: 128
; Occupancy: 4
; WaveLimiterHint : 1
; COMPUTE_PGM_RSRC2:SCRATCH_EN: 1
; COMPUTE_PGM_RSRC2:USER_SGPR: 2
; COMPUTE_PGM_RSRC2:TRAP_HANDLER: 0
; COMPUTE_PGM_RSRC2:TGID_X_EN: 1
; COMPUTE_PGM_RSRC2:TGID_Y_EN: 1
; COMPUTE_PGM_RSRC2:TGID_Z_EN: 1
; COMPUTE_PGM_RSRC2:TIDIG_COMP_CNT: 0
; COMPUTE_PGM_RSRC3_GFX90A:ACCUM_OFFSET: 31
; COMPUTE_PGM_RSRC3_GFX90A:TG_SPLIT: 0
	.section	.text._ZN4vllm25paged_attention_v1_kernelIthLi32ELi32ELi128ELNS_18Fp8KVCacheDataTypeE1ELb0EEEvPT_PKS2_PKT0_S8_ifPKiSA_iPKfiiiSC_SC_iiiii,"axG",@progbits,_ZN4vllm25paged_attention_v1_kernelIthLi32ELi32ELi128ELNS_18Fp8KVCacheDataTypeE1ELb0EEEvPT_PKS2_PKT0_S8_ifPKiSA_iPKfiiiSC_SC_iiiii,comdat
	.protected	_ZN4vllm25paged_attention_v1_kernelIthLi32ELi32ELi128ELNS_18Fp8KVCacheDataTypeE1ELb0EEEvPT_PKS2_PKT0_S8_ifPKiSA_iPKfiiiSC_SC_iiiii ; -- Begin function _ZN4vllm25paged_attention_v1_kernelIthLi32ELi32ELi128ELNS_18Fp8KVCacheDataTypeE1ELb0EEEvPT_PKS2_PKT0_S8_ifPKiSA_iPKfiiiSC_SC_iiiii
	.globl	_ZN4vllm25paged_attention_v1_kernelIthLi32ELi32ELi128ELNS_18Fp8KVCacheDataTypeE1ELb0EEEvPT_PKS2_PKT0_S8_ifPKiSA_iPKfiiiSC_SC_iiiii
	.p2align	8
	.type	_ZN4vllm25paged_attention_v1_kernelIthLi32ELi32ELi128ELNS_18Fp8KVCacheDataTypeE1ELb0EEEvPT_PKS2_PKT0_S8_ifPKiSA_iPKfiiiSC_SC_iiiii,@function
_ZN4vllm25paged_attention_v1_kernelIthLi32ELi32ELi128ELNS_18Fp8KVCacheDataTypeE1ELb0EEEvPT_PKS2_PKT0_S8_ifPKiSA_iPKfiiiSC_SC_iiiii: ; @_ZN4vllm25paged_attention_v1_kernelIthLi32ELi32ELi128ELNS_18Fp8KVCacheDataTypeE1ELb0EEEvPT_PKS2_PKT0_S8_ifPKiSA_iPKfiiiSC_SC_iiiii
; %bb.0:
	s_load_dword s5, s[0:1], 0x80
	s_load_dwordx2 s[6:7], s[0:1], 0x30
	s_load_dwordx2 s[28:29], s[0:1], 0x20
	s_mov_b32 s16, s3
	s_ashr_i32 s17, s3, 31
	s_lshl_b64 s[8:9], s[16:17], 2
	s_waitcnt lgkmcnt(0)
	s_add_u32 s6, s6, s8
	s_addc_u32 s7, s7, s9
	s_abs_i32 s3, s28
	v_cvt_f32_u32_e32 v1, s3
	s_sub_i32 s10, 0, s3
	s_abs_i32 s9, s5
	s_xor_b32 s8, s5, s28
	v_rcp_iflag_f32_e32 v1, v1
	s_ashr_i32 s8, s8, 31
	s_mov_b32 s28, 0
	v_mul_f32_e32 v1, 0x4f7ffffe, v1
	v_cvt_u32_f32_e32 v1, v1
	s_nop 0
	v_readfirstlane_b32 s11, v1
	s_mul_i32 s10, s10, s11
	s_mul_hi_u32 s10, s11, s10
	s_add_i32 s11, s11, s10
	s_mul_hi_u32 s10, s9, s11
	s_mul_i32 s11, s10, s3
	s_sub_i32 s9, s9, s11
	s_add_i32 s11, s10, 1
	s_sub_i32 s12, s9, s3
	s_cmp_ge_u32 s9, s3
	s_cselect_b32 s10, s11, s10
	s_cselect_b32 s9, s12, s9
	s_add_i32 s11, s10, 1
	s_cmp_ge_u32 s9, s3
	s_cselect_b32 s3, s11, s10
	s_xor_b32 s3, s3, s8
	s_sub_i32 s12, s3, s8
	s_abs_i32 s10, s12
	v_cvt_f32_u32_e32 v1, s10
	s_load_dwordx2 s[8:9], s[0:1], 0x40
	s_sub_i32 s3, 0, s10
	s_abs_i32 s11, s2
	v_rcp_iflag_f32_e32 v1, v1
	s_nop 0
	v_mul_f32_e32 v1, 0x4f7ffffe, v1
	v_cvt_u32_f32_e32 v1, v1
	s_nop 0
	v_readfirstlane_b32 s13, v1
	s_mul_i32 s3, s3, s13
	s_mul_hi_u32 s3, s13, s3
	s_add_i32 s13, s13, s3
	s_waitcnt lgkmcnt(0)
	s_cmp_eq_u64 s[8:9], 0
	s_mul_hi_u32 s17, s11, s13
	s_cbranch_scc1 .LBB262_2
; %bb.1:
	s_ashr_i32 s3, s2, 31
	s_lshl_b64 s[14:15], s[2:3], 2
	s_add_u32 s8, s8, s14
	s_addc_u32 s9, s9, s15
	s_load_dword s28, s[8:9], 0x0
.LBB262_2:
	s_load_dword s33, s[6:7], 0x0
	s_ashr_i32 s7, s12, 31
	s_load_dwordx4 s[12:15], s[0:1], 0x48
	s_ashr_i32 s6, s2, 31
	v_and_b32_e32 v4, 1, v0
	s_lshl_b32 s18, s2, 5
	v_cmp_gt_u32_e32 vcc, 8, v0
	v_lshlrev_b32_e32 v1, 3, v0
	s_and_saveexec_b64 s[2:3], vcc
	s_cbranch_execz .LBB262_4
; %bb.3:
	s_load_dwordx2 s[8:9], s[0:1], 0x8
	s_waitcnt lgkmcnt(0)
	s_mul_i32 s20, s12, s16
	s_ashr_i32 s21, s20, 31
	s_lshl_b64 s[20:21], s[20:21], 1
	v_lshlrev_b32_e32 v5, 2, v0
	s_add_u32 s12, s8, s20
	s_addc_u32 s15, s9, s21
	s_ashr_i32 s19, s18, 31
	s_lshl_b64 s[8:9], s[18:19], 1
	s_add_u32 s8, s12, s8
	s_addc_u32 s9, s15, s9
	global_load_dwordx2 v[2:3], v1, s[8:9]
	v_and_b32_e32 v5, 0xff8, v5
	v_lshl_add_u32 v5, v4, 5, v5
	s_waitcnt vmcnt(0)
	ds_write_b64 v5, v[2:3]
.LBB262_4:
	s_or_b64 exec, exec, s[2:3]
	s_waitcnt lgkmcnt(0)
	s_add_i32 s3, s33, 31
	s_ashr_i32 s8, s3, 31
	s_lshr_b32 s8, s8, 27
	s_add_i32 s3, s3, s8
	s_ashr_i32 s19, s3, 5
	s_xor_b32 s3, s6, s7
	s_mul_i32 s6, s17, s10
	s_sub_i32 s6, s11, s6
	s_add_i32 s7, s17, 1
	s_sub_i32 s8, s6, s10
	s_load_dwordx2 s[22:23], s[0:1], 0x28
	s_load_dword s2, s[0:1], 0x38
	s_cmp_ge_u32 s6, s10
	s_cselect_b32 s7, s7, s17
	s_cselect_b32 s6, s8, s6
	s_add_i32 s8, s7, 1
	s_cmp_ge_u32 s6, s10
	s_cselect_b32 s6, s8, s7
	v_lshrrev_b32_e32 v22, 6, v0
	s_xor_b32 s6, s6, s3
	s_waitcnt lgkmcnt(0)
	s_mul_i32 s24, s2, s16
	s_sub_i32 s12, s6, s3
	s_ashr_i32 s25, s24, 31
	v_cmp_gt_i32_e64 s[6:7], s19, v22
	v_cmp_le_i32_e32 vcc, s19, v22
	v_mbcnt_lo_u32_b32 v9, -1, 0
	s_barrier
                                        ; implicit-def: $vgpr12
                                        ; implicit-def: $vgpr2
                                        ; implicit-def: $vgpr8
	s_and_saveexec_b64 s[2:3], vcc
	s_xor_b64 s[2:3], exec, s[2:3]
; %bb.5:
	v_mbcnt_hi_u32_b32 v12, -1, v9
	v_and_b32_e32 v2, 64, v12
	v_add_u32_e32 v8, 64, v2
                                        ; implicit-def: $vgpr4
                                        ; implicit-def: $vgpr9
; %bb.6:
	s_or_saveexec_b64 s[30:31], s[2:3]
	s_load_dwordx2 s[20:21], s[0:1], 0x0
	s_load_dwordx2 s[26:27], s[0:1], 0x18
	s_load_dword s17, s[0:1], 0x88
	s_load_dwordx4 s[8:11], s[0:1], 0x58
	v_mov_b32_e32 v13, 0xff7fffff
	s_mul_i32 s12, s12, s14
	v_lshrrev_b32_e32 v11, 4, v0
	s_xor_b64 exec, exec, s[30:31]
	s_cbranch_execz .LBB262_108
; %bb.7:
	s_load_dwordx2 s[0:1], s[0:1], 0x10
	s_ashr_i32 s2, s12, 31
	v_bfe_u32 v8, v0, 1, 5
	v_lshlrev_b32_e32 v2, 4, v8
	v_mov_b32_e32 v3, 0
	s_waitcnt lgkmcnt(0)
	s_add_u32 s0, s0, s12
	s_addc_u32 s1, s1, s2
	v_lshl_add_u64 v[6:7], s[0:1], 0, v[2:3]
	v_lshlrev_b32_e32 v2, 2, v4
	v_lshlrev_b32_e32 v14, 5, v4
	v_cmp_eq_u32_e32 vcc, 0, v4
	v_lshl_add_u64 v[4:5], v[6:7], 0, v[2:3]
	s_sub_i32 s41, 1, s33
	v_lshlrev_b32_e32 v2, 2, v8
	s_lshl_b64 s[0:1], s[24:25], 2
	v_lshl_or_b32 v2, v22, 7, v2
	s_add_u32 s0, s22, s0
	v_add_u32_e32 v16, 0x50, v2
	v_and_b32_e32 v2, 60, v11
	s_addc_u32 s1, s23, s1
	s_mov_b32 s40, s13
	v_cmp_neq_f32_e64 s[2:3], s28, 0
	v_lshl_or_b32 v15, v22, 5, v8
	v_lshl_add_u64 v[6:7], s[0:1], 0, v[2:3]
	v_mov_b32_e32 v13, 0xff7fffff
	s_mov_b64 s[14:15], 0
	s_movk_i32 s42, 0x80
	s_movk_i32 s43, 0x7f
	s_mov_b32 s44, 0x8000
	s_mov_b32 s45, 0xffffff
	v_mbcnt_hi_u32_b32 v12, -1, v9
	v_mov_b32_e32 v17, 0x2000
	v_mov_b32_e32 v18, v22
	s_branch .LBB262_9
.LBB262_8:                              ;   in Loop: Header=BB262_9 Depth=1
	s_or_b64 exec, exec, s[34:35]
	v_add_u32_e32 v18, 2, v18
	v_cmp_le_i32_e64 s[0:1], s19, v18
	v_add_u32_e32 v15, 64, v15
	v_add_u32_e32 v16, 0x100, v16
	s_or_b64 s[14:15], s[0:1], s[14:15]
	v_lshl_add_u64 v[6:7], v[6:7], 0, 8
	s_andn2_b64 exec, exec, s[14:15]
	s_cbranch_execz .LBB262_107
.LBB262_9:                              ; =>This Inner Loop Header: Depth=1
	global_load_dword v2, v[6:7], off
	v_mov_b32_e32 v20, 0
	s_waitcnt vmcnt(0)
	v_mad_i64_i32 v[8:9], s[0:1], v2, s40, v[4:5]
	s_waitcnt lgkmcnt(0)
	global_load_dword v10, v[8:9], off
	global_load_dword v19, v3, s[8:9]
	s_waitcnt vmcnt(1)
	v_cmp_ne_u16_sdwa s[0:1], v10, v3 src0_sel:BYTE_0 src1_sel:DWORD
	s_and_saveexec_b64 s[34:35], s[0:1]
	s_cbranch_execz .LBB262_15
; %bb.10:                               ;   in Loop: Header=BB262_9 Depth=1
	v_cmp_ne_u16_sdwa s[0:1], v10, s42 src0_sel:BYTE_0 src1_sel:DWORD
	v_mov_b32_e32 v20, 0x8000
	s_and_saveexec_b64 s[36:37], s[0:1]
	s_cbranch_execz .LBB262_14
; %bb.11:                               ;   in Loop: Header=BB262_9 Depth=1
	v_and_b32_e32 v2, 0x7f, v10
	v_cmp_ne_u32_e64 s[0:1], s43, v2
	v_mov_b32_e32 v20, 0x7c01
	s_and_saveexec_b64 s[38:39], s[0:1]
	s_cbranch_execz .LBB262_13
; %bb.12:                               ;   in Loop: Header=BB262_9 Depth=1
	v_and_b32_e32 v23, 7, v10
	v_ffbh_u32_e32 v20, v23
	v_min_u32_e32 v25, 32, v20
	v_subrev_u32_e32 v20, 28, v25
	v_lshlrev_b64 v[20:21], v20, v[10:11]
	v_lshrrev_b32_e32 v24, 3, v2
	v_sub_u32_e32 v21, 29, v25
	v_cmp_gt_u32_e64 s[0:1], 8, v2
	v_and_b32_e32 v20, 7, v20
	s_nop 0
	v_cndmask_b32_e64 v2, v24, v21, s[0:1]
	v_lshl_add_u32 v2, v2, 10, v17
	v_lshlrev_b32_e32 v21, 8, v10
	v_and_b32_e32 v2, 0xfc00, v2
	v_cndmask_b32_e64 v20, v23, v20, s[0:1]
	v_and_or_b32 v2, v21, s44, v2
	v_lshl_or_b32 v20, v20, 7, v2
.LBB262_13:                             ;   in Loop: Header=BB262_9 Depth=1
	s_or_b64 exec, exec, s[38:39]
.LBB262_14:                             ;   in Loop: Header=BB262_9 Depth=1
	s_or_b64 exec, exec, s[36:37]
.LBB262_15:                             ;   in Loop: Header=BB262_9 Depth=1
	s_or_b64 exec, exec, s[34:35]
	v_lshrrev_b16_e32 v2, 8, v10
	v_cmp_ne_u16_e64 s[0:1], 0, v2
	v_mov_b32_e32 v21, 0
	v_mov_b32_e32 v23, 0
	s_and_saveexec_b64 s[34:35], s[0:1]
	s_cbranch_execz .LBB262_21
; %bb.16:                               ;   in Loop: Header=BB262_9 Depth=1
	v_cmp_ne_u16_e64 s[0:1], s42, v2
	v_bfrev_b32_e32 v23, 1
	s_and_saveexec_b64 s[36:37], s[0:1]
	s_cbranch_execz .LBB262_20
; %bb.17:                               ;   in Loop: Header=BB262_9 Depth=1
	v_and_b32_e32 v24, 0x7f, v2
	v_cmp_ne_u32_e64 s[0:1], s43, v24
	v_mov_b32_e32 v23, 0x7c010000
	s_and_saveexec_b64 s[38:39], s[0:1]
	s_cbranch_execz .LBB262_19
; %bb.18:                               ;   in Loop: Header=BB262_9 Depth=1
	v_and_b32_e32 v23, 7, v2
	v_ffbh_u32_e32 v26, v23
	v_min_u32_e32 v28, 32, v26
	v_subrev_u32_e32 v26, 28, v28
	v_lshlrev_b64 v[26:27], v26, v[2:3]
	v_lshrrev_b32_e32 v25, 3, v24
	v_sub_u32_e32 v27, 29, v28
	v_cmp_gt_u32_e64 s[0:1], 8, v24
	v_lshlrev_b32_e32 v2, 8, v2
	s_nop 0
	v_cndmask_b32_e64 v24, v25, v27, s[0:1]
	v_lshl_add_u32 v24, v24, 10, v17
	v_and_b32_e32 v25, 7, v26
	v_and_or_b32 v2, v2, s44, v24
	v_cndmask_b32_e64 v23, v23, v25, s[0:1]
	v_lshlrev_b32_e32 v2, 16, v2
	v_lshl_or_b32 v23, v23, 23, v2
.LBB262_19:                             ;   in Loop: Header=BB262_9 Depth=1
	s_or_b64 exec, exec, s[38:39]
.LBB262_20:                             ;   in Loop: Header=BB262_9 Depth=1
	s_or_b64 exec, exec, s[36:37]
.LBB262_21:                             ;   in Loop: Header=BB262_9 Depth=1
	s_or_b64 exec, exec, s[34:35]
	v_lshrrev_b32_e32 v2, 16, v10
	v_cmp_ne_u16_sdwa s[0:1], v2, v3 src0_sel:BYTE_0 src1_sel:DWORD
	s_and_saveexec_b64 s[34:35], s[0:1]
	s_cbranch_execz .LBB262_27
; %bb.22:                               ;   in Loop: Header=BB262_9 Depth=1
	v_cmp_ne_u16_sdwa s[0:1], v2, s42 src0_sel:BYTE_0 src1_sel:DWORD
	v_mov_b32_e32 v21, 0x8000
	s_and_saveexec_b64 s[36:37], s[0:1]
	s_cbranch_execz .LBB262_26
; %bb.23:                               ;   in Loop: Header=BB262_9 Depth=1
	v_bfe_u32 v24, v10, 16, 7
	v_cmp_ne_u32_e64 s[0:1], s43, v24
	v_mov_b32_e32 v21, 0x7c01
	s_and_saveexec_b64 s[38:39], s[0:1]
	s_cbranch_execz .LBB262_25
; %bb.24:                               ;   in Loop: Header=BB262_9 Depth=1
	v_and_b32_e32 v21, 7, v2
	v_ffbh_u32_e32 v26, v21
	v_min_u32_e32 v28, 32, v26
	v_subrev_u32_e32 v26, 28, v28
	v_lshlrev_b64 v[26:27], v26, v[2:3]
	v_lshrrev_b32_e32 v25, 3, v24
	v_sub_u32_e32 v27, 29, v28
	v_cmp_gt_u32_e64 s[0:1], 8, v24
	v_lshlrev_b32_e32 v2, 8, v2
	s_nop 0
	v_cndmask_b32_e64 v24, v25, v27, s[0:1]
	v_lshl_add_u32 v24, v24, 10, v17
	v_and_b32_e32 v25, 7, v26
	v_and_b32_e32 v24, 0xfc00, v24
	v_cndmask_b32_e64 v21, v21, v25, s[0:1]
	v_and_or_b32 v2, v2, s44, v24
	v_lshl_or_b32 v21, v21, 7, v2
.LBB262_25:                             ;   in Loop: Header=BB262_9 Depth=1
	s_or_b64 exec, exec, s[38:39]
.LBB262_26:                             ;   in Loop: Header=BB262_9 Depth=1
	s_or_b64 exec, exec, s[36:37]
.LBB262_27:                             ;   in Loop: Header=BB262_9 Depth=1
	s_or_b64 exec, exec, s[34:35]
	v_cmp_lt_u32_e64 s[0:1], s45, v10
	v_mov_b32_e32 v25, 0
	v_mov_b32_e32 v24, 0
	s_and_saveexec_b64 s[34:35], s[0:1]
	s_cbranch_execz .LBB262_33
; %bb.28:                               ;   in Loop: Header=BB262_9 Depth=1
	v_lshrrev_b32_e32 v2, 24, v10
	v_cmp_ne_u32_e64 s[0:1], s42, v2
	v_bfrev_b32_e32 v24, 1
	s_and_saveexec_b64 s[36:37], s[0:1]
	s_cbranch_execz .LBB262_32
; %bb.29:                               ;   in Loop: Header=BB262_9 Depth=1
	v_and_b32_e32 v10, 0x7f, v2
	v_cmp_ne_u32_e64 s[0:1], s43, v10
	v_mov_b32_e32 v24, 0x7c010000
	s_and_saveexec_b64 s[38:39], s[0:1]
	s_cbranch_execz .LBB262_31
; %bb.30:                               ;   in Loop: Header=BB262_9 Depth=1
	v_and_b32_e32 v24, 7, v2
	v_ffbh_u32_e32 v26, v24
	v_min_u32_e32 v29, 32, v26
	v_subrev_u32_e32 v26, 28, v29
	v_lshlrev_b64 v[26:27], v26, v[2:3]
	v_lshrrev_b32_e32 v28, 3, v10
	v_sub_u32_e32 v27, 29, v29
	v_cmp_gt_u32_e64 s[0:1], 8, v10
	v_lshlrev_b32_e32 v2, 8, v2
	v_and_b32_e32 v26, 7, v26
	v_cndmask_b32_e64 v10, v28, v27, s[0:1]
	v_lshl_add_u32 v10, v10, 10, v17
	v_and_or_b32 v2, v2, s44, v10
	v_cndmask_b32_e64 v24, v24, v26, s[0:1]
	v_lshlrev_b32_e32 v2, 16, v2
	v_lshl_or_b32 v24, v24, 23, v2
.LBB262_31:                             ;   in Loop: Header=BB262_9 Depth=1
	s_or_b64 exec, exec, s[38:39]
.LBB262_32:                             ;   in Loop: Header=BB262_9 Depth=1
	s_or_b64 exec, exec, s[36:37]
.LBB262_33:                             ;   in Loop: Header=BB262_9 Depth=1
	s_or_b64 exec, exec, s[34:35]
	global_load_dword v10, v[8:9], off offset:8
	s_waitcnt vmcnt(0)
	v_cmp_ne_u16_sdwa s[0:1], v10, v3 src0_sel:BYTE_0 src1_sel:DWORD
	s_and_saveexec_b64 s[34:35], s[0:1]
	s_cbranch_execz .LBB262_39
; %bb.34:                               ;   in Loop: Header=BB262_9 Depth=1
	v_cmp_ne_u16_sdwa s[0:1], v10, s42 src0_sel:BYTE_0 src1_sel:DWORD
	v_mov_b32_e32 v25, 0x8000
	s_and_saveexec_b64 s[36:37], s[0:1]
	s_cbranch_execz .LBB262_38
; %bb.35:                               ;   in Loop: Header=BB262_9 Depth=1
	v_and_b32_e32 v2, 0x7f, v10
	v_cmp_ne_u32_e64 s[0:1], s43, v2
	v_mov_b32_e32 v25, 0x7c01
	s_and_saveexec_b64 s[38:39], s[0:1]
	s_cbranch_execz .LBB262_37
; %bb.36:                               ;   in Loop: Header=BB262_9 Depth=1
	v_and_b32_e32 v25, 7, v10
	v_ffbh_u32_e32 v26, v25
	v_min_u32_e32 v29, 32, v26
	v_subrev_u32_e32 v26, 28, v29
	v_lshlrev_b64 v[26:27], v26, v[10:11]
	v_lshrrev_b32_e32 v28, 3, v2
	v_sub_u32_e32 v27, 29, v29
	v_cmp_gt_u32_e64 s[0:1], 8, v2
	v_and_b32_e32 v26, 7, v26
	s_nop 0
	v_cndmask_b32_e64 v2, v28, v27, s[0:1]
	v_lshl_add_u32 v2, v2, 10, v17
	v_lshlrev_b32_e32 v27, 8, v10
	v_and_b32_e32 v2, 0xfc00, v2
	v_cndmask_b32_e64 v25, v25, v26, s[0:1]
	v_and_or_b32 v2, v27, s44, v2
	v_lshl_or_b32 v25, v25, 7, v2
.LBB262_37:                             ;   in Loop: Header=BB262_9 Depth=1
	s_or_b64 exec, exec, s[38:39]
.LBB262_38:                             ;   in Loop: Header=BB262_9 Depth=1
	s_or_b64 exec, exec, s[36:37]
.LBB262_39:                             ;   in Loop: Header=BB262_9 Depth=1
	s_or_b64 exec, exec, s[34:35]
	v_lshrrev_b16_e32 v2, 8, v10
	v_cmp_ne_u16_e64 s[0:1], 0, v2
	v_mov_b32_e32 v26, 0
	v_mov_b32_e32 v27, 0
	s_and_saveexec_b64 s[34:35], s[0:1]
	s_cbranch_execz .LBB262_45
; %bb.40:                               ;   in Loop: Header=BB262_9 Depth=1
	v_cmp_ne_u16_e64 s[0:1], s42, v2
	v_bfrev_b32_e32 v27, 1
	s_and_saveexec_b64 s[36:37], s[0:1]
	s_cbranch_execz .LBB262_44
; %bb.41:                               ;   in Loop: Header=BB262_9 Depth=1
	v_and_b32_e32 v28, 0x7f, v2
	v_cmp_ne_u32_e64 s[0:1], s43, v28
	v_mov_b32_e32 v27, 0x7c010000
	s_and_saveexec_b64 s[38:39], s[0:1]
	s_cbranch_execz .LBB262_43
; %bb.42:                               ;   in Loop: Header=BB262_9 Depth=1
	v_and_b32_e32 v27, 7, v2
	v_ffbh_u32_e32 v30, v27
	v_min_u32_e32 v32, 32, v30
	v_subrev_u32_e32 v30, 28, v32
	v_lshlrev_b64 v[30:31], v30, v[2:3]
	v_lshrrev_b32_e32 v29, 3, v28
	v_sub_u32_e32 v31, 29, v32
	v_cmp_gt_u32_e64 s[0:1], 8, v28
	v_lshlrev_b32_e32 v2, 8, v2
	s_nop 0
	v_cndmask_b32_e64 v28, v29, v31, s[0:1]
	v_lshl_add_u32 v28, v28, 10, v17
	v_and_b32_e32 v29, 7, v30
	v_and_or_b32 v2, v2, s44, v28
	v_cndmask_b32_e64 v27, v27, v29, s[0:1]
	v_lshlrev_b32_e32 v2, 16, v2
	v_lshl_or_b32 v27, v27, 23, v2
.LBB262_43:                             ;   in Loop: Header=BB262_9 Depth=1
	s_or_b64 exec, exec, s[38:39]
.LBB262_44:                             ;   in Loop: Header=BB262_9 Depth=1
	s_or_b64 exec, exec, s[36:37]
.LBB262_45:                             ;   in Loop: Header=BB262_9 Depth=1
	s_or_b64 exec, exec, s[34:35]
	v_lshrrev_b32_e32 v2, 16, v10
	v_cmp_ne_u16_sdwa s[0:1], v2, v3 src0_sel:BYTE_0 src1_sel:DWORD
	s_and_saveexec_b64 s[34:35], s[0:1]
	s_cbranch_execz .LBB262_51
; %bb.46:                               ;   in Loop: Header=BB262_9 Depth=1
	v_cmp_ne_u16_sdwa s[0:1], v2, s42 src0_sel:BYTE_0 src1_sel:DWORD
	v_mov_b32_e32 v26, 0x8000
	s_and_saveexec_b64 s[36:37], s[0:1]
	s_cbranch_execz .LBB262_50
; %bb.47:                               ;   in Loop: Header=BB262_9 Depth=1
	v_bfe_u32 v28, v10, 16, 7
	v_cmp_ne_u32_e64 s[0:1], s43, v28
	v_mov_b32_e32 v26, 0x7c01
	s_and_saveexec_b64 s[38:39], s[0:1]
	s_cbranch_execz .LBB262_49
; %bb.48:                               ;   in Loop: Header=BB262_9 Depth=1
	v_and_b32_e32 v26, 7, v2
	v_ffbh_u32_e32 v30, v26
	v_min_u32_e32 v32, 32, v30
	v_subrev_u32_e32 v30, 28, v32
	v_lshlrev_b64 v[30:31], v30, v[2:3]
	v_lshrrev_b32_e32 v29, 3, v28
	v_sub_u32_e32 v31, 29, v32
	v_cmp_gt_u32_e64 s[0:1], 8, v28
	v_lshlrev_b32_e32 v2, 8, v2
	s_nop 0
	v_cndmask_b32_e64 v28, v29, v31, s[0:1]
	v_lshl_add_u32 v28, v28, 10, v17
	v_and_b32_e32 v29, 7, v30
	v_and_b32_e32 v28, 0xfc00, v28
	v_cndmask_b32_e64 v26, v26, v29, s[0:1]
	v_and_or_b32 v2, v2, s44, v28
	v_lshl_or_b32 v26, v26, 7, v2
.LBB262_49:                             ;   in Loop: Header=BB262_9 Depth=1
	s_or_b64 exec, exec, s[38:39]
.LBB262_50:                             ;   in Loop: Header=BB262_9 Depth=1
	s_or_b64 exec, exec, s[36:37]
.LBB262_51:                             ;   in Loop: Header=BB262_9 Depth=1
	s_or_b64 exec, exec, s[34:35]
	v_cmp_lt_u32_e64 s[0:1], s45, v10
	v_mov_b32_e32 v29, 0
	v_mov_b32_e32 v28, 0
	s_and_saveexec_b64 s[34:35], s[0:1]
	s_cbranch_execz .LBB262_57
; %bb.52:                               ;   in Loop: Header=BB262_9 Depth=1
	v_lshrrev_b32_e32 v2, 24, v10
	v_cmp_ne_u32_e64 s[0:1], s42, v2
	v_bfrev_b32_e32 v28, 1
	s_and_saveexec_b64 s[36:37], s[0:1]
	s_cbranch_execz .LBB262_56
; %bb.53:                               ;   in Loop: Header=BB262_9 Depth=1
	v_and_b32_e32 v10, 0x7f, v2
	v_cmp_ne_u32_e64 s[0:1], s43, v10
	v_mov_b32_e32 v28, 0x7c010000
	s_and_saveexec_b64 s[38:39], s[0:1]
	s_cbranch_execz .LBB262_55
; %bb.54:                               ;   in Loop: Header=BB262_9 Depth=1
	v_and_b32_e32 v28, 7, v2
	v_ffbh_u32_e32 v30, v28
	v_min_u32_e32 v33, 32, v30
	v_subrev_u32_e32 v30, 28, v33
	v_lshlrev_b64 v[30:31], v30, v[2:3]
	v_lshrrev_b32_e32 v32, 3, v10
	v_sub_u32_e32 v31, 29, v33
	v_cmp_gt_u32_e64 s[0:1], 8, v10
	v_lshlrev_b32_e32 v2, 8, v2
	v_and_b32_e32 v30, 7, v30
	v_cndmask_b32_e64 v10, v32, v31, s[0:1]
	v_lshl_add_u32 v10, v10, 10, v17
	v_and_or_b32 v2, v2, s44, v10
	v_cndmask_b32_e64 v28, v28, v30, s[0:1]
	v_lshlrev_b32_e32 v2, 16, v2
	v_lshl_or_b32 v28, v28, 23, v2
.LBB262_55:                             ;   in Loop: Header=BB262_9 Depth=1
	s_or_b64 exec, exec, s[38:39]
.LBB262_56:                             ;   in Loop: Header=BB262_9 Depth=1
	s_or_b64 exec, exec, s[36:37]
.LBB262_57:                             ;   in Loop: Header=BB262_9 Depth=1
	s_or_b64 exec, exec, s[34:35]
	global_load_dword v10, v[8:9], off offset:512
	s_waitcnt vmcnt(0)
	v_cmp_ne_u16_sdwa s[0:1], v10, v3 src0_sel:BYTE_0 src1_sel:DWORD
	s_and_saveexec_b64 s[34:35], s[0:1]
	s_cbranch_execz .LBB262_63
; %bb.58:                               ;   in Loop: Header=BB262_9 Depth=1
	v_cmp_ne_u16_sdwa s[0:1], v10, s42 src0_sel:BYTE_0 src1_sel:DWORD
	v_mov_b32_e32 v29, 0x8000
	s_and_saveexec_b64 s[36:37], s[0:1]
	s_cbranch_execz .LBB262_62
; %bb.59:                               ;   in Loop: Header=BB262_9 Depth=1
	v_and_b32_e32 v2, 0x7f, v10
	v_cmp_ne_u32_e64 s[0:1], s43, v2
	v_mov_b32_e32 v29, 0x7c01
	s_and_saveexec_b64 s[38:39], s[0:1]
	s_cbranch_execz .LBB262_61
; %bb.60:                               ;   in Loop: Header=BB262_9 Depth=1
	v_and_b32_e32 v29, 7, v10
	v_ffbh_u32_e32 v30, v29
	v_min_u32_e32 v33, 32, v30
	v_subrev_u32_e32 v30, 28, v33
	v_lshlrev_b64 v[30:31], v30, v[10:11]
	v_lshrrev_b32_e32 v32, 3, v2
	v_sub_u32_e32 v31, 29, v33
	v_cmp_gt_u32_e64 s[0:1], 8, v2
	v_and_b32_e32 v30, 7, v30
	s_nop 0
	v_cndmask_b32_e64 v2, v32, v31, s[0:1]
	v_lshl_add_u32 v2, v2, 10, v17
	v_lshlrev_b32_e32 v31, 8, v10
	v_and_b32_e32 v2, 0xfc00, v2
	v_cndmask_b32_e64 v29, v29, v30, s[0:1]
	v_and_or_b32 v2, v31, s44, v2
	v_lshl_or_b32 v29, v29, 7, v2
.LBB262_61:                             ;   in Loop: Header=BB262_9 Depth=1
	s_or_b64 exec, exec, s[38:39]
.LBB262_62:                             ;   in Loop: Header=BB262_9 Depth=1
	s_or_b64 exec, exec, s[36:37]
.LBB262_63:                             ;   in Loop: Header=BB262_9 Depth=1
	s_or_b64 exec, exec, s[34:35]
	v_lshrrev_b16_e32 v2, 8, v10
	v_cmp_ne_u16_e64 s[0:1], 0, v2
	v_mov_b32_e32 v30, 0
	v_mov_b32_e32 v31, 0
	s_and_saveexec_b64 s[34:35], s[0:1]
	s_cbranch_execz .LBB262_69
; %bb.64:                               ;   in Loop: Header=BB262_9 Depth=1
	v_cmp_ne_u16_e64 s[0:1], s42, v2
	v_bfrev_b32_e32 v31, 1
	s_and_saveexec_b64 s[36:37], s[0:1]
	s_cbranch_execz .LBB262_68
; %bb.65:                               ;   in Loop: Header=BB262_9 Depth=1
	v_and_b32_e32 v32, 0x7f, v2
	v_cmp_ne_u32_e64 s[0:1], s43, v32
	v_mov_b32_e32 v31, 0x7c010000
	s_and_saveexec_b64 s[38:39], s[0:1]
	s_cbranch_execz .LBB262_67
; %bb.66:                               ;   in Loop: Header=BB262_9 Depth=1
	v_and_b32_e32 v31, 7, v2
	v_ffbh_u32_e32 v34, v31
	v_min_u32_e32 v36, 32, v34
	v_subrev_u32_e32 v34, 28, v36
	v_lshlrev_b64 v[34:35], v34, v[2:3]
	v_lshrrev_b32_e32 v33, 3, v32
	v_sub_u32_e32 v35, 29, v36
	v_cmp_gt_u32_e64 s[0:1], 8, v32
	v_lshlrev_b32_e32 v2, 8, v2
	s_nop 0
	v_cndmask_b32_e64 v32, v33, v35, s[0:1]
	v_lshl_add_u32 v32, v32, 10, v17
	v_and_b32_e32 v33, 7, v34
	v_and_or_b32 v2, v2, s44, v32
	v_cndmask_b32_e64 v31, v31, v33, s[0:1]
	v_lshlrev_b32_e32 v2, 16, v2
	v_lshl_or_b32 v31, v31, 23, v2
.LBB262_67:                             ;   in Loop: Header=BB262_9 Depth=1
	s_or_b64 exec, exec, s[38:39]
.LBB262_68:                             ;   in Loop: Header=BB262_9 Depth=1
	s_or_b64 exec, exec, s[36:37]
.LBB262_69:                             ;   in Loop: Header=BB262_9 Depth=1
	s_or_b64 exec, exec, s[34:35]
	v_lshrrev_b32_e32 v2, 16, v10
	v_cmp_ne_u16_sdwa s[0:1], v2, v3 src0_sel:BYTE_0 src1_sel:DWORD
	s_and_saveexec_b64 s[34:35], s[0:1]
	s_cbranch_execz .LBB262_75
; %bb.70:                               ;   in Loop: Header=BB262_9 Depth=1
	v_cmp_ne_u16_sdwa s[0:1], v2, s42 src0_sel:BYTE_0 src1_sel:DWORD
	v_mov_b32_e32 v30, 0x8000
	s_and_saveexec_b64 s[36:37], s[0:1]
	s_cbranch_execz .LBB262_74
; %bb.71:                               ;   in Loop: Header=BB262_9 Depth=1
	v_bfe_u32 v32, v10, 16, 7
	v_cmp_ne_u32_e64 s[0:1], s43, v32
	v_mov_b32_e32 v30, 0x7c01
	s_and_saveexec_b64 s[38:39], s[0:1]
	s_cbranch_execz .LBB262_73
; %bb.72:                               ;   in Loop: Header=BB262_9 Depth=1
	v_and_b32_e32 v30, 7, v2
	v_ffbh_u32_e32 v34, v30
	v_min_u32_e32 v36, 32, v34
	v_subrev_u32_e32 v34, 28, v36
	v_lshlrev_b64 v[34:35], v34, v[2:3]
	v_lshrrev_b32_e32 v33, 3, v32
	v_sub_u32_e32 v35, 29, v36
	v_cmp_gt_u32_e64 s[0:1], 8, v32
	v_lshlrev_b32_e32 v2, 8, v2
	s_nop 0
	v_cndmask_b32_e64 v32, v33, v35, s[0:1]
	v_lshl_add_u32 v32, v32, 10, v17
	v_and_b32_e32 v33, 7, v34
	v_and_b32_e32 v32, 0xfc00, v32
	v_cndmask_b32_e64 v30, v30, v33, s[0:1]
	v_and_or_b32 v2, v2, s44, v32
	v_lshl_or_b32 v30, v30, 7, v2
.LBB262_73:                             ;   in Loop: Header=BB262_9 Depth=1
	s_or_b64 exec, exec, s[38:39]
.LBB262_74:                             ;   in Loop: Header=BB262_9 Depth=1
	s_or_b64 exec, exec, s[36:37]
.LBB262_75:                             ;   in Loop: Header=BB262_9 Depth=1
	s_or_b64 exec, exec, s[34:35]
	v_cmp_lt_u32_e64 s[0:1], s45, v10
	v_mov_b32_e32 v32, 0
	v_mov_b32_e32 v33, 0
	s_and_saveexec_b64 s[34:35], s[0:1]
	s_cbranch_execz .LBB262_81
; %bb.76:                               ;   in Loop: Header=BB262_9 Depth=1
	v_lshrrev_b32_e32 v2, 24, v10
	v_cmp_ne_u32_e64 s[0:1], s42, v2
	v_bfrev_b32_e32 v33, 1
	s_and_saveexec_b64 s[36:37], s[0:1]
	s_cbranch_execz .LBB262_80
; %bb.77:                               ;   in Loop: Header=BB262_9 Depth=1
	v_and_b32_e32 v10, 0x7f, v2
	v_cmp_ne_u32_e64 s[0:1], s43, v10
	v_mov_b32_e32 v33, 0x7c010000
	s_and_saveexec_b64 s[38:39], s[0:1]
	s_cbranch_execz .LBB262_79
; %bb.78:                               ;   in Loop: Header=BB262_9 Depth=1
	v_and_b32_e32 v33, 7, v2
	v_ffbh_u32_e32 v34, v33
	v_min_u32_e32 v37, 32, v34
	v_subrev_u32_e32 v34, 28, v37
	v_lshlrev_b64 v[34:35], v34, v[2:3]
	v_lshrrev_b32_e32 v36, 3, v10
	v_sub_u32_e32 v35, 29, v37
	v_cmp_gt_u32_e64 s[0:1], 8, v10
	v_lshlrev_b32_e32 v2, 8, v2
	v_and_b32_e32 v34, 7, v34
	v_cndmask_b32_e64 v10, v36, v35, s[0:1]
	v_lshl_add_u32 v10, v10, 10, v17
	v_and_or_b32 v2, v2, s44, v10
	v_cndmask_b32_e64 v33, v33, v34, s[0:1]
	v_lshlrev_b32_e32 v2, 16, v2
	v_lshl_or_b32 v33, v33, 23, v2
.LBB262_79:                             ;   in Loop: Header=BB262_9 Depth=1
	s_or_b64 exec, exec, s[38:39]
.LBB262_80:                             ;   in Loop: Header=BB262_9 Depth=1
	s_or_b64 exec, exec, s[36:37]
.LBB262_81:                             ;   in Loop: Header=BB262_9 Depth=1
	s_or_b64 exec, exec, s[34:35]
	global_load_dword v8, v[8:9], off offset:520
	s_waitcnt vmcnt(0)
	v_cmp_ne_u16_sdwa s[0:1], v8, v3 src0_sel:BYTE_0 src1_sel:DWORD
	s_and_saveexec_b64 s[34:35], s[0:1]
	s_cbranch_execz .LBB262_87
; %bb.82:                               ;   in Loop: Header=BB262_9 Depth=1
	v_cmp_ne_u16_sdwa s[0:1], v8, s42 src0_sel:BYTE_0 src1_sel:DWORD
	v_mov_b32_e32 v32, 0x8000
	s_and_saveexec_b64 s[36:37], s[0:1]
	s_cbranch_execz .LBB262_86
; %bb.83:                               ;   in Loop: Header=BB262_9 Depth=1
	v_and_b32_e32 v2, 0x7f, v8
	v_cmp_ne_u32_e64 s[0:1], s43, v2
	v_mov_b32_e32 v32, 0x7c01
	s_and_saveexec_b64 s[38:39], s[0:1]
	s_cbranch_execz .LBB262_85
; %bb.84:                               ;   in Loop: Header=BB262_9 Depth=1
	v_and_b32_e32 v9, 7, v8
	v_ffbh_u32_e32 v32, v9
	v_min_u32_e32 v32, 32, v32
	v_lshrrev_b32_e32 v10, 3, v2
	v_subrev_u32_e32 v34, 28, v32
	v_sub_u32_e32 v32, 29, v32
	v_cmp_gt_u32_e64 s[0:1], 8, v2
	v_lshlrev_b64 v[34:35], v34, v[8:9]
	s_nop 0
	v_cndmask_b32_e64 v2, v10, v32, s[0:1]
	v_lshl_add_u32 v2, v2, 10, v17
	v_lshlrev_b32_e32 v10, 8, v8
	v_and_b32_e32 v32, 7, v34
	v_and_b32_e32 v2, 0xfc00, v2
	v_cndmask_b32_e64 v9, v9, v32, s[0:1]
	v_and_or_b32 v2, v10, s44, v2
	v_lshl_or_b32 v32, v9, 7, v2
.LBB262_85:                             ;   in Loop: Header=BB262_9 Depth=1
	s_or_b64 exec, exec, s[38:39]
.LBB262_86:                             ;   in Loop: Header=BB262_9 Depth=1
	s_or_b64 exec, exec, s[36:37]
.LBB262_87:                             ;   in Loop: Header=BB262_9 Depth=1
	s_or_b64 exec, exec, s[34:35]
	v_lshrrev_b16_e32 v2, 8, v8
	v_cmp_ne_u16_e64 s[0:1], 0, v2
	v_mov_b32_e32 v9, 0
	v_mov_b32_e32 v10, 0
	s_and_saveexec_b64 s[34:35], s[0:1]
	s_cbranch_execz .LBB262_93
; %bb.88:                               ;   in Loop: Header=BB262_9 Depth=1
	v_cmp_ne_u16_e64 s[0:1], s42, v2
	v_bfrev_b32_e32 v10, 1
	s_and_saveexec_b64 s[36:37], s[0:1]
	s_cbranch_execz .LBB262_92
; %bb.89:                               ;   in Loop: Header=BB262_9 Depth=1
	v_and_b32_e32 v34, 0x7f, v2
	v_cmp_ne_u32_e64 s[0:1], s43, v34
	v_mov_b32_e32 v10, 0x7c010000
	s_and_saveexec_b64 s[38:39], s[0:1]
	s_cbranch_execz .LBB262_91
; %bb.90:                               ;   in Loop: Header=BB262_9 Depth=1
	v_and_b32_e32 v10, 7, v2
	v_ffbh_u32_e32 v36, v10
	v_min_u32_e32 v38, 32, v36
	v_subrev_u32_e32 v36, 28, v38
	v_lshlrev_b64 v[36:37], v36, v[2:3]
	v_lshrrev_b32_e32 v35, 3, v34
	v_sub_u32_e32 v37, 29, v38
	v_cmp_gt_u32_e64 s[0:1], 8, v34
	v_lshlrev_b32_e32 v2, 8, v2
	s_nop 0
	v_cndmask_b32_e64 v34, v35, v37, s[0:1]
	v_lshl_add_u32 v34, v34, 10, v17
	v_and_b32_e32 v35, 7, v36
	v_and_or_b32 v2, v2, s44, v34
	v_cndmask_b32_e64 v10, v10, v35, s[0:1]
	v_lshlrev_b32_e32 v2, 16, v2
	v_lshl_or_b32 v10, v10, 23, v2
.LBB262_91:                             ;   in Loop: Header=BB262_9 Depth=1
	s_or_b64 exec, exec, s[38:39]
.LBB262_92:                             ;   in Loop: Header=BB262_9 Depth=1
	s_or_b64 exec, exec, s[36:37]
.LBB262_93:                             ;   in Loop: Header=BB262_9 Depth=1
	s_or_b64 exec, exec, s[34:35]
	v_lshrrev_b32_e32 v2, 16, v8
	v_cmp_ne_u16_sdwa s[0:1], v2, v3 src0_sel:BYTE_0 src1_sel:DWORD
	s_and_saveexec_b64 s[34:35], s[0:1]
	s_cbranch_execz .LBB262_99
; %bb.94:                               ;   in Loop: Header=BB262_9 Depth=1
	v_cmp_ne_u16_sdwa s[0:1], v2, s42 src0_sel:BYTE_0 src1_sel:DWORD
	v_mov_b32_e32 v9, 0x8000
	s_and_saveexec_b64 s[36:37], s[0:1]
	s_cbranch_execz .LBB262_98
; %bb.95:                               ;   in Loop: Header=BB262_9 Depth=1
	v_bfe_u32 v34, v8, 16, 7
	v_cmp_ne_u32_e64 s[0:1], s43, v34
	v_mov_b32_e32 v9, 0x7c01
	s_and_saveexec_b64 s[38:39], s[0:1]
	s_cbranch_execz .LBB262_97
; %bb.96:                               ;   in Loop: Header=BB262_9 Depth=1
	v_and_b32_e32 v9, 7, v2
	v_ffbh_u32_e32 v36, v9
	v_min_u32_e32 v38, 32, v36
	v_subrev_u32_e32 v36, 28, v38
	v_lshlrev_b64 v[36:37], v36, v[2:3]
	v_lshrrev_b32_e32 v35, 3, v34
	v_sub_u32_e32 v37, 29, v38
	v_cmp_gt_u32_e64 s[0:1], 8, v34
	v_lshlrev_b32_e32 v2, 8, v2
	s_nop 0
	v_cndmask_b32_e64 v34, v35, v37, s[0:1]
	v_lshl_add_u32 v34, v34, 10, v17
	v_and_b32_e32 v35, 7, v36
	v_and_b32_e32 v34, 0xfc00, v34
	v_cndmask_b32_e64 v9, v9, v35, s[0:1]
	v_and_or_b32 v2, v2, s44, v34
	v_lshl_or_b32 v9, v9, 7, v2
.LBB262_97:                             ;   in Loop: Header=BB262_9 Depth=1
	s_or_b64 exec, exec, s[38:39]
.LBB262_98:                             ;   in Loop: Header=BB262_9 Depth=1
	s_or_b64 exec, exec, s[36:37]
.LBB262_99:                             ;   in Loop: Header=BB262_9 Depth=1
	s_or_b64 exec, exec, s[34:35]
	v_cmp_lt_u32_e64 s[0:1], s45, v8
	v_mov_b32_e32 v34, 0
	s_and_saveexec_b64 s[34:35], s[0:1]
	s_cbranch_execz .LBB262_105
; %bb.100:                              ;   in Loop: Header=BB262_9 Depth=1
	v_lshrrev_b32_e32 v2, 24, v8
	v_cmp_ne_u32_e64 s[0:1], s42, v2
	v_bfrev_b32_e32 v34, 1
	s_and_saveexec_b64 s[36:37], s[0:1]
	s_cbranch_execz .LBB262_104
; %bb.101:                              ;   in Loop: Header=BB262_9 Depth=1
	v_and_b32_e32 v8, 0x7f, v2
	v_cmp_ne_u32_e64 s[0:1], s43, v8
	v_mov_b32_e32 v34, 0x7c010000
	s_and_saveexec_b64 s[38:39], s[0:1]
	s_cbranch_execz .LBB262_103
; %bb.102:                              ;   in Loop: Header=BB262_9 Depth=1
	v_and_b32_e32 v36, 7, v2
	v_ffbh_u32_e32 v34, v36
	v_min_u32_e32 v38, 32, v34
	v_subrev_u32_e32 v34, 28, v38
	v_lshlrev_b64 v[34:35], v34, v[2:3]
	v_lshrrev_b32_e32 v37, 3, v8
	v_sub_u32_e32 v35, 29, v38
	v_cmp_gt_u32_e64 s[0:1], 8, v8
	v_lshlrev_b32_e32 v2, 8, v2
	v_and_b32_e32 v34, 7, v34
	v_cndmask_b32_e64 v8, v37, v35, s[0:1]
	v_lshl_add_u32 v8, v8, 10, v17
	v_and_or_b32 v2, v2, s44, v8
	v_cndmask_b32_e64 v34, v36, v34, s[0:1]
	v_lshlrev_b32_e32 v2, 16, v2
	v_lshl_or_b32 v34, v34, 23, v2
.LBB262_103:                            ;   in Loop: Header=BB262_9 Depth=1
	s_or_b64 exec, exec, s[38:39]
.LBB262_104:                            ;   in Loop: Header=BB262_9 Depth=1
	s_or_b64 exec, exec, s[36:37]
.LBB262_105:                            ;   in Loop: Header=BB262_9 Depth=1
	s_or_b64 exec, exec, s[34:35]
	v_or_b32_e32 v8, v33, v30
	v_or_b32_e32 v20, v23, v20
	;; [unrolled: 1-line block ×3, first 2 shown]
	v_fma_mixlo_f16 v29, v19, v31, 0 op_sel:[0,1,0] op_sel_hi:[0,1,0]
	v_fma_mixlo_f16 v30, v19, v8, 0 op_sel_hi:[0,1,0]
	v_fma_mixlo_f16 v31, v19, v33, 0 op_sel:[0,1,0] op_sel_hi:[0,1,0]
	v_or_b32_e32 v8, v27, v25
	v_fma_mixlo_f16 v25, v19, v27, 0 op_sel:[0,1,0] op_sel_hi:[0,1,0]
	v_or_b32_e32 v26, v28, v26
	v_fma_mixlo_f16 v27, v19, v28, 0 op_sel:[0,1,0] op_sel_hi:[0,1,0]
	v_fma_mixlo_f16 v28, v19, v20, 0 op_sel_hi:[0,1,0]
	v_or_b32_e32 v33, v24, v21
	ds_read_b64 v[20:21], v14
	v_fma_mixlo_f16 v23, v19, v23, 0 op_sel:[0,1,0] op_sel_hi:[0,1,0]
	v_fma_mixlo_f16 v33, v19, v33, 0 op_sel_hi:[0,1,0]
	v_fma_mixlo_f16 v24, v19, v24, 0 op_sel:[0,1,0] op_sel_hi:[0,1,0]
	v_fma_mixlo_f16 v8, v19, v8, 0 op_sel_hi:[0,1,0]
	s_waitcnt lgkmcnt(0)
	v_lshrrev_b32_e32 v36, 16, v20
	v_and_b32_e32 v20, 0xffff, v20
	;;#ASMSTART
	v_cvt_f32_f16 v35, v20;
	;;#ASMEND
	v_and_b32_e32 v20, 0xffff, v28
	;;#ASMSTART
	v_cvt_f32_f16 v36, v36;
	;;#ASMEND
	;;#ASMSTART
	v_cvt_f32_f16 v28, v20;
	;;#ASMEND
	v_and_b32_e32 v20, 0xffff, v23
	;;#ASMSTART
	v_cvt_f32_f16 v23, v20;
	;;#ASMEND
	v_lshrrev_b32_e32 v20, 16, v21
	v_and_b32_e32 v21, 0xffff, v21
	;;#ASMSTART
	v_cvt_f32_f16 v37, v21;
	;;#ASMEND
	;;#ASMSTART
	v_cvt_f32_f16 v38, v20;
	;;#ASMEND
	v_and_b32_e32 v20, 0xffff, v33
	;;#ASMSTART
	v_cvt_f32_f16 v33, v20;
	;;#ASMEND
	v_and_b32_e32 v20, 0xffff, v24
	;;#ASMSTART
	v_cvt_f32_f16 v24, v20;
	;;#ASMEND
	ds_read_b64 v[20:21], v14 offset:8
	v_or_b32_e32 v9, v34, v9
	v_or_b32_e32 v32, v10, v32
	v_fma_mixlo_f16 v39, v19, v9, 0 op_sel_hi:[0,1,0]
	v_and_b32_e32 v8, 0xffff, v8
	s_waitcnt lgkmcnt(0)
	v_and_b32_e32 v9, 0xffff, v20
	v_fma_mixlo_f16 v2, v19, v2, 0 op_sel_hi:[0,1,0]
	v_fma_mixlo_f16 v26, v19, v26, 0 op_sel_hi:[0,1,0]
	v_fma_mixlo_f16 v10, v19, v10, 0 op_sel:[0,1,0] op_sel_hi:[0,1,0]
	v_fma_mixlo_f16 v32, v19, v32, 0 op_sel_hi:[0,1,0]
	v_fma_mixlo_f16 v19, v19, v34, 0 op_sel:[0,1,0] op_sel_hi:[0,1,0]
	v_lshrrev_b32_e32 v34, 16, v20
	;;#ASMSTART
	v_cvt_f32_f16 v9, v9;
	;;#ASMEND
	;;#ASMSTART
	v_cvt_f32_f16 v20, v34;
	;;#ASMEND
	;; [unrolled: 3-line block ×3, first 2 shown]
	v_and_b32_e32 v25, 0xffff, v25
	;;#ASMSTART
	v_cvt_f32_f16 v25, v25;
	;;#ASMEND
	v_mul_f32_e32 v34, v9, v8
	v_mul_f32_e32 v20, v20, v25
	v_lshrrev_b32_e32 v8, 16, v21
	v_fmac_f32_e32 v20, v36, v23
	v_and_b32_e32 v9, 0xffff, v21
	;;#ASMSTART
	v_cvt_f32_f16 v21, v9;
	;;#ASMEND
	;;#ASMSTART
	v_cvt_f32_f16 v23, v8;
	;;#ASMEND
	v_and_b32_e32 v8, 0xffff, v26
	;;#ASMSTART
	v_cvt_f32_f16 v25, v8;
	;;#ASMEND
	v_and_b32_e32 v8, 0xffff, v27
	;;#ASMSTART
	v_cvt_f32_f16 v26, v8;
	;;#ASMEND
	ds_read_b64 v[8:9], v14 offset:16
	v_mul_f32_e32 v21, v21, v25
	v_mul_f32_e32 v23, v23, v26
	v_fmac_f32_e32 v23, v38, v24
	v_and_b32_e32 v2, 0xffff, v2
	s_waitcnt lgkmcnt(0)
	v_lshrrev_b32_e32 v25, 16, v8
	v_and_b32_e32 v8, 0xffff, v8
	;;#ASMSTART
	v_cvt_f32_f16 v24, v8;
	;;#ASMEND
	v_and_b32_e32 v8, 0xffff, v29
	;;#ASMSTART
	v_cvt_f32_f16 v25, v25;
	;;#ASMEND
	;;#ASMSTART
	v_cvt_f32_f16 v2, v2;
	;;#ASMEND
	;; [unrolled: 3-line block ×3, first 2 shown]
	v_lshrrev_b32_e32 v8, 16, v9
	v_fmac_f32_e32 v34, v35, v28
	v_and_b32_e32 v9, 0xffff, v9
	;;#ASMSTART
	v_cvt_f32_f16 v27, v9;
	;;#ASMEND
	;;#ASMSTART
	v_cvt_f32_f16 v28, v8;
	;;#ASMEND
	v_and_b32_e32 v8, 0xffff, v30
	;;#ASMSTART
	v_cvt_f32_f16 v29, v8;
	;;#ASMEND
	v_and_b32_e32 v8, 0xffff, v31
	;;#ASMSTART
	v_cvt_f32_f16 v30, v8;
	;;#ASMEND
	ds_read_b64 v[8:9], v14 offset:24
	v_fmac_f32_e32 v34, v24, v2
	v_fmac_f32_e32 v21, v37, v33
	;; [unrolled: 1-line block ×3, first 2 shown]
	v_and_b32_e32 v10, 0xffff, v10
	s_waitcnt lgkmcnt(0)
	v_lshrrev_b32_e32 v24, 16, v8
	v_and_b32_e32 v2, 0xffff, v8
	;;#ASMSTART
	v_cvt_f32_f16 v2, v2;
	;;#ASMEND
	;;#ASMSTART
	v_cvt_f32_f16 v8, v24;
	;;#ASMEND
	v_and_b32_e32 v24, 0xffff, v32
	;;#ASMSTART
	v_cvt_f32_f16 v24, v24;
	;;#ASMEND
	v_fmac_f32_e32 v21, v27, v29
	v_fmac_f32_e32 v34, v2, v24
	v_and_b32_e32 v2, 0xffff, v9
	;;#ASMSTART
	v_cvt_f32_f16 v10, v10;
	;;#ASMEND
	;;#ASMSTART
	v_cvt_f32_f16 v2, v2;
	;;#ASMEND
	v_fmac_f32_e32 v23, v28, v30
	v_fmac_f32_e32 v20, v8, v10
	v_lshrrev_b32_e32 v8, 16, v9
	v_and_b32_e32 v9, 0xffff, v39
	;;#ASMSTART
	v_cvt_f32_f16 v8, v8;
	;;#ASMEND
	;;#ASMSTART
	v_cvt_f32_f16 v9, v9;
	;;#ASMEND
	v_and_b32_e32 v10, 0xffff, v19
	v_fmac_f32_e32 v21, v2, v9
	v_add_f32_e32 v2, v34, v20
	;;#ASMSTART
	v_cvt_f32_f16 v10, v10;
	;;#ASMEND
	v_add_f32_e32 v2, v2, v21
	v_fmac_f32_e32 v23, v8, v10
	v_add_f32_e32 v9, v23, v2
	v_and_b32_e32 v2, 64, v12
	v_xor_b32_e32 v10, 1, v12
	v_add_u32_e32 v8, 64, v2
	v_cmp_lt_i32_e64 s[0:1], v10, v8
	s_nop 1
	v_cndmask_b32_e64 v10, v12, v10, s[0:1]
	v_lshlrev_b32_e32 v10, 2, v10
	ds_bpermute_b32 v10, v10, v9
	s_and_saveexec_b64 s[34:35], vcc
	s_cbranch_execz .LBB262_8
; %bb.106:                              ;   in Loop: Header=BB262_9 Depth=1
	v_add_u32_e32 v19, s41, v15
	v_cvt_f32_i32_e32 v19, v19
	s_waitcnt lgkmcnt(0)
	v_add_f32_e32 v9, v9, v10
	v_cmp_gt_i32_e64 s[0:1], s33, v15
	v_max_f32_e32 v10, v13, v13
	v_mul_f32_e32 v19, s28, v19
	v_cndmask_b32_e64 v19, 0, v19, s[2:3]
	v_fmac_f32_e32 v19, s29, v9
	v_cndmask_b32_e64 v9, 0, v19, s[0:1]
	ds_write_b32 v16, v9
	v_max_f32_e32 v9, v10, v19
	v_cndmask_b32_e64 v13, v13, v9, s[0:1]
	s_branch .LBB262_8
.LBB262_107:
	s_or_b64 exec, exec, s[14:15]
.LBB262_108:
	s_or_b64 exec, exec, s[30:31]
	v_xor_b32_e32 v3, 32, v12
	v_cmp_lt_i32_e32 vcc, v3, v8
	v_xor_b32_e32 v6, 16, v12
	v_max_f32_e32 v5, v13, v13
	v_cndmask_b32_e32 v3, v12, v3, vcc
	v_lshlrev_b32_e32 v3, 2, v3
	ds_bpermute_b32 v4, v3, v13
	v_cmp_lt_i32_e32 vcc, v6, v8
	v_xor_b32_e32 v7, 8, v12
	v_xor_b32_e32 v9, 4, v12
	s_waitcnt lgkmcnt(0)
	v_xor_b32_e32 v10, 2, v12
	v_max_f32_e32 v4, v4, v4
	v_max_f32_e32 v5, v5, v4
	v_cndmask_b32_e32 v4, v12, v6, vcc
	v_lshlrev_b32_e32 v4, 2, v4
	ds_bpermute_b32 v6, v4, v5
	v_cmp_lt_i32_e32 vcc, v7, v8
	v_and_b32_e32 v23, 63, v0
	s_waitcnt lgkmcnt(0)
	v_max_f32_e32 v6, v6, v6
	v_max_f32_e32 v6, v5, v6
	v_cndmask_b32_e32 v5, v12, v7, vcc
	v_lshlrev_b32_e32 v5, 2, v5
	ds_bpermute_b32 v7, v5, v6
	v_cmp_lt_i32_e32 vcc, v9, v8
	s_waitcnt lgkmcnt(0)
	v_max_f32_e32 v7, v7, v7
	v_max_f32_e32 v7, v6, v7
	v_cndmask_b32_e32 v6, v12, v9, vcc
	v_lshlrev_b32_e32 v6, 2, v6
	ds_bpermute_b32 v9, v6, v7
	v_cmp_lt_i32_e32 vcc, v10, v8
	s_waitcnt lgkmcnt(0)
	v_max_f32_e32 v9, v9, v9
	v_max_f32_e32 v9, v7, v9
	v_cndmask_b32_e32 v7, v12, v10, vcc
	v_lshlrev_b32_e32 v24, 2, v7
	ds_bpermute_b32 v10, v24, v9
	v_cmp_eq_u32_e32 vcc, 0, v23
	v_lshlrev_b32_e32 v7, 2, v22
	s_and_saveexec_b64 s[0:1], vcc
	s_cbranch_execz .LBB262_110
; %bb.109:
	s_waitcnt lgkmcnt(0)
	v_max_f32_e32 v10, v10, v10
	v_max_f32_e32 v9, v9, v9
	;; [unrolled: 1-line block ×3, first 2 shown]
	ds_write_b32 v7, v9 offset:64
.LBB262_110:
	s_or_b64 exec, exec, s[0:1]
	v_cmp_gt_u32_e64 s[0:1], 2, v23
	s_waitcnt lgkmcnt(0)
	v_mov_b32_e32 v10, 0xff7fffff
	v_lshlrev_b32_e32 v9, 2, v23
	s_barrier
	s_and_saveexec_b64 s[2:3], s[0:1]
; %bb.111:
	ds_read_b32 v10, v9 offset:64
; %bb.112:
	s_or_b64 exec, exec, s[2:3]
	v_xor_b32_e32 v13, 1, v12
	v_cmp_lt_i32_e64 s[2:3], v13, v8
	v_lshlrev_b32_e32 v2, 2, v2
	s_nop 0
	v_cndmask_b32_e64 v8, v12, v13, s[2:3]
	v_lshlrev_b32_e32 v25, 2, v8
	s_waitcnt lgkmcnt(0)
	ds_bpermute_b32 v8, v25, v10
	v_max_f32_e32 v10, v10, v10
	s_lshl_b32 s2, s19, 5
	s_min_i32 s30, s2, s33
	v_cmp_gt_i32_e64 s[2:3], s30, v0
	s_waitcnt lgkmcnt(0)
	v_max_f32_e32 v8, v8, v8
	v_max_f32_e32 v8, v10, v8
	ds_bpermute_b32 v8, v2, v8
	v_mov_b32_e32 v2, 0
	s_and_saveexec_b64 s[14:15], s[2:3]
	s_cbranch_execz .LBB262_116
; %bb.113:
	v_mov_b32_e32 v2, 0x50
	v_lshl_add_u32 v10, v0, 2, v2
	v_mov_b32_e32 v2, 0
	s_mov_b64 s[28:29], 0
	v_mov_b32_e32 v13, v0
.LBB262_114:                            ; =>This Inner Loop Header: Depth=1
	ds_read_b32 v14, v10
	v_add_u32_e32 v13, 0x80, v13
	v_cmp_le_i32_e64 s[8:9], s30, v13
	s_or_b64 s[28:29], s[8:9], s[28:29]
	s_waitcnt lgkmcnt(0)
	v_sub_f32_e32 v14, v14, v8
	v_mul_f32_e32 v14, 0x3fb8aa3b, v14
	v_exp_f32_e32 v14, v14
	ds_write_b32 v10, v14
	v_add_f32_e32 v2, v2, v14
	v_add_u32_e32 v10, 0x200, v10
	s_andn2_b64 exec, exec, s[28:29]
	s_cbranch_execnz .LBB262_114
; %bb.115:
	s_or_b64 exec, exec, s[28:29]
.LBB262_116:
	s_or_b64 exec, exec, s[14:15]
	ds_bpermute_b32 v3, v3, v2
	s_waitcnt lgkmcnt(0)
	v_add_f32_e32 v2, v2, v3
	ds_bpermute_b32 v3, v4, v2
	s_waitcnt lgkmcnt(0)
	v_add_f32_e32 v2, v2, v3
	;; [unrolled: 3-line block ×6, first 2 shown]
	s_and_saveexec_b64 s[8:9], vcc
; %bb.117:
	ds_write_b32 v7, v2 offset:72
; %bb.118:
	s_or_b64 exec, exec, s[8:9]
	s_waitcnt lgkmcnt(0)
	s_barrier
	s_and_saveexec_b64 s[8:9], s[0:1]
; %bb.119:
	ds_read_b32 v2, v9 offset:72
; %bb.120:
	s_or_b64 exec, exec, s[8:9]
	s_waitcnt lgkmcnt(0)
	ds_bpermute_b32 v3, v25, v2
	v_lshlrev_b32_e32 v4, 2, v12
	s_waitcnt lgkmcnt(0)
	v_add_f32_e32 v2, v2, v3
	v_and_b32_e32 v3, 0xffffff00, v4
	ds_bpermute_b32 v2, v3, v2
	s_and_saveexec_b64 s[0:1], s[2:3]
	s_cbranch_execz .LBB262_133
; %bb.121:
	s_waitcnt lgkmcnt(0)
	v_add_f32_e32 v2, 0x358637bd, v2
	v_div_scale_f32 v3, s[2:3], v2, v2, 1.0
	v_rcp_f32_e32 v4, v3
	v_div_scale_f32 v5, vcc, 1.0, v2, 1.0
	s_movk_i32 s2, 0x7f
	v_fma_f32 v6, -v3, v4, 1.0
	v_fmac_f32_e32 v4, v6, v4
	v_mul_f32_e32 v6, v5, v4
	v_fma_f32 v7, -v3, v6, v5
	v_fmac_f32_e32 v6, v7, v4
	v_fma_f32 v3, -v3, v6, v5
	v_div_fmas_f32 v3, v3, v4, v6
	v_xad_u32 v4, v0, -1, s30
	v_div_fixup_f32 v2, v3, v2, 1.0
	v_cmp_lt_u32_e32 vcc, s2, v4
	s_mov_b64 s[8:9], -1
	v_mov_b32_e32 v3, v0
	s_and_saveexec_b64 s[2:3], vcc
	s_cbranch_execz .LBB262_130
; %bb.122:
	v_lshrrev_b32_e32 v4, 7, v4
	v_add_u32_e32 v6, -1, v4
	v_lshrrev_b32_e32 v5, 1, v6
	v_mov_b32_e32 v3, v2
	v_add_u32_e32 v5, 1, v5
	v_cmp_lt_u32_e32 vcc, 13, v6
	v_mov_b32_e32 v8, 0
	s_and_saveexec_b64 s[8:9], vcc
	s_cbranch_execz .LBB262_126
; %bb.123:
	v_mov_b32_e32 v7, 0x50
	v_and_b32_e32 v6, -8, v5
	v_lshl_add_u32 v7, v0, 2, v7
	s_mov_b32 s28, 0
	s_mov_b64 s[14:15], 0
.LBB262_124:                            ; =>This Inner Loop Header: Depth=1
	ds_read2st64_b32 v[8:9], v7 offset1:2
	ds_read2st64_b32 v[12:13], v7 offset0:4 offset1:6
	ds_read2st64_b32 v[14:15], v7 offset0:8 offset1:10
	;; [unrolled: 1-line block ×3, first 2 shown]
	v_add_u32_e32 v6, -8, v6
	s_waitcnt lgkmcnt(3)
	v_pk_mul_f32 v[8:9], v[2:3], v[8:9]
	s_waitcnt lgkmcnt(2)
	v_pk_mul_f32 v[12:13], v[2:3], v[12:13]
	ds_write2st64_b32 v7, v8, v9 offset1:2
	ds_write2st64_b32 v7, v12, v13 offset0:4 offset1:6
	ds_read2st64_b32 v[12:13], v7 offset0:16 offset1:18
	s_waitcnt lgkmcnt(4)
	v_pk_mul_f32 v[8:9], v[2:3], v[14:15]
	ds_write2st64_b32 v7, v8, v9 offset0:8 offset1:10
	s_waitcnt lgkmcnt(4)
	v_pk_mul_f32 v[8:9], v[2:3], v[16:17]
	ds_write2st64_b32 v7, v8, v9 offset0:12 offset1:14
	ds_read2st64_b32 v[8:9], v7 offset0:20 offset1:22
	s_waitcnt lgkmcnt(3)
	v_pk_mul_f32 v[12:13], v[2:3], v[12:13]
	ds_read2st64_b32 v[14:15], v7 offset0:24 offset1:26
	ds_write2st64_b32 v7, v12, v13 offset0:16 offset1:18
	ds_read2st64_b32 v[12:13], v7 offset0:28 offset1:30
	s_waitcnt lgkmcnt(3)
	v_pk_mul_f32 v[8:9], v[2:3], v[8:9]
	ds_write2st64_b32 v7, v8, v9 offset0:20 offset1:22
	s_waitcnt lgkmcnt(3)
	v_pk_mul_f32 v[8:9], v[2:3], v[14:15]
	ds_write2st64_b32 v7, v8, v9 offset0:24 offset1:26
	s_waitcnt lgkmcnt(2)
	v_pk_mul_f32 v[8:9], v[2:3], v[12:13]
	s_add_i32 s28, s28, 16
	v_cmp_eq_u32_e32 vcc, 0, v6
	ds_write2st64_b32 v7, v8, v9 offset0:28 offset1:30
	v_add_u32_e32 v7, 0x2000, v7
	s_or_b64 s[14:15], vcc, s[14:15]
	v_mov_b32_e32 v8, s28
	s_andn2_b64 exec, exec, s[14:15]
	s_cbranch_execnz .LBB262_124
; %bb.125:
	s_or_b64 exec, exec, s[14:15]
.LBB262_126:
	s_or_b64 exec, exec, s[8:9]
	v_and_b32_e32 v5, 7, v5
	v_cmp_ne_u32_e32 vcc, 0, v5
	s_and_saveexec_b64 s[8:9], vcc
	s_cbranch_execz .LBB262_129
; %bb.127:
	v_lshlrev_b32_e32 v6, 9, v8
	v_lshlrev_b32_e32 v7, 2, v0
	s_movk_i32 s14, 0x50
	v_add3_u32 v6, v6, v7, s14
	s_mov_b64 s[14:15], 0
.LBB262_128:                            ; =>This Inner Loop Header: Depth=1
	ds_read2st64_b32 v[8:9], v6 offset1:2
	v_add_u32_e32 v5, -1, v5
	v_cmp_eq_u32_e32 vcc, 0, v5
	s_or_b64 s[14:15], vcc, s[14:15]
	s_waitcnt lgkmcnt(0)
	v_pk_mul_f32 v[8:9], v[2:3], v[8:9]
	ds_write2st64_b32 v6, v8, v9 offset1:2
	v_add_u32_e32 v6, 0x400, v6
	s_andn2_b64 exec, exec, s[14:15]
	s_cbranch_execnz .LBB262_128
.LBB262_129:
	s_or_b64 exec, exec, s[8:9]
	v_add_u32_e32 v4, 1, v4
	v_and_b32_e32 v5, 0x3fffffe, v4
	v_cmp_ne_u32_e32 vcc, v4, v5
	v_lshl_add_u32 v3, v5, 7, v0
	s_orn2_b64 s[8:9], vcc, exec
.LBB262_130:
	s_or_b64 exec, exec, s[2:3]
	s_and_b64 exec, exec, s[8:9]
	s_cbranch_execz .LBB262_133
; %bb.131:
	v_mov_b32_e32 v4, 0x50
	v_lshl_add_u32 v4, v3, 2, v4
	s_mov_b64 s[2:3], 0
.LBB262_132:                            ; =>This Inner Loop Header: Depth=1
	ds_read_b32 v5, v4
	v_add_u32_e32 v3, 0x80, v3
	v_cmp_le_i32_e32 vcc, s30, v3
	s_or_b64 s[2:3], vcc, s[2:3]
	s_waitcnt lgkmcnt(0)
	v_mul_f32_e32 v5, v2, v5
	ds_write_b32 v4, v5
	v_add_u32_e32 v4, 0x200, v4
	s_andn2_b64 exec, exec, s[2:3]
	s_cbranch_execnz .LBB262_132
.LBB262_133:
	s_or_b64 exec, exec, s[0:1]
	v_mov_b32_e32 v7, 0
	v_and_b32_e32 v26, 3, v0
	v_mov_b32_e32 v6, 0
	s_waitcnt lgkmcnt(0)
	s_barrier
	s_and_saveexec_b64 s[2:3], s[6:7]
	s_cbranch_execz .LBB262_237
; %bb.134:
	s_ashr_i32 s1, s12, 31
	s_add_u32 s0, s26, s12
	s_addc_u32 s1, s27, s1
	v_and_b32_e32 v2, 0x1f8, v1
	v_mov_b32_e32 v3, 0
	s_add_i32 s26, s19, -1
	v_lshl_add_u64 v[4:5], s[0:1], 0, v[2:3]
	s_lshl_b64 s[0:1], s[24:25], 2
	v_and_b32_e32 v6, 24, v1
	v_lshlrev_b32_e32 v1, 5, v26
	s_add_u32 s0, s22, s0
	s_mov_b32 s6, -1
	v_lshl_or_b32 v1, v22, 7, v1
	v_and_b32_e32 v2, 60, v11
	s_addc_u32 s1, s23, s1
	s_mov_b32 s28, s13
	s_mov_b32 s7, 0xffffff
	;; [unrolled: 1-line block ×3, first 2 shown]
	v_lshl_or_b32 v27, v22, 5, v6
	v_add_u32_e32 v28, 0x50, v1
	v_lshl_add_u64 v[8:9], s[0:1], 0, v[2:3]
	s_mov_b64 s[8:9], 0
	s_movk_i32 s24, 0x80
	s_movk_i32 s25, 0x7f
	s_mov_b32 s29, 0x8000
	v_mov_b32_e32 v29, 0x2000
	v_mov_b32_e32 v6, 0
	;; [unrolled: 1-line block ×3, first 2 shown]
	s_branch .LBB262_136
.LBB262_135:                            ;   in Loop: Header=BB262_136 Depth=1
	s_or_b64 exec, exec, s[0:1]
	v_add_f32_e32 v2, v39, v40
	;;#ASMSTART
	v_pk_mul_f16 v1, v38, v1;

	;;#ASMEND
	v_add_f32_e32 v6, v6, v2
	;;#ASMSTART
	v_pk_mul_f16 v2, v37, v12;

	;;#ASMEND
	;;#ASMSTART
	v_pk_mul_f16 v10, v21, v19;

	;;#ASMEND
	;; [unrolled: 4-line block ×3, first 2 shown]
	v_add_u32_e32 v22, 2, v22
	;;#ASMSTART
	v_pk_add_f16 v1, v1, v2;

	;;#ASMEND
	v_cmp_le_i32_e32 vcc, s19, v22
	;;#ASMSTART
	v_pk_add_f16 v1, v1, v10;

	;;#ASMEND
	v_add_u32_e32 v27, 64, v27
	;;#ASMSTART
	v_pk_add_f16 v1, v1, v11;

	;;#ASMEND
	v_add_u32_e32 v28, 0x100, v28
	v_lshrrev_b32_e32 v2, 16, v1
	v_and_b32_e32 v1, 0xffff, v1
	;;#ASMSTART
	v_cvt_f32_f16 v1, v1;
	;;#ASMEND
	;;#ASMSTART
	v_cvt_f32_f16 v2, v2;
	;;#ASMEND
	s_or_b64 s[8:9], vcc, s[8:9]
	v_add_f32_e32 v1, v1, v2
	v_add_f32_e32 v7, v7, v1
	v_lshl_add_u64 v[8:9], v[8:9], 0, 8
	s_andn2_b64 exec, exec, s[8:9]
	s_cbranch_execz .LBB262_236
.LBB262_136:                            ; =>This Inner Loop Header: Depth=1
	global_load_dword v1, v[8:9], off
	ds_read2_b64 v[10:13], v28 offset1:1
	ds_read2_b64 v[14:17], v28 offset0:2 offset1:3
	s_waitcnt lgkmcnt(1)
	;;#ASMSTART
	v_cvt_f16_f32 v37, v10;

	;;#ASMEND
	;;#ASMSTART
	v_cvt_f16_f32 v38, v11;

	;;#ASMEND
	;; [unrolled: 4-line block ×4, first 2 shown]
	s_waitcnt lgkmcnt(0)
	;;#ASMSTART
	v_cvt_f16_f32 v41, v14;

	;;#ASMEND
	;;#ASMSTART
	v_cvt_f16_f32 v42, v15;

	;;#ASMEND
	;; [unrolled: 4-line block ×4, first 2 shown]
	s_waitcnt vmcnt(0)
	v_mad_i64_i32 v[10:11], s[0:1], v1, s28, v[4:5]
	global_load_dwordx2 v[14:15], v[10:11], off
	global_load_dword v12, v3, s[10:11]
	v_mov_b32_e32 v1, 0
	s_waitcnt vmcnt(1)
	v_cmp_ne_u16_sdwa s[12:13], v14, v3 src0_sel:BYTE_0 src1_sel:DWORD
	s_and_saveexec_b64 s[0:1], s[12:13]
	s_cbranch_execz .LBB262_142
; %bb.137:                              ;   in Loop: Header=BB262_136 Depth=1
	v_cmp_ne_u16_sdwa s[14:15], v14, s24 src0_sel:BYTE_0 src1_sel:DWORD
	v_mov_b32_e32 v1, 0x8000
	s_and_saveexec_b64 s[12:13], s[14:15]
	s_cbranch_execz .LBB262_141
; %bb.138:                              ;   in Loop: Header=BB262_136 Depth=1
	v_and_b32_e32 v2, 0x7f, v14
	v_cmp_ne_u32_e32 vcc, s25, v2
	v_mov_b32_e32 v1, 0x7c01
	s_and_saveexec_b64 s[14:15], vcc
	s_cbranch_execz .LBB262_140
; %bb.139:                              ;   in Loop: Header=BB262_136 Depth=1
	v_and_b32_e32 v1, 7, v14
	v_ffbh_u32_e32 v16, v1
	v_min_u32_e32 v18, 32, v16
	v_subrev_u32_e32 v16, 28, v18
	v_lshlrev_b64 v[16:17], v16, v[14:15]
	v_lshrrev_b32_e32 v13, 3, v2
	v_sub_u32_e32 v17, 29, v18
	v_cmp_gt_u32_e32 vcc, 8, v2
	v_and_b32_e32 v16, 7, v16
	s_nop 0
	v_cndmask_b32_e32 v2, v13, v17, vcc
	v_lshl_add_u32 v2, v2, 10, v29
	v_lshlrev_b32_e32 v13, 8, v14
	v_and_b32_e32 v2, 0xfc00, v2
	v_cndmask_b32_e32 v1, v1, v16, vcc
	v_and_or_b32 v2, v13, s29, v2
	v_lshl_or_b32 v1, v1, 7, v2
.LBB262_140:                            ;   in Loop: Header=BB262_136 Depth=1
	s_or_b64 exec, exec, s[14:15]
.LBB262_141:                            ;   in Loop: Header=BB262_136 Depth=1
	s_or_b64 exec, exec, s[12:13]
.LBB262_142:                            ;   in Loop: Header=BB262_136 Depth=1
	s_or_b64 exec, exec, s[0:1]
	v_lshrrev_b16_e32 v2, 8, v14
	v_cmp_ne_u16_e32 vcc, 0, v2
	v_mov_b32_e32 v13, 0
	v_mov_b32_e32 v16, 0
	s_and_saveexec_b64 s[0:1], vcc
	s_cbranch_execz .LBB262_148
; %bb.143:                              ;   in Loop: Header=BB262_136 Depth=1
	v_cmp_ne_u16_e32 vcc, s24, v2
	v_bfrev_b32_e32 v16, 1
	s_and_saveexec_b64 s[12:13], vcc
	s_cbranch_execz .LBB262_147
; %bb.144:                              ;   in Loop: Header=BB262_136 Depth=1
	v_and_b32_e32 v17, 0x7f, v2
	v_cmp_ne_u32_e32 vcc, s25, v17
	v_mov_b32_e32 v16, 0x7c010000
	s_and_saveexec_b64 s[14:15], vcc
	s_cbranch_execz .LBB262_146
; %bb.145:                              ;   in Loop: Header=BB262_136 Depth=1
	v_and_b32_e32 v16, 7, v2
	v_ffbh_u32_e32 v18, v16
	v_min_u32_e32 v21, 32, v18
	v_subrev_u32_e32 v18, 28, v21
	v_lshlrev_b64 v[18:19], v18, v[2:3]
	v_lshrrev_b32_e32 v20, 3, v17
	v_sub_u32_e32 v19, 29, v21
	v_cmp_gt_u32_e32 vcc, 8, v17
	v_lshlrev_b32_e32 v2, 8, v2
	v_and_b32_e32 v18, 7, v18
	v_cndmask_b32_e32 v17, v20, v19, vcc
	v_lshl_add_u32 v17, v17, 10, v29
	v_and_or_b32 v2, v2, s29, v17
	v_cndmask_b32_e32 v16, v16, v18, vcc
	v_lshlrev_b32_e32 v2, 16, v2
	v_lshl_or_b32 v16, v16, 23, v2
.LBB262_146:                            ;   in Loop: Header=BB262_136 Depth=1
	s_or_b64 exec, exec, s[14:15]
.LBB262_147:                            ;   in Loop: Header=BB262_136 Depth=1
	s_or_b64 exec, exec, s[12:13]
.LBB262_148:                            ;   in Loop: Header=BB262_136 Depth=1
	s_or_b64 exec, exec, s[0:1]
	v_lshrrev_b32_e32 v2, 16, v14
	v_cmp_ne_u16_sdwa s[12:13], v2, v3 src0_sel:BYTE_0 src1_sel:DWORD
	s_and_saveexec_b64 s[0:1], s[12:13]
	s_cbranch_execz .LBB262_154
; %bb.149:                              ;   in Loop: Header=BB262_136 Depth=1
	v_cmp_ne_u16_sdwa s[14:15], v2, s24 src0_sel:BYTE_0 src1_sel:DWORD
	v_mov_b32_e32 v13, 0x8000
	s_and_saveexec_b64 s[12:13], s[14:15]
	s_cbranch_execz .LBB262_153
; %bb.150:                              ;   in Loop: Header=BB262_136 Depth=1
	v_bfe_u32 v17, v14, 16, 7
	v_cmp_ne_u32_e32 vcc, s25, v17
	v_mov_b32_e32 v13, 0x7c01
	s_and_saveexec_b64 s[14:15], vcc
	s_cbranch_execz .LBB262_152
; %bb.151:                              ;   in Loop: Header=BB262_136 Depth=1
	v_and_b32_e32 v13, 7, v2
	v_ffbh_u32_e32 v18, v13
	v_min_u32_e32 v21, 32, v18
	v_subrev_u32_e32 v18, 28, v21
	v_lshlrev_b64 v[18:19], v18, v[2:3]
	v_lshrrev_b32_e32 v20, 3, v17
	v_sub_u32_e32 v19, 29, v21
	v_cmp_gt_u32_e32 vcc, 8, v17
	v_lshlrev_b32_e32 v2, 8, v2
	v_and_b32_e32 v18, 7, v18
	v_cndmask_b32_e32 v17, v20, v19, vcc
	v_lshl_add_u32 v17, v17, 10, v29
	v_and_b32_e32 v17, 0xfc00, v17
	v_cndmask_b32_e32 v13, v13, v18, vcc
	v_and_or_b32 v2, v2, s29, v17
	v_lshl_or_b32 v13, v13, 7, v2
.LBB262_152:                            ;   in Loop: Header=BB262_136 Depth=1
	s_or_b64 exec, exec, s[14:15]
.LBB262_153:                            ;   in Loop: Header=BB262_136 Depth=1
	s_or_b64 exec, exec, s[12:13]
.LBB262_154:                            ;   in Loop: Header=BB262_136 Depth=1
	s_or_b64 exec, exec, s[0:1]
	v_cmp_lt_u32_e32 vcc, s7, v14
	v_mov_b32_e32 v17, 0
	v_mov_b32_e32 v18, 0
	s_and_saveexec_b64 s[0:1], vcc
	s_cbranch_execz .LBB262_160
; %bb.155:                              ;   in Loop: Header=BB262_136 Depth=1
	v_lshrrev_b32_e32 v2, 24, v14
	v_cmp_ne_u32_e32 vcc, s24, v2
	v_bfrev_b32_e32 v18, 1
	s_and_saveexec_b64 s[12:13], vcc
	s_cbranch_execz .LBB262_159
; %bb.156:                              ;   in Loop: Header=BB262_136 Depth=1
	v_and_b32_e32 v19, 0x7f, v2
	v_cmp_ne_u32_e32 vcc, s25, v19
	v_mov_b32_e32 v18, 0x7c010000
	s_and_saveexec_b64 s[14:15], vcc
	s_cbranch_execz .LBB262_158
; %bb.157:                              ;   in Loop: Header=BB262_136 Depth=1
	v_and_b32_e32 v18, 7, v2
	v_ffbh_u32_e32 v20, v18
	v_min_u32_e32 v31, 32, v20
	v_subrev_u32_e32 v20, 28, v31
	v_lshlrev_b64 v[20:21], v20, v[2:3]
	v_lshrrev_b32_e32 v30, 3, v19
	v_sub_u32_e32 v21, 29, v31
	v_cmp_gt_u32_e32 vcc, 8, v19
	v_lshlrev_b32_e32 v2, 8, v2
	v_and_b32_e32 v20, 7, v20
	v_cndmask_b32_e32 v19, v30, v21, vcc
	v_lshl_add_u32 v19, v19, 10, v29
	v_and_or_b32 v2, v2, s29, v19
	v_cndmask_b32_e32 v18, v18, v20, vcc
	v_lshlrev_b32_e32 v2, 16, v2
	v_lshl_or_b32 v18, v18, 23, v2
.LBB262_158:                            ;   in Loop: Header=BB262_136 Depth=1
	s_or_b64 exec, exec, s[14:15]
.LBB262_159:                            ;   in Loop: Header=BB262_136 Depth=1
	s_or_b64 exec, exec, s[12:13]
.LBB262_160:                            ;   in Loop: Header=BB262_136 Depth=1
	s_or_b64 exec, exec, s[0:1]
	v_mov_b32_e32 v2, v15
	v_cmp_ne_u16_sdwa s[12:13], v15, v3 src0_sel:BYTE_0 src1_sel:DWORD
	s_and_saveexec_b64 s[0:1], s[12:13]
	s_cbranch_execz .LBB262_166
; %bb.161:                              ;   in Loop: Header=BB262_136 Depth=1
	v_cmp_ne_u16_sdwa s[14:15], v15, s24 src0_sel:BYTE_0 src1_sel:DWORD
	v_mov_b32_e32 v17, 0x8000
	s_and_saveexec_b64 s[12:13], s[14:15]
	s_cbranch_execz .LBB262_165
; %bb.162:                              ;   in Loop: Header=BB262_136 Depth=1
	v_and_b32_e32 v19, 0x7f, v15
	v_cmp_ne_u32_e32 vcc, s25, v19
	v_mov_b32_e32 v17, 0x7c01
	s_and_saveexec_b64 s[14:15], vcc
	s_cbranch_execz .LBB262_164
; %bb.163:                              ;   in Loop: Header=BB262_136 Depth=1
	v_and_b32_e32 v17, 7, v15
	v_ffbh_u32_e32 v20, v17
	v_min_u32_e32 v31, 32, v20
	v_subrev_u32_e32 v20, 28, v31
	v_lshlrev_b64 v[20:21], v20, v[2:3]
	v_lshrrev_b32_e32 v30, 3, v19
	v_sub_u32_e32 v21, 29, v31
	v_cmp_gt_u32_e32 vcc, 8, v19
	v_and_b32_e32 v20, 7, v20
	s_nop 0
	v_cndmask_b32_e32 v19, v30, v21, vcc
	v_lshl_add_u32 v19, v19, 10, v29
	v_lshlrev_b32_e32 v21, 8, v15
	v_and_b32_e32 v19, 0xfc00, v19
	v_cndmask_b32_e32 v17, v17, v20, vcc
	v_and_or_b32 v19, v21, s29, v19
	v_lshl_or_b32 v17, v17, 7, v19
.LBB262_164:                            ;   in Loop: Header=BB262_136 Depth=1
	s_or_b64 exec, exec, s[14:15]
.LBB262_165:                            ;   in Loop: Header=BB262_136 Depth=1
	s_or_b64 exec, exec, s[12:13]
.LBB262_166:                            ;   in Loop: Header=BB262_136 Depth=1
	s_or_b64 exec, exec, s[0:1]
	v_lshrrev_b16_e32 v2, 8, v2
	v_cmp_ne_u16_e32 vcc, 0, v2
	v_mov_b32_e32 v20, 0
	v_mov_b32_e32 v19, 0
	s_and_saveexec_b64 s[0:1], vcc
	s_cbranch_execz .LBB262_172
; %bb.167:                              ;   in Loop: Header=BB262_136 Depth=1
	v_cmp_ne_u16_e32 vcc, s24, v2
	v_bfrev_b32_e32 v19, 1
	s_and_saveexec_b64 s[12:13], vcc
	s_cbranch_execz .LBB262_171
; %bb.168:                              ;   in Loop: Header=BB262_136 Depth=1
	v_and_b32_e32 v21, 0x7f, v2
	v_cmp_ne_u32_e32 vcc, s25, v21
	v_mov_b32_e32 v19, 0x7c010000
	s_and_saveexec_b64 s[14:15], vcc
	s_cbranch_execz .LBB262_170
; %bb.169:                              ;   in Loop: Header=BB262_136 Depth=1
	v_and_b32_e32 v19, 7, v2
	v_ffbh_u32_e32 v30, v19
	v_min_u32_e32 v33, 32, v30
	v_subrev_u32_e32 v30, 28, v33
	v_lshlrev_b64 v[30:31], v30, v[2:3]
	v_lshrrev_b32_e32 v32, 3, v21
	v_sub_u32_e32 v31, 29, v33
	v_cmp_gt_u32_e32 vcc, 8, v21
	v_lshlrev_b32_e32 v2, 8, v2
	v_and_b32_e32 v30, 7, v30
	v_cndmask_b32_e32 v21, v32, v31, vcc
	v_lshl_add_u32 v21, v21, 10, v29
	v_and_or_b32 v2, v2, s29, v21
	v_cndmask_b32_e32 v19, v19, v30, vcc
	v_lshlrev_b32_e32 v2, 16, v2
	v_lshl_or_b32 v19, v19, 23, v2
.LBB262_170:                            ;   in Loop: Header=BB262_136 Depth=1
	s_or_b64 exec, exec, s[14:15]
.LBB262_171:                            ;   in Loop: Header=BB262_136 Depth=1
	s_or_b64 exec, exec, s[12:13]
.LBB262_172:                            ;   in Loop: Header=BB262_136 Depth=1
	s_or_b64 exec, exec, s[0:1]
	v_lshrrev_b32_e32 v2, 16, v15
	v_cmp_ne_u16_sdwa s[12:13], v2, v3 src0_sel:BYTE_0 src1_sel:DWORD
	s_and_saveexec_b64 s[0:1], s[12:13]
	s_cbranch_execz .LBB262_178
; %bb.173:                              ;   in Loop: Header=BB262_136 Depth=1
	v_cmp_ne_u16_sdwa s[14:15], v2, s24 src0_sel:BYTE_0 src1_sel:DWORD
	v_mov_b32_e32 v20, 0x8000
	s_and_saveexec_b64 s[12:13], s[14:15]
	s_cbranch_execz .LBB262_177
; %bb.174:                              ;   in Loop: Header=BB262_136 Depth=1
	v_bfe_u32 v21, v15, 16, 7
	v_cmp_ne_u32_e32 vcc, s25, v21
	v_mov_b32_e32 v20, 0x7c01
	s_and_saveexec_b64 s[14:15], vcc
	s_cbranch_execz .LBB262_176
; %bb.175:                              ;   in Loop: Header=BB262_136 Depth=1
	v_and_b32_e32 v20, 7, v2
	v_ffbh_u32_e32 v30, v20
	v_min_u32_e32 v33, 32, v30
	v_subrev_u32_e32 v30, 28, v33
	v_lshlrev_b64 v[30:31], v30, v[2:3]
	v_lshrrev_b32_e32 v32, 3, v21
	v_sub_u32_e32 v31, 29, v33
	v_cmp_gt_u32_e32 vcc, 8, v21
	v_lshlrev_b32_e32 v2, 8, v2
	v_and_b32_e32 v30, 7, v30
	v_cndmask_b32_e32 v21, v32, v31, vcc
	v_lshl_add_u32 v21, v21, 10, v29
	v_and_b32_e32 v21, 0xfc00, v21
	v_cndmask_b32_e32 v20, v20, v30, vcc
	v_and_or_b32 v2, v2, s29, v21
	v_lshl_or_b32 v20, v20, 7, v2
.LBB262_176:                            ;   in Loop: Header=BB262_136 Depth=1
	s_or_b64 exec, exec, s[14:15]
.LBB262_177:                            ;   in Loop: Header=BB262_136 Depth=1
	s_or_b64 exec, exec, s[12:13]
.LBB262_178:                            ;   in Loop: Header=BB262_136 Depth=1
	s_or_b64 exec, exec, s[0:1]
	v_cmp_lt_u64_e32 vcc, s[6:7], v[14:15]
	v_mov_b32_e32 v21, 0
	s_and_saveexec_b64 s[0:1], vcc
	s_cbranch_execz .LBB262_184
; %bb.179:                              ;   in Loop: Header=BB262_136 Depth=1
	v_lshrrev_b32_e32 v2, 24, v15
	v_cmp_ne_u32_e32 vcc, s24, v2
	v_bfrev_b32_e32 v21, 1
	s_and_saveexec_b64 s[12:13], vcc
	s_cbranch_execz .LBB262_183
; %bb.180:                              ;   in Loop: Header=BB262_136 Depth=1
	v_and_b32_e32 v14, 0x7f, v2
	v_cmp_ne_u32_e32 vcc, s25, v14
	v_mov_b32_e32 v21, 0x7c010000
	s_and_saveexec_b64 s[14:15], vcc
	s_cbranch_execz .LBB262_182
; %bb.181:                              ;   in Loop: Header=BB262_136 Depth=1
	v_and_b32_e32 v15, 7, v2
	v_ffbh_u32_e32 v30, v15
	v_min_u32_e32 v32, 32, v30
	v_subrev_u32_e32 v30, 28, v32
	v_lshlrev_b64 v[30:31], v30, v[2:3]
	v_lshrrev_b32_e32 v21, 3, v14
	v_sub_u32_e32 v31, 29, v32
	v_cmp_gt_u32_e32 vcc, 8, v14
	v_lshlrev_b32_e32 v2, 8, v2
	s_nop 0
	v_cndmask_b32_e32 v14, v21, v31, vcc
	v_lshl_add_u32 v14, v14, 10, v29
	v_and_b32_e32 v21, 7, v30
	v_and_or_b32 v2, v2, s29, v14
	v_cndmask_b32_e32 v15, v15, v21, vcc
	v_lshlrev_b32_e32 v2, 16, v2
	v_lshl_or_b32 v21, v15, 23, v2
.LBB262_182:                            ;   in Loop: Header=BB262_136 Depth=1
	s_or_b64 exec, exec, s[14:15]
.LBB262_183:                            ;   in Loop: Header=BB262_136 Depth=1
	s_or_b64 exec, exec, s[12:13]
.LBB262_184:                            ;   in Loop: Header=BB262_136 Depth=1
	s_or_b64 exec, exec, s[0:1]
	v_cvt_f32_f16_sdwa v15, v16 dst_sel:DWORD dst_unused:UNUSED_PAD src0_sel:WORD_1
	v_cvt_f32_f16_sdwa v14, v18 dst_sel:DWORD dst_unused:UNUSED_PAD src0_sel:WORD_1
	v_or_b32_e32 v1, v16, v1
	v_or_b32_e32 v2, v18, v13
	v_cvt_f32_f16_e32 v30, v2
	v_cvt_f32_f16_e32 v31, v1
	s_waitcnt vmcnt(0)
	v_pk_mul_f32 v[14:15], v[12:13], v[14:15] op_sel_hi:[0,1]
	v_cvt_pk_f16_f32 v1, v14, v15
	v_and_b32_e32 v13, 0xffff0000, v1
	v_pk_mul_f32 v[30:31], v[12:13], v[30:31] op_sel_hi:[0,1]
	v_or_b32_e32 v2, v19, v17
	v_or_b32_e32 v17, v21, v20
	v_lshlrev_b32_e32 v14, 16, v1
	v_cvt_pk_f16_f32 v1, v30, v31
	v_cvt_f32_f16_e32 v30, v17
	v_cvt_f32_f16_e32 v31, v2
	v_cvt_f32_f16_sdwa v19, v19 dst_sel:DWORD dst_unused:UNUSED_PAD src0_sel:WORD_1
	v_cvt_f32_f16_sdwa v18, v21 dst_sel:DWORD dst_unused:UNUSED_PAD src0_sel:WORD_1
	v_lshrrev_b32_e32 v15, 16, v1
	v_pk_mul_f32 v[20:21], v[12:13], v[30:31] op_sel_hi:[0,1]
	v_cvt_pk_f16_f32 v20, v20, v21
	v_pk_mul_f32 v[18:19], v[12:13], v[18:19] op_sel_hi:[0,1]
	v_cvt_pk_f16_f32 v12, v18, v19
	v_and_b32_e32 v16, 0xffff, v1
	v_and_b32_e32 v17, 0xffff0000, v12
	v_lshlrev_b32_e32 v12, 16, v12
	v_lshrrev_b32_e32 v21, 16, v20
	v_and_b32_e32 v20, 0xffff, v20
	v_cmp_eq_u32_e32 vcc, s26, v22
	v_or_b32_e32 v1, v13, v15
	v_or_b32_e32 v2, v14, v16
	;; [unrolled: 1-line block ×4, first 2 shown]
	v_add_u32_e32 v36, 2, v27
	v_or_b32_e32 v35, 1, v27
	v_or_b32_e32 v34, 3, v27
	;; [unrolled: 1-line block ×6, first 2 shown]
	s_and_saveexec_b64 s[12:13], vcc
	s_cbranch_execz .LBB262_186
; %bb.185:                              ;   in Loop: Header=BB262_136 Depth=1
	v_cmp_gt_i32_e64 s[0:1], s27, v27
	s_nop 1
	v_cndmask_b32_e64 v1, 0, v15, s[0:1]
	v_cmp_gt_i32_e64 s[0:1], s33, v36
	s_nop 1
	v_cndmask_b32_e64 v2, 0, v16, s[0:1]
	;; [unrolled: 3-line block ×3, first 2 shown]
	v_cmp_gt_i32_e64 s[0:1], s33, v34
	v_or_b32_e32 v1, v13, v1
	s_nop 0
	v_cndmask_b32_e64 v14, 0, v14, s[0:1]
	v_cmp_gt_i32_e64 s[0:1], s27, v33
	v_or_b32_e32 v2, v14, v2
	s_nop 0
	v_cndmask_b32_e64 v13, 0, v21, s[0:1]
	v_cmp_gt_i32_e64 s[0:1], s33, v32
	s_nop 1
	v_cndmask_b32_e64 v14, 0, v20, s[0:1]
	v_cmp_gt_i32_e64 s[0:1], s27, v31
	;; [unrolled: 3-line block ×3, first 2 shown]
	v_or_b32_e32 v19, v15, v13
	s_nop 0
	v_cndmask_b32_e64 v12, 0, v12, s[0:1]
	v_or_b32_e32 v18, v12, v14
.LBB262_186:                            ;   in Loop: Header=BB262_136 Depth=1
	s_or_b64 exec, exec, s[12:13]
	v_and_b32_e32 v12, 0xffff, v37
	v_lshl_or_b32 v38, v38, 16, v12
	v_and_b32_e32 v12, 0xffff, v39
	v_lshl_or_b32 v37, v40, 16, v12
	;; [unrolled: 2-line block ×3, first 2 shown]
	v_and_b32_e32 v12, 0xffff, v43
	;;#ASMSTART
	v_pk_mul_f16 v1, v38, v1;

	;;#ASMEND
	v_lshl_or_b32 v20, v44, 16, v12
	;;#ASMSTART
	v_pk_mul_f16 v2, v37, v2;

	;;#ASMEND
	;;#ASMSTART
	v_pk_mul_f16 v12, v21, v19;

	;;#ASMEND
	;; [unrolled: 4-line block ×3, first 2 shown]
	s_nop 0
	;;#ASMSTART
	v_pk_add_f16 v1, v1, v2;

	;;#ASMEND
	s_nop 0
	;;#ASMSTART
	v_pk_add_f16 v1, v1, v12;

	;;#ASMEND
	;; [unrolled: 5-line block ×3, first 2 shown]
	s_nop 0
	v_lshrrev_b32_e32 v2, 16, v1
	v_and_b32_e32 v1, 0xffff, v1
	;;#ASMSTART
	v_cvt_f32_f16 v39, v1;
	;;#ASMEND
	;;#ASMSTART
	v_cvt_f32_f16 v40, v2;
	;;#ASMEND
	global_load_dwordx2 v[12:13], v[10:11], off offset:512
	v_mov_b32_e32 v1, 0
	global_load_dword v10, v1, s[10:11]
	v_mov_b32_e32 v11, 0
	s_waitcnt vmcnt(1)
	v_cmp_ne_u16_sdwa s[0:1], v12, v3 src0_sel:BYTE_0 src1_sel:DWORD
	s_and_saveexec_b64 s[12:13], s[0:1]
	s_cbranch_execz .LBB262_192
; %bb.187:                              ;   in Loop: Header=BB262_136 Depth=1
	v_cmp_ne_u16_sdwa s[0:1], v12, s24 src0_sel:BYTE_0 src1_sel:DWORD
	v_mov_b32_e32 v11, 0x8000
	s_and_saveexec_b64 s[14:15], s[0:1]
	s_cbranch_execz .LBB262_191
; %bb.188:                              ;   in Loop: Header=BB262_136 Depth=1
	v_and_b32_e32 v2, 0x7f, v12
	v_cmp_ne_u32_e64 s[0:1], s25, v2
	v_mov_b32_e32 v11, 0x7c01
	s_and_saveexec_b64 s[22:23], s[0:1]
	s_cbranch_execz .LBB262_190
; %bb.189:                              ;   in Loop: Header=BB262_136 Depth=1
	v_and_b32_e32 v11, 7, v12
	v_ffbh_u32_e32 v14, v11
	v_min_u32_e32 v17, 32, v14
	v_subrev_u32_e32 v14, 28, v17
	v_lshlrev_b64 v[14:15], v14, v[12:13]
	v_lshrrev_b32_e32 v16, 3, v2
	v_sub_u32_e32 v15, 29, v17
	v_cmp_gt_u32_e64 s[0:1], 8, v2
	v_and_b32_e32 v14, 7, v14
	s_nop 0
	v_cndmask_b32_e64 v2, v16, v15, s[0:1]
	v_lshl_add_u32 v2, v2, 10, v29
	v_lshlrev_b32_e32 v15, 8, v12
	v_and_b32_e32 v2, 0xfc00, v2
	v_cndmask_b32_e64 v11, v11, v14, s[0:1]
	v_and_or_b32 v2, v15, s29, v2
	v_lshl_or_b32 v11, v11, 7, v2
.LBB262_190:                            ;   in Loop: Header=BB262_136 Depth=1
	s_or_b64 exec, exec, s[22:23]
.LBB262_191:                            ;   in Loop: Header=BB262_136 Depth=1
	s_or_b64 exec, exec, s[14:15]
.LBB262_192:                            ;   in Loop: Header=BB262_136 Depth=1
	s_or_b64 exec, exec, s[12:13]
	v_lshrrev_b16_e32 v2, 8, v12
	v_cmp_ne_u16_e64 s[0:1], 0, v2
	s_and_saveexec_b64 s[12:13], s[0:1]
	s_cbranch_execz .LBB262_198
; %bb.193:                              ;   in Loop: Header=BB262_136 Depth=1
	v_cmp_ne_u16_e64 s[0:1], s24, v2
	v_bfrev_b32_e32 v1, 1
	s_and_saveexec_b64 s[14:15], s[0:1]
	s_cbranch_execz .LBB262_197
; %bb.194:                              ;   in Loop: Header=BB262_136 Depth=1
	v_and_b32_e32 v14, 0x7f, v2
	v_cmp_ne_u32_e64 s[0:1], s25, v14
	v_mov_b32_e32 v1, 0x7c010000
	s_and_saveexec_b64 s[22:23], s[0:1]
	s_cbranch_execz .LBB262_196
; %bb.195:                              ;   in Loop: Header=BB262_136 Depth=1
	v_and_b32_e32 v1, 7, v2
	v_ffbh_u32_e32 v16, v1
	v_min_u32_e32 v18, 32, v16
	v_subrev_u32_e32 v16, 28, v18
	v_lshlrev_b64 v[16:17], v16, v[2:3]
	v_lshrrev_b32_e32 v15, 3, v14
	v_sub_u32_e32 v17, 29, v18
	v_cmp_gt_u32_e64 s[0:1], 8, v14
	v_lshlrev_b32_e32 v2, 8, v2
	s_nop 0
	v_cndmask_b32_e64 v14, v15, v17, s[0:1]
	v_lshl_add_u32 v14, v14, 10, v29
	v_and_b32_e32 v15, 7, v16
	v_and_or_b32 v2, v2, s29, v14
	v_cndmask_b32_e64 v1, v1, v15, s[0:1]
	v_lshlrev_b32_e32 v2, 16, v2
	v_lshl_or_b32 v1, v1, 23, v2
.LBB262_196:                            ;   in Loop: Header=BB262_136 Depth=1
	s_or_b64 exec, exec, s[22:23]
.LBB262_197:                            ;   in Loop: Header=BB262_136 Depth=1
	s_or_b64 exec, exec, s[14:15]
.LBB262_198:                            ;   in Loop: Header=BB262_136 Depth=1
	s_or_b64 exec, exec, s[12:13]
	v_lshrrev_b32_e32 v2, 16, v12
	v_cmp_ne_u16_sdwa s[0:1], v2, v3 src0_sel:BYTE_0 src1_sel:DWORD
	v_mov_b32_e32 v15, 0
	v_mov_b32_e32 v14, 0
	s_and_saveexec_b64 s[12:13], s[0:1]
	s_cbranch_execz .LBB262_204
; %bb.199:                              ;   in Loop: Header=BB262_136 Depth=1
	v_cmp_ne_u16_sdwa s[0:1], v2, s24 src0_sel:BYTE_0 src1_sel:DWORD
	v_mov_b32_e32 v14, 0x8000
	s_and_saveexec_b64 s[14:15], s[0:1]
	s_cbranch_execz .LBB262_203
; %bb.200:                              ;   in Loop: Header=BB262_136 Depth=1
	v_bfe_u32 v16, v12, 16, 7
	v_cmp_ne_u32_e64 s[0:1], s25, v16
	v_mov_b32_e32 v14, 0x7c01
	s_and_saveexec_b64 s[22:23], s[0:1]
	s_cbranch_execz .LBB262_202
; %bb.201:                              ;   in Loop: Header=BB262_136 Depth=1
	v_and_b32_e32 v14, 7, v2
	v_ffbh_u32_e32 v18, v14
	v_min_u32_e32 v41, 32, v18
	v_subrev_u32_e32 v18, 28, v41
	v_lshlrev_b64 v[18:19], v18, v[2:3]
	v_lshrrev_b32_e32 v17, 3, v16
	v_sub_u32_e32 v19, 29, v41
	v_cmp_gt_u32_e64 s[0:1], 8, v16
	v_lshlrev_b32_e32 v2, 8, v2
	s_nop 0
	v_cndmask_b32_e64 v16, v17, v19, s[0:1]
	v_lshl_add_u32 v16, v16, 10, v29
	v_and_b32_e32 v17, 7, v18
	v_and_b32_e32 v16, 0xfc00, v16
	v_cndmask_b32_e64 v14, v14, v17, s[0:1]
	v_and_or_b32 v2, v2, s29, v16
	v_lshl_or_b32 v14, v14, 7, v2
.LBB262_202:                            ;   in Loop: Header=BB262_136 Depth=1
	s_or_b64 exec, exec, s[22:23]
.LBB262_203:                            ;   in Loop: Header=BB262_136 Depth=1
	s_or_b64 exec, exec, s[14:15]
.LBB262_204:                            ;   in Loop: Header=BB262_136 Depth=1
	s_or_b64 exec, exec, s[12:13]
	v_cmp_lt_u32_e64 s[0:1], s7, v12
	s_and_saveexec_b64 s[12:13], s[0:1]
	s_cbranch_execz .LBB262_210
; %bb.205:                              ;   in Loop: Header=BB262_136 Depth=1
	v_lshrrev_b32_e32 v2, 24, v12
	v_cmp_ne_u32_e64 s[0:1], s24, v2
	v_bfrev_b32_e32 v15, 1
	s_and_saveexec_b64 s[14:15], s[0:1]
	s_cbranch_execz .LBB262_209
; %bb.206:                              ;   in Loop: Header=BB262_136 Depth=1
	v_and_b32_e32 v16, 0x7f, v2
	v_cmp_ne_u32_e64 s[0:1], s25, v16
	v_mov_b32_e32 v15, 0x7c010000
	s_and_saveexec_b64 s[22:23], s[0:1]
	s_cbranch_execz .LBB262_208
; %bb.207:                              ;   in Loop: Header=BB262_136 Depth=1
	v_and_b32_e32 v15, 7, v2
	v_ffbh_u32_e32 v18, v15
	v_min_u32_e32 v41, 32, v18
	v_subrev_u32_e32 v18, 28, v41
	v_lshlrev_b64 v[18:19], v18, v[2:3]
	v_lshrrev_b32_e32 v17, 3, v16
	v_sub_u32_e32 v19, 29, v41
	v_cmp_gt_u32_e64 s[0:1], 8, v16
	v_lshlrev_b32_e32 v2, 8, v2
	s_nop 0
	v_cndmask_b32_e64 v16, v17, v19, s[0:1]
	v_lshl_add_u32 v16, v16, 10, v29
	v_and_b32_e32 v17, 7, v18
	v_and_or_b32 v2, v2, s29, v16
	v_cndmask_b32_e64 v15, v15, v17, s[0:1]
	v_lshlrev_b32_e32 v2, 16, v2
	v_lshl_or_b32 v15, v15, 23, v2
.LBB262_208:                            ;   in Loop: Header=BB262_136 Depth=1
	s_or_b64 exec, exec, s[22:23]
.LBB262_209:                            ;   in Loop: Header=BB262_136 Depth=1
	s_or_b64 exec, exec, s[14:15]
.LBB262_210:                            ;   in Loop: Header=BB262_136 Depth=1
	s_or_b64 exec, exec, s[12:13]
	v_mov_b32_e32 v2, v13
	v_cmp_ne_u16_sdwa s[0:1], v13, v3 src0_sel:BYTE_0 src1_sel:DWORD
	v_mov_b32_e32 v16, 0
	v_mov_b32_e32 v17, 0
	s_and_saveexec_b64 s[12:13], s[0:1]
	s_cbranch_execz .LBB262_216
; %bb.211:                              ;   in Loop: Header=BB262_136 Depth=1
	v_cmp_ne_u16_sdwa s[0:1], v13, s24 src0_sel:BYTE_0 src1_sel:DWORD
	v_mov_b32_e32 v17, 0x8000
	s_and_saveexec_b64 s[14:15], s[0:1]
	s_cbranch_execz .LBB262_215
; %bb.212:                              ;   in Loop: Header=BB262_136 Depth=1
	v_and_b32_e32 v18, 0x7f, v13
	v_cmp_ne_u32_e64 s[0:1], s25, v18
	v_mov_b32_e32 v17, 0x7c01
	s_and_saveexec_b64 s[22:23], s[0:1]
	s_cbranch_execz .LBB262_214
; %bb.213:                              ;   in Loop: Header=BB262_136 Depth=1
	v_and_b32_e32 v17, 7, v13
	v_ffbh_u32_e32 v41, v17
	v_min_u32_e32 v41, 32, v41
	v_lshrrev_b32_e32 v19, 3, v18
	v_subrev_u32_e32 v42, 28, v41
	v_sub_u32_e32 v41, 29, v41
	v_cmp_gt_u32_e64 s[0:1], 8, v18
	v_lshlrev_b64 v[42:43], v42, v[2:3]
	s_nop 0
	v_cndmask_b32_e64 v18, v19, v41, s[0:1]
	v_lshl_add_u32 v18, v18, 10, v29
	v_lshlrev_b32_e32 v19, 8, v13
	v_and_b32_e32 v41, 7, v42
	v_and_b32_e32 v18, 0xfc00, v18
	v_cndmask_b32_e64 v17, v17, v41, s[0:1]
	v_and_or_b32 v18, v19, s29, v18
	v_lshl_or_b32 v17, v17, 7, v18
.LBB262_214:                            ;   in Loop: Header=BB262_136 Depth=1
	s_or_b64 exec, exec, s[22:23]
.LBB262_215:                            ;   in Loop: Header=BB262_136 Depth=1
	s_or_b64 exec, exec, s[14:15]
.LBB262_216:                            ;   in Loop: Header=BB262_136 Depth=1
	s_or_b64 exec, exec, s[12:13]
	v_lshrrev_b16_e32 v2, 8, v2
	v_cmp_ne_u16_e64 s[0:1], 0, v2
	v_mov_b32_e32 v18, 0
	s_and_saveexec_b64 s[12:13], s[0:1]
	s_cbranch_execz .LBB262_222
; %bb.217:                              ;   in Loop: Header=BB262_136 Depth=1
	v_cmp_ne_u16_e64 s[0:1], s24, v2
	v_bfrev_b32_e32 v18, 1
	s_and_saveexec_b64 s[14:15], s[0:1]
	s_cbranch_execz .LBB262_221
; %bb.218:                              ;   in Loop: Header=BB262_136 Depth=1
	v_and_b32_e32 v19, 0x7f, v2
	v_cmp_ne_u32_e64 s[0:1], s25, v19
	v_mov_b32_e32 v18, 0x7c010000
	s_and_saveexec_b64 s[22:23], s[0:1]
	s_cbranch_execz .LBB262_220
; %bb.219:                              ;   in Loop: Header=BB262_136 Depth=1
	v_and_b32_e32 v18, 7, v2
	v_ffbh_u32_e32 v42, v18
	v_min_u32_e32 v44, 32, v42
	v_subrev_u32_e32 v42, 28, v44
	v_lshlrev_b64 v[42:43], v42, v[2:3]
	v_lshrrev_b32_e32 v41, 3, v19
	v_sub_u32_e32 v43, 29, v44
	v_cmp_gt_u32_e64 s[0:1], 8, v19
	v_lshlrev_b32_e32 v2, 8, v2
	s_nop 0
	v_cndmask_b32_e64 v19, v41, v43, s[0:1]
	v_lshl_add_u32 v19, v19, 10, v29
	v_and_b32_e32 v41, 7, v42
	v_and_or_b32 v2, v2, s29, v19
	v_cndmask_b32_e64 v18, v18, v41, s[0:1]
	v_lshlrev_b32_e32 v2, 16, v2
	v_lshl_or_b32 v18, v18, 23, v2
.LBB262_220:                            ;   in Loop: Header=BB262_136 Depth=1
	s_or_b64 exec, exec, s[22:23]
.LBB262_221:                            ;   in Loop: Header=BB262_136 Depth=1
	s_or_b64 exec, exec, s[14:15]
.LBB262_222:                            ;   in Loop: Header=BB262_136 Depth=1
	s_or_b64 exec, exec, s[12:13]
	v_lshrrev_b32_e32 v2, 16, v13
	v_cmp_ne_u16_sdwa s[0:1], v2, v3 src0_sel:BYTE_0 src1_sel:DWORD
	s_and_saveexec_b64 s[12:13], s[0:1]
	s_cbranch_execz .LBB262_228
; %bb.223:                              ;   in Loop: Header=BB262_136 Depth=1
	v_cmp_ne_u16_sdwa s[0:1], v2, s24 src0_sel:BYTE_0 src1_sel:DWORD
	v_mov_b32_e32 v16, 0x8000
	s_and_saveexec_b64 s[14:15], s[0:1]
	s_cbranch_execz .LBB262_227
; %bb.224:                              ;   in Loop: Header=BB262_136 Depth=1
	v_bfe_u32 v19, v13, 16, 7
	v_cmp_ne_u32_e64 s[0:1], s25, v19
	v_mov_b32_e32 v16, 0x7c01
	s_and_saveexec_b64 s[22:23], s[0:1]
	s_cbranch_execz .LBB262_226
; %bb.225:                              ;   in Loop: Header=BB262_136 Depth=1
	v_and_b32_e32 v16, 7, v2
	v_ffbh_u32_e32 v42, v16
	v_min_u32_e32 v44, 32, v42
	v_subrev_u32_e32 v42, 28, v44
	v_lshlrev_b64 v[42:43], v42, v[2:3]
	v_lshrrev_b32_e32 v41, 3, v19
	v_sub_u32_e32 v43, 29, v44
	v_cmp_gt_u32_e64 s[0:1], 8, v19
	v_lshlrev_b32_e32 v2, 8, v2
	s_nop 0
	v_cndmask_b32_e64 v19, v41, v43, s[0:1]
	v_lshl_add_u32 v19, v19, 10, v29
	v_and_b32_e32 v41, 7, v42
	v_and_b32_e32 v19, 0xfc00, v19
	v_cndmask_b32_e64 v16, v16, v41, s[0:1]
	v_and_or_b32 v2, v2, s29, v19
	v_lshl_or_b32 v16, v16, 7, v2
.LBB262_226:                            ;   in Loop: Header=BB262_136 Depth=1
	s_or_b64 exec, exec, s[22:23]
.LBB262_227:                            ;   in Loop: Header=BB262_136 Depth=1
	s_or_b64 exec, exec, s[14:15]
.LBB262_228:                            ;   in Loop: Header=BB262_136 Depth=1
	s_or_b64 exec, exec, s[12:13]
	v_cmp_lt_u64_e64 s[0:1], s[6:7], v[12:13]
	v_mov_b32_e32 v12, 0
	s_and_saveexec_b64 s[12:13], s[0:1]
	s_cbranch_execz .LBB262_234
; %bb.229:                              ;   in Loop: Header=BB262_136 Depth=1
	v_lshrrev_b32_e32 v2, 24, v13
	v_cmp_ne_u32_e64 s[0:1], s24, v2
	v_bfrev_b32_e32 v12, 1
	s_and_saveexec_b64 s[14:15], s[0:1]
	s_cbranch_execz .LBB262_233
; %bb.230:                              ;   in Loop: Header=BB262_136 Depth=1
	v_and_b32_e32 v13, 0x7f, v2
	v_cmp_ne_u32_e64 s[0:1], s25, v13
	v_mov_b32_e32 v12, 0x7c010000
	s_and_saveexec_b64 s[22:23], s[0:1]
	s_cbranch_execz .LBB262_232
; %bb.231:                              ;   in Loop: Header=BB262_136 Depth=1
	v_and_b32_e32 v12, 7, v2
	v_ffbh_u32_e32 v41, v12
	v_min_u32_e32 v41, 32, v41
	v_lshrrev_b32_e32 v19, 3, v13
	v_subrev_u32_e32 v42, 28, v41
	v_sub_u32_e32 v41, 29, v41
	v_cmp_gt_u32_e64 s[0:1], 8, v13
	v_lshlrev_b64 v[42:43], v42, v[2:3]
	v_lshlrev_b32_e32 v2, 8, v2
	v_cndmask_b32_e64 v13, v19, v41, s[0:1]
	v_lshl_add_u32 v13, v13, 10, v29
	v_and_b32_e32 v19, 7, v42
	v_and_or_b32 v2, v2, s29, v13
	v_cndmask_b32_e64 v12, v12, v19, s[0:1]
	v_lshlrev_b32_e32 v2, 16, v2
	v_lshl_or_b32 v12, v12, 23, v2
.LBB262_232:                            ;   in Loop: Header=BB262_136 Depth=1
	s_or_b64 exec, exec, s[22:23]
.LBB262_233:                            ;   in Loop: Header=BB262_136 Depth=1
	s_or_b64 exec, exec, s[14:15]
.LBB262_234:                            ;   in Loop: Header=BB262_136 Depth=1
	s_or_b64 exec, exec, s[12:13]
	v_cvt_f32_f16_sdwa v43, v1 dst_sel:DWORD dst_unused:UNUSED_PAD src0_sel:WORD_1
	v_cvt_f32_f16_sdwa v42, v15 dst_sel:DWORD dst_unused:UNUSED_PAD src0_sel:WORD_1
	v_or_b32_e32 v1, v1, v11
	v_or_b32_e32 v2, v15, v14
	;; [unrolled: 1-line block ×3, first 2 shown]
	s_waitcnt vmcnt(0)
	v_pk_mul_f32 v[14:15], v[10:11], v[42:43] op_sel_hi:[0,1]
	v_cvt_f32_f16_e32 v42, v2
	v_cvt_f32_f16_e32 v43, v1
	v_cvt_pk_f16_f32 v1, v14, v15
	v_and_b32_e32 v11, 0xffff0000, v1
	v_lshlrev_b32_e32 v2, 16, v1
	v_pk_mul_f32 v[14:15], v[10:11], v[42:43] op_sel_hi:[0,1]
	v_cvt_pk_f16_f32 v1, v14, v15
	v_or_b32_e32 v15, v18, v17
	v_cvt_f32_f16_e32 v16, v16
	v_cvt_f32_f16_e32 v17, v15
	v_cvt_f32_f16_sdwa v19, v18 dst_sel:DWORD dst_unused:UNUSED_PAD src0_sel:WORD_1
	v_cvt_f32_f16_sdwa v18, v12 dst_sel:DWORD dst_unused:UNUSED_PAD src0_sel:WORD_1
	v_lshrrev_b32_e32 v13, 16, v1
	v_pk_mul_f32 v[16:17], v[10:11], v[16:17] op_sel_hi:[0,1]
	v_cvt_pk_f16_f32 v41, v16, v17
	v_pk_mul_f32 v[16:17], v[10:11], v[18:19] op_sel_hi:[0,1]
	v_cvt_pk_f16_f32 v10, v16, v17
	v_and_b32_e32 v14, 0xffff, v1
	v_and_b32_e32 v15, 0xffff0000, v10
	v_lshlrev_b32_e32 v10, 16, v10
	v_lshrrev_b32_e32 v17, 16, v41
	v_and_b32_e32 v16, 0xffff, v41
	v_or_b32_e32 v1, v11, v13
	v_or_b32_e32 v12, v2, v14
	;; [unrolled: 1-line block ×4, first 2 shown]
	s_and_saveexec_b64 s[0:1], vcc
	s_cbranch_execz .LBB262_135
; %bb.235:                              ;   in Loop: Header=BB262_136 Depth=1
	v_cmp_gt_i32_e32 vcc, s27, v27
	s_nop 1
	v_cndmask_b32_e32 v1, 0, v13, vcc
	v_cmp_gt_i32_e32 vcc, s33, v36
	s_nop 1
	v_cndmask_b32_e32 v12, 0, v14, vcc
	;; [unrolled: 3-line block ×3, first 2 shown]
	v_cmp_gt_i32_e32 vcc, s33, v34
	v_or_b32_e32 v1, v11, v1
	s_nop 0
	v_cndmask_b32_e32 v2, 0, v2, vcc
	v_cmp_gt_i32_e32 vcc, s27, v33
	v_or_b32_e32 v12, v2, v12
	s_nop 0
	v_cndmask_b32_e32 v2, 0, v17, vcc
	v_cmp_gt_i32_e32 vcc, s33, v32
	s_nop 1
	v_cndmask_b32_e32 v11, 0, v16, vcc
	v_cmp_gt_i32_e32 vcc, s27, v31
	;; [unrolled: 3-line block ×3, first 2 shown]
	v_or_b32_e32 v19, v13, v2
	s_nop 0
	v_cndmask_b32_e32 v10, 0, v10, vcc
	v_or_b32_e32 v18, v10, v11
	s_branch .LBB262_135
.LBB262_236:
	s_or_b64 exec, exec, s[8:9]
.LBB262_237:
	s_or_b64 exec, exec, s[2:3]
	ds_bpermute_b32 v2, v24, v6
	ds_bpermute_b32 v3, v24, v7
	v_and_b32_e32 v1, 0x3c3, v0
	v_cmp_eq_u32_e32 vcc, 64, v1
	s_waitcnt lgkmcnt(0)
	s_barrier
	v_pk_add_f32 v[2:3], v[6:7], v[2:3]
	ds_bpermute_b32 v4, v25, v2
	ds_bpermute_b32 v5, v25, v3
	s_waitcnt lgkmcnt(0)
	v_pk_add_f32 v[2:3], v[2:3], v[4:5]
	s_and_saveexec_b64 s[0:1], vcc
; %bb.238:
	v_add_u32_e32 v4, 0x50, v23
	ds_write2_b32 v4, v2, v3 offset1:16
; %bb.239:
	s_or_b64 exec, exec, s[0:1]
	v_cmp_gt_u32_e32 vcc, 64, v0
	v_lshrrev_b32_e32 v0, 2, v0
	s_waitcnt lgkmcnt(0)
	s_barrier
	s_and_saveexec_b64 s[0:1], vcc
	s_cbranch_execz .LBB262_245
; %bb.240:
	v_mov_b32_e32 v4, 0x50
	v_cmp_eq_u32_e32 vcc, 0, v26
	v_lshl_add_u32 v4, v0, 2, v4
	s_and_saveexec_b64 s[2:3], vcc
	s_cbranch_execz .LBB262_242
; %bb.241:
	ds_read_b32 v5, v4
	s_waitcnt lgkmcnt(0)
	v_add_f32_e32 v2, v2, v5
.LBB262_242:
	s_or_b64 exec, exec, s[2:3]
	s_and_saveexec_b64 s[2:3], vcc
	s_cbranch_execz .LBB262_244
; %bb.243:
	ds_read_b32 v4, v4 offset:64
	s_waitcnt lgkmcnt(0)
	v_add_f32_e32 v3, v3, v4
.LBB262_244:
	s_or_b64 exec, exec, s[2:3]
.LBB262_245:
	s_or_b64 exec, exec, s[0:1]
	v_cmp_eq_u32_e32 vcc, 0, v1
	s_barrier
	s_and_saveexec_b64 s[0:1], vcc
	s_cbranch_execz .LBB262_247
; %bb.246:
	s_mul_i32 s0, s16, s17
	s_mul_i32 s0, s0, s5
	s_lshl_b32 s0, s0, 5
	s_ashr_i32 s1, s0, 31
	s_lshl_b64 s[0:1], s[0:1], 1
	s_add_u32 s2, s20, s0
	s_mul_i32 s0, s17, s18
	s_addc_u32 s3, s21, s1
	s_ashr_i32 s1, s0, 31
	s_lshl_b64 s[0:1], s[0:1], 1
	s_add_u32 s2, s2, s0
	s_addc_u32 s3, s3, s1
	s_lshl_b32 s0, s4, 5
	s_ashr_i32 s1, s0, 31
	s_lshl_b64 s[0:1], s[0:1], 1
	s_add_u32 s0, s2, s0
	s_addc_u32 s1, s3, s1
	v_lshlrev_b32_e32 v0, 1, v0
	;;#ASMSTART
	v_cvt_f16_f32 v1, v2;

	;;#ASMEND
	global_store_short v0, v1, s[0:1]
	;;#ASMSTART
	v_cvt_f16_f32 v1, v3;

	;;#ASMEND
	global_store_short v0, v1, s[0:1] offset:32
.LBB262_247:
	s_endpgm
	.section	.rodata,"a",@progbits
	.p2align	6, 0x0
	.amdhsa_kernel _ZN4vllm25paged_attention_v1_kernelIthLi32ELi32ELi128ELNS_18Fp8KVCacheDataTypeE1ELb0EEEvPT_PKS2_PKT0_S8_ifPKiSA_iPKfiiiSC_SC_iiiii
		.amdhsa_group_segment_fixed_size 80
		.amdhsa_private_segment_fixed_size 0
		.amdhsa_kernarg_size 384
		.amdhsa_user_sgpr_count 2
		.amdhsa_user_sgpr_dispatch_ptr 0
		.amdhsa_user_sgpr_queue_ptr 0
		.amdhsa_user_sgpr_kernarg_segment_ptr 1
		.amdhsa_user_sgpr_dispatch_id 0
		.amdhsa_user_sgpr_kernarg_preload_length 0
		.amdhsa_user_sgpr_kernarg_preload_offset 0
		.amdhsa_user_sgpr_private_segment_size 0
		.amdhsa_uses_dynamic_stack 0
		.amdhsa_enable_private_segment 0
		.amdhsa_system_sgpr_workgroup_id_x 1
		.amdhsa_system_sgpr_workgroup_id_y 1
		.amdhsa_system_sgpr_workgroup_id_z 1
		.amdhsa_system_sgpr_workgroup_info 0
		.amdhsa_system_vgpr_workitem_id 0
		.amdhsa_next_free_vgpr 45
		.amdhsa_next_free_sgpr 46
		.amdhsa_accum_offset 48
		.amdhsa_reserve_vcc 1
		.amdhsa_float_round_mode_32 0
		.amdhsa_float_round_mode_16_64 0
		.amdhsa_float_denorm_mode_32 3
		.amdhsa_float_denorm_mode_16_64 3
		.amdhsa_dx10_clamp 1
		.amdhsa_ieee_mode 1
		.amdhsa_fp16_overflow 0
		.amdhsa_tg_split 0
		.amdhsa_exception_fp_ieee_invalid_op 0
		.amdhsa_exception_fp_denorm_src 0
		.amdhsa_exception_fp_ieee_div_zero 0
		.amdhsa_exception_fp_ieee_overflow 0
		.amdhsa_exception_fp_ieee_underflow 0
		.amdhsa_exception_fp_ieee_inexact 0
		.amdhsa_exception_int_div_zero 0
	.end_amdhsa_kernel
	.section	.text._ZN4vllm25paged_attention_v1_kernelIthLi32ELi32ELi128ELNS_18Fp8KVCacheDataTypeE1ELb0EEEvPT_PKS2_PKT0_S8_ifPKiSA_iPKfiiiSC_SC_iiiii,"axG",@progbits,_ZN4vllm25paged_attention_v1_kernelIthLi32ELi32ELi128ELNS_18Fp8KVCacheDataTypeE1ELb0EEEvPT_PKS2_PKT0_S8_ifPKiSA_iPKfiiiSC_SC_iiiii,comdat
.Lfunc_end262:
	.size	_ZN4vllm25paged_attention_v1_kernelIthLi32ELi32ELi128ELNS_18Fp8KVCacheDataTypeE1ELb0EEEvPT_PKS2_PKT0_S8_ifPKiSA_iPKfiiiSC_SC_iiiii, .Lfunc_end262-_ZN4vllm25paged_attention_v1_kernelIthLi32ELi32ELi128ELNS_18Fp8KVCacheDataTypeE1ELb0EEEvPT_PKS2_PKT0_S8_ifPKiSA_iPKfiiiSC_SC_iiiii
                                        ; -- End function
	.set _ZN4vllm25paged_attention_v1_kernelIthLi32ELi32ELi128ELNS_18Fp8KVCacheDataTypeE1ELb0EEEvPT_PKS2_PKT0_S8_ifPKiSA_iPKfiiiSC_SC_iiiii.num_vgpr, 45
	.set _ZN4vllm25paged_attention_v1_kernelIthLi32ELi32ELi128ELNS_18Fp8KVCacheDataTypeE1ELb0EEEvPT_PKS2_PKT0_S8_ifPKiSA_iPKfiiiSC_SC_iiiii.num_agpr, 0
	.set _ZN4vllm25paged_attention_v1_kernelIthLi32ELi32ELi128ELNS_18Fp8KVCacheDataTypeE1ELb0EEEvPT_PKS2_PKT0_S8_ifPKiSA_iPKfiiiSC_SC_iiiii.numbered_sgpr, 46
	.set _ZN4vllm25paged_attention_v1_kernelIthLi32ELi32ELi128ELNS_18Fp8KVCacheDataTypeE1ELb0EEEvPT_PKS2_PKT0_S8_ifPKiSA_iPKfiiiSC_SC_iiiii.num_named_barrier, 0
	.set _ZN4vllm25paged_attention_v1_kernelIthLi32ELi32ELi128ELNS_18Fp8KVCacheDataTypeE1ELb0EEEvPT_PKS2_PKT0_S8_ifPKiSA_iPKfiiiSC_SC_iiiii.private_seg_size, 0
	.set _ZN4vllm25paged_attention_v1_kernelIthLi32ELi32ELi128ELNS_18Fp8KVCacheDataTypeE1ELb0EEEvPT_PKS2_PKT0_S8_ifPKiSA_iPKfiiiSC_SC_iiiii.uses_vcc, 1
	.set _ZN4vllm25paged_attention_v1_kernelIthLi32ELi32ELi128ELNS_18Fp8KVCacheDataTypeE1ELb0EEEvPT_PKS2_PKT0_S8_ifPKiSA_iPKfiiiSC_SC_iiiii.uses_flat_scratch, 0
	.set _ZN4vllm25paged_attention_v1_kernelIthLi32ELi32ELi128ELNS_18Fp8KVCacheDataTypeE1ELb0EEEvPT_PKS2_PKT0_S8_ifPKiSA_iPKfiiiSC_SC_iiiii.has_dyn_sized_stack, 0
	.set _ZN4vllm25paged_attention_v1_kernelIthLi32ELi32ELi128ELNS_18Fp8KVCacheDataTypeE1ELb0EEEvPT_PKS2_PKT0_S8_ifPKiSA_iPKfiiiSC_SC_iiiii.has_recursion, 0
	.set _ZN4vllm25paged_attention_v1_kernelIthLi32ELi32ELi128ELNS_18Fp8KVCacheDataTypeE1ELb0EEEvPT_PKS2_PKT0_S8_ifPKiSA_iPKfiiiSC_SC_iiiii.has_indirect_call, 0
	.section	.AMDGPU.csdata,"",@progbits
; Kernel info:
; codeLenInByte = 11148
; TotalNumSgprs: 52
; NumVgprs: 45
; NumAgprs: 0
; TotalNumVgprs: 45
; ScratchSize: 0
; MemoryBound: 0
; FloatMode: 240
; IeeeMode: 1
; LDSByteSize: 80 bytes/workgroup (compile time only)
; SGPRBlocks: 6
; VGPRBlocks: 5
; NumSGPRsForWavesPerEU: 52
; NumVGPRsForWavesPerEU: 45
; AccumOffset: 48
; Occupancy: 8
; WaveLimiterHint : 1
; COMPUTE_PGM_RSRC2:SCRATCH_EN: 0
; COMPUTE_PGM_RSRC2:USER_SGPR: 2
; COMPUTE_PGM_RSRC2:TRAP_HANDLER: 0
; COMPUTE_PGM_RSRC2:TGID_X_EN: 1
; COMPUTE_PGM_RSRC2:TGID_Y_EN: 1
; COMPUTE_PGM_RSRC2:TGID_Z_EN: 1
; COMPUTE_PGM_RSRC2:TIDIG_COMP_CNT: 0
; COMPUTE_PGM_RSRC3_GFX90A:ACCUM_OFFSET: 11
; COMPUTE_PGM_RSRC3_GFX90A:TG_SPLIT: 0
	.section	.text._ZN4vllm25paged_attention_v1_kernelIthLi64ELi32ELi128ELNS_18Fp8KVCacheDataTypeE1ELb0EEEvPT_PKS2_PKT0_S8_ifPKiSA_iPKfiiiSC_SC_iiiii,"axG",@progbits,_ZN4vllm25paged_attention_v1_kernelIthLi64ELi32ELi128ELNS_18Fp8KVCacheDataTypeE1ELb0EEEvPT_PKS2_PKT0_S8_ifPKiSA_iPKfiiiSC_SC_iiiii,comdat
	.protected	_ZN4vllm25paged_attention_v1_kernelIthLi64ELi32ELi128ELNS_18Fp8KVCacheDataTypeE1ELb0EEEvPT_PKS2_PKT0_S8_ifPKiSA_iPKfiiiSC_SC_iiiii ; -- Begin function _ZN4vllm25paged_attention_v1_kernelIthLi64ELi32ELi128ELNS_18Fp8KVCacheDataTypeE1ELb0EEEvPT_PKS2_PKT0_S8_ifPKiSA_iPKfiiiSC_SC_iiiii
	.globl	_ZN4vllm25paged_attention_v1_kernelIthLi64ELi32ELi128ELNS_18Fp8KVCacheDataTypeE1ELb0EEEvPT_PKS2_PKT0_S8_ifPKiSA_iPKfiiiSC_SC_iiiii
	.p2align	8
	.type	_ZN4vllm25paged_attention_v1_kernelIthLi64ELi32ELi128ELNS_18Fp8KVCacheDataTypeE1ELb0EEEvPT_PKS2_PKT0_S8_ifPKiSA_iPKfiiiSC_SC_iiiii,@function
_ZN4vllm25paged_attention_v1_kernelIthLi64ELi32ELi128ELNS_18Fp8KVCacheDataTypeE1ELb0EEEvPT_PKS2_PKT0_S8_ifPKiSA_iPKfiiiSC_SC_iiiii: ; @_ZN4vllm25paged_attention_v1_kernelIthLi64ELi32ELi128ELNS_18Fp8KVCacheDataTypeE1ELb0EEEvPT_PKS2_PKT0_S8_ifPKiSA_iPKfiiiSC_SC_iiiii
; %bb.0:
	s_load_dword s5, s[0:1], 0x80
	s_load_dwordx2 s[6:7], s[0:1], 0x30
	s_load_dwordx2 s[28:29], s[0:1], 0x20
	s_mov_b32 s16, s3
	s_ashr_i32 s17, s3, 31
	s_lshl_b64 s[8:9], s[16:17], 2
	s_waitcnt lgkmcnt(0)
	s_add_u32 s6, s6, s8
	s_addc_u32 s7, s7, s9
	s_abs_i32 s3, s28
	v_cvt_f32_u32_e32 v1, s3
	s_sub_i32 s10, 0, s3
	s_abs_i32 s9, s5
	s_xor_b32 s8, s5, s28
	v_rcp_iflag_f32_e32 v1, v1
	s_ashr_i32 s8, s8, 31
	s_mov_b32 s28, 0
	v_mul_f32_e32 v1, 0x4f7ffffe, v1
	v_cvt_u32_f32_e32 v1, v1
	s_nop 0
	v_readfirstlane_b32 s11, v1
	s_mul_i32 s10, s10, s11
	s_mul_hi_u32 s10, s11, s10
	s_add_i32 s11, s11, s10
	s_mul_hi_u32 s10, s9, s11
	s_mul_i32 s11, s10, s3
	s_sub_i32 s9, s9, s11
	s_add_i32 s11, s10, 1
	s_sub_i32 s12, s9, s3
	s_cmp_ge_u32 s9, s3
	s_cselect_b32 s10, s11, s10
	s_cselect_b32 s9, s12, s9
	s_add_i32 s11, s10, 1
	s_cmp_ge_u32 s9, s3
	s_cselect_b32 s3, s11, s10
	s_xor_b32 s3, s3, s8
	s_sub_i32 s12, s3, s8
	s_abs_i32 s10, s12
	v_cvt_f32_u32_e32 v1, s10
	s_load_dwordx2 s[8:9], s[0:1], 0x40
	s_sub_i32 s3, 0, s10
	s_abs_i32 s11, s2
	v_rcp_iflag_f32_e32 v1, v1
	s_nop 0
	v_mul_f32_e32 v1, 0x4f7ffffe, v1
	v_cvt_u32_f32_e32 v1, v1
	s_nop 0
	v_readfirstlane_b32 s13, v1
	s_mul_i32 s3, s3, s13
	s_mul_hi_u32 s3, s13, s3
	s_add_i32 s13, s13, s3
	s_waitcnt lgkmcnt(0)
	s_cmp_eq_u64 s[8:9], 0
	s_mul_hi_u32 s17, s11, s13
	s_cbranch_scc1 .LBB263_2
; %bb.1:
	s_ashr_i32 s3, s2, 31
	s_lshl_b64 s[14:15], s[2:3], 2
	s_add_u32 s8, s8, s14
	s_addc_u32 s9, s9, s15
	s_load_dword s28, s[8:9], 0x0
.LBB263_2:
	s_load_dword s33, s[6:7], 0x0
	s_ashr_i32 s7, s12, 31
	s_load_dwordx4 s[12:15], s[0:1], 0x48
	s_ashr_i32 s6, s2, 31
	v_and_b32_e32 v4, 1, v0
	s_lshl_b32 s18, s2, 6
	v_cmp_gt_u32_e32 vcc, 16, v0
	v_lshlrev_b32_e32 v1, 3, v0
	s_and_saveexec_b64 s[2:3], vcc
	s_cbranch_execz .LBB263_4
; %bb.3:
	s_load_dwordx2 s[8:9], s[0:1], 0x8
	s_waitcnt lgkmcnt(0)
	s_mul_i32 s20, s12, s16
	s_ashr_i32 s21, s20, 31
	s_lshl_b64 s[20:21], s[20:21], 1
	v_lshlrev_b32_e32 v5, 2, v0
	s_add_u32 s12, s8, s20
	s_addc_u32 s15, s9, s21
	s_ashr_i32 s19, s18, 31
	s_lshl_b64 s[8:9], s[18:19], 1
	s_add_u32 s8, s12, s8
	s_addc_u32 s9, s15, s9
	global_load_dwordx2 v[2:3], v1, s[8:9]
	v_and_b32_e32 v5, 0xff8, v5
	v_lshl_add_u32 v5, v4, 6, v5
	s_waitcnt vmcnt(0)
	ds_write_b64 v5, v[2:3]
.LBB263_4:
	s_or_b64 exec, exec, s[2:3]
	s_waitcnt lgkmcnt(0)
	s_add_i32 s3, s33, 31
	s_ashr_i32 s8, s3, 31
	s_lshr_b32 s8, s8, 27
	s_add_i32 s3, s3, s8
	s_ashr_i32 s19, s3, 5
	s_xor_b32 s3, s6, s7
	s_mul_i32 s6, s17, s10
	s_sub_i32 s6, s11, s6
	s_add_i32 s7, s17, 1
	s_sub_i32 s8, s6, s10
	s_load_dwordx2 s[22:23], s[0:1], 0x28
	s_load_dword s2, s[0:1], 0x38
	s_cmp_ge_u32 s6, s10
	s_cselect_b32 s7, s7, s17
	s_cselect_b32 s6, s8, s6
	s_add_i32 s8, s7, 1
	s_cmp_ge_u32 s6, s10
	s_cselect_b32 s6, s8, s7
	v_lshrrev_b32_e32 v24, 6, v0
	s_xor_b32 s6, s6, s3
	s_waitcnt lgkmcnt(0)
	s_mul_i32 s24, s2, s16
	s_sub_i32 s12, s6, s3
	s_ashr_i32 s25, s24, 31
	v_cmp_gt_i32_e64 s[6:7], s19, v24
	v_cmp_le_i32_e32 vcc, s19, v24
	v_mbcnt_lo_u32_b32 v9, -1, 0
	s_barrier
                                        ; implicit-def: $vgpr12
                                        ; implicit-def: $vgpr2
                                        ; implicit-def: $vgpr8
	s_and_saveexec_b64 s[2:3], vcc
	s_xor_b64 s[2:3], exec, s[2:3]
; %bb.5:
	v_mbcnt_hi_u32_b32 v12, -1, v9
	v_and_b32_e32 v2, 64, v12
	v_add_u32_e32 v8, 64, v2
                                        ; implicit-def: $vgpr4
                                        ; implicit-def: $vgpr9
; %bb.6:
	s_or_saveexec_b64 s[30:31], s[2:3]
	s_load_dwordx2 s[20:21], s[0:1], 0x0
	s_load_dwordx2 s[26:27], s[0:1], 0x18
	s_load_dword s17, s[0:1], 0x88
	s_load_dwordx4 s[8:11], s[0:1], 0x58
	v_mov_b32_e32 v13, 0xff7fffff
	s_mul_i32 s12, s12, s14
	v_lshrrev_b32_e32 v11, 4, v0
	s_xor_b64 exec, exec, s[30:31]
	s_cbranch_execz .LBB263_204
; %bb.7:
	s_load_dwordx2 s[0:1], s[0:1], 0x10
	s_ashr_i32 s2, s12, 31
	v_bfe_u32 v8, v0, 1, 5
	v_lshlrev_b32_e32 v2, 4, v8
	v_mov_b32_e32 v3, 0
	s_waitcnt lgkmcnt(0)
	s_add_u32 s0, s0, s12
	s_addc_u32 s1, s1, s2
	v_lshl_add_u64 v[6:7], s[0:1], 0, v[2:3]
	v_lshlrev_b32_e32 v2, 2, v4
	v_lshlrev_b32_e32 v14, 6, v4
	v_cmp_eq_u32_e32 vcc, 0, v4
	v_lshl_add_u64 v[4:5], v[6:7], 0, v[2:3]
	s_sub_i32 s41, 1, s33
	v_lshlrev_b32_e32 v2, 2, v8
	s_lshl_b64 s[0:1], s[24:25], 2
	v_lshl_or_b32 v2, v24, 7, v2
	s_add_u32 s0, s22, s0
	v_add_u32_e32 v16, 0x90, v2
	v_and_b32_e32 v2, 60, v11
	s_addc_u32 s1, s23, s1
	s_mov_b32 s40, s13
	v_cmp_neq_f32_e64 s[2:3], s28, 0
	v_lshl_or_b32 v15, v24, 5, v8
	v_lshl_add_u64 v[6:7], s[0:1], 0, v[2:3]
	v_mov_b32_e32 v13, 0xff7fffff
	s_mov_b64 s[14:15], 0
	s_movk_i32 s42, 0x80
	s_movk_i32 s43, 0x7f
	s_mov_b32 s44, 0x8000
	s_mov_b32 s45, 0xffffff
	v_mbcnt_hi_u32_b32 v12, -1, v9
	v_mov_b32_e32 v17, 0x2000
	v_mov_b32_e32 v18, v24
	s_branch .LBB263_9
.LBB263_8:                              ;   in Loop: Header=BB263_9 Depth=1
	s_or_b64 exec, exec, s[34:35]
	v_add_u32_e32 v18, 2, v18
	v_cmp_le_i32_e64 s[0:1], s19, v18
	v_add_u32_e32 v15, 64, v15
	v_add_u32_e32 v16, 0x100, v16
	s_or_b64 s[14:15], s[0:1], s[14:15]
	v_lshl_add_u64 v[6:7], v[6:7], 0, 8
	s_andn2_b64 exec, exec, s[14:15]
	s_cbranch_execz .LBB263_203
.LBB263_9:                              ; =>This Inner Loop Header: Depth=1
	global_load_dword v2, v[6:7], off
	v_mov_b32_e32 v20, 0
	s_waitcnt vmcnt(0)
	v_mad_i64_i32 v[8:9], s[0:1], v2, s40, v[4:5]
	s_waitcnt lgkmcnt(0)
	global_load_dword v10, v[8:9], off
	global_load_dword v19, v3, s[8:9]
	s_waitcnt vmcnt(1)
	v_cmp_ne_u16_sdwa s[0:1], v10, v3 src0_sel:BYTE_0 src1_sel:DWORD
	s_and_saveexec_b64 s[34:35], s[0:1]
	s_cbranch_execz .LBB263_15
; %bb.10:                               ;   in Loop: Header=BB263_9 Depth=1
	v_cmp_ne_u16_sdwa s[0:1], v10, s42 src0_sel:BYTE_0 src1_sel:DWORD
	v_mov_b32_e32 v20, 0x8000
	s_and_saveexec_b64 s[36:37], s[0:1]
	s_cbranch_execz .LBB263_14
; %bb.11:                               ;   in Loop: Header=BB263_9 Depth=1
	v_and_b32_e32 v2, 0x7f, v10
	v_cmp_ne_u32_e64 s[0:1], s43, v2
	v_mov_b32_e32 v20, 0x7c01
	s_and_saveexec_b64 s[38:39], s[0:1]
	s_cbranch_execz .LBB263_13
; %bb.12:                               ;   in Loop: Header=BB263_9 Depth=1
	v_and_b32_e32 v22, 7, v10
	v_ffbh_u32_e32 v20, v22
	v_min_u32_e32 v25, 32, v20
	v_subrev_u32_e32 v20, 28, v25
	v_lshlrev_b64 v[20:21], v20, v[10:11]
	v_lshrrev_b32_e32 v23, 3, v2
	v_sub_u32_e32 v21, 29, v25
	v_cmp_gt_u32_e64 s[0:1], 8, v2
	v_and_b32_e32 v20, 7, v20
	s_nop 0
	v_cndmask_b32_e64 v2, v23, v21, s[0:1]
	v_lshl_add_u32 v2, v2, 10, v17
	v_lshlrev_b32_e32 v21, 8, v10
	v_and_b32_e32 v2, 0xfc00, v2
	v_cndmask_b32_e64 v20, v22, v20, s[0:1]
	v_and_or_b32 v2, v21, s44, v2
	v_lshl_or_b32 v20, v20, 7, v2
.LBB263_13:                             ;   in Loop: Header=BB263_9 Depth=1
	s_or_b64 exec, exec, s[38:39]
.LBB263_14:                             ;   in Loop: Header=BB263_9 Depth=1
	s_or_b64 exec, exec, s[36:37]
.LBB263_15:                             ;   in Loop: Header=BB263_9 Depth=1
	s_or_b64 exec, exec, s[34:35]
	v_lshrrev_b16_e32 v2, 8, v10
	v_cmp_ne_u16_e64 s[0:1], 0, v2
	v_mov_b32_e32 v21, 0
	v_mov_b32_e32 v22, 0
	s_and_saveexec_b64 s[34:35], s[0:1]
	s_cbranch_execz .LBB263_21
; %bb.16:                               ;   in Loop: Header=BB263_9 Depth=1
	v_cmp_ne_u16_e64 s[0:1], s42, v2
	v_bfrev_b32_e32 v22, 1
	s_and_saveexec_b64 s[36:37], s[0:1]
	s_cbranch_execz .LBB263_20
; %bb.17:                               ;   in Loop: Header=BB263_9 Depth=1
	v_and_b32_e32 v23, 0x7f, v2
	v_cmp_ne_u32_e64 s[0:1], s43, v23
	v_mov_b32_e32 v22, 0x7c010000
	s_and_saveexec_b64 s[38:39], s[0:1]
	s_cbranch_execz .LBB263_19
; %bb.18:                               ;   in Loop: Header=BB263_9 Depth=1
	v_and_b32_e32 v22, 7, v2
	v_ffbh_u32_e32 v26, v22
	v_min_u32_e32 v28, 32, v26
	v_subrev_u32_e32 v26, 28, v28
	v_lshlrev_b64 v[26:27], v26, v[2:3]
	v_lshrrev_b32_e32 v25, 3, v23
	v_sub_u32_e32 v27, 29, v28
	v_cmp_gt_u32_e64 s[0:1], 8, v23
	v_lshlrev_b32_e32 v2, 8, v2
	s_nop 0
	v_cndmask_b32_e64 v23, v25, v27, s[0:1]
	v_lshl_add_u32 v23, v23, 10, v17
	v_and_b32_e32 v25, 7, v26
	v_and_or_b32 v2, v2, s44, v23
	v_cndmask_b32_e64 v22, v22, v25, s[0:1]
	v_lshlrev_b32_e32 v2, 16, v2
	v_lshl_or_b32 v22, v22, 23, v2
.LBB263_19:                             ;   in Loop: Header=BB263_9 Depth=1
	s_or_b64 exec, exec, s[38:39]
.LBB263_20:                             ;   in Loop: Header=BB263_9 Depth=1
	s_or_b64 exec, exec, s[36:37]
.LBB263_21:                             ;   in Loop: Header=BB263_9 Depth=1
	s_or_b64 exec, exec, s[34:35]
	v_lshrrev_b32_e32 v2, 16, v10
	v_cmp_ne_u16_sdwa s[0:1], v2, v3 src0_sel:BYTE_0 src1_sel:DWORD
	s_and_saveexec_b64 s[34:35], s[0:1]
	s_cbranch_execz .LBB263_27
; %bb.22:                               ;   in Loop: Header=BB263_9 Depth=1
	v_cmp_ne_u16_sdwa s[0:1], v2, s42 src0_sel:BYTE_0 src1_sel:DWORD
	v_mov_b32_e32 v21, 0x8000
	s_and_saveexec_b64 s[36:37], s[0:1]
	s_cbranch_execz .LBB263_26
; %bb.23:                               ;   in Loop: Header=BB263_9 Depth=1
	v_bfe_u32 v23, v10, 16, 7
	v_cmp_ne_u32_e64 s[0:1], s43, v23
	v_mov_b32_e32 v21, 0x7c01
	s_and_saveexec_b64 s[38:39], s[0:1]
	s_cbranch_execz .LBB263_25
; %bb.24:                               ;   in Loop: Header=BB263_9 Depth=1
	v_and_b32_e32 v21, 7, v2
	v_ffbh_u32_e32 v26, v21
	v_min_u32_e32 v28, 32, v26
	v_subrev_u32_e32 v26, 28, v28
	v_lshlrev_b64 v[26:27], v26, v[2:3]
	v_lshrrev_b32_e32 v25, 3, v23
	v_sub_u32_e32 v27, 29, v28
	v_cmp_gt_u32_e64 s[0:1], 8, v23
	v_lshlrev_b32_e32 v2, 8, v2
	s_nop 0
	v_cndmask_b32_e64 v23, v25, v27, s[0:1]
	v_lshl_add_u32 v23, v23, 10, v17
	v_and_b32_e32 v25, 7, v26
	v_and_b32_e32 v23, 0xfc00, v23
	v_cndmask_b32_e64 v21, v21, v25, s[0:1]
	v_and_or_b32 v2, v2, s44, v23
	v_lshl_or_b32 v21, v21, 7, v2
.LBB263_25:                             ;   in Loop: Header=BB263_9 Depth=1
	s_or_b64 exec, exec, s[38:39]
.LBB263_26:                             ;   in Loop: Header=BB263_9 Depth=1
	s_or_b64 exec, exec, s[36:37]
.LBB263_27:                             ;   in Loop: Header=BB263_9 Depth=1
	s_or_b64 exec, exec, s[34:35]
	v_cmp_lt_u32_e64 s[0:1], s45, v10
	v_mov_b32_e32 v25, 0
	v_mov_b32_e32 v23, 0
	s_and_saveexec_b64 s[34:35], s[0:1]
	s_cbranch_execz .LBB263_33
; %bb.28:                               ;   in Loop: Header=BB263_9 Depth=1
	v_lshrrev_b32_e32 v2, 24, v10
	v_cmp_ne_u32_e64 s[0:1], s42, v2
	v_bfrev_b32_e32 v23, 1
	s_and_saveexec_b64 s[36:37], s[0:1]
	s_cbranch_execz .LBB263_32
; %bb.29:                               ;   in Loop: Header=BB263_9 Depth=1
	v_and_b32_e32 v10, 0x7f, v2
	v_cmp_ne_u32_e64 s[0:1], s43, v10
	v_mov_b32_e32 v23, 0x7c010000
	s_and_saveexec_b64 s[38:39], s[0:1]
	s_cbranch_execz .LBB263_31
; %bb.30:                               ;   in Loop: Header=BB263_9 Depth=1
	v_and_b32_e32 v23, 7, v2
	v_ffbh_u32_e32 v26, v23
	v_min_u32_e32 v29, 32, v26
	v_subrev_u32_e32 v26, 28, v29
	v_lshlrev_b64 v[26:27], v26, v[2:3]
	v_lshrrev_b32_e32 v28, 3, v10
	v_sub_u32_e32 v27, 29, v29
	v_cmp_gt_u32_e64 s[0:1], 8, v10
	v_lshlrev_b32_e32 v2, 8, v2
	v_and_b32_e32 v26, 7, v26
	v_cndmask_b32_e64 v10, v28, v27, s[0:1]
	v_lshl_add_u32 v10, v10, 10, v17
	v_and_or_b32 v2, v2, s44, v10
	v_cndmask_b32_e64 v23, v23, v26, s[0:1]
	v_lshlrev_b32_e32 v2, 16, v2
	v_lshl_or_b32 v23, v23, 23, v2
.LBB263_31:                             ;   in Loop: Header=BB263_9 Depth=1
	s_or_b64 exec, exec, s[38:39]
.LBB263_32:                             ;   in Loop: Header=BB263_9 Depth=1
	s_or_b64 exec, exec, s[36:37]
.LBB263_33:                             ;   in Loop: Header=BB263_9 Depth=1
	s_or_b64 exec, exec, s[34:35]
	global_load_dword v10, v[8:9], off offset:8
	s_waitcnt vmcnt(0)
	v_cmp_ne_u16_sdwa s[0:1], v10, v3 src0_sel:BYTE_0 src1_sel:DWORD
	s_and_saveexec_b64 s[34:35], s[0:1]
	s_cbranch_execz .LBB263_39
; %bb.34:                               ;   in Loop: Header=BB263_9 Depth=1
	v_cmp_ne_u16_sdwa s[0:1], v10, s42 src0_sel:BYTE_0 src1_sel:DWORD
	v_mov_b32_e32 v25, 0x8000
	s_and_saveexec_b64 s[36:37], s[0:1]
	s_cbranch_execz .LBB263_38
; %bb.35:                               ;   in Loop: Header=BB263_9 Depth=1
	v_and_b32_e32 v2, 0x7f, v10
	v_cmp_ne_u32_e64 s[0:1], s43, v2
	v_mov_b32_e32 v25, 0x7c01
	s_and_saveexec_b64 s[38:39], s[0:1]
	s_cbranch_execz .LBB263_37
; %bb.36:                               ;   in Loop: Header=BB263_9 Depth=1
	v_and_b32_e32 v25, 7, v10
	v_ffbh_u32_e32 v26, v25
	v_min_u32_e32 v29, 32, v26
	v_subrev_u32_e32 v26, 28, v29
	v_lshlrev_b64 v[26:27], v26, v[10:11]
	v_lshrrev_b32_e32 v28, 3, v2
	v_sub_u32_e32 v27, 29, v29
	v_cmp_gt_u32_e64 s[0:1], 8, v2
	v_and_b32_e32 v26, 7, v26
	s_nop 0
	v_cndmask_b32_e64 v2, v28, v27, s[0:1]
	v_lshl_add_u32 v2, v2, 10, v17
	v_lshlrev_b32_e32 v27, 8, v10
	v_and_b32_e32 v2, 0xfc00, v2
	v_cndmask_b32_e64 v25, v25, v26, s[0:1]
	v_and_or_b32 v2, v27, s44, v2
	v_lshl_or_b32 v25, v25, 7, v2
.LBB263_37:                             ;   in Loop: Header=BB263_9 Depth=1
	s_or_b64 exec, exec, s[38:39]
.LBB263_38:                             ;   in Loop: Header=BB263_9 Depth=1
	s_or_b64 exec, exec, s[36:37]
.LBB263_39:                             ;   in Loop: Header=BB263_9 Depth=1
	s_or_b64 exec, exec, s[34:35]
	v_lshrrev_b16_e32 v2, 8, v10
	v_cmp_ne_u16_e64 s[0:1], 0, v2
	v_mov_b32_e32 v26, 0
	v_mov_b32_e32 v27, 0
	s_and_saveexec_b64 s[34:35], s[0:1]
	s_cbranch_execz .LBB263_45
; %bb.40:                               ;   in Loop: Header=BB263_9 Depth=1
	v_cmp_ne_u16_e64 s[0:1], s42, v2
	v_bfrev_b32_e32 v27, 1
	s_and_saveexec_b64 s[36:37], s[0:1]
	s_cbranch_execz .LBB263_44
; %bb.41:                               ;   in Loop: Header=BB263_9 Depth=1
	v_and_b32_e32 v28, 0x7f, v2
	v_cmp_ne_u32_e64 s[0:1], s43, v28
	v_mov_b32_e32 v27, 0x7c010000
	s_and_saveexec_b64 s[38:39], s[0:1]
	s_cbranch_execz .LBB263_43
; %bb.42:                               ;   in Loop: Header=BB263_9 Depth=1
	v_and_b32_e32 v27, 7, v2
	v_ffbh_u32_e32 v30, v27
	v_min_u32_e32 v32, 32, v30
	v_subrev_u32_e32 v30, 28, v32
	v_lshlrev_b64 v[30:31], v30, v[2:3]
	v_lshrrev_b32_e32 v29, 3, v28
	v_sub_u32_e32 v31, 29, v32
	v_cmp_gt_u32_e64 s[0:1], 8, v28
	v_lshlrev_b32_e32 v2, 8, v2
	s_nop 0
	v_cndmask_b32_e64 v28, v29, v31, s[0:1]
	v_lshl_add_u32 v28, v28, 10, v17
	v_and_b32_e32 v29, 7, v30
	v_and_or_b32 v2, v2, s44, v28
	v_cndmask_b32_e64 v27, v27, v29, s[0:1]
	v_lshlrev_b32_e32 v2, 16, v2
	v_lshl_or_b32 v27, v27, 23, v2
.LBB263_43:                             ;   in Loop: Header=BB263_9 Depth=1
	s_or_b64 exec, exec, s[38:39]
.LBB263_44:                             ;   in Loop: Header=BB263_9 Depth=1
	s_or_b64 exec, exec, s[36:37]
.LBB263_45:                             ;   in Loop: Header=BB263_9 Depth=1
	s_or_b64 exec, exec, s[34:35]
	v_lshrrev_b32_e32 v2, 16, v10
	v_cmp_ne_u16_sdwa s[0:1], v2, v3 src0_sel:BYTE_0 src1_sel:DWORD
	s_and_saveexec_b64 s[34:35], s[0:1]
	s_cbranch_execz .LBB263_51
; %bb.46:                               ;   in Loop: Header=BB263_9 Depth=1
	v_cmp_ne_u16_sdwa s[0:1], v2, s42 src0_sel:BYTE_0 src1_sel:DWORD
	v_mov_b32_e32 v26, 0x8000
	s_and_saveexec_b64 s[36:37], s[0:1]
	s_cbranch_execz .LBB263_50
; %bb.47:                               ;   in Loop: Header=BB263_9 Depth=1
	v_bfe_u32 v28, v10, 16, 7
	v_cmp_ne_u32_e64 s[0:1], s43, v28
	v_mov_b32_e32 v26, 0x7c01
	s_and_saveexec_b64 s[38:39], s[0:1]
	s_cbranch_execz .LBB263_49
; %bb.48:                               ;   in Loop: Header=BB263_9 Depth=1
	v_and_b32_e32 v26, 7, v2
	v_ffbh_u32_e32 v30, v26
	v_min_u32_e32 v32, 32, v30
	v_subrev_u32_e32 v30, 28, v32
	v_lshlrev_b64 v[30:31], v30, v[2:3]
	v_lshrrev_b32_e32 v29, 3, v28
	v_sub_u32_e32 v31, 29, v32
	v_cmp_gt_u32_e64 s[0:1], 8, v28
	v_lshlrev_b32_e32 v2, 8, v2
	s_nop 0
	v_cndmask_b32_e64 v28, v29, v31, s[0:1]
	v_lshl_add_u32 v28, v28, 10, v17
	v_and_b32_e32 v29, 7, v30
	v_and_b32_e32 v28, 0xfc00, v28
	v_cndmask_b32_e64 v26, v26, v29, s[0:1]
	v_and_or_b32 v2, v2, s44, v28
	v_lshl_or_b32 v26, v26, 7, v2
.LBB263_49:                             ;   in Loop: Header=BB263_9 Depth=1
	s_or_b64 exec, exec, s[38:39]
.LBB263_50:                             ;   in Loop: Header=BB263_9 Depth=1
	s_or_b64 exec, exec, s[36:37]
.LBB263_51:                             ;   in Loop: Header=BB263_9 Depth=1
	s_or_b64 exec, exec, s[34:35]
	v_cmp_lt_u32_e64 s[0:1], s45, v10
	v_mov_b32_e32 v29, 0
	v_mov_b32_e32 v28, 0
	s_and_saveexec_b64 s[34:35], s[0:1]
	s_cbranch_execz .LBB263_57
; %bb.52:                               ;   in Loop: Header=BB263_9 Depth=1
	v_lshrrev_b32_e32 v2, 24, v10
	v_cmp_ne_u32_e64 s[0:1], s42, v2
	v_bfrev_b32_e32 v28, 1
	s_and_saveexec_b64 s[36:37], s[0:1]
	s_cbranch_execz .LBB263_56
; %bb.53:                               ;   in Loop: Header=BB263_9 Depth=1
	v_and_b32_e32 v10, 0x7f, v2
	v_cmp_ne_u32_e64 s[0:1], s43, v10
	v_mov_b32_e32 v28, 0x7c010000
	s_and_saveexec_b64 s[38:39], s[0:1]
	s_cbranch_execz .LBB263_55
; %bb.54:                               ;   in Loop: Header=BB263_9 Depth=1
	v_and_b32_e32 v28, 7, v2
	v_ffbh_u32_e32 v30, v28
	v_min_u32_e32 v33, 32, v30
	v_subrev_u32_e32 v30, 28, v33
	v_lshlrev_b64 v[30:31], v30, v[2:3]
	v_lshrrev_b32_e32 v32, 3, v10
	v_sub_u32_e32 v31, 29, v33
	v_cmp_gt_u32_e64 s[0:1], 8, v10
	v_lshlrev_b32_e32 v2, 8, v2
	v_and_b32_e32 v30, 7, v30
	v_cndmask_b32_e64 v10, v32, v31, s[0:1]
	v_lshl_add_u32 v10, v10, 10, v17
	v_and_or_b32 v2, v2, s44, v10
	v_cndmask_b32_e64 v28, v28, v30, s[0:1]
	v_lshlrev_b32_e32 v2, 16, v2
	v_lshl_or_b32 v28, v28, 23, v2
.LBB263_55:                             ;   in Loop: Header=BB263_9 Depth=1
	s_or_b64 exec, exec, s[38:39]
.LBB263_56:                             ;   in Loop: Header=BB263_9 Depth=1
	s_or_b64 exec, exec, s[36:37]
.LBB263_57:                             ;   in Loop: Header=BB263_9 Depth=1
	s_or_b64 exec, exec, s[34:35]
	global_load_dword v10, v[8:9], off offset:512
	s_waitcnt vmcnt(0)
	v_cmp_ne_u16_sdwa s[0:1], v10, v3 src0_sel:BYTE_0 src1_sel:DWORD
	s_and_saveexec_b64 s[34:35], s[0:1]
	s_cbranch_execz .LBB263_63
; %bb.58:                               ;   in Loop: Header=BB263_9 Depth=1
	v_cmp_ne_u16_sdwa s[0:1], v10, s42 src0_sel:BYTE_0 src1_sel:DWORD
	v_mov_b32_e32 v29, 0x8000
	s_and_saveexec_b64 s[36:37], s[0:1]
	s_cbranch_execz .LBB263_62
; %bb.59:                               ;   in Loop: Header=BB263_9 Depth=1
	v_and_b32_e32 v2, 0x7f, v10
	v_cmp_ne_u32_e64 s[0:1], s43, v2
	v_mov_b32_e32 v29, 0x7c01
	s_and_saveexec_b64 s[38:39], s[0:1]
	s_cbranch_execz .LBB263_61
; %bb.60:                               ;   in Loop: Header=BB263_9 Depth=1
	v_and_b32_e32 v29, 7, v10
	v_ffbh_u32_e32 v30, v29
	v_min_u32_e32 v33, 32, v30
	v_subrev_u32_e32 v30, 28, v33
	v_lshlrev_b64 v[30:31], v30, v[10:11]
	v_lshrrev_b32_e32 v32, 3, v2
	v_sub_u32_e32 v31, 29, v33
	v_cmp_gt_u32_e64 s[0:1], 8, v2
	v_and_b32_e32 v30, 7, v30
	s_nop 0
	v_cndmask_b32_e64 v2, v32, v31, s[0:1]
	v_lshl_add_u32 v2, v2, 10, v17
	v_lshlrev_b32_e32 v31, 8, v10
	v_and_b32_e32 v2, 0xfc00, v2
	v_cndmask_b32_e64 v29, v29, v30, s[0:1]
	v_and_or_b32 v2, v31, s44, v2
	v_lshl_or_b32 v29, v29, 7, v2
.LBB263_61:                             ;   in Loop: Header=BB263_9 Depth=1
	s_or_b64 exec, exec, s[38:39]
.LBB263_62:                             ;   in Loop: Header=BB263_9 Depth=1
	s_or_b64 exec, exec, s[36:37]
.LBB263_63:                             ;   in Loop: Header=BB263_9 Depth=1
	s_or_b64 exec, exec, s[34:35]
	v_lshrrev_b16_e32 v2, 8, v10
	v_cmp_ne_u16_e64 s[0:1], 0, v2
	v_mov_b32_e32 v30, 0
	v_mov_b32_e32 v31, 0
	s_and_saveexec_b64 s[34:35], s[0:1]
	s_cbranch_execz .LBB263_69
; %bb.64:                               ;   in Loop: Header=BB263_9 Depth=1
	v_cmp_ne_u16_e64 s[0:1], s42, v2
	v_bfrev_b32_e32 v31, 1
	s_and_saveexec_b64 s[36:37], s[0:1]
	s_cbranch_execz .LBB263_68
; %bb.65:                               ;   in Loop: Header=BB263_9 Depth=1
	v_and_b32_e32 v32, 0x7f, v2
	v_cmp_ne_u32_e64 s[0:1], s43, v32
	v_mov_b32_e32 v31, 0x7c010000
	s_and_saveexec_b64 s[38:39], s[0:1]
	s_cbranch_execz .LBB263_67
; %bb.66:                               ;   in Loop: Header=BB263_9 Depth=1
	v_and_b32_e32 v31, 7, v2
	v_ffbh_u32_e32 v34, v31
	v_min_u32_e32 v36, 32, v34
	v_subrev_u32_e32 v34, 28, v36
	v_lshlrev_b64 v[34:35], v34, v[2:3]
	v_lshrrev_b32_e32 v33, 3, v32
	v_sub_u32_e32 v35, 29, v36
	v_cmp_gt_u32_e64 s[0:1], 8, v32
	v_lshlrev_b32_e32 v2, 8, v2
	s_nop 0
	v_cndmask_b32_e64 v32, v33, v35, s[0:1]
	v_lshl_add_u32 v32, v32, 10, v17
	v_and_b32_e32 v33, 7, v34
	v_and_or_b32 v2, v2, s44, v32
	v_cndmask_b32_e64 v31, v31, v33, s[0:1]
	v_lshlrev_b32_e32 v2, 16, v2
	v_lshl_or_b32 v31, v31, 23, v2
.LBB263_67:                             ;   in Loop: Header=BB263_9 Depth=1
	s_or_b64 exec, exec, s[38:39]
.LBB263_68:                             ;   in Loop: Header=BB263_9 Depth=1
	s_or_b64 exec, exec, s[36:37]
.LBB263_69:                             ;   in Loop: Header=BB263_9 Depth=1
	s_or_b64 exec, exec, s[34:35]
	v_lshrrev_b32_e32 v2, 16, v10
	v_cmp_ne_u16_sdwa s[0:1], v2, v3 src0_sel:BYTE_0 src1_sel:DWORD
	s_and_saveexec_b64 s[34:35], s[0:1]
	s_cbranch_execz .LBB263_75
; %bb.70:                               ;   in Loop: Header=BB263_9 Depth=1
	v_cmp_ne_u16_sdwa s[0:1], v2, s42 src0_sel:BYTE_0 src1_sel:DWORD
	v_mov_b32_e32 v30, 0x8000
	s_and_saveexec_b64 s[36:37], s[0:1]
	s_cbranch_execz .LBB263_74
; %bb.71:                               ;   in Loop: Header=BB263_9 Depth=1
	v_bfe_u32 v32, v10, 16, 7
	v_cmp_ne_u32_e64 s[0:1], s43, v32
	v_mov_b32_e32 v30, 0x7c01
	s_and_saveexec_b64 s[38:39], s[0:1]
	s_cbranch_execz .LBB263_73
; %bb.72:                               ;   in Loop: Header=BB263_9 Depth=1
	v_and_b32_e32 v30, 7, v2
	v_ffbh_u32_e32 v34, v30
	v_min_u32_e32 v36, 32, v34
	v_subrev_u32_e32 v34, 28, v36
	v_lshlrev_b64 v[34:35], v34, v[2:3]
	v_lshrrev_b32_e32 v33, 3, v32
	v_sub_u32_e32 v35, 29, v36
	v_cmp_gt_u32_e64 s[0:1], 8, v32
	v_lshlrev_b32_e32 v2, 8, v2
	s_nop 0
	v_cndmask_b32_e64 v32, v33, v35, s[0:1]
	v_lshl_add_u32 v32, v32, 10, v17
	v_and_b32_e32 v33, 7, v34
	v_and_b32_e32 v32, 0xfc00, v32
	v_cndmask_b32_e64 v30, v30, v33, s[0:1]
	v_and_or_b32 v2, v2, s44, v32
	v_lshl_or_b32 v30, v30, 7, v2
.LBB263_73:                             ;   in Loop: Header=BB263_9 Depth=1
	s_or_b64 exec, exec, s[38:39]
.LBB263_74:                             ;   in Loop: Header=BB263_9 Depth=1
	s_or_b64 exec, exec, s[36:37]
.LBB263_75:                             ;   in Loop: Header=BB263_9 Depth=1
	s_or_b64 exec, exec, s[34:35]
	v_cmp_lt_u32_e64 s[0:1], s45, v10
	v_mov_b32_e32 v33, 0
	v_mov_b32_e32 v32, 0
	s_and_saveexec_b64 s[34:35], s[0:1]
	s_cbranch_execz .LBB263_81
; %bb.76:                               ;   in Loop: Header=BB263_9 Depth=1
	v_lshrrev_b32_e32 v2, 24, v10
	v_cmp_ne_u32_e64 s[0:1], s42, v2
	v_bfrev_b32_e32 v32, 1
	s_and_saveexec_b64 s[36:37], s[0:1]
	s_cbranch_execz .LBB263_80
; %bb.77:                               ;   in Loop: Header=BB263_9 Depth=1
	v_and_b32_e32 v10, 0x7f, v2
	v_cmp_ne_u32_e64 s[0:1], s43, v10
	v_mov_b32_e32 v32, 0x7c010000
	s_and_saveexec_b64 s[38:39], s[0:1]
	s_cbranch_execz .LBB263_79
; %bb.78:                               ;   in Loop: Header=BB263_9 Depth=1
	v_and_b32_e32 v32, 7, v2
	v_ffbh_u32_e32 v34, v32
	v_min_u32_e32 v37, 32, v34
	v_subrev_u32_e32 v34, 28, v37
	v_lshlrev_b64 v[34:35], v34, v[2:3]
	v_lshrrev_b32_e32 v36, 3, v10
	v_sub_u32_e32 v35, 29, v37
	v_cmp_gt_u32_e64 s[0:1], 8, v10
	v_lshlrev_b32_e32 v2, 8, v2
	v_and_b32_e32 v34, 7, v34
	v_cndmask_b32_e64 v10, v36, v35, s[0:1]
	v_lshl_add_u32 v10, v10, 10, v17
	v_and_or_b32 v2, v2, s44, v10
	v_cndmask_b32_e64 v32, v32, v34, s[0:1]
	v_lshlrev_b32_e32 v2, 16, v2
	v_lshl_or_b32 v32, v32, 23, v2
.LBB263_79:                             ;   in Loop: Header=BB263_9 Depth=1
	s_or_b64 exec, exec, s[38:39]
.LBB263_80:                             ;   in Loop: Header=BB263_9 Depth=1
	s_or_b64 exec, exec, s[36:37]
.LBB263_81:                             ;   in Loop: Header=BB263_9 Depth=1
	s_or_b64 exec, exec, s[34:35]
	global_load_dword v10, v[8:9], off offset:520
	s_waitcnt vmcnt(0)
	v_cmp_ne_u16_sdwa s[0:1], v10, v3 src0_sel:BYTE_0 src1_sel:DWORD
	s_and_saveexec_b64 s[34:35], s[0:1]
	s_cbranch_execz .LBB263_87
; %bb.82:                               ;   in Loop: Header=BB263_9 Depth=1
	v_cmp_ne_u16_sdwa s[0:1], v10, s42 src0_sel:BYTE_0 src1_sel:DWORD
	v_mov_b32_e32 v33, 0x8000
	s_and_saveexec_b64 s[36:37], s[0:1]
	s_cbranch_execz .LBB263_86
; %bb.83:                               ;   in Loop: Header=BB263_9 Depth=1
	v_and_b32_e32 v2, 0x7f, v10
	v_cmp_ne_u32_e64 s[0:1], s43, v2
	v_mov_b32_e32 v33, 0x7c01
	s_and_saveexec_b64 s[38:39], s[0:1]
	s_cbranch_execz .LBB263_85
; %bb.84:                               ;   in Loop: Header=BB263_9 Depth=1
	v_and_b32_e32 v33, 7, v10
	v_ffbh_u32_e32 v34, v33
	v_min_u32_e32 v37, 32, v34
	v_subrev_u32_e32 v34, 28, v37
	v_lshlrev_b64 v[34:35], v34, v[10:11]
	v_lshrrev_b32_e32 v36, 3, v2
	v_sub_u32_e32 v35, 29, v37
	v_cmp_gt_u32_e64 s[0:1], 8, v2
	v_and_b32_e32 v34, 7, v34
	s_nop 0
	v_cndmask_b32_e64 v2, v36, v35, s[0:1]
	v_lshl_add_u32 v2, v2, 10, v17
	v_lshlrev_b32_e32 v35, 8, v10
	v_and_b32_e32 v2, 0xfc00, v2
	v_cndmask_b32_e64 v33, v33, v34, s[0:1]
	v_and_or_b32 v2, v35, s44, v2
	v_lshl_or_b32 v33, v33, 7, v2
.LBB263_85:                             ;   in Loop: Header=BB263_9 Depth=1
	s_or_b64 exec, exec, s[38:39]
.LBB263_86:                             ;   in Loop: Header=BB263_9 Depth=1
	s_or_b64 exec, exec, s[36:37]
.LBB263_87:                             ;   in Loop: Header=BB263_9 Depth=1
	s_or_b64 exec, exec, s[34:35]
	v_lshrrev_b16_e32 v2, 8, v10
	v_cmp_ne_u16_e64 s[0:1], 0, v2
	v_mov_b32_e32 v34, 0
	v_mov_b32_e32 v35, 0
	s_and_saveexec_b64 s[34:35], s[0:1]
	s_cbranch_execz .LBB263_93
; %bb.88:                               ;   in Loop: Header=BB263_9 Depth=1
	v_cmp_ne_u16_e64 s[0:1], s42, v2
	v_bfrev_b32_e32 v35, 1
	s_and_saveexec_b64 s[36:37], s[0:1]
	s_cbranch_execz .LBB263_92
; %bb.89:                               ;   in Loop: Header=BB263_9 Depth=1
	v_and_b32_e32 v36, 0x7f, v2
	v_cmp_ne_u32_e64 s[0:1], s43, v36
	v_mov_b32_e32 v35, 0x7c010000
	s_and_saveexec_b64 s[38:39], s[0:1]
	s_cbranch_execz .LBB263_91
; %bb.90:                               ;   in Loop: Header=BB263_9 Depth=1
	v_and_b32_e32 v35, 7, v2
	v_ffbh_u32_e32 v38, v35
	v_min_u32_e32 v40, 32, v38
	v_subrev_u32_e32 v38, 28, v40
	v_lshlrev_b64 v[38:39], v38, v[2:3]
	v_lshrrev_b32_e32 v37, 3, v36
	v_sub_u32_e32 v39, 29, v40
	v_cmp_gt_u32_e64 s[0:1], 8, v36
	v_lshlrev_b32_e32 v2, 8, v2
	s_nop 0
	v_cndmask_b32_e64 v36, v37, v39, s[0:1]
	v_lshl_add_u32 v36, v36, 10, v17
	v_and_b32_e32 v37, 7, v38
	v_and_or_b32 v2, v2, s44, v36
	v_cndmask_b32_e64 v35, v35, v37, s[0:1]
	v_lshlrev_b32_e32 v2, 16, v2
	v_lshl_or_b32 v35, v35, 23, v2
.LBB263_91:                             ;   in Loop: Header=BB263_9 Depth=1
	s_or_b64 exec, exec, s[38:39]
.LBB263_92:                             ;   in Loop: Header=BB263_9 Depth=1
	s_or_b64 exec, exec, s[36:37]
.LBB263_93:                             ;   in Loop: Header=BB263_9 Depth=1
	s_or_b64 exec, exec, s[34:35]
	v_lshrrev_b32_e32 v2, 16, v10
	v_cmp_ne_u16_sdwa s[0:1], v2, v3 src0_sel:BYTE_0 src1_sel:DWORD
	s_and_saveexec_b64 s[34:35], s[0:1]
	s_cbranch_execz .LBB263_99
; %bb.94:                               ;   in Loop: Header=BB263_9 Depth=1
	v_cmp_ne_u16_sdwa s[0:1], v2, s42 src0_sel:BYTE_0 src1_sel:DWORD
	v_mov_b32_e32 v34, 0x8000
	s_and_saveexec_b64 s[36:37], s[0:1]
	s_cbranch_execz .LBB263_98
; %bb.95:                               ;   in Loop: Header=BB263_9 Depth=1
	v_bfe_u32 v36, v10, 16, 7
	v_cmp_ne_u32_e64 s[0:1], s43, v36
	v_mov_b32_e32 v34, 0x7c01
	s_and_saveexec_b64 s[38:39], s[0:1]
	s_cbranch_execz .LBB263_97
; %bb.96:                               ;   in Loop: Header=BB263_9 Depth=1
	v_and_b32_e32 v34, 7, v2
	v_ffbh_u32_e32 v38, v34
	v_min_u32_e32 v40, 32, v38
	v_subrev_u32_e32 v38, 28, v40
	v_lshlrev_b64 v[38:39], v38, v[2:3]
	v_lshrrev_b32_e32 v37, 3, v36
	v_sub_u32_e32 v39, 29, v40
	v_cmp_gt_u32_e64 s[0:1], 8, v36
	v_lshlrev_b32_e32 v2, 8, v2
	s_nop 0
	v_cndmask_b32_e64 v36, v37, v39, s[0:1]
	v_lshl_add_u32 v36, v36, 10, v17
	v_and_b32_e32 v37, 7, v38
	v_and_b32_e32 v36, 0xfc00, v36
	v_cndmask_b32_e64 v34, v34, v37, s[0:1]
	v_and_or_b32 v2, v2, s44, v36
	v_lshl_or_b32 v34, v34, 7, v2
.LBB263_97:                             ;   in Loop: Header=BB263_9 Depth=1
	s_or_b64 exec, exec, s[38:39]
.LBB263_98:                             ;   in Loop: Header=BB263_9 Depth=1
	s_or_b64 exec, exec, s[36:37]
.LBB263_99:                             ;   in Loop: Header=BB263_9 Depth=1
	s_or_b64 exec, exec, s[34:35]
	v_cmp_lt_u32_e64 s[0:1], s45, v10
	v_mov_b32_e32 v37, 0
	v_mov_b32_e32 v36, 0
	s_and_saveexec_b64 s[34:35], s[0:1]
	s_cbranch_execz .LBB263_105
; %bb.100:                              ;   in Loop: Header=BB263_9 Depth=1
	v_lshrrev_b32_e32 v2, 24, v10
	v_cmp_ne_u32_e64 s[0:1], s42, v2
	v_bfrev_b32_e32 v36, 1
	s_and_saveexec_b64 s[36:37], s[0:1]
	s_cbranch_execz .LBB263_104
; %bb.101:                              ;   in Loop: Header=BB263_9 Depth=1
	v_and_b32_e32 v10, 0x7f, v2
	v_cmp_ne_u32_e64 s[0:1], s43, v10
	v_mov_b32_e32 v36, 0x7c010000
	s_and_saveexec_b64 s[38:39], s[0:1]
	s_cbranch_execz .LBB263_103
; %bb.102:                              ;   in Loop: Header=BB263_9 Depth=1
	v_and_b32_e32 v36, 7, v2
	v_ffbh_u32_e32 v38, v36
	v_min_u32_e32 v41, 32, v38
	v_subrev_u32_e32 v38, 28, v41
	v_lshlrev_b64 v[38:39], v38, v[2:3]
	v_lshrrev_b32_e32 v40, 3, v10
	v_sub_u32_e32 v39, 29, v41
	v_cmp_gt_u32_e64 s[0:1], 8, v10
	v_lshlrev_b32_e32 v2, 8, v2
	v_and_b32_e32 v38, 7, v38
	v_cndmask_b32_e64 v10, v40, v39, s[0:1]
	v_lshl_add_u32 v10, v10, 10, v17
	v_and_or_b32 v2, v2, s44, v10
	v_cndmask_b32_e64 v36, v36, v38, s[0:1]
	v_lshlrev_b32_e32 v2, 16, v2
	v_lshl_or_b32 v36, v36, 23, v2
.LBB263_103:                            ;   in Loop: Header=BB263_9 Depth=1
	s_or_b64 exec, exec, s[38:39]
.LBB263_104:                            ;   in Loop: Header=BB263_9 Depth=1
	s_or_b64 exec, exec, s[36:37]
.LBB263_105:                            ;   in Loop: Header=BB263_9 Depth=1
	s_or_b64 exec, exec, s[34:35]
	global_load_dword v10, v[8:9], off offset:1024
	s_waitcnt vmcnt(0)
	v_cmp_ne_u16_sdwa s[0:1], v10, v3 src0_sel:BYTE_0 src1_sel:DWORD
	s_and_saveexec_b64 s[34:35], s[0:1]
	s_cbranch_execz .LBB263_111
; %bb.106:                              ;   in Loop: Header=BB263_9 Depth=1
	v_cmp_ne_u16_sdwa s[0:1], v10, s42 src0_sel:BYTE_0 src1_sel:DWORD
	v_mov_b32_e32 v37, 0x8000
	s_and_saveexec_b64 s[36:37], s[0:1]
	s_cbranch_execz .LBB263_110
; %bb.107:                              ;   in Loop: Header=BB263_9 Depth=1
	v_and_b32_e32 v2, 0x7f, v10
	v_cmp_ne_u32_e64 s[0:1], s43, v2
	v_mov_b32_e32 v37, 0x7c01
	s_and_saveexec_b64 s[38:39], s[0:1]
	s_cbranch_execz .LBB263_109
; %bb.108:                              ;   in Loop: Header=BB263_9 Depth=1
	v_and_b32_e32 v37, 7, v10
	v_ffbh_u32_e32 v38, v37
	v_min_u32_e32 v41, 32, v38
	v_subrev_u32_e32 v38, 28, v41
	v_lshlrev_b64 v[38:39], v38, v[10:11]
	v_lshrrev_b32_e32 v40, 3, v2
	v_sub_u32_e32 v39, 29, v41
	v_cmp_gt_u32_e64 s[0:1], 8, v2
	v_and_b32_e32 v38, 7, v38
	s_nop 0
	v_cndmask_b32_e64 v2, v40, v39, s[0:1]
	v_lshl_add_u32 v2, v2, 10, v17
	v_lshlrev_b32_e32 v39, 8, v10
	v_and_b32_e32 v2, 0xfc00, v2
	v_cndmask_b32_e64 v37, v37, v38, s[0:1]
	v_and_or_b32 v2, v39, s44, v2
	v_lshl_or_b32 v37, v37, 7, v2
.LBB263_109:                            ;   in Loop: Header=BB263_9 Depth=1
	s_or_b64 exec, exec, s[38:39]
.LBB263_110:                            ;   in Loop: Header=BB263_9 Depth=1
	s_or_b64 exec, exec, s[36:37]
.LBB263_111:                            ;   in Loop: Header=BB263_9 Depth=1
	s_or_b64 exec, exec, s[34:35]
	v_lshrrev_b16_e32 v2, 8, v10
	v_cmp_ne_u16_e64 s[0:1], 0, v2
	v_mov_b32_e32 v38, 0
	v_mov_b32_e32 v39, 0
	s_and_saveexec_b64 s[34:35], s[0:1]
	s_cbranch_execz .LBB263_117
; %bb.112:                              ;   in Loop: Header=BB263_9 Depth=1
	v_cmp_ne_u16_e64 s[0:1], s42, v2
	v_bfrev_b32_e32 v39, 1
	s_and_saveexec_b64 s[36:37], s[0:1]
	s_cbranch_execz .LBB263_116
; %bb.113:                              ;   in Loop: Header=BB263_9 Depth=1
	v_and_b32_e32 v40, 0x7f, v2
	v_cmp_ne_u32_e64 s[0:1], s43, v40
	v_mov_b32_e32 v39, 0x7c010000
	s_and_saveexec_b64 s[38:39], s[0:1]
	s_cbranch_execz .LBB263_115
; %bb.114:                              ;   in Loop: Header=BB263_9 Depth=1
	v_and_b32_e32 v39, 7, v2
	v_ffbh_u32_e32 v42, v39
	v_min_u32_e32 v44, 32, v42
	v_subrev_u32_e32 v42, 28, v44
	v_lshlrev_b64 v[42:43], v42, v[2:3]
	v_lshrrev_b32_e32 v41, 3, v40
	v_sub_u32_e32 v43, 29, v44
	v_cmp_gt_u32_e64 s[0:1], 8, v40
	v_lshlrev_b32_e32 v2, 8, v2
	s_nop 0
	v_cndmask_b32_e64 v40, v41, v43, s[0:1]
	v_lshl_add_u32 v40, v40, 10, v17
	v_and_b32_e32 v41, 7, v42
	v_and_or_b32 v2, v2, s44, v40
	v_cndmask_b32_e64 v39, v39, v41, s[0:1]
	v_lshlrev_b32_e32 v2, 16, v2
	v_lshl_or_b32 v39, v39, 23, v2
.LBB263_115:                            ;   in Loop: Header=BB263_9 Depth=1
	s_or_b64 exec, exec, s[38:39]
.LBB263_116:                            ;   in Loop: Header=BB263_9 Depth=1
	s_or_b64 exec, exec, s[36:37]
.LBB263_117:                            ;   in Loop: Header=BB263_9 Depth=1
	s_or_b64 exec, exec, s[34:35]
	v_lshrrev_b32_e32 v2, 16, v10
	v_cmp_ne_u16_sdwa s[0:1], v2, v3 src0_sel:BYTE_0 src1_sel:DWORD
	s_and_saveexec_b64 s[34:35], s[0:1]
	s_cbranch_execz .LBB263_123
; %bb.118:                              ;   in Loop: Header=BB263_9 Depth=1
	v_cmp_ne_u16_sdwa s[0:1], v2, s42 src0_sel:BYTE_0 src1_sel:DWORD
	v_mov_b32_e32 v38, 0x8000
	s_and_saveexec_b64 s[36:37], s[0:1]
	s_cbranch_execz .LBB263_122
; %bb.119:                              ;   in Loop: Header=BB263_9 Depth=1
	v_bfe_u32 v40, v10, 16, 7
	v_cmp_ne_u32_e64 s[0:1], s43, v40
	v_mov_b32_e32 v38, 0x7c01
	s_and_saveexec_b64 s[38:39], s[0:1]
	s_cbranch_execz .LBB263_121
; %bb.120:                              ;   in Loop: Header=BB263_9 Depth=1
	v_and_b32_e32 v38, 7, v2
	v_ffbh_u32_e32 v42, v38
	v_min_u32_e32 v44, 32, v42
	v_subrev_u32_e32 v42, 28, v44
	v_lshlrev_b64 v[42:43], v42, v[2:3]
	v_lshrrev_b32_e32 v41, 3, v40
	v_sub_u32_e32 v43, 29, v44
	v_cmp_gt_u32_e64 s[0:1], 8, v40
	v_lshlrev_b32_e32 v2, 8, v2
	s_nop 0
	v_cndmask_b32_e64 v40, v41, v43, s[0:1]
	v_lshl_add_u32 v40, v40, 10, v17
	v_and_b32_e32 v41, 7, v42
	v_and_b32_e32 v40, 0xfc00, v40
	v_cndmask_b32_e64 v38, v38, v41, s[0:1]
	v_and_or_b32 v2, v2, s44, v40
	v_lshl_or_b32 v38, v38, 7, v2
.LBB263_121:                            ;   in Loop: Header=BB263_9 Depth=1
	s_or_b64 exec, exec, s[38:39]
.LBB263_122:                            ;   in Loop: Header=BB263_9 Depth=1
	s_or_b64 exec, exec, s[36:37]
.LBB263_123:                            ;   in Loop: Header=BB263_9 Depth=1
	s_or_b64 exec, exec, s[34:35]
	v_cmp_lt_u32_e64 s[0:1], s45, v10
	v_mov_b32_e32 v41, 0
	v_mov_b32_e32 v40, 0
	s_and_saveexec_b64 s[34:35], s[0:1]
	s_cbranch_execz .LBB263_129
; %bb.124:                              ;   in Loop: Header=BB263_9 Depth=1
	v_lshrrev_b32_e32 v2, 24, v10
	v_cmp_ne_u32_e64 s[0:1], s42, v2
	v_bfrev_b32_e32 v40, 1
	s_and_saveexec_b64 s[36:37], s[0:1]
	s_cbranch_execz .LBB263_128
; %bb.125:                              ;   in Loop: Header=BB263_9 Depth=1
	v_and_b32_e32 v10, 0x7f, v2
	v_cmp_ne_u32_e64 s[0:1], s43, v10
	v_mov_b32_e32 v40, 0x7c010000
	s_and_saveexec_b64 s[38:39], s[0:1]
	s_cbranch_execz .LBB263_127
; %bb.126:                              ;   in Loop: Header=BB263_9 Depth=1
	v_and_b32_e32 v40, 7, v2
	v_ffbh_u32_e32 v42, v40
	v_min_u32_e32 v45, 32, v42
	v_subrev_u32_e32 v42, 28, v45
	v_lshlrev_b64 v[42:43], v42, v[2:3]
	v_lshrrev_b32_e32 v44, 3, v10
	v_sub_u32_e32 v43, 29, v45
	v_cmp_gt_u32_e64 s[0:1], 8, v10
	v_lshlrev_b32_e32 v2, 8, v2
	v_and_b32_e32 v42, 7, v42
	v_cndmask_b32_e64 v10, v44, v43, s[0:1]
	v_lshl_add_u32 v10, v10, 10, v17
	v_and_or_b32 v2, v2, s44, v10
	v_cndmask_b32_e64 v40, v40, v42, s[0:1]
	v_lshlrev_b32_e32 v2, 16, v2
	v_lshl_or_b32 v40, v40, 23, v2
.LBB263_127:                            ;   in Loop: Header=BB263_9 Depth=1
	s_or_b64 exec, exec, s[38:39]
.LBB263_128:                            ;   in Loop: Header=BB263_9 Depth=1
	s_or_b64 exec, exec, s[36:37]
.LBB263_129:                            ;   in Loop: Header=BB263_9 Depth=1
	s_or_b64 exec, exec, s[34:35]
	global_load_dword v10, v[8:9], off offset:1032
	s_waitcnt vmcnt(0)
	v_cmp_ne_u16_sdwa s[0:1], v10, v3 src0_sel:BYTE_0 src1_sel:DWORD
	s_and_saveexec_b64 s[34:35], s[0:1]
	s_cbranch_execz .LBB263_135
; %bb.130:                              ;   in Loop: Header=BB263_9 Depth=1
	v_cmp_ne_u16_sdwa s[0:1], v10, s42 src0_sel:BYTE_0 src1_sel:DWORD
	v_mov_b32_e32 v41, 0x8000
	s_and_saveexec_b64 s[36:37], s[0:1]
	s_cbranch_execz .LBB263_134
; %bb.131:                              ;   in Loop: Header=BB263_9 Depth=1
	v_and_b32_e32 v2, 0x7f, v10
	v_cmp_ne_u32_e64 s[0:1], s43, v2
	v_mov_b32_e32 v41, 0x7c01
	s_and_saveexec_b64 s[38:39], s[0:1]
	s_cbranch_execz .LBB263_133
; %bb.132:                              ;   in Loop: Header=BB263_9 Depth=1
	v_and_b32_e32 v41, 7, v10
	v_ffbh_u32_e32 v42, v41
	v_min_u32_e32 v45, 32, v42
	v_subrev_u32_e32 v42, 28, v45
	v_lshlrev_b64 v[42:43], v42, v[10:11]
	v_lshrrev_b32_e32 v44, 3, v2
	v_sub_u32_e32 v43, 29, v45
	v_cmp_gt_u32_e64 s[0:1], 8, v2
	v_and_b32_e32 v42, 7, v42
	s_nop 0
	v_cndmask_b32_e64 v2, v44, v43, s[0:1]
	v_lshl_add_u32 v2, v2, 10, v17
	v_lshlrev_b32_e32 v43, 8, v10
	v_and_b32_e32 v2, 0xfc00, v2
	v_cndmask_b32_e64 v41, v41, v42, s[0:1]
	v_and_or_b32 v2, v43, s44, v2
	v_lshl_or_b32 v41, v41, 7, v2
.LBB263_133:                            ;   in Loop: Header=BB263_9 Depth=1
	s_or_b64 exec, exec, s[38:39]
.LBB263_134:                            ;   in Loop: Header=BB263_9 Depth=1
	s_or_b64 exec, exec, s[36:37]
.LBB263_135:                            ;   in Loop: Header=BB263_9 Depth=1
	s_or_b64 exec, exec, s[34:35]
	v_lshrrev_b16_e32 v2, 8, v10
	v_cmp_ne_u16_e64 s[0:1], 0, v2
	v_mov_b32_e32 v42, 0
	v_mov_b32_e32 v43, 0
	s_and_saveexec_b64 s[34:35], s[0:1]
	s_cbranch_execz .LBB263_141
; %bb.136:                              ;   in Loop: Header=BB263_9 Depth=1
	v_cmp_ne_u16_e64 s[0:1], s42, v2
	v_bfrev_b32_e32 v43, 1
	s_and_saveexec_b64 s[36:37], s[0:1]
	s_cbranch_execz .LBB263_140
; %bb.137:                              ;   in Loop: Header=BB263_9 Depth=1
	v_and_b32_e32 v44, 0x7f, v2
	v_cmp_ne_u32_e64 s[0:1], s43, v44
	v_mov_b32_e32 v43, 0x7c010000
	s_and_saveexec_b64 s[38:39], s[0:1]
	s_cbranch_execz .LBB263_139
; %bb.138:                              ;   in Loop: Header=BB263_9 Depth=1
	v_and_b32_e32 v43, 7, v2
	v_ffbh_u32_e32 v46, v43
	v_min_u32_e32 v48, 32, v46
	v_subrev_u32_e32 v46, 28, v48
	v_lshlrev_b64 v[46:47], v46, v[2:3]
	v_lshrrev_b32_e32 v45, 3, v44
	v_sub_u32_e32 v47, 29, v48
	v_cmp_gt_u32_e64 s[0:1], 8, v44
	v_lshlrev_b32_e32 v2, 8, v2
	s_nop 0
	v_cndmask_b32_e64 v44, v45, v47, s[0:1]
	v_lshl_add_u32 v44, v44, 10, v17
	v_and_b32_e32 v45, 7, v46
	v_and_or_b32 v2, v2, s44, v44
	v_cndmask_b32_e64 v43, v43, v45, s[0:1]
	v_lshlrev_b32_e32 v2, 16, v2
	v_lshl_or_b32 v43, v43, 23, v2
.LBB263_139:                            ;   in Loop: Header=BB263_9 Depth=1
	s_or_b64 exec, exec, s[38:39]
.LBB263_140:                            ;   in Loop: Header=BB263_9 Depth=1
	s_or_b64 exec, exec, s[36:37]
.LBB263_141:                            ;   in Loop: Header=BB263_9 Depth=1
	s_or_b64 exec, exec, s[34:35]
	v_lshrrev_b32_e32 v2, 16, v10
	v_cmp_ne_u16_sdwa s[0:1], v2, v3 src0_sel:BYTE_0 src1_sel:DWORD
	s_and_saveexec_b64 s[34:35], s[0:1]
	s_cbranch_execz .LBB263_147
; %bb.142:                              ;   in Loop: Header=BB263_9 Depth=1
	v_cmp_ne_u16_sdwa s[0:1], v2, s42 src0_sel:BYTE_0 src1_sel:DWORD
	v_mov_b32_e32 v42, 0x8000
	s_and_saveexec_b64 s[36:37], s[0:1]
	s_cbranch_execz .LBB263_146
; %bb.143:                              ;   in Loop: Header=BB263_9 Depth=1
	v_bfe_u32 v44, v10, 16, 7
	v_cmp_ne_u32_e64 s[0:1], s43, v44
	v_mov_b32_e32 v42, 0x7c01
	s_and_saveexec_b64 s[38:39], s[0:1]
	s_cbranch_execz .LBB263_145
; %bb.144:                              ;   in Loop: Header=BB263_9 Depth=1
	v_and_b32_e32 v42, 7, v2
	v_ffbh_u32_e32 v46, v42
	v_min_u32_e32 v48, 32, v46
	v_subrev_u32_e32 v46, 28, v48
	v_lshlrev_b64 v[46:47], v46, v[2:3]
	v_lshrrev_b32_e32 v45, 3, v44
	v_sub_u32_e32 v47, 29, v48
	v_cmp_gt_u32_e64 s[0:1], 8, v44
	v_lshlrev_b32_e32 v2, 8, v2
	s_nop 0
	v_cndmask_b32_e64 v44, v45, v47, s[0:1]
	v_lshl_add_u32 v44, v44, 10, v17
	v_and_b32_e32 v45, 7, v46
	v_and_b32_e32 v44, 0xfc00, v44
	v_cndmask_b32_e64 v42, v42, v45, s[0:1]
	v_and_or_b32 v2, v2, s44, v44
	v_lshl_or_b32 v42, v42, 7, v2
.LBB263_145:                            ;   in Loop: Header=BB263_9 Depth=1
	s_or_b64 exec, exec, s[38:39]
.LBB263_146:                            ;   in Loop: Header=BB263_9 Depth=1
	s_or_b64 exec, exec, s[36:37]
.LBB263_147:                            ;   in Loop: Header=BB263_9 Depth=1
	s_or_b64 exec, exec, s[34:35]
	v_cmp_lt_u32_e64 s[0:1], s45, v10
	v_mov_b32_e32 v45, 0
	v_mov_b32_e32 v44, 0
	s_and_saveexec_b64 s[34:35], s[0:1]
	s_cbranch_execz .LBB263_153
; %bb.148:                              ;   in Loop: Header=BB263_9 Depth=1
	v_lshrrev_b32_e32 v2, 24, v10
	v_cmp_ne_u32_e64 s[0:1], s42, v2
	v_bfrev_b32_e32 v44, 1
	s_and_saveexec_b64 s[36:37], s[0:1]
	s_cbranch_execz .LBB263_152
; %bb.149:                              ;   in Loop: Header=BB263_9 Depth=1
	v_and_b32_e32 v10, 0x7f, v2
	v_cmp_ne_u32_e64 s[0:1], s43, v10
	v_mov_b32_e32 v44, 0x7c010000
	s_and_saveexec_b64 s[38:39], s[0:1]
	s_cbranch_execz .LBB263_151
; %bb.150:                              ;   in Loop: Header=BB263_9 Depth=1
	v_and_b32_e32 v44, 7, v2
	v_ffbh_u32_e32 v46, v44
	v_min_u32_e32 v49, 32, v46
	v_subrev_u32_e32 v46, 28, v49
	v_lshlrev_b64 v[46:47], v46, v[2:3]
	v_lshrrev_b32_e32 v48, 3, v10
	v_sub_u32_e32 v47, 29, v49
	v_cmp_gt_u32_e64 s[0:1], 8, v10
	v_lshlrev_b32_e32 v2, 8, v2
	v_and_b32_e32 v46, 7, v46
	v_cndmask_b32_e64 v10, v48, v47, s[0:1]
	v_lshl_add_u32 v10, v10, 10, v17
	v_and_or_b32 v2, v2, s44, v10
	v_cndmask_b32_e64 v44, v44, v46, s[0:1]
	v_lshlrev_b32_e32 v2, 16, v2
	v_lshl_or_b32 v44, v44, 23, v2
.LBB263_151:                            ;   in Loop: Header=BB263_9 Depth=1
	s_or_b64 exec, exec, s[38:39]
.LBB263_152:                            ;   in Loop: Header=BB263_9 Depth=1
	s_or_b64 exec, exec, s[36:37]
.LBB263_153:                            ;   in Loop: Header=BB263_9 Depth=1
	s_or_b64 exec, exec, s[34:35]
	global_load_dword v10, v[8:9], off offset:1536
	s_waitcnt vmcnt(0)
	v_cmp_ne_u16_sdwa s[0:1], v10, v3 src0_sel:BYTE_0 src1_sel:DWORD
	s_and_saveexec_b64 s[34:35], s[0:1]
	s_cbranch_execz .LBB263_159
; %bb.154:                              ;   in Loop: Header=BB263_9 Depth=1
	v_cmp_ne_u16_sdwa s[0:1], v10, s42 src0_sel:BYTE_0 src1_sel:DWORD
	v_mov_b32_e32 v45, 0x8000
	s_and_saveexec_b64 s[36:37], s[0:1]
	s_cbranch_execz .LBB263_158
; %bb.155:                              ;   in Loop: Header=BB263_9 Depth=1
	v_and_b32_e32 v2, 0x7f, v10
	v_cmp_ne_u32_e64 s[0:1], s43, v2
	v_mov_b32_e32 v45, 0x7c01
	s_and_saveexec_b64 s[38:39], s[0:1]
	s_cbranch_execz .LBB263_157
; %bb.156:                              ;   in Loop: Header=BB263_9 Depth=1
	v_and_b32_e32 v45, 7, v10
	v_ffbh_u32_e32 v46, v45
	v_min_u32_e32 v49, 32, v46
	v_subrev_u32_e32 v46, 28, v49
	v_lshlrev_b64 v[46:47], v46, v[10:11]
	v_lshrrev_b32_e32 v48, 3, v2
	v_sub_u32_e32 v47, 29, v49
	v_cmp_gt_u32_e64 s[0:1], 8, v2
	v_and_b32_e32 v46, 7, v46
	s_nop 0
	v_cndmask_b32_e64 v2, v48, v47, s[0:1]
	v_lshl_add_u32 v2, v2, 10, v17
	v_lshlrev_b32_e32 v47, 8, v10
	v_and_b32_e32 v2, 0xfc00, v2
	v_cndmask_b32_e64 v45, v45, v46, s[0:1]
	v_and_or_b32 v2, v47, s44, v2
	v_lshl_or_b32 v45, v45, 7, v2
.LBB263_157:                            ;   in Loop: Header=BB263_9 Depth=1
	s_or_b64 exec, exec, s[38:39]
.LBB263_158:                            ;   in Loop: Header=BB263_9 Depth=1
	s_or_b64 exec, exec, s[36:37]
.LBB263_159:                            ;   in Loop: Header=BB263_9 Depth=1
	s_or_b64 exec, exec, s[34:35]
	v_lshrrev_b16_e32 v2, 8, v10
	v_cmp_ne_u16_e64 s[0:1], 0, v2
	v_mov_b32_e32 v46, 0
	v_mov_b32_e32 v47, 0
	s_and_saveexec_b64 s[34:35], s[0:1]
	s_cbranch_execz .LBB263_165
; %bb.160:                              ;   in Loop: Header=BB263_9 Depth=1
	v_cmp_ne_u16_e64 s[0:1], s42, v2
	v_bfrev_b32_e32 v47, 1
	s_and_saveexec_b64 s[36:37], s[0:1]
	s_cbranch_execz .LBB263_164
; %bb.161:                              ;   in Loop: Header=BB263_9 Depth=1
	v_and_b32_e32 v48, 0x7f, v2
	v_cmp_ne_u32_e64 s[0:1], s43, v48
	v_mov_b32_e32 v47, 0x7c010000
	s_and_saveexec_b64 s[38:39], s[0:1]
	s_cbranch_execz .LBB263_163
; %bb.162:                              ;   in Loop: Header=BB263_9 Depth=1
	v_and_b32_e32 v47, 7, v2
	v_ffbh_u32_e32 v50, v47
	v_min_u32_e32 v52, 32, v50
	v_subrev_u32_e32 v50, 28, v52
	v_lshlrev_b64 v[50:51], v50, v[2:3]
	v_lshrrev_b32_e32 v49, 3, v48
	v_sub_u32_e32 v51, 29, v52
	v_cmp_gt_u32_e64 s[0:1], 8, v48
	v_lshlrev_b32_e32 v2, 8, v2
	s_nop 0
	v_cndmask_b32_e64 v48, v49, v51, s[0:1]
	v_lshl_add_u32 v48, v48, 10, v17
	v_and_b32_e32 v49, 7, v50
	v_and_or_b32 v2, v2, s44, v48
	v_cndmask_b32_e64 v47, v47, v49, s[0:1]
	v_lshlrev_b32_e32 v2, 16, v2
	v_lshl_or_b32 v47, v47, 23, v2
.LBB263_163:                            ;   in Loop: Header=BB263_9 Depth=1
	s_or_b64 exec, exec, s[38:39]
.LBB263_164:                            ;   in Loop: Header=BB263_9 Depth=1
	s_or_b64 exec, exec, s[36:37]
.LBB263_165:                            ;   in Loop: Header=BB263_9 Depth=1
	s_or_b64 exec, exec, s[34:35]
	v_lshrrev_b32_e32 v2, 16, v10
	v_cmp_ne_u16_sdwa s[0:1], v2, v3 src0_sel:BYTE_0 src1_sel:DWORD
	s_and_saveexec_b64 s[34:35], s[0:1]
	s_cbranch_execz .LBB263_171
; %bb.166:                              ;   in Loop: Header=BB263_9 Depth=1
	v_cmp_ne_u16_sdwa s[0:1], v2, s42 src0_sel:BYTE_0 src1_sel:DWORD
	v_mov_b32_e32 v46, 0x8000
	s_and_saveexec_b64 s[36:37], s[0:1]
	s_cbranch_execz .LBB263_170
; %bb.167:                              ;   in Loop: Header=BB263_9 Depth=1
	v_bfe_u32 v48, v10, 16, 7
	v_cmp_ne_u32_e64 s[0:1], s43, v48
	v_mov_b32_e32 v46, 0x7c01
	s_and_saveexec_b64 s[38:39], s[0:1]
	s_cbranch_execz .LBB263_169
; %bb.168:                              ;   in Loop: Header=BB263_9 Depth=1
	v_and_b32_e32 v46, 7, v2
	v_ffbh_u32_e32 v50, v46
	v_min_u32_e32 v52, 32, v50
	v_subrev_u32_e32 v50, 28, v52
	v_lshlrev_b64 v[50:51], v50, v[2:3]
	v_lshrrev_b32_e32 v49, 3, v48
	v_sub_u32_e32 v51, 29, v52
	v_cmp_gt_u32_e64 s[0:1], 8, v48
	v_lshlrev_b32_e32 v2, 8, v2
	s_nop 0
	v_cndmask_b32_e64 v48, v49, v51, s[0:1]
	v_lshl_add_u32 v48, v48, 10, v17
	v_and_b32_e32 v49, 7, v50
	v_and_b32_e32 v48, 0xfc00, v48
	v_cndmask_b32_e64 v46, v46, v49, s[0:1]
	v_and_or_b32 v2, v2, s44, v48
	v_lshl_or_b32 v46, v46, 7, v2
.LBB263_169:                            ;   in Loop: Header=BB263_9 Depth=1
	s_or_b64 exec, exec, s[38:39]
.LBB263_170:                            ;   in Loop: Header=BB263_9 Depth=1
	s_or_b64 exec, exec, s[36:37]
.LBB263_171:                            ;   in Loop: Header=BB263_9 Depth=1
	s_or_b64 exec, exec, s[34:35]
	v_cmp_lt_u32_e64 s[0:1], s45, v10
	v_mov_b32_e32 v48, 0
	v_mov_b32_e32 v49, 0
	s_and_saveexec_b64 s[34:35], s[0:1]
	s_cbranch_execz .LBB263_177
; %bb.172:                              ;   in Loop: Header=BB263_9 Depth=1
	v_lshrrev_b32_e32 v2, 24, v10
	v_cmp_ne_u32_e64 s[0:1], s42, v2
	v_bfrev_b32_e32 v49, 1
	s_and_saveexec_b64 s[36:37], s[0:1]
	s_cbranch_execz .LBB263_176
; %bb.173:                              ;   in Loop: Header=BB263_9 Depth=1
	v_and_b32_e32 v10, 0x7f, v2
	v_cmp_ne_u32_e64 s[0:1], s43, v10
	v_mov_b32_e32 v49, 0x7c010000
	s_and_saveexec_b64 s[38:39], s[0:1]
	s_cbranch_execz .LBB263_175
; %bb.174:                              ;   in Loop: Header=BB263_9 Depth=1
	v_and_b32_e32 v49, 7, v2
	v_ffbh_u32_e32 v50, v49
	v_min_u32_e32 v53, 32, v50
	v_subrev_u32_e32 v50, 28, v53
	v_lshlrev_b64 v[50:51], v50, v[2:3]
	v_lshrrev_b32_e32 v52, 3, v10
	v_sub_u32_e32 v51, 29, v53
	v_cmp_gt_u32_e64 s[0:1], 8, v10
	v_lshlrev_b32_e32 v2, 8, v2
	v_and_b32_e32 v50, 7, v50
	v_cndmask_b32_e64 v10, v52, v51, s[0:1]
	v_lshl_add_u32 v10, v10, 10, v17
	v_and_or_b32 v2, v2, s44, v10
	v_cndmask_b32_e64 v49, v49, v50, s[0:1]
	v_lshlrev_b32_e32 v2, 16, v2
	v_lshl_or_b32 v49, v49, 23, v2
.LBB263_175:                            ;   in Loop: Header=BB263_9 Depth=1
	s_or_b64 exec, exec, s[38:39]
.LBB263_176:                            ;   in Loop: Header=BB263_9 Depth=1
	s_or_b64 exec, exec, s[36:37]
.LBB263_177:                            ;   in Loop: Header=BB263_9 Depth=1
	s_or_b64 exec, exec, s[34:35]
	global_load_dword v8, v[8:9], off offset:1544
	s_waitcnt vmcnt(0)
	v_cmp_ne_u16_sdwa s[0:1], v8, v3 src0_sel:BYTE_0 src1_sel:DWORD
	s_and_saveexec_b64 s[34:35], s[0:1]
	s_cbranch_execz .LBB263_183
; %bb.178:                              ;   in Loop: Header=BB263_9 Depth=1
	v_cmp_ne_u16_sdwa s[0:1], v8, s42 src0_sel:BYTE_0 src1_sel:DWORD
	v_mov_b32_e32 v48, 0x8000
	s_and_saveexec_b64 s[36:37], s[0:1]
	s_cbranch_execz .LBB263_182
; %bb.179:                              ;   in Loop: Header=BB263_9 Depth=1
	v_and_b32_e32 v2, 0x7f, v8
	v_cmp_ne_u32_e64 s[0:1], s43, v2
	v_mov_b32_e32 v48, 0x7c01
	s_and_saveexec_b64 s[38:39], s[0:1]
	s_cbranch_execz .LBB263_181
; %bb.180:                              ;   in Loop: Header=BB263_9 Depth=1
	v_and_b32_e32 v9, 7, v8
	v_ffbh_u32_e32 v48, v9
	v_min_u32_e32 v48, 32, v48
	v_lshrrev_b32_e32 v10, 3, v2
	v_subrev_u32_e32 v50, 28, v48
	v_sub_u32_e32 v48, 29, v48
	v_cmp_gt_u32_e64 s[0:1], 8, v2
	v_lshlrev_b64 v[50:51], v50, v[8:9]
	s_nop 0
	v_cndmask_b32_e64 v2, v10, v48, s[0:1]
	v_lshl_add_u32 v2, v2, 10, v17
	v_lshlrev_b32_e32 v10, 8, v8
	v_and_b32_e32 v48, 7, v50
	v_and_b32_e32 v2, 0xfc00, v2
	v_cndmask_b32_e64 v9, v9, v48, s[0:1]
	v_and_or_b32 v2, v10, s44, v2
	v_lshl_or_b32 v48, v9, 7, v2
.LBB263_181:                            ;   in Loop: Header=BB263_9 Depth=1
	s_or_b64 exec, exec, s[38:39]
.LBB263_182:                            ;   in Loop: Header=BB263_9 Depth=1
	s_or_b64 exec, exec, s[36:37]
.LBB263_183:                            ;   in Loop: Header=BB263_9 Depth=1
	s_or_b64 exec, exec, s[34:35]
	v_lshrrev_b16_e32 v2, 8, v8
	v_cmp_ne_u16_e64 s[0:1], 0, v2
	v_mov_b32_e32 v50, 0
	v_mov_b32_e32 v51, 0
	s_and_saveexec_b64 s[34:35], s[0:1]
	s_cbranch_execz .LBB263_189
; %bb.184:                              ;   in Loop: Header=BB263_9 Depth=1
	v_cmp_ne_u16_e64 s[0:1], s42, v2
	v_bfrev_b32_e32 v51, 1
	s_and_saveexec_b64 s[36:37], s[0:1]
	s_cbranch_execz .LBB263_188
; %bb.185:                              ;   in Loop: Header=BB263_9 Depth=1
	v_and_b32_e32 v9, 0x7f, v2
	v_cmp_ne_u32_e64 s[0:1], s43, v9
	v_mov_b32_e32 v51, 0x7c010000
	s_and_saveexec_b64 s[38:39], s[0:1]
	s_cbranch_execz .LBB263_187
; %bb.186:                              ;   in Loop: Header=BB263_9 Depth=1
	v_and_b32_e32 v10, 7, v2
	v_ffbh_u32_e32 v52, v10
	v_min_u32_e32 v54, 32, v52
	v_subrev_u32_e32 v52, 28, v54
	v_lshlrev_b64 v[52:53], v52, v[2:3]
	v_lshrrev_b32_e32 v51, 3, v9
	v_sub_u32_e32 v53, 29, v54
	v_cmp_gt_u32_e64 s[0:1], 8, v9
	v_lshlrev_b32_e32 v2, 8, v2
	s_nop 0
	v_cndmask_b32_e64 v9, v51, v53, s[0:1]
	v_lshl_add_u32 v9, v9, 10, v17
	v_and_b32_e32 v51, 7, v52
	v_and_or_b32 v2, v2, s44, v9
	v_cndmask_b32_e64 v10, v10, v51, s[0:1]
	v_lshlrev_b32_e32 v2, 16, v2
	v_lshl_or_b32 v51, v10, 23, v2
.LBB263_187:                            ;   in Loop: Header=BB263_9 Depth=1
	s_or_b64 exec, exec, s[38:39]
.LBB263_188:                            ;   in Loop: Header=BB263_9 Depth=1
	s_or_b64 exec, exec, s[36:37]
.LBB263_189:                            ;   in Loop: Header=BB263_9 Depth=1
	s_or_b64 exec, exec, s[34:35]
	v_lshrrev_b32_e32 v2, 16, v8
	v_cmp_ne_u16_sdwa s[0:1], v2, v3 src0_sel:BYTE_0 src1_sel:DWORD
	s_and_saveexec_b64 s[34:35], s[0:1]
	s_cbranch_execz .LBB263_195
; %bb.190:                              ;   in Loop: Header=BB263_9 Depth=1
	v_cmp_ne_u16_sdwa s[0:1], v2, s42 src0_sel:BYTE_0 src1_sel:DWORD
	v_mov_b32_e32 v50, 0x8000
	s_and_saveexec_b64 s[36:37], s[0:1]
	s_cbranch_execz .LBB263_194
; %bb.191:                              ;   in Loop: Header=BB263_9 Depth=1
	v_bfe_u32 v9, v8, 16, 7
	v_cmp_ne_u32_e64 s[0:1], s43, v9
	v_mov_b32_e32 v50, 0x7c01
	s_and_saveexec_b64 s[38:39], s[0:1]
	s_cbranch_execz .LBB263_193
; %bb.192:                              ;   in Loop: Header=BB263_9 Depth=1
	v_and_b32_e32 v10, 7, v2
	v_ffbh_u32_e32 v52, v10
	v_min_u32_e32 v54, 32, v52
	v_subrev_u32_e32 v52, 28, v54
	v_lshlrev_b64 v[52:53], v52, v[2:3]
	v_lshrrev_b32_e32 v50, 3, v9
	v_sub_u32_e32 v53, 29, v54
	v_cmp_gt_u32_e64 s[0:1], 8, v9
	v_lshlrev_b32_e32 v2, 8, v2
	s_nop 0
	v_cndmask_b32_e64 v9, v50, v53, s[0:1]
	v_lshl_add_u32 v9, v9, 10, v17
	v_and_b32_e32 v50, 7, v52
	v_and_b32_e32 v9, 0xfc00, v9
	v_cndmask_b32_e64 v10, v10, v50, s[0:1]
	v_and_or_b32 v2, v2, s44, v9
	v_lshl_or_b32 v50, v10, 7, v2
.LBB263_193:                            ;   in Loop: Header=BB263_9 Depth=1
	s_or_b64 exec, exec, s[38:39]
.LBB263_194:                            ;   in Loop: Header=BB263_9 Depth=1
	s_or_b64 exec, exec, s[36:37]
.LBB263_195:                            ;   in Loop: Header=BB263_9 Depth=1
	s_or_b64 exec, exec, s[34:35]
	v_cmp_lt_u32_e64 s[0:1], s45, v8
	v_mov_b32_e32 v52, 0
	s_and_saveexec_b64 s[34:35], s[0:1]
	s_cbranch_execz .LBB263_201
; %bb.196:                              ;   in Loop: Header=BB263_9 Depth=1
	v_lshrrev_b32_e32 v2, 24, v8
	v_cmp_ne_u32_e64 s[0:1], s42, v2
	v_bfrev_b32_e32 v52, 1
	s_and_saveexec_b64 s[36:37], s[0:1]
	s_cbranch_execz .LBB263_200
; %bb.197:                              ;   in Loop: Header=BB263_9 Depth=1
	v_and_b32_e32 v8, 0x7f, v2
	v_cmp_ne_u32_e64 s[0:1], s43, v8
	v_mov_b32_e32 v52, 0x7c010000
	s_and_saveexec_b64 s[38:39], s[0:1]
	s_cbranch_execz .LBB263_199
; %bb.198:                              ;   in Loop: Header=BB263_9 Depth=1
	v_and_b32_e32 v9, 7, v2
	v_ffbh_u32_e32 v52, v9
	v_min_u32_e32 v54, 32, v52
	v_subrev_u32_e32 v52, 28, v54
	v_lshlrev_b64 v[52:53], v52, v[2:3]
	v_lshrrev_b32_e32 v10, 3, v8
	v_sub_u32_e32 v53, 29, v54
	v_cmp_gt_u32_e64 s[0:1], 8, v8
	v_lshlrev_b32_e32 v2, 8, v2
	s_nop 0
	v_cndmask_b32_e64 v8, v10, v53, s[0:1]
	v_lshl_add_u32 v8, v8, 10, v17
	v_and_b32_e32 v10, 7, v52
	v_and_or_b32 v2, v2, s44, v8
	v_cndmask_b32_e64 v9, v9, v10, s[0:1]
	v_lshlrev_b32_e32 v2, 16, v2
	v_lshl_or_b32 v52, v9, 23, v2
.LBB263_199:                            ;   in Loop: Header=BB263_9 Depth=1
	s_or_b64 exec, exec, s[38:39]
.LBB263_200:                            ;   in Loop: Header=BB263_9 Depth=1
	s_or_b64 exec, exec, s[36:37]
.LBB263_201:                            ;   in Loop: Header=BB263_9 Depth=1
	s_or_b64 exec, exec, s[34:35]
	v_or_b32_e32 v2, v47, v45
	v_or_b32_e32 v26, v28, v26
	v_fma_mixlo_f16 v10, v19, v2, 0 op_sel_hi:[0,1,0]
	v_or_b32_e32 v2, v49, v46
	v_or_b32_e32 v25, v27, v25
	v_fma_mixlo_f16 v45, v19, v27, 0 op_sel:[0,1,0] op_sel_hi:[0,1,0]
	v_fma_mixlo_f16 v46, v19, v26, 0 op_sel_hi:[0,1,0]
	ds_read_b64 v[26:27], v14
	v_or_b32_e32 v20, v22, v20
	v_fma_mixlo_f16 v9, v19, v47, 0 op_sel:[0,1,0] op_sel_hi:[0,1,0]
	v_fma_mixlo_f16 v22, v19, v22, 0 op_sel:[0,1,0] op_sel_hi:[0,1,0]
	v_fma_mixlo_f16 v47, v19, v20, 0 op_sel_hi:[0,1,0]
	v_fma_mixlo_f16 v8, v19, v2, 0 op_sel_hi:[0,1,0]
	v_fma_mixlo_f16 v2, v19, v49, 0 op_sel:[0,1,0] op_sel_hi:[0,1,0]
	v_or_b32_e32 v20, v23, v21
	s_waitcnt lgkmcnt(0)
	v_lshrrev_b32_e32 v49, 16, v26
	v_and_b32_e32 v26, 0xffff, v26
	v_and_b32_e32 v47, 0xffff, v47
	;; [unrolled: 1-line block ×3, first 2 shown]
	v_fma_mixlo_f16 v21, v19, v20, 0 op_sel_hi:[0,1,0]
	v_fma_mixlo_f16 v23, v19, v23, 0 op_sel:[0,1,0] op_sel_hi:[0,1,0]
	v_or_b32_e32 v48, v51, v48
	v_fma_mixlo_f16 v20, v19, v51, 0 op_sel:[0,1,0] op_sel_hi:[0,1,0]
	;;#ASMSTART
	v_cvt_f32_f16 v26, v26;
	;;#ASMEND
	;;#ASMSTART
	v_cvt_f32_f16 v49, v49;
	;;#ASMEND
	;; [unrolled: 3-line block ×4, first 2 shown]
	v_lshrrev_b32_e32 v22, 16, v27
	v_and_b32_e32 v27, 0xffff, v27
	;;#ASMSTART
	v_cvt_f32_f16 v27, v27;
	;;#ASMEND
	;;#ASMSTART
	v_cvt_f32_f16 v53, v22;
	;;#ASMEND
	v_and_b32_e32 v21, 0xffff, v21
	v_and_b32_e32 v22, 0xffff, v23
	;;#ASMSTART
	v_cvt_f32_f16 v21, v21;
	;;#ASMEND
	;;#ASMSTART
	v_cvt_f32_f16 v54, v22;
	;;#ASMEND
	ds_read_b64 v[22:23], v14 offset:8
	v_or_b32_e32 v41, v43, v41
	v_or_b32_e32 v42, v44, v42
	v_or_b32_e32 v37, v39, v37
	v_or_b32_e32 v38, v40, v38
	v_or_b32_e32 v33, v35, v33
	v_or_b32_e32 v34, v36, v34
	v_or_b32_e32 v29, v31, v29
	v_or_b32_e32 v30, v32, v30
	v_fma_mixlo_f16 v25, v19, v25, 0 op_sel_hi:[0,1,0]
	v_or_b32_e32 v50, v52, v50
	v_fma_mixlo_f16 v43, v19, v43, 0 op_sel:[0,1,0] op_sel_hi:[0,1,0]
	v_fma_mixlo_f16 v41, v19, v41, 0 op_sel_hi:[0,1,0]
	v_fma_mixlo_f16 v42, v19, v42, 0 op_sel_hi:[0,1,0]
	v_fma_mixlo_f16 v44, v19, v44, 0 op_sel:[0,1,0] op_sel_hi:[0,1,0]
	v_fma_mixlo_f16 v39, v19, v39, 0 op_sel:[0,1,0] op_sel_hi:[0,1,0]
	v_fma_mixlo_f16 v37, v19, v37, 0 op_sel_hi:[0,1,0]
	v_fma_mixlo_f16 v38, v19, v38, 0 op_sel_hi:[0,1,0]
	v_fma_mixlo_f16 v40, v19, v40, 0 op_sel:[0,1,0] op_sel_hi:[0,1,0]
	;; [unrolled: 4-line block ×5, first 2 shown]
	s_waitcnt lgkmcnt(0)
	v_lshrrev_b32_e32 v52, 16, v22
	v_and_b32_e32 v22, 0xffff, v22
	v_and_b32_e32 v25, 0xffff, v25
	;;#ASMSTART
	v_cvt_f32_f16 v22, v22;
	;;#ASMEND
	;;#ASMSTART
	v_cvt_f32_f16 v52, v52;
	;;#ASMEND
	;; [unrolled: 3-line block ×3, first 2 shown]
	v_and_b32_e32 v45, 0xffff, v45
	;;#ASMSTART
	v_cvt_f32_f16 v45, v45;
	;;#ASMEND
	v_mul_f32_e32 v25, v22, v25
	v_lshrrev_b32_e32 v22, 16, v23
	v_fmac_f32_e32 v25, v26, v47
	v_mul_f32_e32 v26, v52, v45
	v_and_b32_e32 v23, 0xffff, v23
	;;#ASMSTART
	v_cvt_f32_f16 v45, v23;
	;;#ASMEND
	;;#ASMSTART
	v_cvt_f32_f16 v47, v22;
	;;#ASMEND
	v_and_b32_e32 v22, 0xffff, v46
	;;#ASMSTART
	v_cvt_f32_f16 v46, v22;
	;;#ASMEND
	v_and_b32_e32 v22, 0xffff, v28
	;;#ASMSTART
	v_cvt_f32_f16 v28, v22;
	;;#ASMEND
	ds_read_b64 v[22:23], v14 offset:16
	v_mul_f32_e32 v45, v45, v46
	v_fmac_f32_e32 v45, v27, v21
	v_mul_f32_e32 v21, v47, v28
	v_fmac_f32_e32 v26, v49, v51
	s_waitcnt lgkmcnt(0)
	v_lshrrev_b32_e32 v28, 16, v22
	v_and_b32_e32 v22, 0xffff, v22
	;;#ASMSTART
	v_cvt_f32_f16 v27, v22;
	;;#ASMEND
	v_and_b32_e32 v22, 0xffff, v29
	;;#ASMSTART
	v_cvt_f32_f16 v28, v28;
	;;#ASMEND
	;;#ASMSTART
	v_cvt_f32_f16 v29, v22;
	;;#ASMEND
	v_and_b32_e32 v22, 0xffff, v31
	;;#ASMSTART
	v_cvt_f32_f16 v31, v22;
	;;#ASMEND
	v_lshrrev_b32_e32 v22, 16, v23
	v_and_b32_e32 v23, 0xffff, v23
	;;#ASMSTART
	v_cvt_f32_f16 v46, v23;
	;;#ASMEND
	;;#ASMSTART
	v_cvt_f32_f16 v47, v22;
	;;#ASMEND
	v_and_b32_e32 v22, 0xffff, v30
	;;#ASMSTART
	v_cvt_f32_f16 v30, v22;
	;;#ASMEND
	v_and_b32_e32 v22, 0xffff, v32
	;;#ASMSTART
	v_cvt_f32_f16 v32, v22;
	;;#ASMEND
	ds_read_b64 v[22:23], v14 offset:24
	v_fmac_f32_e32 v26, v28, v31
	v_fmac_f32_e32 v25, v27, v29
	v_fmac_f32_e32 v21, v53, v54
	v_fmac_f32_e32 v45, v46, v30
	s_waitcnt lgkmcnt(0)
	v_lshrrev_b32_e32 v28, 16, v22
	v_and_b32_e32 v22, 0xffff, v22
	;;#ASMSTART
	v_cvt_f32_f16 v27, v22;
	;;#ASMEND
	v_and_b32_e32 v22, 0xffff, v33
	;;#ASMSTART
	v_cvt_f32_f16 v28, v28;
	;;#ASMEND
	;;#ASMSTART
	v_cvt_f32_f16 v29, v22;
	;;#ASMEND
	v_and_b32_e32 v22, 0xffff, v35
	;;#ASMSTART
	v_cvt_f32_f16 v30, v22;
	;;#ASMEND
	v_lshrrev_b32_e32 v22, 16, v23
	v_fmac_f32_e32 v21, v47, v32
	v_and_b32_e32 v23, 0xffff, v23
	;;#ASMSTART
	v_cvt_f32_f16 v31, v23;
	;;#ASMEND
	;;#ASMSTART
	v_cvt_f32_f16 v32, v22;
	;;#ASMEND
	v_and_b32_e32 v22, 0xffff, v34
	;;#ASMSTART
	v_cvt_f32_f16 v33, v22;
	;;#ASMEND
	v_and_b32_e32 v22, 0xffff, v36
	;;#ASMSTART
	v_cvt_f32_f16 v34, v22;
	;;#ASMEND
	ds_read_b64 v[22:23], v14 offset:32
	v_fmac_f32_e32 v26, v28, v30
	v_fmac_f32_e32 v25, v27, v29
	;; [unrolled: 1-line block ×4, first 2 shown]
	s_waitcnt lgkmcnt(0)
	v_lshrrev_b32_e32 v28, 16, v22
	v_and_b32_e32 v22, 0xffff, v22
	;;#ASMSTART
	v_cvt_f32_f16 v27, v22;
	;;#ASMEND
	v_and_b32_e32 v22, 0xffff, v37
	;;#ASMSTART
	v_cvt_f32_f16 v28, v28;
	;;#ASMEND
	;;#ASMSTART
	v_cvt_f32_f16 v29, v22;
	;;#ASMEND
	v_and_b32_e32 v22, 0xffff, v39
	;;#ASMSTART
	v_cvt_f32_f16 v30, v22;
	;;#ASMEND
	v_lshrrev_b32_e32 v22, 16, v23
	v_and_b32_e32 v23, 0xffff, v23
	;;#ASMSTART
	v_cvt_f32_f16 v31, v23;
	;;#ASMEND
	;;#ASMSTART
	v_cvt_f32_f16 v32, v22;
	;;#ASMEND
	v_and_b32_e32 v22, 0xffff, v38
	;;#ASMSTART
	v_cvt_f32_f16 v33, v22;
	;;#ASMEND
	v_and_b32_e32 v22, 0xffff, v40
	;;#ASMSTART
	v_cvt_f32_f16 v34, v22;
	;;#ASMEND
	ds_read_b64 v[22:23], v14 offset:40
	v_fmac_f32_e32 v26, v28, v30
	v_fmac_f32_e32 v25, v27, v29
	;; [unrolled: 1-line block ×4, first 2 shown]
	s_waitcnt lgkmcnt(0)
	v_lshrrev_b32_e32 v28, 16, v22
	v_and_b32_e32 v22, 0xffff, v22
	;;#ASMSTART
	v_cvt_f32_f16 v27, v22;
	;;#ASMEND
	v_and_b32_e32 v22, 0xffff, v41
	;;#ASMSTART
	v_cvt_f32_f16 v28, v28;
	;;#ASMEND
	;;#ASMSTART
	v_cvt_f32_f16 v29, v22;
	;;#ASMEND
	v_and_b32_e32 v22, 0xffff, v43
	;;#ASMSTART
	v_cvt_f32_f16 v30, v22;
	;;#ASMEND
	v_lshrrev_b32_e32 v22, 16, v23
	v_and_b32_e32 v23, 0xffff, v23
	;;#ASMSTART
	v_cvt_f32_f16 v31, v23;
	;;#ASMEND
	;;#ASMSTART
	v_cvt_f32_f16 v32, v22;
	;;#ASMEND
	v_and_b32_e32 v22, 0xffff, v42
	;;#ASMSTART
	v_cvt_f32_f16 v33, v22;
	;;#ASMEND
	v_and_b32_e32 v22, 0xffff, v44
	;;#ASMSTART
	v_cvt_f32_f16 v34, v22;
	;;#ASMEND
	ds_read_b64 v[22:23], v14 offset:48
	v_fmac_f32_e32 v25, v27, v29
	v_and_b32_e32 v10, 0xffff, v10
	v_and_b32_e32 v9, 0xffff, v9
	v_fmac_f32_e32 v26, v28, v30
	s_waitcnt lgkmcnt(0)
	v_lshrrev_b32_e32 v27, 16, v22
	v_and_b32_e32 v22, 0xffff, v22
	;;#ASMSTART
	v_cvt_f32_f16 v22, v22;
	;;#ASMEND
	;;#ASMSTART
	v_cvt_f32_f16 v27, v27;
	;;#ASMEND
	;; [unrolled: 3-line block ×4, first 2 shown]
	v_lshrrev_b32_e32 v9, 16, v23
	v_and_b32_e32 v23, 0xffff, v23
	v_and_b32_e32 v8, 0xffff, v8
	;; [unrolled: 1-line block ×3, first 2 shown]
	;;#ASMSTART
	v_cvt_f32_f16 v23, v23;
	;;#ASMEND
	;;#ASMSTART
	v_cvt_f32_f16 v29, v9;
	;;#ASMEND
	;; [unrolled: 3-line block ×4, first 2 shown]
	ds_read_b64 v[8:9], v14 offset:56
	v_fmac_f32_e32 v21, v32, v34
	v_fmac_f32_e32 v25, v22, v10
	;; [unrolled: 1-line block ×4, first 2 shown]
	s_waitcnt lgkmcnt(0)
	v_lshrrev_b32_e32 v10, 16, v8
	v_and_b32_e32 v2, 0xffff, v8
	;;#ASMSTART
	v_cvt_f32_f16 v2, v2;
	;;#ASMEND
	;;#ASMSTART
	v_cvt_f32_f16 v8, v10;
	;;#ASMEND
	v_and_b32_e32 v10, 0xffff, v48
	v_fmac_f32_e32 v26, v27, v28
	;;#ASMSTART
	v_cvt_f32_f16 v10, v10;
	;;#ASMEND
	v_and_b32_e32 v20, 0xffff, v20
	v_fmac_f32_e32 v25, v2, v10
	v_and_b32_e32 v2, 0xffff, v9
	v_fmac_f32_e32 v45, v23, v30
	;;#ASMSTART
	v_cvt_f32_f16 v20, v20;
	;;#ASMEND
	;;#ASMSTART
	v_cvt_f32_f16 v2, v2;
	;;#ASMEND
	v_and_b32_e32 v10, 0xffff, v19
	v_fmac_f32_e32 v26, v8, v20
	v_lshrrev_b32_e32 v8, 16, v9
	v_and_b32_e32 v9, 0xffff, v50
	;;#ASMSTART
	v_cvt_f32_f16 v8, v8;
	;;#ASMEND
	;;#ASMSTART
	v_cvt_f32_f16 v9, v9;
	;;#ASMEND
	;; [unrolled: 3-line block ×3, first 2 shown]
	s_nop 0
	v_fmac_f32_e32 v45, v2, v9
	v_add_f32_e32 v2, v25, v26
	v_fmac_f32_e32 v21, v8, v10
	v_add_f32_e32 v2, v2, v45
	v_add_f32_e32 v9, v21, v2
	v_and_b32_e32 v2, 64, v12
	v_xor_b32_e32 v10, 1, v12
	v_add_u32_e32 v8, 64, v2
	v_cmp_lt_i32_e64 s[0:1], v10, v8
	s_nop 1
	v_cndmask_b32_e64 v10, v12, v10, s[0:1]
	v_lshlrev_b32_e32 v10, 2, v10
	ds_bpermute_b32 v10, v10, v9
	s_and_saveexec_b64 s[34:35], vcc
	s_cbranch_execz .LBB263_8
; %bb.202:                              ;   in Loop: Header=BB263_9 Depth=1
	v_add_u32_e32 v19, s41, v15
	v_cvt_f32_i32_e32 v19, v19
	s_waitcnt lgkmcnt(0)
	v_add_f32_e32 v9, v9, v10
	v_cmp_gt_i32_e64 s[0:1], s33, v15
	v_max_f32_e32 v10, v13, v13
	v_mul_f32_e32 v19, s28, v19
	v_cndmask_b32_e64 v19, 0, v19, s[2:3]
	v_fmac_f32_e32 v19, s29, v9
	v_cndmask_b32_e64 v9, 0, v19, s[0:1]
	ds_write_b32 v16, v9
	v_max_f32_e32 v9, v10, v19
	v_cndmask_b32_e64 v13, v13, v9, s[0:1]
	s_branch .LBB263_8
.LBB263_203:
	s_or_b64 exec, exec, s[14:15]
.LBB263_204:
	s_or_b64 exec, exec, s[30:31]
	v_xor_b32_e32 v3, 32, v12
	v_cmp_lt_i32_e32 vcc, v3, v8
	v_xor_b32_e32 v6, 16, v12
	v_max_f32_e32 v5, v13, v13
	v_cndmask_b32_e32 v3, v12, v3, vcc
	v_lshlrev_b32_e32 v3, 2, v3
	ds_bpermute_b32 v4, v3, v13
	v_cmp_lt_i32_e32 vcc, v6, v8
	v_xor_b32_e32 v7, 8, v12
	v_xor_b32_e32 v9, 4, v12
	s_waitcnt lgkmcnt(0)
	v_xor_b32_e32 v10, 2, v12
	v_max_f32_e32 v4, v4, v4
	v_max_f32_e32 v5, v5, v4
	v_cndmask_b32_e32 v4, v12, v6, vcc
	v_lshlrev_b32_e32 v4, 2, v4
	ds_bpermute_b32 v6, v4, v5
	v_cmp_lt_i32_e32 vcc, v7, v8
	v_and_b32_e32 v25, 63, v0
	s_waitcnt lgkmcnt(0)
	v_max_f32_e32 v6, v6, v6
	v_max_f32_e32 v6, v5, v6
	v_cndmask_b32_e32 v5, v12, v7, vcc
	v_lshlrev_b32_e32 v5, 2, v5
	ds_bpermute_b32 v7, v5, v6
	v_cmp_lt_i32_e32 vcc, v9, v8
	s_waitcnt lgkmcnt(0)
	v_max_f32_e32 v7, v7, v7
	v_max_f32_e32 v7, v6, v7
	v_cndmask_b32_e32 v6, v12, v9, vcc
	v_lshlrev_b32_e32 v6, 2, v6
	ds_bpermute_b32 v9, v6, v7
	v_cmp_lt_i32_e32 vcc, v10, v8
	s_waitcnt lgkmcnt(0)
	v_max_f32_e32 v9, v9, v9
	v_max_f32_e32 v9, v7, v9
	v_cndmask_b32_e32 v7, v12, v10, vcc
	v_lshlrev_b32_e32 v26, 2, v7
	ds_bpermute_b32 v10, v26, v9
	v_cmp_eq_u32_e32 vcc, 0, v25
	v_lshlrev_b32_e32 v7, 2, v24
	s_and_saveexec_b64 s[0:1], vcc
	s_cbranch_execz .LBB263_206
; %bb.205:
	s_waitcnt lgkmcnt(0)
	v_max_f32_e32 v10, v10, v10
	v_max_f32_e32 v9, v9, v9
	;; [unrolled: 1-line block ×3, first 2 shown]
	ds_write_b32 v7, v9 offset:128
.LBB263_206:
	s_or_b64 exec, exec, s[0:1]
	v_cmp_gt_u32_e64 s[0:1], 2, v25
	s_waitcnt lgkmcnt(0)
	v_mov_b32_e32 v10, 0xff7fffff
	v_lshlrev_b32_e32 v9, 2, v25
	s_barrier
	s_and_saveexec_b64 s[2:3], s[0:1]
; %bb.207:
	ds_read_b32 v10, v9 offset:128
; %bb.208:
	s_or_b64 exec, exec, s[2:3]
	v_xor_b32_e32 v13, 1, v12
	v_cmp_lt_i32_e64 s[2:3], v13, v8
	v_lshlrev_b32_e32 v2, 2, v2
	s_nop 0
	v_cndmask_b32_e64 v8, v12, v13, s[2:3]
	v_lshlrev_b32_e32 v27, 2, v8
	s_waitcnt lgkmcnt(0)
	ds_bpermute_b32 v8, v27, v10
	v_max_f32_e32 v10, v10, v10
	s_lshl_b32 s2, s19, 5
	s_min_i32 s30, s2, s33
	v_cmp_gt_i32_e64 s[2:3], s30, v0
	s_waitcnt lgkmcnt(0)
	v_max_f32_e32 v8, v8, v8
	v_max_f32_e32 v8, v10, v8
	ds_bpermute_b32 v8, v2, v8
	v_mov_b32_e32 v2, 0
	s_and_saveexec_b64 s[14:15], s[2:3]
	s_cbranch_execz .LBB263_212
; %bb.209:
	v_mov_b32_e32 v2, 0x90
	v_lshl_add_u32 v10, v0, 2, v2
	v_mov_b32_e32 v2, 0
	s_mov_b64 s[28:29], 0
	v_mov_b32_e32 v13, v0
.LBB263_210:                            ; =>This Inner Loop Header: Depth=1
	ds_read_b32 v14, v10
	v_add_u32_e32 v13, 0x80, v13
	v_cmp_le_i32_e64 s[8:9], s30, v13
	s_or_b64 s[28:29], s[8:9], s[28:29]
	s_waitcnt lgkmcnt(0)
	v_sub_f32_e32 v14, v14, v8
	v_mul_f32_e32 v14, 0x3fb8aa3b, v14
	v_exp_f32_e32 v14, v14
	ds_write_b32 v10, v14
	v_add_f32_e32 v2, v2, v14
	v_add_u32_e32 v10, 0x200, v10
	s_andn2_b64 exec, exec, s[28:29]
	s_cbranch_execnz .LBB263_210
; %bb.211:
	s_or_b64 exec, exec, s[28:29]
.LBB263_212:
	s_or_b64 exec, exec, s[14:15]
	ds_bpermute_b32 v3, v3, v2
	s_waitcnt lgkmcnt(0)
	v_add_f32_e32 v2, v2, v3
	ds_bpermute_b32 v3, v4, v2
	s_waitcnt lgkmcnt(0)
	v_add_f32_e32 v2, v2, v3
	;; [unrolled: 3-line block ×6, first 2 shown]
	s_and_saveexec_b64 s[8:9], vcc
; %bb.213:
	ds_write_b32 v7, v2 offset:136
; %bb.214:
	s_or_b64 exec, exec, s[8:9]
	s_waitcnt lgkmcnt(0)
	s_barrier
	s_and_saveexec_b64 s[8:9], s[0:1]
; %bb.215:
	ds_read_b32 v2, v9 offset:136
; %bb.216:
	s_or_b64 exec, exec, s[8:9]
	s_waitcnt lgkmcnt(0)
	ds_bpermute_b32 v3, v27, v2
	v_lshlrev_b32_e32 v4, 2, v12
	s_waitcnt lgkmcnt(0)
	v_add_f32_e32 v2, v2, v3
	v_and_b32_e32 v3, 0xffffff00, v4
	ds_bpermute_b32 v2, v3, v2
	s_and_saveexec_b64 s[0:1], s[2:3]
	s_cbranch_execz .LBB263_229
; %bb.217:
	s_waitcnt lgkmcnt(0)
	v_add_f32_e32 v2, 0x358637bd, v2
	v_div_scale_f32 v3, s[2:3], v2, v2, 1.0
	v_rcp_f32_e32 v4, v3
	v_div_scale_f32 v5, vcc, 1.0, v2, 1.0
	s_movk_i32 s2, 0x7f
	v_fma_f32 v6, -v3, v4, 1.0
	v_fmac_f32_e32 v4, v6, v4
	v_mul_f32_e32 v6, v5, v4
	v_fma_f32 v7, -v3, v6, v5
	v_fmac_f32_e32 v6, v7, v4
	v_fma_f32 v3, -v3, v6, v5
	v_div_fmas_f32 v3, v3, v4, v6
	v_xad_u32 v4, v0, -1, s30
	v_div_fixup_f32 v2, v3, v2, 1.0
	v_cmp_lt_u32_e32 vcc, s2, v4
	s_mov_b64 s[8:9], -1
	v_mov_b32_e32 v3, v0
	s_and_saveexec_b64 s[2:3], vcc
	s_cbranch_execz .LBB263_226
; %bb.218:
	v_lshrrev_b32_e32 v4, 7, v4
	v_add_u32_e32 v6, -1, v4
	v_lshrrev_b32_e32 v5, 1, v6
	v_mov_b32_e32 v3, v2
	v_add_u32_e32 v5, 1, v5
	v_cmp_lt_u32_e32 vcc, 13, v6
	v_mov_b32_e32 v8, 0
	s_and_saveexec_b64 s[8:9], vcc
	s_cbranch_execz .LBB263_222
; %bb.219:
	v_mov_b32_e32 v7, 0x90
	v_and_b32_e32 v6, -8, v5
	v_lshl_add_u32 v7, v0, 2, v7
	s_mov_b32 s28, 0
	s_mov_b64 s[14:15], 0
.LBB263_220:                            ; =>This Inner Loop Header: Depth=1
	ds_read2st64_b32 v[8:9], v7 offset1:2
	ds_read2st64_b32 v[12:13], v7 offset0:4 offset1:6
	ds_read2st64_b32 v[14:15], v7 offset0:8 offset1:10
	;; [unrolled: 1-line block ×3, first 2 shown]
	v_add_u32_e32 v6, -8, v6
	s_waitcnt lgkmcnt(3)
	v_pk_mul_f32 v[8:9], v[2:3], v[8:9]
	s_waitcnt lgkmcnt(2)
	v_pk_mul_f32 v[12:13], v[2:3], v[12:13]
	ds_write2st64_b32 v7, v8, v9 offset1:2
	ds_write2st64_b32 v7, v12, v13 offset0:4 offset1:6
	ds_read2st64_b32 v[12:13], v7 offset0:16 offset1:18
	s_waitcnt lgkmcnt(4)
	v_pk_mul_f32 v[8:9], v[2:3], v[14:15]
	ds_write2st64_b32 v7, v8, v9 offset0:8 offset1:10
	s_waitcnt lgkmcnt(4)
	v_pk_mul_f32 v[8:9], v[2:3], v[16:17]
	ds_write2st64_b32 v7, v8, v9 offset0:12 offset1:14
	ds_read2st64_b32 v[8:9], v7 offset0:20 offset1:22
	s_waitcnt lgkmcnt(3)
	v_pk_mul_f32 v[12:13], v[2:3], v[12:13]
	ds_read2st64_b32 v[14:15], v7 offset0:24 offset1:26
	ds_write2st64_b32 v7, v12, v13 offset0:16 offset1:18
	ds_read2st64_b32 v[12:13], v7 offset0:28 offset1:30
	s_waitcnt lgkmcnt(3)
	v_pk_mul_f32 v[8:9], v[2:3], v[8:9]
	ds_write2st64_b32 v7, v8, v9 offset0:20 offset1:22
	s_waitcnt lgkmcnt(3)
	v_pk_mul_f32 v[8:9], v[2:3], v[14:15]
	ds_write2st64_b32 v7, v8, v9 offset0:24 offset1:26
	s_waitcnt lgkmcnt(2)
	v_pk_mul_f32 v[8:9], v[2:3], v[12:13]
	s_add_i32 s28, s28, 16
	v_cmp_eq_u32_e32 vcc, 0, v6
	ds_write2st64_b32 v7, v8, v9 offset0:28 offset1:30
	v_add_u32_e32 v7, 0x2000, v7
	s_or_b64 s[14:15], vcc, s[14:15]
	v_mov_b32_e32 v8, s28
	s_andn2_b64 exec, exec, s[14:15]
	s_cbranch_execnz .LBB263_220
; %bb.221:
	s_or_b64 exec, exec, s[14:15]
.LBB263_222:
	s_or_b64 exec, exec, s[8:9]
	v_and_b32_e32 v5, 7, v5
	v_cmp_ne_u32_e32 vcc, 0, v5
	s_and_saveexec_b64 s[8:9], vcc
	s_cbranch_execz .LBB263_225
; %bb.223:
	v_lshlrev_b32_e32 v6, 9, v8
	v_lshlrev_b32_e32 v7, 2, v0
	s_movk_i32 s14, 0x90
	v_add3_u32 v6, v6, v7, s14
	s_mov_b64 s[14:15], 0
.LBB263_224:                            ; =>This Inner Loop Header: Depth=1
	ds_read2st64_b32 v[8:9], v6 offset1:2
	v_add_u32_e32 v5, -1, v5
	v_cmp_eq_u32_e32 vcc, 0, v5
	s_or_b64 s[14:15], vcc, s[14:15]
	s_waitcnt lgkmcnt(0)
	v_pk_mul_f32 v[8:9], v[2:3], v[8:9]
	ds_write2st64_b32 v6, v8, v9 offset1:2
	v_add_u32_e32 v6, 0x400, v6
	s_andn2_b64 exec, exec, s[14:15]
	s_cbranch_execnz .LBB263_224
.LBB263_225:
	s_or_b64 exec, exec, s[8:9]
	v_add_u32_e32 v4, 1, v4
	v_and_b32_e32 v5, 0x3fffffe, v4
	v_cmp_ne_u32_e32 vcc, v4, v5
	v_lshl_add_u32 v3, v5, 7, v0
	s_orn2_b64 s[8:9], vcc, exec
.LBB263_226:
	s_or_b64 exec, exec, s[2:3]
	s_and_b64 exec, exec, s[8:9]
	s_cbranch_execz .LBB263_229
; %bb.227:
	v_mov_b32_e32 v4, 0x90
	v_lshl_add_u32 v4, v3, 2, v4
	s_mov_b64 s[2:3], 0
.LBB263_228:                            ; =>This Inner Loop Header: Depth=1
	ds_read_b32 v5, v4
	v_add_u32_e32 v3, 0x80, v3
	v_cmp_le_i32_e32 vcc, s30, v3
	s_or_b64 s[2:3], vcc, s[2:3]
	s_waitcnt lgkmcnt(0)
	v_mul_f32_e32 v5, v2, v5
	ds_write_b32 v4, v5
	v_add_u32_e32 v4, 0x200, v4
	s_andn2_b64 exec, exec, s[2:3]
	s_cbranch_execnz .LBB263_228
.LBB263_229:
	s_or_b64 exec, exec, s[0:1]
	v_mov_b32_e32 v3, 0
	v_and_b32_e32 v28, 3, v0
	s_waitcnt lgkmcnt(0)
	v_mov_b32_e32 v2, 0
	v_mov_b32_e32 v5, 0
	;; [unrolled: 1-line block ×3, first 2 shown]
	s_barrier
	s_and_saveexec_b64 s[2:3], s[6:7]
	s_cbranch_execz .LBB263_433
; %bb.230:
	s_ashr_i32 s1, s12, 31
	s_add_u32 s0, s26, s12
	s_addc_u32 s1, s27, s1
	v_and_b32_e32 v6, 0x1f8, v1
	v_mov_b32_e32 v7, 0
	s_add_i32 s26, s19, -1
	v_lshl_add_u64 v[8:9], s[0:1], 0, v[6:7]
	s_lshl_b64 s[0:1], s[24:25], 2
	v_and_b32_e32 v2, 24, v1
	v_lshlrev_b32_e32 v1, 5, v28
	s_add_u32 s0, s22, s0
	s_mov_b32 s6, -1
	v_lshl_or_b32 v1, v24, 7, v1
	v_and_b32_e32 v6, 60, v11
	s_addc_u32 s1, s23, s1
	s_mov_b32 s28, s13
	s_mov_b32 s7, 0xffffff
	;; [unrolled: 1-line block ×3, first 2 shown]
	v_lshl_or_b32 v29, v24, 5, v2
	v_add_u32_e32 v30, 0x90, v1
	v_lshl_add_u64 v[10:11], s[0:1], 0, v[6:7]
	s_mov_b64 s[8:9], 0
	s_movk_i32 s24, 0x80
	s_movk_i32 s25, 0x7f
	s_mov_b32 s29, 0x8000
	v_mov_b32_e32 v31, 0x2000
	v_mov_b32_e32 v3, 0
	;; [unrolled: 1-line block ×5, first 2 shown]
	s_branch .LBB263_232
.LBB263_231:                            ;   in Loop: Header=BB263_232 Depth=1
	s_or_b64 exec, exec, s[0:1]
	v_add_f32_e32 v12, v22, v23
	v_add_f32_e32 v2, v2, v12
	;; [unrolled: 1-line block ×5, first 2 shown]
	;;#ASMSTART
	v_pk_mul_f16 v1, v42, v1;

	;;#ASMEND
	v_add_f32_e32 v4, v4, v12
	;;#ASMSTART
	v_pk_mul_f16 v6, v41, v6;

	;;#ASMEND
	;;#ASMSTART
	v_pk_mul_f16 v12, v40, v19;

	;;#ASMEND
	;; [unrolled: 4-line block ×3, first 2 shown]
	v_add_u32_e32 v24, 2, v24
	;;#ASMSTART
	v_pk_add_f16 v1, v1, v6;

	;;#ASMEND
	v_cmp_le_i32_e32 vcc, s19, v24
	;;#ASMSTART
	v_pk_add_f16 v1, v1, v12;

	;;#ASMEND
	v_add_u32_e32 v29, 64, v29
	;;#ASMSTART
	v_pk_add_f16 v1, v1, v13;

	;;#ASMEND
	v_add_u32_e32 v30, 0x100, v30
	v_lshrrev_b32_e32 v6, 16, v1
	v_and_b32_e32 v1, 0xffff, v1
	;;#ASMSTART
	v_cvt_f32_f16 v1, v1;
	;;#ASMEND
	;;#ASMSTART
	v_cvt_f32_f16 v6, v6;
	;;#ASMEND
	s_or_b64 s[8:9], vcc, s[8:9]
	v_add_f32_e32 v1, v1, v6
	v_add_f32_e32 v3, v3, v1
	v_lshl_add_u64 v[10:11], v[10:11], 0, 8
	s_andn2_b64 exec, exec, s[8:9]
	s_cbranch_execz .LBB263_432
.LBB263_232:                            ; =>This Inner Loop Header: Depth=1
	global_load_dword v1, v[10:11], off
	ds_read2_b64 v[12:15], v30 offset1:1
	ds_read2_b64 v[16:19], v30 offset0:2 offset1:3
	s_waitcnt lgkmcnt(1)
	;;#ASMSTART
	v_cvt_f16_f32 v39, v12;

	;;#ASMEND
	;;#ASMSTART
	v_cvt_f16_f32 v40, v13;

	;;#ASMEND
	;;#ASMSTART
	v_cvt_f16_f32 v41, v14;

	;;#ASMEND
	;;#ASMSTART
	v_cvt_f16_f32 v43, v15;

	;;#ASMEND
	s_waitcnt lgkmcnt(0)
	;;#ASMSTART
	v_cvt_f16_f32 v44, v16;

	;;#ASMEND
	;;#ASMSTART
	v_cvt_f16_f32 v45, v17;

	;;#ASMEND
	;; [unrolled: 4-line block ×4, first 2 shown]
	s_waitcnt vmcnt(0)
	v_mad_i64_i32 v[12:13], s[0:1], v1, s28, v[8:9]
	global_load_dwordx2 v[16:17], v[12:13], off
	global_load_dword v14, v7, s[10:11]
	v_mov_b32_e32 v1, 0
	s_waitcnt vmcnt(1)
	v_cmp_ne_u16_sdwa s[12:13], v16, v7 src0_sel:BYTE_0 src1_sel:DWORD
	s_and_saveexec_b64 s[0:1], s[12:13]
	s_cbranch_execz .LBB263_238
; %bb.233:                              ;   in Loop: Header=BB263_232 Depth=1
	v_cmp_ne_u16_sdwa s[14:15], v16, s24 src0_sel:BYTE_0 src1_sel:DWORD
	v_mov_b32_e32 v1, 0x8000
	s_and_saveexec_b64 s[12:13], s[14:15]
	s_cbranch_execz .LBB263_237
; %bb.234:                              ;   in Loop: Header=BB263_232 Depth=1
	v_and_b32_e32 v6, 0x7f, v16
	v_cmp_ne_u32_e32 vcc, s25, v6
	v_mov_b32_e32 v1, 0x7c01
	s_and_saveexec_b64 s[14:15], vcc
	s_cbranch_execz .LBB263_236
; %bb.235:                              ;   in Loop: Header=BB263_232 Depth=1
	v_and_b32_e32 v1, 7, v16
	v_ffbh_u32_e32 v18, v1
	v_min_u32_e32 v20, 32, v18
	v_subrev_u32_e32 v18, 28, v20
	v_lshlrev_b64 v[18:19], v18, v[16:17]
	v_lshrrev_b32_e32 v15, 3, v6
	v_sub_u32_e32 v19, 29, v20
	v_cmp_gt_u32_e32 vcc, 8, v6
	v_and_b32_e32 v18, 7, v18
	s_nop 0
	v_cndmask_b32_e32 v6, v15, v19, vcc
	v_lshl_add_u32 v6, v6, 10, v31
	v_lshlrev_b32_e32 v15, 8, v16
	v_and_b32_e32 v6, 0xfc00, v6
	v_cndmask_b32_e32 v1, v1, v18, vcc
	v_and_or_b32 v6, v15, s29, v6
	v_lshl_or_b32 v1, v1, 7, v6
.LBB263_236:                            ;   in Loop: Header=BB263_232 Depth=1
	s_or_b64 exec, exec, s[14:15]
.LBB263_237:                            ;   in Loop: Header=BB263_232 Depth=1
	s_or_b64 exec, exec, s[12:13]
.LBB263_238:                            ;   in Loop: Header=BB263_232 Depth=1
	s_or_b64 exec, exec, s[0:1]
	v_lshrrev_b16_e32 v6, 8, v16
	v_cmp_ne_u16_e32 vcc, 0, v6
	v_mov_b32_e32 v15, 0
	v_mov_b32_e32 v18, 0
	s_and_saveexec_b64 s[0:1], vcc
	s_cbranch_execz .LBB263_244
; %bb.239:                              ;   in Loop: Header=BB263_232 Depth=1
	v_cmp_ne_u16_e32 vcc, s24, v6
	v_bfrev_b32_e32 v18, 1
	s_and_saveexec_b64 s[12:13], vcc
	s_cbranch_execz .LBB263_243
; %bb.240:                              ;   in Loop: Header=BB263_232 Depth=1
	v_and_b32_e32 v19, 0x7f, v6
	v_cmp_ne_u32_e32 vcc, s25, v19
	v_mov_b32_e32 v18, 0x7c010000
	s_and_saveexec_b64 s[14:15], vcc
	s_cbranch_execz .LBB263_242
; %bb.241:                              ;   in Loop: Header=BB263_232 Depth=1
	v_and_b32_e32 v18, 7, v6
	v_ffbh_u32_e32 v20, v18
	v_min_u32_e32 v23, 32, v20
	v_subrev_u32_e32 v20, 28, v23
	v_lshlrev_b64 v[20:21], v20, v[6:7]
	v_lshrrev_b32_e32 v22, 3, v19
	v_sub_u32_e32 v21, 29, v23
	v_cmp_gt_u32_e32 vcc, 8, v19
	v_lshlrev_b32_e32 v6, 8, v6
	v_and_b32_e32 v20, 7, v20
	v_cndmask_b32_e32 v19, v22, v21, vcc
	v_lshl_add_u32 v19, v19, 10, v31
	v_and_or_b32 v6, v6, s29, v19
	v_cndmask_b32_e32 v18, v18, v20, vcc
	v_lshlrev_b32_e32 v6, 16, v6
	v_lshl_or_b32 v18, v18, 23, v6
.LBB263_242:                            ;   in Loop: Header=BB263_232 Depth=1
	s_or_b64 exec, exec, s[14:15]
.LBB263_243:                            ;   in Loop: Header=BB263_232 Depth=1
	s_or_b64 exec, exec, s[12:13]
.LBB263_244:                            ;   in Loop: Header=BB263_232 Depth=1
	s_or_b64 exec, exec, s[0:1]
	v_lshrrev_b32_e32 v6, 16, v16
	v_cmp_ne_u16_sdwa s[12:13], v6, v7 src0_sel:BYTE_0 src1_sel:DWORD
	s_and_saveexec_b64 s[0:1], s[12:13]
	s_cbranch_execz .LBB263_250
; %bb.245:                              ;   in Loop: Header=BB263_232 Depth=1
	v_cmp_ne_u16_sdwa s[14:15], v6, s24 src0_sel:BYTE_0 src1_sel:DWORD
	v_mov_b32_e32 v15, 0x8000
	s_and_saveexec_b64 s[12:13], s[14:15]
	s_cbranch_execz .LBB263_249
; %bb.246:                              ;   in Loop: Header=BB263_232 Depth=1
	v_bfe_u32 v19, v16, 16, 7
	v_cmp_ne_u32_e32 vcc, s25, v19
	v_mov_b32_e32 v15, 0x7c01
	s_and_saveexec_b64 s[14:15], vcc
	s_cbranch_execz .LBB263_248
; %bb.247:                              ;   in Loop: Header=BB263_232 Depth=1
	v_and_b32_e32 v15, 7, v6
	v_ffbh_u32_e32 v20, v15
	v_min_u32_e32 v23, 32, v20
	v_subrev_u32_e32 v20, 28, v23
	v_lshlrev_b64 v[20:21], v20, v[6:7]
	v_lshrrev_b32_e32 v22, 3, v19
	v_sub_u32_e32 v21, 29, v23
	v_cmp_gt_u32_e32 vcc, 8, v19
	v_lshlrev_b32_e32 v6, 8, v6
	v_and_b32_e32 v20, 7, v20
	v_cndmask_b32_e32 v19, v22, v21, vcc
	v_lshl_add_u32 v19, v19, 10, v31
	v_and_b32_e32 v19, 0xfc00, v19
	v_cndmask_b32_e32 v15, v15, v20, vcc
	v_and_or_b32 v6, v6, s29, v19
	v_lshl_or_b32 v15, v15, 7, v6
.LBB263_248:                            ;   in Loop: Header=BB263_232 Depth=1
	s_or_b64 exec, exec, s[14:15]
.LBB263_249:                            ;   in Loop: Header=BB263_232 Depth=1
	s_or_b64 exec, exec, s[12:13]
.LBB263_250:                            ;   in Loop: Header=BB263_232 Depth=1
	s_or_b64 exec, exec, s[0:1]
	v_cmp_lt_u32_e32 vcc, s7, v16
	v_mov_b32_e32 v19, 0
	v_mov_b32_e32 v20, 0
	s_and_saveexec_b64 s[0:1], vcc
	s_cbranch_execz .LBB263_256
; %bb.251:                              ;   in Loop: Header=BB263_232 Depth=1
	v_lshrrev_b32_e32 v6, 24, v16
	v_cmp_ne_u32_e32 vcc, s24, v6
	v_bfrev_b32_e32 v20, 1
	s_and_saveexec_b64 s[12:13], vcc
	s_cbranch_execz .LBB263_255
; %bb.252:                              ;   in Loop: Header=BB263_232 Depth=1
	v_and_b32_e32 v21, 0x7f, v6
	v_cmp_ne_u32_e32 vcc, s25, v21
	v_mov_b32_e32 v20, 0x7c010000
	s_and_saveexec_b64 s[14:15], vcc
	s_cbranch_execz .LBB263_254
; %bb.253:                              ;   in Loop: Header=BB263_232 Depth=1
	v_and_b32_e32 v20, 7, v6
	v_ffbh_u32_e32 v22, v20
	v_min_u32_e32 v33, 32, v22
	v_subrev_u32_e32 v22, 28, v33
	v_lshlrev_b64 v[22:23], v22, v[6:7]
	v_lshrrev_b32_e32 v32, 3, v21
	v_sub_u32_e32 v23, 29, v33
	v_cmp_gt_u32_e32 vcc, 8, v21
	v_lshlrev_b32_e32 v6, 8, v6
	v_and_b32_e32 v22, 7, v22
	v_cndmask_b32_e32 v21, v32, v23, vcc
	v_lshl_add_u32 v21, v21, 10, v31
	v_and_or_b32 v6, v6, s29, v21
	v_cndmask_b32_e32 v20, v20, v22, vcc
	v_lshlrev_b32_e32 v6, 16, v6
	v_lshl_or_b32 v20, v20, 23, v6
.LBB263_254:                            ;   in Loop: Header=BB263_232 Depth=1
	s_or_b64 exec, exec, s[14:15]
.LBB263_255:                            ;   in Loop: Header=BB263_232 Depth=1
	s_or_b64 exec, exec, s[12:13]
.LBB263_256:                            ;   in Loop: Header=BB263_232 Depth=1
	s_or_b64 exec, exec, s[0:1]
	v_mov_b32_e32 v6, v17
	v_cmp_ne_u16_sdwa s[12:13], v17, v7 src0_sel:BYTE_0 src1_sel:DWORD
	s_and_saveexec_b64 s[0:1], s[12:13]
	s_cbranch_execz .LBB263_262
; %bb.257:                              ;   in Loop: Header=BB263_232 Depth=1
	v_cmp_ne_u16_sdwa s[14:15], v17, s24 src0_sel:BYTE_0 src1_sel:DWORD
	v_mov_b32_e32 v19, 0x8000
	s_and_saveexec_b64 s[12:13], s[14:15]
	s_cbranch_execz .LBB263_261
; %bb.258:                              ;   in Loop: Header=BB263_232 Depth=1
	v_and_b32_e32 v21, 0x7f, v17
	v_cmp_ne_u32_e32 vcc, s25, v21
	v_mov_b32_e32 v19, 0x7c01
	s_and_saveexec_b64 s[14:15], vcc
	s_cbranch_execz .LBB263_260
; %bb.259:                              ;   in Loop: Header=BB263_232 Depth=1
	v_and_b32_e32 v19, 7, v17
	v_ffbh_u32_e32 v22, v19
	v_min_u32_e32 v33, 32, v22
	v_subrev_u32_e32 v22, 28, v33
	v_lshlrev_b64 v[22:23], v22, v[6:7]
	v_lshrrev_b32_e32 v32, 3, v21
	v_sub_u32_e32 v23, 29, v33
	v_cmp_gt_u32_e32 vcc, 8, v21
	v_and_b32_e32 v22, 7, v22
	s_nop 0
	v_cndmask_b32_e32 v21, v32, v23, vcc
	v_lshl_add_u32 v21, v21, 10, v31
	v_lshlrev_b32_e32 v23, 8, v17
	v_and_b32_e32 v21, 0xfc00, v21
	v_cndmask_b32_e32 v19, v19, v22, vcc
	v_and_or_b32 v21, v23, s29, v21
	v_lshl_or_b32 v19, v19, 7, v21
.LBB263_260:                            ;   in Loop: Header=BB263_232 Depth=1
	s_or_b64 exec, exec, s[14:15]
.LBB263_261:                            ;   in Loop: Header=BB263_232 Depth=1
	s_or_b64 exec, exec, s[12:13]
.LBB263_262:                            ;   in Loop: Header=BB263_232 Depth=1
	s_or_b64 exec, exec, s[0:1]
	v_lshrrev_b16_e32 v6, 8, v6
	v_cmp_ne_u16_e32 vcc, 0, v6
	v_mov_b32_e32 v22, 0
	v_mov_b32_e32 v21, 0
	s_and_saveexec_b64 s[0:1], vcc
	s_cbranch_execz .LBB263_268
; %bb.263:                              ;   in Loop: Header=BB263_232 Depth=1
	v_cmp_ne_u16_e32 vcc, s24, v6
	v_bfrev_b32_e32 v21, 1
	s_and_saveexec_b64 s[12:13], vcc
	s_cbranch_execz .LBB263_267
; %bb.264:                              ;   in Loop: Header=BB263_232 Depth=1
	v_and_b32_e32 v23, 0x7f, v6
	v_cmp_ne_u32_e32 vcc, s25, v23
	v_mov_b32_e32 v21, 0x7c010000
	s_and_saveexec_b64 s[14:15], vcc
	s_cbranch_execz .LBB263_266
; %bb.265:                              ;   in Loop: Header=BB263_232 Depth=1
	v_and_b32_e32 v21, 7, v6
	v_ffbh_u32_e32 v32, v21
	v_min_u32_e32 v35, 32, v32
	v_subrev_u32_e32 v32, 28, v35
	v_lshlrev_b64 v[32:33], v32, v[6:7]
	v_lshrrev_b32_e32 v34, 3, v23
	v_sub_u32_e32 v33, 29, v35
	v_cmp_gt_u32_e32 vcc, 8, v23
	v_lshlrev_b32_e32 v6, 8, v6
	v_and_b32_e32 v32, 7, v32
	v_cndmask_b32_e32 v23, v34, v33, vcc
	v_lshl_add_u32 v23, v23, 10, v31
	v_and_or_b32 v6, v6, s29, v23
	v_cndmask_b32_e32 v21, v21, v32, vcc
	v_lshlrev_b32_e32 v6, 16, v6
	v_lshl_or_b32 v21, v21, 23, v6
.LBB263_266:                            ;   in Loop: Header=BB263_232 Depth=1
	s_or_b64 exec, exec, s[14:15]
.LBB263_267:                            ;   in Loop: Header=BB263_232 Depth=1
	s_or_b64 exec, exec, s[12:13]
.LBB263_268:                            ;   in Loop: Header=BB263_232 Depth=1
	s_or_b64 exec, exec, s[0:1]
	v_lshrrev_b32_e32 v6, 16, v17
	v_cmp_ne_u16_sdwa s[12:13], v6, v7 src0_sel:BYTE_0 src1_sel:DWORD
	s_and_saveexec_b64 s[0:1], s[12:13]
	s_cbranch_execz .LBB263_274
; %bb.269:                              ;   in Loop: Header=BB263_232 Depth=1
	v_cmp_ne_u16_sdwa s[14:15], v6, s24 src0_sel:BYTE_0 src1_sel:DWORD
	v_mov_b32_e32 v22, 0x8000
	s_and_saveexec_b64 s[12:13], s[14:15]
	s_cbranch_execz .LBB263_273
; %bb.270:                              ;   in Loop: Header=BB263_232 Depth=1
	v_bfe_u32 v23, v17, 16, 7
	v_cmp_ne_u32_e32 vcc, s25, v23
	v_mov_b32_e32 v22, 0x7c01
	s_and_saveexec_b64 s[14:15], vcc
	s_cbranch_execz .LBB263_272
; %bb.271:                              ;   in Loop: Header=BB263_232 Depth=1
	v_and_b32_e32 v22, 7, v6
	v_ffbh_u32_e32 v32, v22
	v_min_u32_e32 v35, 32, v32
	v_subrev_u32_e32 v32, 28, v35
	v_lshlrev_b64 v[32:33], v32, v[6:7]
	v_lshrrev_b32_e32 v34, 3, v23
	v_sub_u32_e32 v33, 29, v35
	v_cmp_gt_u32_e32 vcc, 8, v23
	v_lshlrev_b32_e32 v6, 8, v6
	v_and_b32_e32 v32, 7, v32
	v_cndmask_b32_e32 v23, v34, v33, vcc
	v_lshl_add_u32 v23, v23, 10, v31
	v_and_b32_e32 v23, 0xfc00, v23
	v_cndmask_b32_e32 v22, v22, v32, vcc
	v_and_or_b32 v6, v6, s29, v23
	v_lshl_or_b32 v22, v22, 7, v6
.LBB263_272:                            ;   in Loop: Header=BB263_232 Depth=1
	s_or_b64 exec, exec, s[14:15]
.LBB263_273:                            ;   in Loop: Header=BB263_232 Depth=1
	s_or_b64 exec, exec, s[12:13]
.LBB263_274:                            ;   in Loop: Header=BB263_232 Depth=1
	s_or_b64 exec, exec, s[0:1]
	v_cmp_lt_u64_e32 vcc, s[6:7], v[16:17]
	v_mov_b32_e32 v23, 0
	s_and_saveexec_b64 s[0:1], vcc
	s_cbranch_execz .LBB263_280
; %bb.275:                              ;   in Loop: Header=BB263_232 Depth=1
	v_lshrrev_b32_e32 v6, 24, v17
	v_cmp_ne_u32_e32 vcc, s24, v6
	v_bfrev_b32_e32 v23, 1
	s_and_saveexec_b64 s[12:13], vcc
	s_cbranch_execz .LBB263_279
; %bb.276:                              ;   in Loop: Header=BB263_232 Depth=1
	v_and_b32_e32 v16, 0x7f, v6
	v_cmp_ne_u32_e32 vcc, s25, v16
	v_mov_b32_e32 v23, 0x7c010000
	s_and_saveexec_b64 s[14:15], vcc
	s_cbranch_execz .LBB263_278
; %bb.277:                              ;   in Loop: Header=BB263_232 Depth=1
	v_and_b32_e32 v17, 7, v6
	v_ffbh_u32_e32 v32, v17
	v_min_u32_e32 v34, 32, v32
	v_subrev_u32_e32 v32, 28, v34
	v_lshlrev_b64 v[32:33], v32, v[6:7]
	v_lshrrev_b32_e32 v23, 3, v16
	v_sub_u32_e32 v33, 29, v34
	v_cmp_gt_u32_e32 vcc, 8, v16
	v_lshlrev_b32_e32 v6, 8, v6
	s_nop 0
	v_cndmask_b32_e32 v16, v23, v33, vcc
	v_lshl_add_u32 v16, v16, 10, v31
	v_and_b32_e32 v23, 7, v32
	v_and_or_b32 v6, v6, s29, v16
	v_cndmask_b32_e32 v17, v17, v23, vcc
	v_lshlrev_b32_e32 v6, 16, v6
	v_lshl_or_b32 v23, v17, 23, v6
.LBB263_278:                            ;   in Loop: Header=BB263_232 Depth=1
	s_or_b64 exec, exec, s[14:15]
.LBB263_279:                            ;   in Loop: Header=BB263_232 Depth=1
	s_or_b64 exec, exec, s[12:13]
.LBB263_280:                            ;   in Loop: Header=BB263_232 Depth=1
	s_or_b64 exec, exec, s[0:1]
	v_cvt_f32_f16_sdwa v17, v18 dst_sel:DWORD dst_unused:UNUSED_PAD src0_sel:WORD_1
	v_cvt_f32_f16_sdwa v16, v20 dst_sel:DWORD dst_unused:UNUSED_PAD src0_sel:WORD_1
	v_or_b32_e32 v1, v18, v1
	v_or_b32_e32 v6, v20, v15
	v_cvt_f32_f16_e32 v32, v6
	v_cvt_f32_f16_e32 v33, v1
	s_waitcnt vmcnt(0)
	v_pk_mul_f32 v[16:17], v[14:15], v[16:17] op_sel_hi:[0,1]
	v_cvt_pk_f16_f32 v1, v16, v17
	v_and_b32_e32 v15, 0xffff0000, v1
	v_pk_mul_f32 v[32:33], v[14:15], v[32:33] op_sel_hi:[0,1]
	v_or_b32_e32 v6, v21, v19
	v_or_b32_e32 v19, v23, v22
	v_lshlrev_b32_e32 v16, 16, v1
	v_cvt_pk_f16_f32 v1, v32, v33
	v_cvt_f32_f16_e32 v32, v19
	v_cvt_f32_f16_e32 v33, v6
	v_cvt_f32_f16_sdwa v21, v21 dst_sel:DWORD dst_unused:UNUSED_PAD src0_sel:WORD_1
	v_cvt_f32_f16_sdwa v20, v23 dst_sel:DWORD dst_unused:UNUSED_PAD src0_sel:WORD_1
	v_lshrrev_b32_e32 v17, 16, v1
	v_pk_mul_f32 v[22:23], v[14:15], v[32:33] op_sel_hi:[0,1]
	v_cvt_pk_f16_f32 v22, v22, v23
	v_pk_mul_f32 v[20:21], v[14:15], v[20:21] op_sel_hi:[0,1]
	v_cvt_pk_f16_f32 v14, v20, v21
	v_and_b32_e32 v18, 0xffff, v1
	v_and_b32_e32 v19, 0xffff0000, v14
	v_lshlrev_b32_e32 v14, 16, v14
	v_lshrrev_b32_e32 v23, 16, v22
	v_and_b32_e32 v22, 0xffff, v22
	v_cmp_eq_u32_e32 vcc, s26, v24
	v_or_b32_e32 v1, v15, v17
	v_or_b32_e32 v6, v16, v18
	;; [unrolled: 1-line block ×4, first 2 shown]
	v_add_u32_e32 v38, 2, v29
	v_or_b32_e32 v37, 1, v29
	v_or_b32_e32 v36, 3, v29
	;; [unrolled: 1-line block ×6, first 2 shown]
	s_and_saveexec_b64 s[12:13], vcc
	s_cbranch_execz .LBB263_282
; %bb.281:                              ;   in Loop: Header=BB263_232 Depth=1
	v_cmp_gt_i32_e64 s[0:1], s27, v29
	s_nop 1
	v_cndmask_b32_e64 v1, 0, v17, s[0:1]
	v_cmp_gt_i32_e64 s[0:1], s33, v38
	s_nop 1
	v_cndmask_b32_e64 v6, 0, v18, s[0:1]
	;; [unrolled: 3-line block ×3, first 2 shown]
	v_cmp_gt_i32_e64 s[0:1], s33, v36
	v_or_b32_e32 v1, v15, v1
	s_nop 0
	v_cndmask_b32_e64 v16, 0, v16, s[0:1]
	v_cmp_gt_i32_e64 s[0:1], s27, v35
	v_or_b32_e32 v6, v16, v6
	s_nop 0
	v_cndmask_b32_e64 v15, 0, v23, s[0:1]
	v_cmp_gt_i32_e64 s[0:1], s33, v34
	s_nop 1
	v_cndmask_b32_e64 v16, 0, v22, s[0:1]
	v_cmp_gt_i32_e64 s[0:1], s27, v33
	;; [unrolled: 3-line block ×3, first 2 shown]
	v_or_b32_e32 v21, v17, v15
	s_nop 0
	v_cndmask_b32_e64 v14, 0, v14, s[0:1]
	v_or_b32_e32 v20, v14, v16
.LBB263_282:                            ;   in Loop: Header=BB263_232 Depth=1
	s_or_b64 exec, exec, s[12:13]
	v_and_b32_e32 v14, 0xffff, v39
	v_lshl_or_b32 v42, v40, 16, v14
	v_and_b32_e32 v14, 0xffff, v41
	v_lshl_or_b32 v41, v43, 16, v14
	;; [unrolled: 2-line block ×3, first 2 shown]
	v_and_b32_e32 v14, 0xffff, v46
	;;#ASMSTART
	v_pk_mul_f16 v1, v42, v1;

	;;#ASMEND
	v_lshl_or_b32 v39, v47, 16, v14
	;;#ASMSTART
	v_pk_mul_f16 v6, v41, v6;

	;;#ASMEND
	;;#ASMSTART
	v_pk_mul_f16 v14, v40, v21;

	;;#ASMEND
	;; [unrolled: 4-line block ×3, first 2 shown]
	s_nop 0
	;;#ASMSTART
	v_pk_add_f16 v1, v1, v6;

	;;#ASMEND
	s_nop 0
	;;#ASMSTART
	v_pk_add_f16 v1, v1, v14;

	;;#ASMEND
	;; [unrolled: 5-line block ×3, first 2 shown]
	v_mov_b32_e32 v15, 0
	v_lshrrev_b32_e32 v6, 16, v1
	v_and_b32_e32 v1, 0xffff, v1
	;;#ASMSTART
	v_cvt_f32_f16 v43, v1;
	;;#ASMEND
	;;#ASMSTART
	v_cvt_f32_f16 v44, v6;
	;;#ASMEND
	global_load_dwordx2 v[16:17], v[12:13], off offset:512
	v_mov_b32_e32 v1, 0
	global_load_dword v14, v1, s[10:11]
	s_waitcnt vmcnt(1)
	v_cmp_ne_u16_sdwa s[0:1], v16, v7 src0_sel:BYTE_0 src1_sel:DWORD
	s_and_saveexec_b64 s[12:13], s[0:1]
	s_cbranch_execz .LBB263_288
; %bb.283:                              ;   in Loop: Header=BB263_232 Depth=1
	v_cmp_ne_u16_sdwa s[0:1], v16, s24 src0_sel:BYTE_0 src1_sel:DWORD
	v_mov_b32_e32 v15, 0x8000
	s_and_saveexec_b64 s[14:15], s[0:1]
	s_cbranch_execz .LBB263_287
; %bb.284:                              ;   in Loop: Header=BB263_232 Depth=1
	v_and_b32_e32 v6, 0x7f, v16
	v_cmp_ne_u32_e64 s[0:1], s25, v6
	v_mov_b32_e32 v15, 0x7c01
	s_and_saveexec_b64 s[22:23], s[0:1]
	s_cbranch_execz .LBB263_286
; %bb.285:                              ;   in Loop: Header=BB263_232 Depth=1
	v_and_b32_e32 v15, 7, v16
	v_ffbh_u32_e32 v18, v15
	v_min_u32_e32 v21, 32, v18
	v_subrev_u32_e32 v18, 28, v21
	v_lshlrev_b64 v[18:19], v18, v[16:17]
	v_lshrrev_b32_e32 v20, 3, v6
	v_sub_u32_e32 v19, 29, v21
	v_cmp_gt_u32_e64 s[0:1], 8, v6
	v_and_b32_e32 v18, 7, v18
	s_nop 0
	v_cndmask_b32_e64 v6, v20, v19, s[0:1]
	v_lshl_add_u32 v6, v6, 10, v31
	v_lshlrev_b32_e32 v19, 8, v16
	v_and_b32_e32 v6, 0xfc00, v6
	v_cndmask_b32_e64 v15, v15, v18, s[0:1]
	v_and_or_b32 v6, v19, s29, v6
	v_lshl_or_b32 v15, v15, 7, v6
.LBB263_286:                            ;   in Loop: Header=BB263_232 Depth=1
	s_or_b64 exec, exec, s[22:23]
.LBB263_287:                            ;   in Loop: Header=BB263_232 Depth=1
	s_or_b64 exec, exec, s[14:15]
.LBB263_288:                            ;   in Loop: Header=BB263_232 Depth=1
	s_or_b64 exec, exec, s[12:13]
	v_lshrrev_b16_e32 v6, 8, v16
	v_cmp_ne_u16_e64 s[0:1], 0, v6
	s_and_saveexec_b64 s[12:13], s[0:1]
	s_cbranch_execz .LBB263_294
; %bb.289:                              ;   in Loop: Header=BB263_232 Depth=1
	v_cmp_ne_u16_e64 s[0:1], s24, v6
	v_bfrev_b32_e32 v1, 1
	s_and_saveexec_b64 s[14:15], s[0:1]
	s_cbranch_execz .LBB263_293
; %bb.290:                              ;   in Loop: Header=BB263_232 Depth=1
	v_and_b32_e32 v18, 0x7f, v6
	v_cmp_ne_u32_e64 s[0:1], s25, v18
	v_mov_b32_e32 v1, 0x7c010000
	s_and_saveexec_b64 s[22:23], s[0:1]
	s_cbranch_execz .LBB263_292
; %bb.291:                              ;   in Loop: Header=BB263_232 Depth=1
	v_and_b32_e32 v1, 7, v6
	v_ffbh_u32_e32 v20, v1
	v_min_u32_e32 v22, 32, v20
	v_subrev_u32_e32 v20, 28, v22
	v_lshlrev_b64 v[20:21], v20, v[6:7]
	v_lshrrev_b32_e32 v19, 3, v18
	v_sub_u32_e32 v21, 29, v22
	v_cmp_gt_u32_e64 s[0:1], 8, v18
	v_lshlrev_b32_e32 v6, 8, v6
	s_nop 0
	v_cndmask_b32_e64 v18, v19, v21, s[0:1]
	v_lshl_add_u32 v18, v18, 10, v31
	v_and_b32_e32 v19, 7, v20
	v_and_or_b32 v6, v6, s29, v18
	v_cndmask_b32_e64 v1, v1, v19, s[0:1]
	v_lshlrev_b32_e32 v6, 16, v6
	v_lshl_or_b32 v1, v1, 23, v6
.LBB263_292:                            ;   in Loop: Header=BB263_232 Depth=1
	s_or_b64 exec, exec, s[22:23]
.LBB263_293:                            ;   in Loop: Header=BB263_232 Depth=1
	s_or_b64 exec, exec, s[14:15]
.LBB263_294:                            ;   in Loop: Header=BB263_232 Depth=1
	s_or_b64 exec, exec, s[12:13]
	v_lshrrev_b32_e32 v6, 16, v16
	v_cmp_ne_u16_sdwa s[0:1], v6, v7 src0_sel:BYTE_0 src1_sel:DWORD
	v_mov_b32_e32 v19, 0
	v_mov_b32_e32 v18, 0
	s_and_saveexec_b64 s[12:13], s[0:1]
	s_cbranch_execz .LBB263_300
; %bb.295:                              ;   in Loop: Header=BB263_232 Depth=1
	v_cmp_ne_u16_sdwa s[0:1], v6, s24 src0_sel:BYTE_0 src1_sel:DWORD
	v_mov_b32_e32 v18, 0x8000
	s_and_saveexec_b64 s[14:15], s[0:1]
	s_cbranch_execz .LBB263_299
; %bb.296:                              ;   in Loop: Header=BB263_232 Depth=1
	v_bfe_u32 v20, v16, 16, 7
	v_cmp_ne_u32_e64 s[0:1], s25, v20
	v_mov_b32_e32 v18, 0x7c01
	s_and_saveexec_b64 s[22:23], s[0:1]
	s_cbranch_execz .LBB263_298
; %bb.297:                              ;   in Loop: Header=BB263_232 Depth=1
	v_and_b32_e32 v18, 7, v6
	v_ffbh_u32_e32 v22, v18
	v_min_u32_e32 v45, 32, v22
	v_subrev_u32_e32 v22, 28, v45
	v_lshlrev_b64 v[22:23], v22, v[6:7]
	v_lshrrev_b32_e32 v21, 3, v20
	v_sub_u32_e32 v23, 29, v45
	v_cmp_gt_u32_e64 s[0:1], 8, v20
	v_lshlrev_b32_e32 v6, 8, v6
	s_nop 0
	v_cndmask_b32_e64 v20, v21, v23, s[0:1]
	v_lshl_add_u32 v20, v20, 10, v31
	v_and_b32_e32 v21, 7, v22
	v_and_b32_e32 v20, 0xfc00, v20
	v_cndmask_b32_e64 v18, v18, v21, s[0:1]
	v_and_or_b32 v6, v6, s29, v20
	v_lshl_or_b32 v18, v18, 7, v6
.LBB263_298:                            ;   in Loop: Header=BB263_232 Depth=1
	s_or_b64 exec, exec, s[22:23]
.LBB263_299:                            ;   in Loop: Header=BB263_232 Depth=1
	s_or_b64 exec, exec, s[14:15]
.LBB263_300:                            ;   in Loop: Header=BB263_232 Depth=1
	s_or_b64 exec, exec, s[12:13]
	v_cmp_lt_u32_e64 s[0:1], s7, v16
	s_and_saveexec_b64 s[12:13], s[0:1]
	s_cbranch_execz .LBB263_306
; %bb.301:                              ;   in Loop: Header=BB263_232 Depth=1
	v_lshrrev_b32_e32 v6, 24, v16
	v_cmp_ne_u32_e64 s[0:1], s24, v6
	v_bfrev_b32_e32 v19, 1
	s_and_saveexec_b64 s[14:15], s[0:1]
	s_cbranch_execz .LBB263_305
; %bb.302:                              ;   in Loop: Header=BB263_232 Depth=1
	v_and_b32_e32 v20, 0x7f, v6
	v_cmp_ne_u32_e64 s[0:1], s25, v20
	v_mov_b32_e32 v19, 0x7c010000
	s_and_saveexec_b64 s[22:23], s[0:1]
	s_cbranch_execz .LBB263_304
; %bb.303:                              ;   in Loop: Header=BB263_232 Depth=1
	v_and_b32_e32 v19, 7, v6
	v_ffbh_u32_e32 v22, v19
	v_min_u32_e32 v45, 32, v22
	v_subrev_u32_e32 v22, 28, v45
	v_lshlrev_b64 v[22:23], v22, v[6:7]
	v_lshrrev_b32_e32 v21, 3, v20
	v_sub_u32_e32 v23, 29, v45
	v_cmp_gt_u32_e64 s[0:1], 8, v20
	v_lshlrev_b32_e32 v6, 8, v6
	s_nop 0
	v_cndmask_b32_e64 v20, v21, v23, s[0:1]
	v_lshl_add_u32 v20, v20, 10, v31
	v_and_b32_e32 v21, 7, v22
	v_and_or_b32 v6, v6, s29, v20
	v_cndmask_b32_e64 v19, v19, v21, s[0:1]
	v_lshlrev_b32_e32 v6, 16, v6
	v_lshl_or_b32 v19, v19, 23, v6
.LBB263_304:                            ;   in Loop: Header=BB263_232 Depth=1
	s_or_b64 exec, exec, s[22:23]
.LBB263_305:                            ;   in Loop: Header=BB263_232 Depth=1
	s_or_b64 exec, exec, s[14:15]
.LBB263_306:                            ;   in Loop: Header=BB263_232 Depth=1
	s_or_b64 exec, exec, s[12:13]
	v_mov_b32_e32 v6, v17
	v_cmp_ne_u16_sdwa s[0:1], v17, v7 src0_sel:BYTE_0 src1_sel:DWORD
	v_mov_b32_e32 v20, 0
	v_mov_b32_e32 v21, 0
	s_and_saveexec_b64 s[12:13], s[0:1]
	s_cbranch_execz .LBB263_312
; %bb.307:                              ;   in Loop: Header=BB263_232 Depth=1
	v_cmp_ne_u16_sdwa s[0:1], v17, s24 src0_sel:BYTE_0 src1_sel:DWORD
	v_mov_b32_e32 v21, 0x8000
	s_and_saveexec_b64 s[14:15], s[0:1]
	s_cbranch_execz .LBB263_311
; %bb.308:                              ;   in Loop: Header=BB263_232 Depth=1
	v_and_b32_e32 v22, 0x7f, v17
	v_cmp_ne_u32_e64 s[0:1], s25, v22
	v_mov_b32_e32 v21, 0x7c01
	s_and_saveexec_b64 s[22:23], s[0:1]
	s_cbranch_execz .LBB263_310
; %bb.309:                              ;   in Loop: Header=BB263_232 Depth=1
	v_and_b32_e32 v21, 7, v17
	v_ffbh_u32_e32 v45, v21
	v_min_u32_e32 v45, 32, v45
	v_lshrrev_b32_e32 v23, 3, v22
	v_subrev_u32_e32 v46, 28, v45
	v_sub_u32_e32 v45, 29, v45
	v_cmp_gt_u32_e64 s[0:1], 8, v22
	v_lshlrev_b64 v[46:47], v46, v[6:7]
	s_nop 0
	v_cndmask_b32_e64 v22, v23, v45, s[0:1]
	v_lshl_add_u32 v22, v22, 10, v31
	v_lshlrev_b32_e32 v23, 8, v17
	v_and_b32_e32 v45, 7, v46
	v_and_b32_e32 v22, 0xfc00, v22
	v_cndmask_b32_e64 v21, v21, v45, s[0:1]
	v_and_or_b32 v22, v23, s29, v22
	v_lshl_or_b32 v21, v21, 7, v22
.LBB263_310:                            ;   in Loop: Header=BB263_232 Depth=1
	s_or_b64 exec, exec, s[22:23]
.LBB263_311:                            ;   in Loop: Header=BB263_232 Depth=1
	s_or_b64 exec, exec, s[14:15]
.LBB263_312:                            ;   in Loop: Header=BB263_232 Depth=1
	s_or_b64 exec, exec, s[12:13]
	v_lshrrev_b16_e32 v6, 8, v6
	v_cmp_ne_u16_e64 s[0:1], 0, v6
	v_mov_b32_e32 v22, 0
	s_and_saveexec_b64 s[12:13], s[0:1]
	s_cbranch_execz .LBB263_318
; %bb.313:                              ;   in Loop: Header=BB263_232 Depth=1
	v_cmp_ne_u16_e64 s[0:1], s24, v6
	v_bfrev_b32_e32 v22, 1
	s_and_saveexec_b64 s[14:15], s[0:1]
	s_cbranch_execz .LBB263_317
; %bb.314:                              ;   in Loop: Header=BB263_232 Depth=1
	v_and_b32_e32 v23, 0x7f, v6
	v_cmp_ne_u32_e64 s[0:1], s25, v23
	v_mov_b32_e32 v22, 0x7c010000
	s_and_saveexec_b64 s[22:23], s[0:1]
	s_cbranch_execz .LBB263_316
; %bb.315:                              ;   in Loop: Header=BB263_232 Depth=1
	v_and_b32_e32 v22, 7, v6
	v_ffbh_u32_e32 v46, v22
	v_min_u32_e32 v48, 32, v46
	v_subrev_u32_e32 v46, 28, v48
	v_lshlrev_b64 v[46:47], v46, v[6:7]
	v_lshrrev_b32_e32 v45, 3, v23
	v_sub_u32_e32 v47, 29, v48
	v_cmp_gt_u32_e64 s[0:1], 8, v23
	v_lshlrev_b32_e32 v6, 8, v6
	s_nop 0
	v_cndmask_b32_e64 v23, v45, v47, s[0:1]
	v_lshl_add_u32 v23, v23, 10, v31
	v_and_b32_e32 v45, 7, v46
	v_and_or_b32 v6, v6, s29, v23
	v_cndmask_b32_e64 v22, v22, v45, s[0:1]
	v_lshlrev_b32_e32 v6, 16, v6
	v_lshl_or_b32 v22, v22, 23, v6
.LBB263_316:                            ;   in Loop: Header=BB263_232 Depth=1
	s_or_b64 exec, exec, s[22:23]
.LBB263_317:                            ;   in Loop: Header=BB263_232 Depth=1
	s_or_b64 exec, exec, s[14:15]
.LBB263_318:                            ;   in Loop: Header=BB263_232 Depth=1
	s_or_b64 exec, exec, s[12:13]
	v_lshrrev_b32_e32 v6, 16, v17
	v_cmp_ne_u16_sdwa s[0:1], v6, v7 src0_sel:BYTE_0 src1_sel:DWORD
	s_and_saveexec_b64 s[12:13], s[0:1]
	s_cbranch_execz .LBB263_324
; %bb.319:                              ;   in Loop: Header=BB263_232 Depth=1
	v_cmp_ne_u16_sdwa s[0:1], v6, s24 src0_sel:BYTE_0 src1_sel:DWORD
	v_mov_b32_e32 v20, 0x8000
	s_and_saveexec_b64 s[14:15], s[0:1]
	s_cbranch_execz .LBB263_323
; %bb.320:                              ;   in Loop: Header=BB263_232 Depth=1
	v_bfe_u32 v23, v17, 16, 7
	v_cmp_ne_u32_e64 s[0:1], s25, v23
	v_mov_b32_e32 v20, 0x7c01
	s_and_saveexec_b64 s[22:23], s[0:1]
	s_cbranch_execz .LBB263_322
; %bb.321:                              ;   in Loop: Header=BB263_232 Depth=1
	v_and_b32_e32 v20, 7, v6
	v_ffbh_u32_e32 v46, v20
	v_min_u32_e32 v48, 32, v46
	v_subrev_u32_e32 v46, 28, v48
	v_lshlrev_b64 v[46:47], v46, v[6:7]
	v_lshrrev_b32_e32 v45, 3, v23
	v_sub_u32_e32 v47, 29, v48
	v_cmp_gt_u32_e64 s[0:1], 8, v23
	v_lshlrev_b32_e32 v6, 8, v6
	s_nop 0
	v_cndmask_b32_e64 v23, v45, v47, s[0:1]
	v_lshl_add_u32 v23, v23, 10, v31
	v_and_b32_e32 v45, 7, v46
	v_and_b32_e32 v23, 0xfc00, v23
	v_cndmask_b32_e64 v20, v20, v45, s[0:1]
	v_and_or_b32 v6, v6, s29, v23
	v_lshl_or_b32 v20, v20, 7, v6
.LBB263_322:                            ;   in Loop: Header=BB263_232 Depth=1
	s_or_b64 exec, exec, s[22:23]
.LBB263_323:                            ;   in Loop: Header=BB263_232 Depth=1
	s_or_b64 exec, exec, s[14:15]
.LBB263_324:                            ;   in Loop: Header=BB263_232 Depth=1
	s_or_b64 exec, exec, s[12:13]
	v_cmp_lt_u64_e64 s[0:1], s[6:7], v[16:17]
	v_mov_b32_e32 v16, 0
	s_and_saveexec_b64 s[12:13], s[0:1]
	s_cbranch_execz .LBB263_330
; %bb.325:                              ;   in Loop: Header=BB263_232 Depth=1
	v_lshrrev_b32_e32 v6, 24, v17
	v_cmp_ne_u32_e64 s[0:1], s24, v6
	v_bfrev_b32_e32 v16, 1
	s_and_saveexec_b64 s[14:15], s[0:1]
	s_cbranch_execz .LBB263_329
; %bb.326:                              ;   in Loop: Header=BB263_232 Depth=1
	v_and_b32_e32 v17, 0x7f, v6
	v_cmp_ne_u32_e64 s[0:1], s25, v17
	v_mov_b32_e32 v16, 0x7c010000
	s_and_saveexec_b64 s[22:23], s[0:1]
	s_cbranch_execz .LBB263_328
; %bb.327:                              ;   in Loop: Header=BB263_232 Depth=1
	v_and_b32_e32 v16, 7, v6
	v_ffbh_u32_e32 v45, v16
	v_min_u32_e32 v45, 32, v45
	v_lshrrev_b32_e32 v23, 3, v17
	v_subrev_u32_e32 v46, 28, v45
	v_sub_u32_e32 v45, 29, v45
	v_cmp_gt_u32_e64 s[0:1], 8, v17
	v_lshlrev_b64 v[46:47], v46, v[6:7]
	v_lshlrev_b32_e32 v6, 8, v6
	v_cndmask_b32_e64 v17, v23, v45, s[0:1]
	v_lshl_add_u32 v17, v17, 10, v31
	v_and_b32_e32 v23, 7, v46
	v_and_or_b32 v6, v6, s29, v17
	v_cndmask_b32_e64 v16, v16, v23, s[0:1]
	v_lshlrev_b32_e32 v6, 16, v6
	v_lshl_or_b32 v16, v16, 23, v6
.LBB263_328:                            ;   in Loop: Header=BB263_232 Depth=1
	s_or_b64 exec, exec, s[22:23]
.LBB263_329:                            ;   in Loop: Header=BB263_232 Depth=1
	s_or_b64 exec, exec, s[14:15]
.LBB263_330:                            ;   in Loop: Header=BB263_232 Depth=1
	s_or_b64 exec, exec, s[12:13]
	v_cvt_f32_f16_sdwa v47, v1 dst_sel:DWORD dst_unused:UNUSED_PAD src0_sel:WORD_1
	v_cvt_f32_f16_sdwa v46, v19 dst_sel:DWORD dst_unused:UNUSED_PAD src0_sel:WORD_1
	v_or_b32_e32 v1, v1, v15
	v_or_b32_e32 v6, v19, v18
	;; [unrolled: 1-line block ×3, first 2 shown]
	s_waitcnt vmcnt(0)
	v_pk_mul_f32 v[18:19], v[14:15], v[46:47] op_sel_hi:[0,1]
	v_cvt_f32_f16_e32 v46, v6
	v_cvt_f32_f16_e32 v47, v1
	v_cvt_pk_f16_f32 v1, v18, v19
	v_and_b32_e32 v15, 0xffff0000, v1
	v_lshlrev_b32_e32 v6, 16, v1
	v_pk_mul_f32 v[18:19], v[14:15], v[46:47] op_sel_hi:[0,1]
	v_cvt_pk_f16_f32 v1, v18, v19
	v_or_b32_e32 v19, v22, v21
	v_cvt_f32_f16_e32 v20, v20
	v_cvt_f32_f16_e32 v21, v19
	v_cvt_f32_f16_sdwa v23, v22 dst_sel:DWORD dst_unused:UNUSED_PAD src0_sel:WORD_1
	v_cvt_f32_f16_sdwa v22, v16 dst_sel:DWORD dst_unused:UNUSED_PAD src0_sel:WORD_1
	v_lshrrev_b32_e32 v17, 16, v1
	v_pk_mul_f32 v[20:21], v[14:15], v[20:21] op_sel_hi:[0,1]
	v_cvt_pk_f16_f32 v45, v20, v21
	v_pk_mul_f32 v[20:21], v[14:15], v[22:23] op_sel_hi:[0,1]
	v_cvt_pk_f16_f32 v14, v20, v21
	v_and_b32_e32 v18, 0xffff, v1
	v_and_b32_e32 v19, 0xffff0000, v14
	v_lshlrev_b32_e32 v14, 16, v14
	v_lshrrev_b32_e32 v21, 16, v45
	v_and_b32_e32 v20, 0xffff, v45
	v_or_b32_e32 v1, v15, v17
	v_or_b32_e32 v16, v6, v18
	;; [unrolled: 1-line block ×4, first 2 shown]
	s_and_saveexec_b64 s[12:13], vcc
	s_cbranch_execz .LBB263_332
; %bb.331:                              ;   in Loop: Header=BB263_232 Depth=1
	v_cmp_gt_i32_e64 s[0:1], s27, v29
	s_nop 1
	v_cndmask_b32_e64 v1, 0, v17, s[0:1]
	v_cmp_gt_i32_e64 s[0:1], s33, v38
	s_nop 1
	v_cndmask_b32_e64 v16, 0, v18, s[0:1]
	;; [unrolled: 3-line block ×3, first 2 shown]
	v_cmp_gt_i32_e64 s[0:1], s33, v36
	v_or_b32_e32 v1, v15, v1
	s_nop 0
	v_cndmask_b32_e64 v6, 0, v6, s[0:1]
	v_cmp_gt_i32_e64 s[0:1], s27, v35
	v_or_b32_e32 v16, v6, v16
	s_nop 0
	v_cndmask_b32_e64 v6, 0, v21, s[0:1]
	v_cmp_gt_i32_e64 s[0:1], s33, v34
	s_nop 1
	v_cndmask_b32_e64 v15, 0, v20, s[0:1]
	v_cmp_gt_i32_e64 s[0:1], s27, v33
	;; [unrolled: 3-line block ×3, first 2 shown]
	v_or_b32_e32 v23, v17, v6
	s_nop 0
	v_cndmask_b32_e64 v14, 0, v14, s[0:1]
	v_or_b32_e32 v22, v14, v15
.LBB263_332:                            ;   in Loop: Header=BB263_232 Depth=1
	s_or_b64 exec, exec, s[12:13]
	;;#ASMSTART
	v_pk_mul_f16 v1, v42, v1;

	;;#ASMEND
	;;#ASMSTART
	v_pk_mul_f16 v6, v41, v16;

	;;#ASMEND
	;; [unrolled: 4-line block ×4, first 2 shown]
	s_nop 0
	;;#ASMSTART
	v_pk_add_f16 v1, v1, v6;

	;;#ASMEND
	s_nop 0
	;;#ASMSTART
	v_pk_add_f16 v1, v1, v14;

	;;#ASMEND
	;; [unrolled: 5-line block ×3, first 2 shown]
	v_mov_b32_e32 v15, 0
	v_lshrrev_b32_e32 v6, 16, v1
	v_and_b32_e32 v1, 0xffff, v1
	;;#ASMSTART
	v_cvt_f32_f16 v45, v1;
	;;#ASMEND
	;;#ASMSTART
	v_cvt_f32_f16 v46, v6;
	;;#ASMEND
	global_load_dwordx2 v[16:17], v[12:13], off offset:1024
	v_mov_b32_e32 v1, 0
	global_load_dword v14, v1, s[10:11]
	s_waitcnt vmcnt(1)
	v_cmp_ne_u16_sdwa s[0:1], v16, v7 src0_sel:BYTE_0 src1_sel:DWORD
	s_and_saveexec_b64 s[12:13], s[0:1]
	s_cbranch_execz .LBB263_338
; %bb.333:                              ;   in Loop: Header=BB263_232 Depth=1
	v_cmp_ne_u16_sdwa s[0:1], v16, s24 src0_sel:BYTE_0 src1_sel:DWORD
	v_mov_b32_e32 v15, 0x8000
	s_and_saveexec_b64 s[14:15], s[0:1]
	s_cbranch_execz .LBB263_337
; %bb.334:                              ;   in Loop: Header=BB263_232 Depth=1
	v_and_b32_e32 v6, 0x7f, v16
	v_cmp_ne_u32_e64 s[0:1], s25, v6
	v_mov_b32_e32 v15, 0x7c01
	s_and_saveexec_b64 s[22:23], s[0:1]
	s_cbranch_execz .LBB263_336
; %bb.335:                              ;   in Loop: Header=BB263_232 Depth=1
	v_and_b32_e32 v15, 7, v16
	v_ffbh_u32_e32 v18, v15
	v_min_u32_e32 v21, 32, v18
	v_subrev_u32_e32 v18, 28, v21
	v_lshlrev_b64 v[18:19], v18, v[16:17]
	v_lshrrev_b32_e32 v20, 3, v6
	v_sub_u32_e32 v19, 29, v21
	v_cmp_gt_u32_e64 s[0:1], 8, v6
	v_and_b32_e32 v18, 7, v18
	s_nop 0
	v_cndmask_b32_e64 v6, v20, v19, s[0:1]
	v_lshl_add_u32 v6, v6, 10, v31
	v_lshlrev_b32_e32 v19, 8, v16
	v_and_b32_e32 v6, 0xfc00, v6
	v_cndmask_b32_e64 v15, v15, v18, s[0:1]
	v_and_or_b32 v6, v19, s29, v6
	v_lshl_or_b32 v15, v15, 7, v6
.LBB263_336:                            ;   in Loop: Header=BB263_232 Depth=1
	s_or_b64 exec, exec, s[22:23]
.LBB263_337:                            ;   in Loop: Header=BB263_232 Depth=1
	s_or_b64 exec, exec, s[14:15]
.LBB263_338:                            ;   in Loop: Header=BB263_232 Depth=1
	s_or_b64 exec, exec, s[12:13]
	v_lshrrev_b16_e32 v6, 8, v16
	v_cmp_ne_u16_e64 s[0:1], 0, v6
	s_and_saveexec_b64 s[12:13], s[0:1]
	s_cbranch_execz .LBB263_344
; %bb.339:                              ;   in Loop: Header=BB263_232 Depth=1
	v_cmp_ne_u16_e64 s[0:1], s24, v6
	v_bfrev_b32_e32 v1, 1
	s_and_saveexec_b64 s[14:15], s[0:1]
	s_cbranch_execz .LBB263_343
; %bb.340:                              ;   in Loop: Header=BB263_232 Depth=1
	v_and_b32_e32 v18, 0x7f, v6
	v_cmp_ne_u32_e64 s[0:1], s25, v18
	v_mov_b32_e32 v1, 0x7c010000
	s_and_saveexec_b64 s[22:23], s[0:1]
	s_cbranch_execz .LBB263_342
; %bb.341:                              ;   in Loop: Header=BB263_232 Depth=1
	v_and_b32_e32 v1, 7, v6
	v_ffbh_u32_e32 v20, v1
	v_min_u32_e32 v22, 32, v20
	v_subrev_u32_e32 v20, 28, v22
	v_lshlrev_b64 v[20:21], v20, v[6:7]
	v_lshrrev_b32_e32 v19, 3, v18
	v_sub_u32_e32 v21, 29, v22
	v_cmp_gt_u32_e64 s[0:1], 8, v18
	v_lshlrev_b32_e32 v6, 8, v6
	s_nop 0
	v_cndmask_b32_e64 v18, v19, v21, s[0:1]
	v_lshl_add_u32 v18, v18, 10, v31
	v_and_b32_e32 v19, 7, v20
	v_and_or_b32 v6, v6, s29, v18
	v_cndmask_b32_e64 v1, v1, v19, s[0:1]
	v_lshlrev_b32_e32 v6, 16, v6
	v_lshl_or_b32 v1, v1, 23, v6
.LBB263_342:                            ;   in Loop: Header=BB263_232 Depth=1
	s_or_b64 exec, exec, s[22:23]
.LBB263_343:                            ;   in Loop: Header=BB263_232 Depth=1
	s_or_b64 exec, exec, s[14:15]
.LBB263_344:                            ;   in Loop: Header=BB263_232 Depth=1
	s_or_b64 exec, exec, s[12:13]
	v_lshrrev_b32_e32 v6, 16, v16
	v_cmp_ne_u16_sdwa s[0:1], v6, v7 src0_sel:BYTE_0 src1_sel:DWORD
	v_mov_b32_e32 v19, 0
	v_mov_b32_e32 v18, 0
	s_and_saveexec_b64 s[12:13], s[0:1]
	s_cbranch_execz .LBB263_350
; %bb.345:                              ;   in Loop: Header=BB263_232 Depth=1
	v_cmp_ne_u16_sdwa s[0:1], v6, s24 src0_sel:BYTE_0 src1_sel:DWORD
	v_mov_b32_e32 v18, 0x8000
	s_and_saveexec_b64 s[14:15], s[0:1]
	s_cbranch_execz .LBB263_349
; %bb.346:                              ;   in Loop: Header=BB263_232 Depth=1
	v_bfe_u32 v20, v16, 16, 7
	v_cmp_ne_u32_e64 s[0:1], s25, v20
	v_mov_b32_e32 v18, 0x7c01
	s_and_saveexec_b64 s[22:23], s[0:1]
	s_cbranch_execz .LBB263_348
; %bb.347:                              ;   in Loop: Header=BB263_232 Depth=1
	v_and_b32_e32 v18, 7, v6
	v_ffbh_u32_e32 v22, v18
	v_min_u32_e32 v47, 32, v22
	v_subrev_u32_e32 v22, 28, v47
	v_lshlrev_b64 v[22:23], v22, v[6:7]
	v_lshrrev_b32_e32 v21, 3, v20
	v_sub_u32_e32 v23, 29, v47
	v_cmp_gt_u32_e64 s[0:1], 8, v20
	v_lshlrev_b32_e32 v6, 8, v6
	s_nop 0
	v_cndmask_b32_e64 v20, v21, v23, s[0:1]
	v_lshl_add_u32 v20, v20, 10, v31
	v_and_b32_e32 v21, 7, v22
	v_and_b32_e32 v20, 0xfc00, v20
	v_cndmask_b32_e64 v18, v18, v21, s[0:1]
	v_and_or_b32 v6, v6, s29, v20
	v_lshl_or_b32 v18, v18, 7, v6
.LBB263_348:                            ;   in Loop: Header=BB263_232 Depth=1
	s_or_b64 exec, exec, s[22:23]
.LBB263_349:                            ;   in Loop: Header=BB263_232 Depth=1
	s_or_b64 exec, exec, s[14:15]
.LBB263_350:                            ;   in Loop: Header=BB263_232 Depth=1
	s_or_b64 exec, exec, s[12:13]
	v_cmp_lt_u32_e64 s[0:1], s7, v16
	s_and_saveexec_b64 s[12:13], s[0:1]
	s_cbranch_execz .LBB263_356
; %bb.351:                              ;   in Loop: Header=BB263_232 Depth=1
	v_lshrrev_b32_e32 v6, 24, v16
	v_cmp_ne_u32_e64 s[0:1], s24, v6
	v_bfrev_b32_e32 v19, 1
	s_and_saveexec_b64 s[14:15], s[0:1]
	s_cbranch_execz .LBB263_355
; %bb.352:                              ;   in Loop: Header=BB263_232 Depth=1
	v_and_b32_e32 v20, 0x7f, v6
	v_cmp_ne_u32_e64 s[0:1], s25, v20
	v_mov_b32_e32 v19, 0x7c010000
	s_and_saveexec_b64 s[22:23], s[0:1]
	s_cbranch_execz .LBB263_354
; %bb.353:                              ;   in Loop: Header=BB263_232 Depth=1
	v_and_b32_e32 v19, 7, v6
	v_ffbh_u32_e32 v22, v19
	v_min_u32_e32 v47, 32, v22
	v_subrev_u32_e32 v22, 28, v47
	v_lshlrev_b64 v[22:23], v22, v[6:7]
	v_lshrrev_b32_e32 v21, 3, v20
	v_sub_u32_e32 v23, 29, v47
	v_cmp_gt_u32_e64 s[0:1], 8, v20
	v_lshlrev_b32_e32 v6, 8, v6
	s_nop 0
	v_cndmask_b32_e64 v20, v21, v23, s[0:1]
	v_lshl_add_u32 v20, v20, 10, v31
	v_and_b32_e32 v21, 7, v22
	v_and_or_b32 v6, v6, s29, v20
	v_cndmask_b32_e64 v19, v19, v21, s[0:1]
	v_lshlrev_b32_e32 v6, 16, v6
	v_lshl_or_b32 v19, v19, 23, v6
.LBB263_354:                            ;   in Loop: Header=BB263_232 Depth=1
	s_or_b64 exec, exec, s[22:23]
.LBB263_355:                            ;   in Loop: Header=BB263_232 Depth=1
	s_or_b64 exec, exec, s[14:15]
.LBB263_356:                            ;   in Loop: Header=BB263_232 Depth=1
	s_or_b64 exec, exec, s[12:13]
	v_mov_b32_e32 v6, v17
	v_cmp_ne_u16_sdwa s[0:1], v17, v7 src0_sel:BYTE_0 src1_sel:DWORD
	v_mov_b32_e32 v20, 0
	v_mov_b32_e32 v21, 0
	s_and_saveexec_b64 s[12:13], s[0:1]
	s_cbranch_execz .LBB263_362
; %bb.357:                              ;   in Loop: Header=BB263_232 Depth=1
	v_cmp_ne_u16_sdwa s[0:1], v17, s24 src0_sel:BYTE_0 src1_sel:DWORD
	v_mov_b32_e32 v21, 0x8000
	s_and_saveexec_b64 s[14:15], s[0:1]
	s_cbranch_execz .LBB263_361
; %bb.358:                              ;   in Loop: Header=BB263_232 Depth=1
	v_and_b32_e32 v22, 0x7f, v17
	v_cmp_ne_u32_e64 s[0:1], s25, v22
	v_mov_b32_e32 v21, 0x7c01
	s_and_saveexec_b64 s[22:23], s[0:1]
	s_cbranch_execz .LBB263_360
; %bb.359:                              ;   in Loop: Header=BB263_232 Depth=1
	v_and_b32_e32 v21, 7, v17
	v_ffbh_u32_e32 v47, v21
	v_min_u32_e32 v47, 32, v47
	v_lshrrev_b32_e32 v23, 3, v22
	v_subrev_u32_e32 v48, 28, v47
	v_sub_u32_e32 v47, 29, v47
	v_cmp_gt_u32_e64 s[0:1], 8, v22
	v_lshlrev_b64 v[48:49], v48, v[6:7]
	s_nop 0
	v_cndmask_b32_e64 v22, v23, v47, s[0:1]
	v_lshl_add_u32 v22, v22, 10, v31
	v_lshlrev_b32_e32 v23, 8, v17
	v_and_b32_e32 v47, 7, v48
	v_and_b32_e32 v22, 0xfc00, v22
	v_cndmask_b32_e64 v21, v21, v47, s[0:1]
	v_and_or_b32 v22, v23, s29, v22
	v_lshl_or_b32 v21, v21, 7, v22
.LBB263_360:                            ;   in Loop: Header=BB263_232 Depth=1
	s_or_b64 exec, exec, s[22:23]
.LBB263_361:                            ;   in Loop: Header=BB263_232 Depth=1
	s_or_b64 exec, exec, s[14:15]
.LBB263_362:                            ;   in Loop: Header=BB263_232 Depth=1
	s_or_b64 exec, exec, s[12:13]
	v_lshrrev_b16_e32 v6, 8, v6
	v_cmp_ne_u16_e64 s[0:1], 0, v6
	v_mov_b32_e32 v22, 0
	s_and_saveexec_b64 s[12:13], s[0:1]
	s_cbranch_execz .LBB263_368
; %bb.363:                              ;   in Loop: Header=BB263_232 Depth=1
	v_cmp_ne_u16_e64 s[0:1], s24, v6
	v_bfrev_b32_e32 v22, 1
	s_and_saveexec_b64 s[14:15], s[0:1]
	s_cbranch_execz .LBB263_367
; %bb.364:                              ;   in Loop: Header=BB263_232 Depth=1
	v_and_b32_e32 v23, 0x7f, v6
	v_cmp_ne_u32_e64 s[0:1], s25, v23
	v_mov_b32_e32 v22, 0x7c010000
	s_and_saveexec_b64 s[22:23], s[0:1]
	s_cbranch_execz .LBB263_366
; %bb.365:                              ;   in Loop: Header=BB263_232 Depth=1
	v_and_b32_e32 v22, 7, v6
	v_ffbh_u32_e32 v48, v22
	v_min_u32_e32 v50, 32, v48
	v_subrev_u32_e32 v48, 28, v50
	v_lshlrev_b64 v[48:49], v48, v[6:7]
	v_lshrrev_b32_e32 v47, 3, v23
	v_sub_u32_e32 v49, 29, v50
	v_cmp_gt_u32_e64 s[0:1], 8, v23
	v_lshlrev_b32_e32 v6, 8, v6
	s_nop 0
	v_cndmask_b32_e64 v23, v47, v49, s[0:1]
	v_lshl_add_u32 v23, v23, 10, v31
	v_and_b32_e32 v47, 7, v48
	v_and_or_b32 v6, v6, s29, v23
	v_cndmask_b32_e64 v22, v22, v47, s[0:1]
	v_lshlrev_b32_e32 v6, 16, v6
	v_lshl_or_b32 v22, v22, 23, v6
.LBB263_366:                            ;   in Loop: Header=BB263_232 Depth=1
	s_or_b64 exec, exec, s[22:23]
.LBB263_367:                            ;   in Loop: Header=BB263_232 Depth=1
	s_or_b64 exec, exec, s[14:15]
.LBB263_368:                            ;   in Loop: Header=BB263_232 Depth=1
	s_or_b64 exec, exec, s[12:13]
	v_lshrrev_b32_e32 v6, 16, v17
	v_cmp_ne_u16_sdwa s[0:1], v6, v7 src0_sel:BYTE_0 src1_sel:DWORD
	s_and_saveexec_b64 s[12:13], s[0:1]
	s_cbranch_execz .LBB263_374
; %bb.369:                              ;   in Loop: Header=BB263_232 Depth=1
	v_cmp_ne_u16_sdwa s[0:1], v6, s24 src0_sel:BYTE_0 src1_sel:DWORD
	v_mov_b32_e32 v20, 0x8000
	s_and_saveexec_b64 s[14:15], s[0:1]
	s_cbranch_execz .LBB263_373
; %bb.370:                              ;   in Loop: Header=BB263_232 Depth=1
	v_bfe_u32 v23, v17, 16, 7
	v_cmp_ne_u32_e64 s[0:1], s25, v23
	v_mov_b32_e32 v20, 0x7c01
	s_and_saveexec_b64 s[22:23], s[0:1]
	s_cbranch_execz .LBB263_372
; %bb.371:                              ;   in Loop: Header=BB263_232 Depth=1
	v_and_b32_e32 v20, 7, v6
	v_ffbh_u32_e32 v48, v20
	v_min_u32_e32 v50, 32, v48
	v_subrev_u32_e32 v48, 28, v50
	v_lshlrev_b64 v[48:49], v48, v[6:7]
	v_lshrrev_b32_e32 v47, 3, v23
	v_sub_u32_e32 v49, 29, v50
	v_cmp_gt_u32_e64 s[0:1], 8, v23
	v_lshlrev_b32_e32 v6, 8, v6
	s_nop 0
	v_cndmask_b32_e64 v23, v47, v49, s[0:1]
	v_lshl_add_u32 v23, v23, 10, v31
	v_and_b32_e32 v47, 7, v48
	v_and_b32_e32 v23, 0xfc00, v23
	v_cndmask_b32_e64 v20, v20, v47, s[0:1]
	v_and_or_b32 v6, v6, s29, v23
	v_lshl_or_b32 v20, v20, 7, v6
.LBB263_372:                            ;   in Loop: Header=BB263_232 Depth=1
	s_or_b64 exec, exec, s[22:23]
.LBB263_373:                            ;   in Loop: Header=BB263_232 Depth=1
	s_or_b64 exec, exec, s[14:15]
.LBB263_374:                            ;   in Loop: Header=BB263_232 Depth=1
	s_or_b64 exec, exec, s[12:13]
	v_cmp_lt_u64_e64 s[0:1], s[6:7], v[16:17]
	v_mov_b32_e32 v16, 0
	s_and_saveexec_b64 s[12:13], s[0:1]
	s_cbranch_execz .LBB263_380
; %bb.375:                              ;   in Loop: Header=BB263_232 Depth=1
	v_lshrrev_b32_e32 v6, 24, v17
	v_cmp_ne_u32_e64 s[0:1], s24, v6
	v_bfrev_b32_e32 v16, 1
	s_and_saveexec_b64 s[14:15], s[0:1]
	s_cbranch_execz .LBB263_379
; %bb.376:                              ;   in Loop: Header=BB263_232 Depth=1
	v_and_b32_e32 v17, 0x7f, v6
	v_cmp_ne_u32_e64 s[0:1], s25, v17
	v_mov_b32_e32 v16, 0x7c010000
	s_and_saveexec_b64 s[22:23], s[0:1]
	s_cbranch_execz .LBB263_378
; %bb.377:                              ;   in Loop: Header=BB263_232 Depth=1
	v_and_b32_e32 v16, 7, v6
	v_ffbh_u32_e32 v47, v16
	v_min_u32_e32 v47, 32, v47
	v_lshrrev_b32_e32 v23, 3, v17
	v_subrev_u32_e32 v48, 28, v47
	v_sub_u32_e32 v47, 29, v47
	v_cmp_gt_u32_e64 s[0:1], 8, v17
	v_lshlrev_b64 v[48:49], v48, v[6:7]
	v_lshlrev_b32_e32 v6, 8, v6
	v_cndmask_b32_e64 v17, v23, v47, s[0:1]
	v_lshl_add_u32 v17, v17, 10, v31
	v_and_b32_e32 v23, 7, v48
	v_and_or_b32 v6, v6, s29, v17
	v_cndmask_b32_e64 v16, v16, v23, s[0:1]
	v_lshlrev_b32_e32 v6, 16, v6
	v_lshl_or_b32 v16, v16, 23, v6
.LBB263_378:                            ;   in Loop: Header=BB263_232 Depth=1
	s_or_b64 exec, exec, s[22:23]
.LBB263_379:                            ;   in Loop: Header=BB263_232 Depth=1
	s_or_b64 exec, exec, s[14:15]
.LBB263_380:                            ;   in Loop: Header=BB263_232 Depth=1
	s_or_b64 exec, exec, s[12:13]
	v_cvt_f32_f16_sdwa v49, v1 dst_sel:DWORD dst_unused:UNUSED_PAD src0_sel:WORD_1
	v_cvt_f32_f16_sdwa v48, v19 dst_sel:DWORD dst_unused:UNUSED_PAD src0_sel:WORD_1
	v_or_b32_e32 v1, v1, v15
	v_or_b32_e32 v6, v19, v18
	;; [unrolled: 1-line block ×3, first 2 shown]
	s_waitcnt vmcnt(0)
	v_pk_mul_f32 v[18:19], v[14:15], v[48:49] op_sel_hi:[0,1]
	v_cvt_f32_f16_e32 v48, v6
	v_cvt_f32_f16_e32 v49, v1
	v_cvt_pk_f16_f32 v1, v18, v19
	v_and_b32_e32 v15, 0xffff0000, v1
	v_lshlrev_b32_e32 v6, 16, v1
	v_pk_mul_f32 v[18:19], v[14:15], v[48:49] op_sel_hi:[0,1]
	v_cvt_pk_f16_f32 v1, v18, v19
	v_or_b32_e32 v19, v22, v21
	v_cvt_f32_f16_e32 v20, v20
	v_cvt_f32_f16_e32 v21, v19
	v_cvt_f32_f16_sdwa v23, v22 dst_sel:DWORD dst_unused:UNUSED_PAD src0_sel:WORD_1
	v_cvt_f32_f16_sdwa v22, v16 dst_sel:DWORD dst_unused:UNUSED_PAD src0_sel:WORD_1
	v_lshrrev_b32_e32 v17, 16, v1
	v_pk_mul_f32 v[20:21], v[14:15], v[20:21] op_sel_hi:[0,1]
	v_cvt_pk_f16_f32 v47, v20, v21
	v_pk_mul_f32 v[20:21], v[14:15], v[22:23] op_sel_hi:[0,1]
	v_cvt_pk_f16_f32 v14, v20, v21
	v_and_b32_e32 v18, 0xffff, v1
	v_and_b32_e32 v19, 0xffff0000, v14
	v_lshlrev_b32_e32 v14, 16, v14
	v_lshrrev_b32_e32 v21, 16, v47
	v_and_b32_e32 v20, 0xffff, v47
	v_or_b32_e32 v1, v15, v17
	v_or_b32_e32 v16, v6, v18
	;; [unrolled: 1-line block ×4, first 2 shown]
	s_and_saveexec_b64 s[12:13], vcc
	s_cbranch_execz .LBB263_382
; %bb.381:                              ;   in Loop: Header=BB263_232 Depth=1
	v_cmp_gt_i32_e64 s[0:1], s27, v29
	s_nop 1
	v_cndmask_b32_e64 v1, 0, v17, s[0:1]
	v_cmp_gt_i32_e64 s[0:1], s33, v38
	s_nop 1
	v_cndmask_b32_e64 v16, 0, v18, s[0:1]
	;; [unrolled: 3-line block ×3, first 2 shown]
	v_cmp_gt_i32_e64 s[0:1], s33, v36
	v_or_b32_e32 v1, v15, v1
	s_nop 0
	v_cndmask_b32_e64 v6, 0, v6, s[0:1]
	v_cmp_gt_i32_e64 s[0:1], s27, v35
	v_or_b32_e32 v16, v6, v16
	s_nop 0
	v_cndmask_b32_e64 v6, 0, v21, s[0:1]
	v_cmp_gt_i32_e64 s[0:1], s33, v34
	s_nop 1
	v_cndmask_b32_e64 v15, 0, v20, s[0:1]
	v_cmp_gt_i32_e64 s[0:1], s27, v33
	;; [unrolled: 3-line block ×3, first 2 shown]
	v_or_b32_e32 v23, v17, v6
	s_nop 0
	v_cndmask_b32_e64 v14, 0, v14, s[0:1]
	v_or_b32_e32 v22, v14, v15
.LBB263_382:                            ;   in Loop: Header=BB263_232 Depth=1
	s_or_b64 exec, exec, s[12:13]
	;;#ASMSTART
	v_pk_mul_f16 v1, v42, v1;

	;;#ASMEND
	;;#ASMSTART
	v_pk_mul_f16 v6, v41, v16;

	;;#ASMEND
	;; [unrolled: 4-line block ×4, first 2 shown]
	s_nop 0
	;;#ASMSTART
	v_pk_add_f16 v1, v1, v6;

	;;#ASMEND
	s_nop 0
	;;#ASMSTART
	v_pk_add_f16 v1, v1, v14;

	;;#ASMEND
	;; [unrolled: 5-line block ×3, first 2 shown]
	s_nop 0
	v_lshrrev_b32_e32 v6, 16, v1
	v_and_b32_e32 v1, 0xffff, v1
	;;#ASMSTART
	v_cvt_f32_f16 v22, v1;
	;;#ASMEND
	;;#ASMSTART
	v_cvt_f32_f16 v23, v6;
	;;#ASMEND
	global_load_dwordx2 v[14:15], v[12:13], off offset:1536
	v_mov_b32_e32 v1, 0
	global_load_dword v12, v1, s[10:11]
	v_mov_b32_e32 v13, 0
	s_waitcnt vmcnt(1)
	v_cmp_ne_u16_sdwa s[0:1], v14, v7 src0_sel:BYTE_0 src1_sel:DWORD
	s_and_saveexec_b64 s[12:13], s[0:1]
	s_cbranch_execz .LBB263_388
; %bb.383:                              ;   in Loop: Header=BB263_232 Depth=1
	v_cmp_ne_u16_sdwa s[0:1], v14, s24 src0_sel:BYTE_0 src1_sel:DWORD
	v_mov_b32_e32 v13, 0x8000
	s_and_saveexec_b64 s[14:15], s[0:1]
	s_cbranch_execz .LBB263_387
; %bb.384:                              ;   in Loop: Header=BB263_232 Depth=1
	v_and_b32_e32 v6, 0x7f, v14
	v_cmp_ne_u32_e64 s[0:1], s25, v6
	v_mov_b32_e32 v13, 0x7c01
	s_and_saveexec_b64 s[22:23], s[0:1]
	s_cbranch_execz .LBB263_386
; %bb.385:                              ;   in Loop: Header=BB263_232 Depth=1
	v_and_b32_e32 v13, 7, v14
	v_ffbh_u32_e32 v16, v13
	v_min_u32_e32 v19, 32, v16
	v_subrev_u32_e32 v16, 28, v19
	v_lshlrev_b64 v[16:17], v16, v[14:15]
	v_lshrrev_b32_e32 v18, 3, v6
	v_sub_u32_e32 v17, 29, v19
	v_cmp_gt_u32_e64 s[0:1], 8, v6
	v_and_b32_e32 v16, 7, v16
	s_nop 0
	v_cndmask_b32_e64 v6, v18, v17, s[0:1]
	v_lshl_add_u32 v6, v6, 10, v31
	v_lshlrev_b32_e32 v17, 8, v14
	v_and_b32_e32 v6, 0xfc00, v6
	v_cndmask_b32_e64 v13, v13, v16, s[0:1]
	v_and_or_b32 v6, v17, s29, v6
	v_lshl_or_b32 v13, v13, 7, v6
.LBB263_386:                            ;   in Loop: Header=BB263_232 Depth=1
	s_or_b64 exec, exec, s[22:23]
.LBB263_387:                            ;   in Loop: Header=BB263_232 Depth=1
	s_or_b64 exec, exec, s[14:15]
.LBB263_388:                            ;   in Loop: Header=BB263_232 Depth=1
	s_or_b64 exec, exec, s[12:13]
	v_lshrrev_b16_e32 v6, 8, v14
	v_cmp_ne_u16_e64 s[0:1], 0, v6
	s_and_saveexec_b64 s[12:13], s[0:1]
	s_cbranch_execz .LBB263_394
; %bb.389:                              ;   in Loop: Header=BB263_232 Depth=1
	v_cmp_ne_u16_e64 s[0:1], s24, v6
	v_bfrev_b32_e32 v1, 1
	s_and_saveexec_b64 s[14:15], s[0:1]
	s_cbranch_execz .LBB263_393
; %bb.390:                              ;   in Loop: Header=BB263_232 Depth=1
	v_and_b32_e32 v16, 0x7f, v6
	v_cmp_ne_u32_e64 s[0:1], s25, v16
	v_mov_b32_e32 v1, 0x7c010000
	s_and_saveexec_b64 s[22:23], s[0:1]
	s_cbranch_execz .LBB263_392
; %bb.391:                              ;   in Loop: Header=BB263_232 Depth=1
	v_and_b32_e32 v1, 7, v6
	v_ffbh_u32_e32 v18, v1
	v_min_u32_e32 v20, 32, v18
	v_subrev_u32_e32 v18, 28, v20
	v_lshlrev_b64 v[18:19], v18, v[6:7]
	v_lshrrev_b32_e32 v17, 3, v16
	v_sub_u32_e32 v19, 29, v20
	v_cmp_gt_u32_e64 s[0:1], 8, v16
	v_lshlrev_b32_e32 v6, 8, v6
	s_nop 0
	v_cndmask_b32_e64 v16, v17, v19, s[0:1]
	v_lshl_add_u32 v16, v16, 10, v31
	v_and_b32_e32 v17, 7, v18
	v_and_or_b32 v6, v6, s29, v16
	v_cndmask_b32_e64 v1, v1, v17, s[0:1]
	v_lshlrev_b32_e32 v6, 16, v6
	v_lshl_or_b32 v1, v1, 23, v6
.LBB263_392:                            ;   in Loop: Header=BB263_232 Depth=1
	s_or_b64 exec, exec, s[22:23]
.LBB263_393:                            ;   in Loop: Header=BB263_232 Depth=1
	s_or_b64 exec, exec, s[14:15]
.LBB263_394:                            ;   in Loop: Header=BB263_232 Depth=1
	s_or_b64 exec, exec, s[12:13]
	v_lshrrev_b32_e32 v6, 16, v14
	v_cmp_ne_u16_sdwa s[0:1], v6, v7 src0_sel:BYTE_0 src1_sel:DWORD
	v_mov_b32_e32 v17, 0
	v_mov_b32_e32 v16, 0
	s_and_saveexec_b64 s[12:13], s[0:1]
	s_cbranch_execz .LBB263_400
; %bb.395:                              ;   in Loop: Header=BB263_232 Depth=1
	v_cmp_ne_u16_sdwa s[0:1], v6, s24 src0_sel:BYTE_0 src1_sel:DWORD
	v_mov_b32_e32 v16, 0x8000
	s_and_saveexec_b64 s[14:15], s[0:1]
	s_cbranch_execz .LBB263_399
; %bb.396:                              ;   in Loop: Header=BB263_232 Depth=1
	v_bfe_u32 v18, v14, 16, 7
	v_cmp_ne_u32_e64 s[0:1], s25, v18
	v_mov_b32_e32 v16, 0x7c01
	s_and_saveexec_b64 s[22:23], s[0:1]
	s_cbranch_execz .LBB263_398
; %bb.397:                              ;   in Loop: Header=BB263_232 Depth=1
	v_and_b32_e32 v16, 7, v6
	v_ffbh_u32_e32 v20, v16
	v_min_u32_e32 v47, 32, v20
	v_subrev_u32_e32 v20, 28, v47
	v_lshlrev_b64 v[20:21], v20, v[6:7]
	v_lshrrev_b32_e32 v19, 3, v18
	v_sub_u32_e32 v21, 29, v47
	v_cmp_gt_u32_e64 s[0:1], 8, v18
	v_lshlrev_b32_e32 v6, 8, v6
	s_nop 0
	v_cndmask_b32_e64 v18, v19, v21, s[0:1]
	v_lshl_add_u32 v18, v18, 10, v31
	v_and_b32_e32 v19, 7, v20
	v_and_b32_e32 v18, 0xfc00, v18
	v_cndmask_b32_e64 v16, v16, v19, s[0:1]
	v_and_or_b32 v6, v6, s29, v18
	v_lshl_or_b32 v16, v16, 7, v6
.LBB263_398:                            ;   in Loop: Header=BB263_232 Depth=1
	s_or_b64 exec, exec, s[22:23]
.LBB263_399:                            ;   in Loop: Header=BB263_232 Depth=1
	s_or_b64 exec, exec, s[14:15]
.LBB263_400:                            ;   in Loop: Header=BB263_232 Depth=1
	s_or_b64 exec, exec, s[12:13]
	v_cmp_lt_u32_e64 s[0:1], s7, v14
	s_and_saveexec_b64 s[12:13], s[0:1]
	s_cbranch_execz .LBB263_406
; %bb.401:                              ;   in Loop: Header=BB263_232 Depth=1
	v_lshrrev_b32_e32 v6, 24, v14
	v_cmp_ne_u32_e64 s[0:1], s24, v6
	v_bfrev_b32_e32 v17, 1
	s_and_saveexec_b64 s[14:15], s[0:1]
	s_cbranch_execz .LBB263_405
; %bb.402:                              ;   in Loop: Header=BB263_232 Depth=1
	v_and_b32_e32 v18, 0x7f, v6
	v_cmp_ne_u32_e64 s[0:1], s25, v18
	v_mov_b32_e32 v17, 0x7c010000
	s_and_saveexec_b64 s[22:23], s[0:1]
	s_cbranch_execz .LBB263_404
; %bb.403:                              ;   in Loop: Header=BB263_232 Depth=1
	v_and_b32_e32 v17, 7, v6
	v_ffbh_u32_e32 v20, v17
	v_min_u32_e32 v47, 32, v20
	v_subrev_u32_e32 v20, 28, v47
	v_lshlrev_b64 v[20:21], v20, v[6:7]
	v_lshrrev_b32_e32 v19, 3, v18
	v_sub_u32_e32 v21, 29, v47
	v_cmp_gt_u32_e64 s[0:1], 8, v18
	v_lshlrev_b32_e32 v6, 8, v6
	s_nop 0
	v_cndmask_b32_e64 v18, v19, v21, s[0:1]
	v_lshl_add_u32 v18, v18, 10, v31
	v_and_b32_e32 v19, 7, v20
	v_and_or_b32 v6, v6, s29, v18
	v_cndmask_b32_e64 v17, v17, v19, s[0:1]
	v_lshlrev_b32_e32 v6, 16, v6
	v_lshl_or_b32 v17, v17, 23, v6
.LBB263_404:                            ;   in Loop: Header=BB263_232 Depth=1
	s_or_b64 exec, exec, s[22:23]
.LBB263_405:                            ;   in Loop: Header=BB263_232 Depth=1
	s_or_b64 exec, exec, s[14:15]
.LBB263_406:                            ;   in Loop: Header=BB263_232 Depth=1
	s_or_b64 exec, exec, s[12:13]
	v_mov_b32_e32 v6, v15
	v_cmp_ne_u16_sdwa s[0:1], v15, v7 src0_sel:BYTE_0 src1_sel:DWORD
	v_mov_b32_e32 v18, 0
	v_mov_b32_e32 v19, 0
	s_and_saveexec_b64 s[12:13], s[0:1]
	s_cbranch_execz .LBB263_412
; %bb.407:                              ;   in Loop: Header=BB263_232 Depth=1
	v_cmp_ne_u16_sdwa s[0:1], v15, s24 src0_sel:BYTE_0 src1_sel:DWORD
	v_mov_b32_e32 v19, 0x8000
	s_and_saveexec_b64 s[14:15], s[0:1]
	s_cbranch_execz .LBB263_411
; %bb.408:                              ;   in Loop: Header=BB263_232 Depth=1
	v_and_b32_e32 v20, 0x7f, v15
	v_cmp_ne_u32_e64 s[0:1], s25, v20
	v_mov_b32_e32 v19, 0x7c01
	s_and_saveexec_b64 s[22:23], s[0:1]
	s_cbranch_execz .LBB263_410
; %bb.409:                              ;   in Loop: Header=BB263_232 Depth=1
	v_and_b32_e32 v19, 7, v15
	v_ffbh_u32_e32 v47, v19
	v_min_u32_e32 v47, 32, v47
	v_lshrrev_b32_e32 v21, 3, v20
	v_subrev_u32_e32 v48, 28, v47
	v_sub_u32_e32 v47, 29, v47
	v_cmp_gt_u32_e64 s[0:1], 8, v20
	v_lshlrev_b64 v[48:49], v48, v[6:7]
	s_nop 0
	v_cndmask_b32_e64 v20, v21, v47, s[0:1]
	v_lshl_add_u32 v20, v20, 10, v31
	v_lshlrev_b32_e32 v21, 8, v15
	v_and_b32_e32 v47, 7, v48
	v_and_b32_e32 v20, 0xfc00, v20
	v_cndmask_b32_e64 v19, v19, v47, s[0:1]
	v_and_or_b32 v20, v21, s29, v20
	v_lshl_or_b32 v19, v19, 7, v20
.LBB263_410:                            ;   in Loop: Header=BB263_232 Depth=1
	s_or_b64 exec, exec, s[22:23]
.LBB263_411:                            ;   in Loop: Header=BB263_232 Depth=1
	s_or_b64 exec, exec, s[14:15]
.LBB263_412:                            ;   in Loop: Header=BB263_232 Depth=1
	s_or_b64 exec, exec, s[12:13]
	v_lshrrev_b16_e32 v6, 8, v6
	v_cmp_ne_u16_e64 s[0:1], 0, v6
	v_mov_b32_e32 v20, 0
	s_and_saveexec_b64 s[12:13], s[0:1]
	s_cbranch_execz .LBB263_418
; %bb.413:                              ;   in Loop: Header=BB263_232 Depth=1
	v_cmp_ne_u16_e64 s[0:1], s24, v6
	v_bfrev_b32_e32 v20, 1
	s_and_saveexec_b64 s[14:15], s[0:1]
	s_cbranch_execz .LBB263_417
; %bb.414:                              ;   in Loop: Header=BB263_232 Depth=1
	v_and_b32_e32 v21, 0x7f, v6
	v_cmp_ne_u32_e64 s[0:1], s25, v21
	v_mov_b32_e32 v20, 0x7c010000
	s_and_saveexec_b64 s[22:23], s[0:1]
	s_cbranch_execz .LBB263_416
; %bb.415:                              ;   in Loop: Header=BB263_232 Depth=1
	v_and_b32_e32 v20, 7, v6
	v_ffbh_u32_e32 v48, v20
	v_min_u32_e32 v50, 32, v48
	v_subrev_u32_e32 v48, 28, v50
	v_lshlrev_b64 v[48:49], v48, v[6:7]
	v_lshrrev_b32_e32 v47, 3, v21
	v_sub_u32_e32 v49, 29, v50
	v_cmp_gt_u32_e64 s[0:1], 8, v21
	v_lshlrev_b32_e32 v6, 8, v6
	s_nop 0
	v_cndmask_b32_e64 v21, v47, v49, s[0:1]
	v_lshl_add_u32 v21, v21, 10, v31
	v_and_b32_e32 v47, 7, v48
	v_and_or_b32 v6, v6, s29, v21
	v_cndmask_b32_e64 v20, v20, v47, s[0:1]
	v_lshlrev_b32_e32 v6, 16, v6
	v_lshl_or_b32 v20, v20, 23, v6
.LBB263_416:                            ;   in Loop: Header=BB263_232 Depth=1
	s_or_b64 exec, exec, s[22:23]
.LBB263_417:                            ;   in Loop: Header=BB263_232 Depth=1
	s_or_b64 exec, exec, s[14:15]
.LBB263_418:                            ;   in Loop: Header=BB263_232 Depth=1
	s_or_b64 exec, exec, s[12:13]
	v_lshrrev_b32_e32 v6, 16, v15
	v_cmp_ne_u16_sdwa s[0:1], v6, v7 src0_sel:BYTE_0 src1_sel:DWORD
	s_and_saveexec_b64 s[12:13], s[0:1]
	s_cbranch_execz .LBB263_424
; %bb.419:                              ;   in Loop: Header=BB263_232 Depth=1
	v_cmp_ne_u16_sdwa s[0:1], v6, s24 src0_sel:BYTE_0 src1_sel:DWORD
	v_mov_b32_e32 v18, 0x8000
	s_and_saveexec_b64 s[14:15], s[0:1]
	s_cbranch_execz .LBB263_423
; %bb.420:                              ;   in Loop: Header=BB263_232 Depth=1
	v_bfe_u32 v21, v15, 16, 7
	v_cmp_ne_u32_e64 s[0:1], s25, v21
	v_mov_b32_e32 v18, 0x7c01
	s_and_saveexec_b64 s[22:23], s[0:1]
	s_cbranch_execz .LBB263_422
; %bb.421:                              ;   in Loop: Header=BB263_232 Depth=1
	v_and_b32_e32 v18, 7, v6
	v_ffbh_u32_e32 v48, v18
	v_min_u32_e32 v50, 32, v48
	v_subrev_u32_e32 v48, 28, v50
	v_lshlrev_b64 v[48:49], v48, v[6:7]
	v_lshrrev_b32_e32 v47, 3, v21
	v_sub_u32_e32 v49, 29, v50
	v_cmp_gt_u32_e64 s[0:1], 8, v21
	v_lshlrev_b32_e32 v6, 8, v6
	s_nop 0
	v_cndmask_b32_e64 v21, v47, v49, s[0:1]
	v_lshl_add_u32 v21, v21, 10, v31
	v_and_b32_e32 v47, 7, v48
	v_and_b32_e32 v21, 0xfc00, v21
	v_cndmask_b32_e64 v18, v18, v47, s[0:1]
	v_and_or_b32 v6, v6, s29, v21
	v_lshl_or_b32 v18, v18, 7, v6
.LBB263_422:                            ;   in Loop: Header=BB263_232 Depth=1
	s_or_b64 exec, exec, s[22:23]
.LBB263_423:                            ;   in Loop: Header=BB263_232 Depth=1
	s_or_b64 exec, exec, s[14:15]
.LBB263_424:                            ;   in Loop: Header=BB263_232 Depth=1
	s_or_b64 exec, exec, s[12:13]
	v_cmp_lt_u64_e64 s[0:1], s[6:7], v[14:15]
	v_mov_b32_e32 v21, 0
	s_and_saveexec_b64 s[12:13], s[0:1]
	s_cbranch_execz .LBB263_430
; %bb.425:                              ;   in Loop: Header=BB263_232 Depth=1
	v_lshrrev_b32_e32 v6, 24, v15
	v_cmp_ne_u32_e64 s[0:1], s24, v6
	v_bfrev_b32_e32 v21, 1
	s_and_saveexec_b64 s[14:15], s[0:1]
	s_cbranch_execz .LBB263_429
; %bb.426:                              ;   in Loop: Header=BB263_232 Depth=1
	v_and_b32_e32 v14, 0x7f, v6
	v_cmp_ne_u32_e64 s[0:1], s25, v14
	v_mov_b32_e32 v21, 0x7c010000
	s_and_saveexec_b64 s[22:23], s[0:1]
	s_cbranch_execz .LBB263_428
; %bb.427:                              ;   in Loop: Header=BB263_232 Depth=1
	v_and_b32_e32 v15, 7, v6
	v_ffbh_u32_e32 v47, v15
	v_min_u32_e32 v47, 32, v47
	v_lshrrev_b32_e32 v21, 3, v14
	v_subrev_u32_e32 v48, 28, v47
	v_sub_u32_e32 v47, 29, v47
	v_cmp_gt_u32_e64 s[0:1], 8, v14
	v_lshlrev_b64 v[48:49], v48, v[6:7]
	v_lshlrev_b32_e32 v6, 8, v6
	v_cndmask_b32_e64 v14, v21, v47, s[0:1]
	v_lshl_add_u32 v14, v14, 10, v31
	v_and_b32_e32 v21, 7, v48
	v_and_or_b32 v6, v6, s29, v14
	v_cndmask_b32_e64 v15, v15, v21, s[0:1]
	v_lshlrev_b32_e32 v6, 16, v6
	v_lshl_or_b32 v21, v15, 23, v6
.LBB263_428:                            ;   in Loop: Header=BB263_232 Depth=1
	s_or_b64 exec, exec, s[22:23]
.LBB263_429:                            ;   in Loop: Header=BB263_232 Depth=1
	s_or_b64 exec, exec, s[14:15]
.LBB263_430:                            ;   in Loop: Header=BB263_232 Depth=1
	s_or_b64 exec, exec, s[12:13]
	v_cvt_f32_f16_sdwa v15, v1 dst_sel:DWORD dst_unused:UNUSED_PAD src0_sel:WORD_1
	v_cvt_f32_f16_sdwa v14, v17 dst_sel:DWORD dst_unused:UNUSED_PAD src0_sel:WORD_1
	v_or_b32_e32 v1, v1, v13
	v_or_b32_e32 v6, v17, v16
	v_cvt_f32_f16_e32 v16, v6
	v_cvt_f32_f16_e32 v17, v1
	s_waitcnt vmcnt(0)
	v_pk_mul_f32 v[14:15], v[12:13], v[14:15] op_sel_hi:[0,1]
	v_cvt_pk_f16_f32 v1, v14, v15
	v_and_b32_e32 v13, 0xffff0000, v1
	v_pk_mul_f32 v[16:17], v[12:13], v[16:17] op_sel_hi:[0,1]
	v_lshlrev_b32_e32 v14, 16, v1
	v_cvt_pk_f16_f32 v1, v16, v17
	v_or_b32_e32 v6, v20, v19
	v_or_b32_e32 v17, v21, v18
	v_cvt_f32_f16_e32 v18, v17
	v_cvt_f32_f16_e32 v19, v6
	v_cvt_f32_f16_sdwa v49, v20 dst_sel:DWORD dst_unused:UNUSED_PAD src0_sel:WORD_1
	v_cvt_f32_f16_sdwa v48, v21 dst_sel:DWORD dst_unused:UNUSED_PAD src0_sel:WORD_1
	v_lshrrev_b32_e32 v15, 16, v1
	v_pk_mul_f32 v[18:19], v[12:13], v[18:19] op_sel_hi:[0,1]
	v_cvt_pk_f16_f32 v20, v18, v19
	v_pk_mul_f32 v[18:19], v[12:13], v[48:49] op_sel_hi:[0,1]
	v_cvt_pk_f16_f32 v12, v18, v19
	v_and_b32_e32 v16, 0xffff, v1
	v_and_b32_e32 v17, 0xffff0000, v12
	v_lshlrev_b32_e32 v12, 16, v12
	v_lshrrev_b32_e32 v21, 16, v20
	v_and_b32_e32 v20, 0xffff, v20
	v_or_b32_e32 v1, v13, v15
	v_or_b32_e32 v6, v14, v16
	;; [unrolled: 1-line block ×4, first 2 shown]
	s_and_saveexec_b64 s[0:1], vcc
	s_cbranch_execz .LBB263_231
; %bb.431:                              ;   in Loop: Header=BB263_232 Depth=1
	v_cmp_gt_i32_e32 vcc, s27, v29
	s_nop 1
	v_cndmask_b32_e32 v1, 0, v15, vcc
	v_cmp_gt_i32_e32 vcc, s33, v38
	s_nop 1
	v_cndmask_b32_e32 v6, 0, v16, vcc
	v_cmp_gt_i32_e32 vcc, s27, v37
	s_nop 1
	v_cndmask_b32_e32 v13, 0, v13, vcc
	v_cmp_gt_i32_e32 vcc, s33, v36
	v_or_b32_e32 v1, v13, v1
	s_nop 0
	v_cndmask_b32_e32 v14, 0, v14, vcc
	v_cmp_gt_i32_e32 vcc, s27, v35
	v_or_b32_e32 v6, v14, v6
	s_nop 0
	v_cndmask_b32_e32 v13, 0, v21, vcc
	v_cmp_gt_i32_e32 vcc, s33, v34
	s_nop 1
	v_cndmask_b32_e32 v14, 0, v20, vcc
	v_cmp_gt_i32_e32 vcc, s27, v33
	;; [unrolled: 3-line block ×3, first 2 shown]
	v_or_b32_e32 v19, v15, v13
	s_nop 0
	v_cndmask_b32_e32 v12, 0, v12, vcc
	v_or_b32_e32 v18, v12, v14
	s_branch .LBB263_231
.LBB263_432:
	s_or_b64 exec, exec, s[8:9]
.LBB263_433:
	s_or_b64 exec, exec, s[2:3]
	ds_bpermute_b32 v6, v26, v4
	ds_bpermute_b32 v7, v26, v5
	;; [unrolled: 1-line block ×4, first 2 shown]
	v_and_b32_e32 v1, 0x3c3, v0
	v_cmp_ne_u32_e32 vcc, 64, v1
	s_waitcnt lgkmcnt(2)
	v_pk_add_f32 v[10:11], v[4:5], v[6:7]
	ds_bpermute_b32 v12, v27, v10
	ds_bpermute_b32 v13, v27, v11
	s_waitcnt lgkmcnt(2)
	v_pk_add_f32 v[4:5], v[2:3], v[8:9]
	ds_bpermute_b32 v6, v27, v4
	ds_bpermute_b32 v7, v27, v5
	s_waitcnt lgkmcnt(0)
	v_pk_add_f32 v[2:3], v[10:11], v[12:13]
	s_barrier
	s_and_saveexec_b64 s[0:1], vcc
	s_xor_b64 s[0:1], exec, s[0:1]
; %bb.434:
                                        ; implicit-def: $vgpr25
; %bb.435:
	s_or_saveexec_b64 s[0:1], s[0:1]
	v_pk_add_f32 v[4:5], v[4:5], v[6:7]
	s_xor_b64 exec, exec, s[0:1]
	s_cbranch_execz .LBB263_437
; %bb.436:
	v_add_u32_e32 v6, 0x90, v25
	ds_write2_b32 v6, v2, v3 offset1:16
	ds_write2_b32 v6, v4, v5 offset0:32 offset1:48
.LBB263_437:
	s_or_b64 exec, exec, s[0:1]
	v_cmp_gt_u32_e32 vcc, 64, v0
	v_lshrrev_b32_e32 v0, 2, v0
	s_waitcnt lgkmcnt(0)
	s_barrier
	s_and_saveexec_b64 s[0:1], vcc
	s_cbranch_execz .LBB263_444
; %bb.438:
	v_mov_b32_e32 v6, 0x90
	v_cmp_eq_u32_e32 vcc, 0, v28
	v_lshl_add_u32 v6, v0, 2, v6
	s_and_saveexec_b64 s[2:3], vcc
	s_cbranch_execnz .LBB263_447
; %bb.439:
	s_or_b64 exec, exec, s[2:3]
	s_and_saveexec_b64 s[2:3], vcc
	s_cbranch_execnz .LBB263_448
.LBB263_440:
	s_or_b64 exec, exec, s[2:3]
	s_and_saveexec_b64 s[2:3], vcc
	s_cbranch_execnz .LBB263_449
.LBB263_441:
	s_or_b64 exec, exec, s[2:3]
	s_and_saveexec_b64 s[2:3], vcc
	s_cbranch_execz .LBB263_443
.LBB263_442:
	ds_read_b32 v6, v6 offset:192
	s_waitcnt lgkmcnt(0)
	v_add_f32_e32 v5, v5, v6
.LBB263_443:
	s_or_b64 exec, exec, s[2:3]
.LBB263_444:
	s_or_b64 exec, exec, s[0:1]
	v_cmp_eq_u32_e32 vcc, 0, v1
	s_barrier
	s_and_saveexec_b64 s[0:1], vcc
	s_cbranch_execz .LBB263_446
; %bb.445:
	s_mul_i32 s0, s16, s17
	s_mul_i32 s0, s0, s5
	s_lshl_b32 s0, s0, 6
	s_ashr_i32 s1, s0, 31
	s_lshl_b64 s[0:1], s[0:1], 1
	s_add_u32 s2, s20, s0
	s_mul_i32 s0, s17, s18
	s_addc_u32 s3, s21, s1
	s_ashr_i32 s1, s0, 31
	s_lshl_b64 s[0:1], s[0:1], 1
	s_add_u32 s2, s2, s0
	s_addc_u32 s3, s3, s1
	s_lshl_b32 s0, s4, 6
	s_ashr_i32 s1, s0, 31
	s_lshl_b64 s[0:1], s[0:1], 1
	s_add_u32 s0, s2, s0
	s_addc_u32 s1, s3, s1
	v_lshlrev_b32_e32 v0, 1, v0
	;;#ASMSTART
	v_cvt_f16_f32 v1, v2;

	;;#ASMEND
	global_store_short v0, v1, s[0:1]
	;;#ASMSTART
	v_cvt_f16_f32 v1, v3;

	;;#ASMEND
	global_store_short v0, v1, s[0:1] offset:32
	;;#ASMSTART
	v_cvt_f16_f32 v1, v4;

	;;#ASMEND
	global_store_short v0, v1, s[0:1] offset:64
	;; [unrolled: 5-line block ×3, first 2 shown]
.LBB263_446:
	s_endpgm
.LBB263_447:
	ds_read_b32 v7, v6
	s_waitcnt lgkmcnt(0)
	v_add_f32_e32 v2, v2, v7
	s_or_b64 exec, exec, s[2:3]
	s_and_saveexec_b64 s[2:3], vcc
	s_cbranch_execz .LBB263_440
.LBB263_448:
	ds_read_b32 v7, v6 offset:64
	s_waitcnt lgkmcnt(0)
	v_add_f32_e32 v3, v3, v7
	s_or_b64 exec, exec, s[2:3]
	s_and_saveexec_b64 s[2:3], vcc
	s_cbranch_execz .LBB263_441
.LBB263_449:
	ds_read_b32 v7, v6 offset:128
	s_waitcnt lgkmcnt(0)
	v_add_f32_e32 v4, v4, v7
	s_or_b64 exec, exec, s[2:3]
	s_and_saveexec_b64 s[2:3], vcc
	s_cbranch_execnz .LBB263_442
	s_branch .LBB263_443
	.section	.rodata,"a",@progbits
	.p2align	6, 0x0
	.amdhsa_kernel _ZN4vllm25paged_attention_v1_kernelIthLi64ELi32ELi128ELNS_18Fp8KVCacheDataTypeE1ELb0EEEvPT_PKS2_PKT0_S8_ifPKiSA_iPKfiiiSC_SC_iiiii
		.amdhsa_group_segment_fixed_size 144
		.amdhsa_private_segment_fixed_size 0
		.amdhsa_kernarg_size 384
		.amdhsa_user_sgpr_count 2
		.amdhsa_user_sgpr_dispatch_ptr 0
		.amdhsa_user_sgpr_queue_ptr 0
		.amdhsa_user_sgpr_kernarg_segment_ptr 1
		.amdhsa_user_sgpr_dispatch_id 0
		.amdhsa_user_sgpr_kernarg_preload_length 0
		.amdhsa_user_sgpr_kernarg_preload_offset 0
		.amdhsa_user_sgpr_private_segment_size 0
		.amdhsa_uses_dynamic_stack 0
		.amdhsa_enable_private_segment 0
		.amdhsa_system_sgpr_workgroup_id_x 1
		.amdhsa_system_sgpr_workgroup_id_y 1
		.amdhsa_system_sgpr_workgroup_id_z 1
		.amdhsa_system_sgpr_workgroup_info 0
		.amdhsa_system_vgpr_workitem_id 0
		.amdhsa_next_free_vgpr 55
		.amdhsa_next_free_sgpr 46
		.amdhsa_accum_offset 56
		.amdhsa_reserve_vcc 1
		.amdhsa_float_round_mode_32 0
		.amdhsa_float_round_mode_16_64 0
		.amdhsa_float_denorm_mode_32 3
		.amdhsa_float_denorm_mode_16_64 3
		.amdhsa_dx10_clamp 1
		.amdhsa_ieee_mode 1
		.amdhsa_fp16_overflow 0
		.amdhsa_tg_split 0
		.amdhsa_exception_fp_ieee_invalid_op 0
		.amdhsa_exception_fp_denorm_src 0
		.amdhsa_exception_fp_ieee_div_zero 0
		.amdhsa_exception_fp_ieee_overflow 0
		.amdhsa_exception_fp_ieee_underflow 0
		.amdhsa_exception_fp_ieee_inexact 0
		.amdhsa_exception_int_div_zero 0
	.end_amdhsa_kernel
	.section	.text._ZN4vllm25paged_attention_v1_kernelIthLi64ELi32ELi128ELNS_18Fp8KVCacheDataTypeE1ELb0EEEvPT_PKS2_PKT0_S8_ifPKiSA_iPKfiiiSC_SC_iiiii,"axG",@progbits,_ZN4vllm25paged_attention_v1_kernelIthLi64ELi32ELi128ELNS_18Fp8KVCacheDataTypeE1ELb0EEEvPT_PKS2_PKT0_S8_ifPKiSA_iPKfiiiSC_SC_iiiii,comdat
.Lfunc_end263:
	.size	_ZN4vllm25paged_attention_v1_kernelIthLi64ELi32ELi128ELNS_18Fp8KVCacheDataTypeE1ELb0EEEvPT_PKS2_PKT0_S8_ifPKiSA_iPKfiiiSC_SC_iiiii, .Lfunc_end263-_ZN4vllm25paged_attention_v1_kernelIthLi64ELi32ELi128ELNS_18Fp8KVCacheDataTypeE1ELb0EEEvPT_PKS2_PKT0_S8_ifPKiSA_iPKfiiiSC_SC_iiiii
                                        ; -- End function
	.set _ZN4vllm25paged_attention_v1_kernelIthLi64ELi32ELi128ELNS_18Fp8KVCacheDataTypeE1ELb0EEEvPT_PKS2_PKT0_S8_ifPKiSA_iPKfiiiSC_SC_iiiii.num_vgpr, 55
	.set _ZN4vllm25paged_attention_v1_kernelIthLi64ELi32ELi128ELNS_18Fp8KVCacheDataTypeE1ELb0EEEvPT_PKS2_PKT0_S8_ifPKiSA_iPKfiiiSC_SC_iiiii.num_agpr, 0
	.set _ZN4vllm25paged_attention_v1_kernelIthLi64ELi32ELi128ELNS_18Fp8KVCacheDataTypeE1ELb0EEEvPT_PKS2_PKT0_S8_ifPKiSA_iPKfiiiSC_SC_iiiii.numbered_sgpr, 46
	.set _ZN4vllm25paged_attention_v1_kernelIthLi64ELi32ELi128ELNS_18Fp8KVCacheDataTypeE1ELb0EEEvPT_PKS2_PKT0_S8_ifPKiSA_iPKfiiiSC_SC_iiiii.num_named_barrier, 0
	.set _ZN4vllm25paged_attention_v1_kernelIthLi64ELi32ELi128ELNS_18Fp8KVCacheDataTypeE1ELb0EEEvPT_PKS2_PKT0_S8_ifPKiSA_iPKfiiiSC_SC_iiiii.private_seg_size, 0
	.set _ZN4vllm25paged_attention_v1_kernelIthLi64ELi32ELi128ELNS_18Fp8KVCacheDataTypeE1ELb0EEEvPT_PKS2_PKT0_S8_ifPKiSA_iPKfiiiSC_SC_iiiii.uses_vcc, 1
	.set _ZN4vllm25paged_attention_v1_kernelIthLi64ELi32ELi128ELNS_18Fp8KVCacheDataTypeE1ELb0EEEvPT_PKS2_PKT0_S8_ifPKiSA_iPKfiiiSC_SC_iiiii.uses_flat_scratch, 0
	.set _ZN4vllm25paged_attention_v1_kernelIthLi64ELi32ELi128ELNS_18Fp8KVCacheDataTypeE1ELb0EEEvPT_PKS2_PKT0_S8_ifPKiSA_iPKfiiiSC_SC_iiiii.has_dyn_sized_stack, 0
	.set _ZN4vllm25paged_attention_v1_kernelIthLi64ELi32ELi128ELNS_18Fp8KVCacheDataTypeE1ELb0EEEvPT_PKS2_PKT0_S8_ifPKiSA_iPKfiiiSC_SC_iiiii.has_recursion, 0
	.set _ZN4vllm25paged_attention_v1_kernelIthLi64ELi32ELi128ELNS_18Fp8KVCacheDataTypeE1ELb0EEEvPT_PKS2_PKT0_S8_ifPKiSA_iPKfiiiSC_SC_iiiii.has_indirect_call, 0
	.section	.AMDGPU.csdata,"",@progbits
; Kernel info:
; codeLenInByte = 19576
; TotalNumSgprs: 52
; NumVgprs: 55
; NumAgprs: 0
; TotalNumVgprs: 55
; ScratchSize: 0
; MemoryBound: 0
; FloatMode: 240
; IeeeMode: 1
; LDSByteSize: 144 bytes/workgroup (compile time only)
; SGPRBlocks: 6
; VGPRBlocks: 6
; NumSGPRsForWavesPerEU: 52
; NumVGPRsForWavesPerEU: 55
; AccumOffset: 56
; Occupancy: 8
; WaveLimiterHint : 1
; COMPUTE_PGM_RSRC2:SCRATCH_EN: 0
; COMPUTE_PGM_RSRC2:USER_SGPR: 2
; COMPUTE_PGM_RSRC2:TRAP_HANDLER: 0
; COMPUTE_PGM_RSRC2:TGID_X_EN: 1
; COMPUTE_PGM_RSRC2:TGID_Y_EN: 1
; COMPUTE_PGM_RSRC2:TGID_Z_EN: 1
; COMPUTE_PGM_RSRC2:TIDIG_COMP_CNT: 0
; COMPUTE_PGM_RSRC3_GFX90A:ACCUM_OFFSET: 13
; COMPUTE_PGM_RSRC3_GFX90A:TG_SPLIT: 0
	.section	.text._ZN4vllm25paged_attention_v1_kernelIthLi80ELi32ELi128ELNS_18Fp8KVCacheDataTypeE1ELb0EEEvPT_PKS2_PKT0_S8_ifPKiSA_iPKfiiiSC_SC_iiiii,"axG",@progbits,_ZN4vllm25paged_attention_v1_kernelIthLi80ELi32ELi128ELNS_18Fp8KVCacheDataTypeE1ELb0EEEvPT_PKS2_PKT0_S8_ifPKiSA_iPKfiiiSC_SC_iiiii,comdat
	.protected	_ZN4vllm25paged_attention_v1_kernelIthLi80ELi32ELi128ELNS_18Fp8KVCacheDataTypeE1ELb0EEEvPT_PKS2_PKT0_S8_ifPKiSA_iPKfiiiSC_SC_iiiii ; -- Begin function _ZN4vllm25paged_attention_v1_kernelIthLi80ELi32ELi128ELNS_18Fp8KVCacheDataTypeE1ELb0EEEvPT_PKS2_PKT0_S8_ifPKiSA_iPKfiiiSC_SC_iiiii
	.globl	_ZN4vllm25paged_attention_v1_kernelIthLi80ELi32ELi128ELNS_18Fp8KVCacheDataTypeE1ELb0EEEvPT_PKS2_PKT0_S8_ifPKiSA_iPKfiiiSC_SC_iiiii
	.p2align	8
	.type	_ZN4vllm25paged_attention_v1_kernelIthLi80ELi32ELi128ELNS_18Fp8KVCacheDataTypeE1ELb0EEEvPT_PKS2_PKT0_S8_ifPKiSA_iPKfiiiSC_SC_iiiii,@function
_ZN4vllm25paged_attention_v1_kernelIthLi80ELi32ELi128ELNS_18Fp8KVCacheDataTypeE1ELb0EEEvPT_PKS2_PKT0_S8_ifPKiSA_iPKfiiiSC_SC_iiiii: ; @_ZN4vllm25paged_attention_v1_kernelIthLi80ELi32ELi128ELNS_18Fp8KVCacheDataTypeE1ELb0EEEvPT_PKS2_PKT0_S8_ifPKiSA_iPKfiiiSC_SC_iiiii
; %bb.0:
	s_load_dword s5, s[0:1], 0x80
	s_load_dwordx2 s[6:7], s[0:1], 0x30
	s_load_dwordx2 s[28:29], s[0:1], 0x20
	s_mov_b32 s16, s3
	s_ashr_i32 s17, s3, 31
	s_lshl_b64 s[8:9], s[16:17], 2
	s_waitcnt lgkmcnt(0)
	s_add_u32 s6, s6, s8
	s_addc_u32 s7, s7, s9
	s_abs_i32 s3, s28
	v_cvt_f32_u32_e32 v1, s3
	s_sub_i32 s10, 0, s3
	s_abs_i32 s9, s5
	s_xor_b32 s8, s5, s28
	v_rcp_iflag_f32_e32 v1, v1
	s_ashr_i32 s8, s8, 31
	s_mov_b32 s28, 0
	v_mul_f32_e32 v1, 0x4f7ffffe, v1
	v_cvt_u32_f32_e32 v1, v1
	s_nop 0
	v_readfirstlane_b32 s11, v1
	s_mul_i32 s10, s10, s11
	s_mul_hi_u32 s10, s11, s10
	s_add_i32 s11, s11, s10
	s_mul_hi_u32 s10, s9, s11
	s_mul_i32 s11, s10, s3
	s_sub_i32 s9, s9, s11
	s_add_i32 s11, s10, 1
	s_sub_i32 s12, s9, s3
	s_cmp_ge_u32 s9, s3
	s_cselect_b32 s10, s11, s10
	s_cselect_b32 s9, s12, s9
	s_add_i32 s11, s10, 1
	s_cmp_ge_u32 s9, s3
	s_cselect_b32 s3, s11, s10
	s_xor_b32 s3, s3, s8
	s_sub_i32 s12, s3, s8
	s_abs_i32 s10, s12
	v_cvt_f32_u32_e32 v1, s10
	s_load_dwordx2 s[8:9], s[0:1], 0x40
	s_sub_i32 s3, 0, s10
	s_abs_i32 s11, s2
	v_rcp_iflag_f32_e32 v1, v1
	s_nop 0
	v_mul_f32_e32 v1, 0x4f7ffffe, v1
	v_cvt_u32_f32_e32 v1, v1
	s_nop 0
	v_readfirstlane_b32 s13, v1
	s_mul_i32 s3, s3, s13
	s_mul_hi_u32 s3, s13, s3
	s_add_i32 s13, s13, s3
	s_waitcnt lgkmcnt(0)
	s_cmp_eq_u64 s[8:9], 0
	s_mul_hi_u32 s17, s11, s13
	s_cbranch_scc1 .LBB264_2
; %bb.1:
	s_ashr_i32 s3, s2, 31
	s_lshl_b64 s[14:15], s[2:3], 2
	s_add_u32 s8, s8, s14
	s_addc_u32 s9, s9, s15
	s_load_dword s28, s[8:9], 0x0
.LBB264_2:
	s_load_dword s33, s[6:7], 0x0
	s_ashr_i32 s7, s12, 31
	s_load_dwordx4 s[12:15], s[0:1], 0x48
	s_ashr_i32 s6, s2, 31
	v_and_b32_e32 v4, 1, v0
	s_movk_i32 s8, 0x50
	s_mul_i32 s18, s2, 0x50
	v_cmp_gt_u32_e32 vcc, 20, v0
	v_lshlrev_b32_e32 v1, 3, v0
	s_and_saveexec_b64 s[2:3], vcc
	s_cbranch_execz .LBB264_4
; %bb.3:
	s_load_dwordx2 s[20:21], s[0:1], 0x8
	s_waitcnt lgkmcnt(0)
	s_mul_i32 s22, s12, s16
	s_ashr_i32 s23, s22, 31
	s_lshl_b64 s[22:23], s[22:23], 1
	v_lshlrev_b32_e32 v5, 2, v0
	s_add_u32 s9, s20, s22
	s_addc_u32 s12, s21, s23
	s_ashr_i32 s19, s18, 31
	s_lshl_b64 s[20:21], s[18:19], 1
	s_add_u32 s20, s9, s20
	s_addc_u32 s21, s12, s21
	global_load_dwordx2 v[2:3], v1, s[20:21]
	v_and_b32_e32 v5, 0xff8, v5
	v_mad_u32_u24 v5, v4, s8, v5
	s_waitcnt vmcnt(0)
	ds_write_b64 v5, v[2:3]
.LBB264_4:
	s_or_b64 exec, exec, s[2:3]
	s_waitcnt lgkmcnt(0)
	s_add_i32 s3, s33, 31
	s_ashr_i32 s8, s3, 31
	s_lshr_b32 s8, s8, 27
	s_add_i32 s3, s3, s8
	s_ashr_i32 s19, s3, 5
	s_xor_b32 s3, s6, s7
	s_mul_i32 s6, s17, s10
	s_sub_i32 s6, s11, s6
	s_add_i32 s7, s17, 1
	s_sub_i32 s8, s6, s10
	s_load_dwordx2 s[22:23], s[0:1], 0x28
	s_load_dword s2, s[0:1], 0x38
	s_cmp_ge_u32 s6, s10
	s_cselect_b32 s7, s7, s17
	s_cselect_b32 s6, s8, s6
	s_add_i32 s8, s7, 1
	s_cmp_ge_u32 s6, s10
	s_cselect_b32 s6, s8, s7
	v_lshrrev_b32_e32 v24, 6, v0
	s_xor_b32 s6, s6, s3
	s_waitcnt lgkmcnt(0)
	s_mul_i32 s24, s2, s16
	s_sub_i32 s12, s6, s3
	s_ashr_i32 s25, s24, 31
	v_cmp_gt_i32_e64 s[6:7], s19, v24
	v_cmp_le_i32_e32 vcc, s19, v24
	v_mbcnt_lo_u32_b32 v9, -1, 0
	s_barrier
                                        ; implicit-def: $vgpr12
                                        ; implicit-def: $vgpr2
                                        ; implicit-def: $vgpr8
	s_and_saveexec_b64 s[2:3], vcc
	s_xor_b64 s[2:3], exec, s[2:3]
; %bb.5:
	v_mbcnt_hi_u32_b32 v12, -1, v9
	v_and_b32_e32 v2, 64, v12
	v_add_u32_e32 v8, 64, v2
                                        ; implicit-def: $vgpr4
                                        ; implicit-def: $vgpr9
; %bb.6:
	s_or_saveexec_b64 s[30:31], s[2:3]
	s_load_dwordx2 s[20:21], s[0:1], 0x0
	s_load_dwordx2 s[26:27], s[0:1], 0x18
	s_load_dword s17, s[0:1], 0x88
	s_load_dwordx4 s[8:11], s[0:1], 0x58
	v_mov_b32_e32 v13, 0xff7fffff
	s_mul_i32 s12, s12, s14
	v_lshrrev_b32_e32 v11, 4, v0
	s_xor_b64 exec, exec, s[30:31]
	s_cbranch_execz .LBB264_252
; %bb.7:
	s_load_dwordx2 s[0:1], s[0:1], 0x10
	s_ashr_i32 s2, s12, 31
	v_bfe_u32 v8, v0, 1, 5
	v_lshlrev_b32_e32 v2, 4, v8
	v_mov_b32_e32 v3, 0
	s_waitcnt lgkmcnt(0)
	s_add_u32 s0, s0, s12
	s_addc_u32 s1, s1, s2
	v_lshl_add_u64 v[6:7], s[0:1], 0, v[2:3]
	v_lshlrev_b32_e32 v2, 2, v4
	v_mul_u32_u24_e32 v14, 0x50, v4
	v_cmp_eq_u32_e32 vcc, 0, v4
	v_lshl_add_u64 v[4:5], v[6:7], 0, v[2:3]
	s_sub_i32 s41, 1, s33
	v_lshlrev_b32_e32 v2, 2, v8
	s_lshl_b64 s[0:1], s[24:25], 2
	v_lshl_or_b32 v2, v24, 7, v2
	s_add_u32 s0, s22, s0
	v_add_u32_e32 v16, 0xb0, v2
	v_and_b32_e32 v2, 60, v11
	s_addc_u32 s1, s23, s1
	s_mov_b32 s40, s13
	v_cmp_neq_f32_e64 s[2:3], s28, 0
	v_lshl_or_b32 v15, v24, 5, v8
	v_lshl_add_u64 v[6:7], s[0:1], 0, v[2:3]
	v_mov_b32_e32 v13, 0xff7fffff
	s_mov_b64 s[14:15], 0
	s_movk_i32 s42, 0x80
	s_movk_i32 s43, 0x7f
	s_mov_b32 s44, 0x8000
	s_mov_b32 s45, 0xffffff
	v_mbcnt_hi_u32_b32 v12, -1, v9
	v_mov_b32_e32 v17, 0x2000
	v_mov_b32_e32 v18, v24
	s_branch .LBB264_9
.LBB264_8:                              ;   in Loop: Header=BB264_9 Depth=1
	s_or_b64 exec, exec, s[34:35]
	v_add_u32_e32 v18, 2, v18
	v_cmp_le_i32_e64 s[0:1], s19, v18
	v_add_u32_e32 v15, 64, v15
	v_add_u32_e32 v16, 0x100, v16
	s_or_b64 s[14:15], s[0:1], s[14:15]
	v_lshl_add_u64 v[6:7], v[6:7], 0, 8
	s_andn2_b64 exec, exec, s[14:15]
	s_cbranch_execz .LBB264_251
.LBB264_9:                              ; =>This Inner Loop Header: Depth=1
	global_load_dword v2, v[6:7], off
	v_mov_b32_e32 v20, 0
	s_waitcnt vmcnt(0)
	v_mad_i64_i32 v[8:9], s[0:1], v2, s40, v[4:5]
	s_waitcnt lgkmcnt(0)
	global_load_dword v10, v[8:9], off
	global_load_dword v19, v3, s[8:9]
	s_waitcnt vmcnt(1)
	v_cmp_ne_u16_sdwa s[0:1], v10, v3 src0_sel:BYTE_0 src1_sel:DWORD
	s_and_saveexec_b64 s[34:35], s[0:1]
	s_cbranch_execz .LBB264_15
; %bb.10:                               ;   in Loop: Header=BB264_9 Depth=1
	v_cmp_ne_u16_sdwa s[0:1], v10, s42 src0_sel:BYTE_0 src1_sel:DWORD
	v_mov_b32_e32 v20, 0x8000
	s_and_saveexec_b64 s[36:37], s[0:1]
	s_cbranch_execz .LBB264_14
; %bb.11:                               ;   in Loop: Header=BB264_9 Depth=1
	v_and_b32_e32 v2, 0x7f, v10
	v_cmp_ne_u32_e64 s[0:1], s43, v2
	v_mov_b32_e32 v20, 0x7c01
	s_and_saveexec_b64 s[38:39], s[0:1]
	s_cbranch_execz .LBB264_13
; %bb.12:                               ;   in Loop: Header=BB264_9 Depth=1
	v_and_b32_e32 v22, 7, v10
	v_ffbh_u32_e32 v20, v22
	v_min_u32_e32 v25, 32, v20
	v_subrev_u32_e32 v20, 28, v25
	v_lshlrev_b64 v[20:21], v20, v[10:11]
	v_lshrrev_b32_e32 v23, 3, v2
	v_sub_u32_e32 v21, 29, v25
	v_cmp_gt_u32_e64 s[0:1], 8, v2
	v_and_b32_e32 v20, 7, v20
	s_nop 0
	v_cndmask_b32_e64 v2, v23, v21, s[0:1]
	v_lshl_add_u32 v2, v2, 10, v17
	v_lshlrev_b32_e32 v21, 8, v10
	v_and_b32_e32 v2, 0xfc00, v2
	v_cndmask_b32_e64 v20, v22, v20, s[0:1]
	v_and_or_b32 v2, v21, s44, v2
	v_lshl_or_b32 v20, v20, 7, v2
.LBB264_13:                             ;   in Loop: Header=BB264_9 Depth=1
	s_or_b64 exec, exec, s[38:39]
.LBB264_14:                             ;   in Loop: Header=BB264_9 Depth=1
	s_or_b64 exec, exec, s[36:37]
.LBB264_15:                             ;   in Loop: Header=BB264_9 Depth=1
	s_or_b64 exec, exec, s[34:35]
	v_lshrrev_b16_e32 v2, 8, v10
	v_cmp_ne_u16_e64 s[0:1], 0, v2
	v_mov_b32_e32 v21, 0
	v_mov_b32_e32 v22, 0
	s_and_saveexec_b64 s[34:35], s[0:1]
	s_cbranch_execz .LBB264_21
; %bb.16:                               ;   in Loop: Header=BB264_9 Depth=1
	v_cmp_ne_u16_e64 s[0:1], s42, v2
	v_bfrev_b32_e32 v22, 1
	s_and_saveexec_b64 s[36:37], s[0:1]
	s_cbranch_execz .LBB264_20
; %bb.17:                               ;   in Loop: Header=BB264_9 Depth=1
	v_and_b32_e32 v23, 0x7f, v2
	v_cmp_ne_u32_e64 s[0:1], s43, v23
	v_mov_b32_e32 v22, 0x7c010000
	s_and_saveexec_b64 s[38:39], s[0:1]
	s_cbranch_execz .LBB264_19
; %bb.18:                               ;   in Loop: Header=BB264_9 Depth=1
	v_and_b32_e32 v22, 7, v2
	v_ffbh_u32_e32 v26, v22
	v_min_u32_e32 v28, 32, v26
	v_subrev_u32_e32 v26, 28, v28
	v_lshlrev_b64 v[26:27], v26, v[2:3]
	v_lshrrev_b32_e32 v25, 3, v23
	v_sub_u32_e32 v27, 29, v28
	v_cmp_gt_u32_e64 s[0:1], 8, v23
	v_lshlrev_b32_e32 v2, 8, v2
	s_nop 0
	v_cndmask_b32_e64 v23, v25, v27, s[0:1]
	v_lshl_add_u32 v23, v23, 10, v17
	v_and_b32_e32 v25, 7, v26
	v_and_or_b32 v2, v2, s44, v23
	v_cndmask_b32_e64 v22, v22, v25, s[0:1]
	v_lshlrev_b32_e32 v2, 16, v2
	v_lshl_or_b32 v22, v22, 23, v2
.LBB264_19:                             ;   in Loop: Header=BB264_9 Depth=1
	s_or_b64 exec, exec, s[38:39]
.LBB264_20:                             ;   in Loop: Header=BB264_9 Depth=1
	s_or_b64 exec, exec, s[36:37]
.LBB264_21:                             ;   in Loop: Header=BB264_9 Depth=1
	s_or_b64 exec, exec, s[34:35]
	v_lshrrev_b32_e32 v2, 16, v10
	v_cmp_ne_u16_sdwa s[0:1], v2, v3 src0_sel:BYTE_0 src1_sel:DWORD
	s_and_saveexec_b64 s[34:35], s[0:1]
	s_cbranch_execz .LBB264_27
; %bb.22:                               ;   in Loop: Header=BB264_9 Depth=1
	v_cmp_ne_u16_sdwa s[0:1], v2, s42 src0_sel:BYTE_0 src1_sel:DWORD
	v_mov_b32_e32 v21, 0x8000
	s_and_saveexec_b64 s[36:37], s[0:1]
	s_cbranch_execz .LBB264_26
; %bb.23:                               ;   in Loop: Header=BB264_9 Depth=1
	v_bfe_u32 v23, v10, 16, 7
	v_cmp_ne_u32_e64 s[0:1], s43, v23
	v_mov_b32_e32 v21, 0x7c01
	s_and_saveexec_b64 s[38:39], s[0:1]
	s_cbranch_execz .LBB264_25
; %bb.24:                               ;   in Loop: Header=BB264_9 Depth=1
	v_and_b32_e32 v21, 7, v2
	v_ffbh_u32_e32 v26, v21
	v_min_u32_e32 v28, 32, v26
	v_subrev_u32_e32 v26, 28, v28
	v_lshlrev_b64 v[26:27], v26, v[2:3]
	v_lshrrev_b32_e32 v25, 3, v23
	v_sub_u32_e32 v27, 29, v28
	v_cmp_gt_u32_e64 s[0:1], 8, v23
	v_lshlrev_b32_e32 v2, 8, v2
	s_nop 0
	v_cndmask_b32_e64 v23, v25, v27, s[0:1]
	v_lshl_add_u32 v23, v23, 10, v17
	v_and_b32_e32 v25, 7, v26
	v_and_b32_e32 v23, 0xfc00, v23
	v_cndmask_b32_e64 v21, v21, v25, s[0:1]
	v_and_or_b32 v2, v2, s44, v23
	v_lshl_or_b32 v21, v21, 7, v2
.LBB264_25:                             ;   in Loop: Header=BB264_9 Depth=1
	s_or_b64 exec, exec, s[38:39]
.LBB264_26:                             ;   in Loop: Header=BB264_9 Depth=1
	s_or_b64 exec, exec, s[36:37]
.LBB264_27:                             ;   in Loop: Header=BB264_9 Depth=1
	s_or_b64 exec, exec, s[34:35]
	v_cmp_lt_u32_e64 s[0:1], s45, v10
	v_mov_b32_e32 v25, 0
	v_mov_b32_e32 v23, 0
	s_and_saveexec_b64 s[34:35], s[0:1]
	s_cbranch_execz .LBB264_33
; %bb.28:                               ;   in Loop: Header=BB264_9 Depth=1
	v_lshrrev_b32_e32 v2, 24, v10
	v_cmp_ne_u32_e64 s[0:1], s42, v2
	v_bfrev_b32_e32 v23, 1
	s_and_saveexec_b64 s[36:37], s[0:1]
	s_cbranch_execz .LBB264_32
; %bb.29:                               ;   in Loop: Header=BB264_9 Depth=1
	v_and_b32_e32 v10, 0x7f, v2
	v_cmp_ne_u32_e64 s[0:1], s43, v10
	v_mov_b32_e32 v23, 0x7c010000
	s_and_saveexec_b64 s[38:39], s[0:1]
	s_cbranch_execz .LBB264_31
; %bb.30:                               ;   in Loop: Header=BB264_9 Depth=1
	v_and_b32_e32 v23, 7, v2
	v_ffbh_u32_e32 v26, v23
	v_min_u32_e32 v29, 32, v26
	v_subrev_u32_e32 v26, 28, v29
	v_lshlrev_b64 v[26:27], v26, v[2:3]
	v_lshrrev_b32_e32 v28, 3, v10
	v_sub_u32_e32 v27, 29, v29
	v_cmp_gt_u32_e64 s[0:1], 8, v10
	v_lshlrev_b32_e32 v2, 8, v2
	v_and_b32_e32 v26, 7, v26
	v_cndmask_b32_e64 v10, v28, v27, s[0:1]
	v_lshl_add_u32 v10, v10, 10, v17
	v_and_or_b32 v2, v2, s44, v10
	v_cndmask_b32_e64 v23, v23, v26, s[0:1]
	v_lshlrev_b32_e32 v2, 16, v2
	v_lshl_or_b32 v23, v23, 23, v2
.LBB264_31:                             ;   in Loop: Header=BB264_9 Depth=1
	s_or_b64 exec, exec, s[38:39]
.LBB264_32:                             ;   in Loop: Header=BB264_9 Depth=1
	s_or_b64 exec, exec, s[36:37]
.LBB264_33:                             ;   in Loop: Header=BB264_9 Depth=1
	s_or_b64 exec, exec, s[34:35]
	global_load_dword v10, v[8:9], off offset:8
	s_waitcnt vmcnt(0)
	v_cmp_ne_u16_sdwa s[0:1], v10, v3 src0_sel:BYTE_0 src1_sel:DWORD
	s_and_saveexec_b64 s[34:35], s[0:1]
	s_cbranch_execz .LBB264_39
; %bb.34:                               ;   in Loop: Header=BB264_9 Depth=1
	v_cmp_ne_u16_sdwa s[0:1], v10, s42 src0_sel:BYTE_0 src1_sel:DWORD
	v_mov_b32_e32 v25, 0x8000
	s_and_saveexec_b64 s[36:37], s[0:1]
	s_cbranch_execz .LBB264_38
; %bb.35:                               ;   in Loop: Header=BB264_9 Depth=1
	v_and_b32_e32 v2, 0x7f, v10
	v_cmp_ne_u32_e64 s[0:1], s43, v2
	v_mov_b32_e32 v25, 0x7c01
	s_and_saveexec_b64 s[38:39], s[0:1]
	s_cbranch_execz .LBB264_37
; %bb.36:                               ;   in Loop: Header=BB264_9 Depth=1
	v_and_b32_e32 v25, 7, v10
	v_ffbh_u32_e32 v26, v25
	v_min_u32_e32 v29, 32, v26
	v_subrev_u32_e32 v26, 28, v29
	v_lshlrev_b64 v[26:27], v26, v[10:11]
	v_lshrrev_b32_e32 v28, 3, v2
	v_sub_u32_e32 v27, 29, v29
	v_cmp_gt_u32_e64 s[0:1], 8, v2
	v_and_b32_e32 v26, 7, v26
	s_nop 0
	v_cndmask_b32_e64 v2, v28, v27, s[0:1]
	v_lshl_add_u32 v2, v2, 10, v17
	v_lshlrev_b32_e32 v27, 8, v10
	v_and_b32_e32 v2, 0xfc00, v2
	v_cndmask_b32_e64 v25, v25, v26, s[0:1]
	v_and_or_b32 v2, v27, s44, v2
	v_lshl_or_b32 v25, v25, 7, v2
.LBB264_37:                             ;   in Loop: Header=BB264_9 Depth=1
	s_or_b64 exec, exec, s[38:39]
.LBB264_38:                             ;   in Loop: Header=BB264_9 Depth=1
	s_or_b64 exec, exec, s[36:37]
.LBB264_39:                             ;   in Loop: Header=BB264_9 Depth=1
	s_or_b64 exec, exec, s[34:35]
	v_lshrrev_b16_e32 v2, 8, v10
	v_cmp_ne_u16_e64 s[0:1], 0, v2
	v_mov_b32_e32 v26, 0
	v_mov_b32_e32 v27, 0
	s_and_saveexec_b64 s[34:35], s[0:1]
	s_cbranch_execz .LBB264_45
; %bb.40:                               ;   in Loop: Header=BB264_9 Depth=1
	v_cmp_ne_u16_e64 s[0:1], s42, v2
	v_bfrev_b32_e32 v27, 1
	s_and_saveexec_b64 s[36:37], s[0:1]
	s_cbranch_execz .LBB264_44
; %bb.41:                               ;   in Loop: Header=BB264_9 Depth=1
	v_and_b32_e32 v28, 0x7f, v2
	v_cmp_ne_u32_e64 s[0:1], s43, v28
	v_mov_b32_e32 v27, 0x7c010000
	s_and_saveexec_b64 s[38:39], s[0:1]
	s_cbranch_execz .LBB264_43
; %bb.42:                               ;   in Loop: Header=BB264_9 Depth=1
	v_and_b32_e32 v27, 7, v2
	v_ffbh_u32_e32 v30, v27
	v_min_u32_e32 v32, 32, v30
	v_subrev_u32_e32 v30, 28, v32
	v_lshlrev_b64 v[30:31], v30, v[2:3]
	v_lshrrev_b32_e32 v29, 3, v28
	v_sub_u32_e32 v31, 29, v32
	v_cmp_gt_u32_e64 s[0:1], 8, v28
	v_lshlrev_b32_e32 v2, 8, v2
	s_nop 0
	v_cndmask_b32_e64 v28, v29, v31, s[0:1]
	v_lshl_add_u32 v28, v28, 10, v17
	v_and_b32_e32 v29, 7, v30
	v_and_or_b32 v2, v2, s44, v28
	v_cndmask_b32_e64 v27, v27, v29, s[0:1]
	v_lshlrev_b32_e32 v2, 16, v2
	v_lshl_or_b32 v27, v27, 23, v2
.LBB264_43:                             ;   in Loop: Header=BB264_9 Depth=1
	s_or_b64 exec, exec, s[38:39]
.LBB264_44:                             ;   in Loop: Header=BB264_9 Depth=1
	s_or_b64 exec, exec, s[36:37]
.LBB264_45:                             ;   in Loop: Header=BB264_9 Depth=1
	s_or_b64 exec, exec, s[34:35]
	v_lshrrev_b32_e32 v2, 16, v10
	v_cmp_ne_u16_sdwa s[0:1], v2, v3 src0_sel:BYTE_0 src1_sel:DWORD
	s_and_saveexec_b64 s[34:35], s[0:1]
	s_cbranch_execz .LBB264_51
; %bb.46:                               ;   in Loop: Header=BB264_9 Depth=1
	v_cmp_ne_u16_sdwa s[0:1], v2, s42 src0_sel:BYTE_0 src1_sel:DWORD
	v_mov_b32_e32 v26, 0x8000
	s_and_saveexec_b64 s[36:37], s[0:1]
	s_cbranch_execz .LBB264_50
; %bb.47:                               ;   in Loop: Header=BB264_9 Depth=1
	v_bfe_u32 v28, v10, 16, 7
	v_cmp_ne_u32_e64 s[0:1], s43, v28
	v_mov_b32_e32 v26, 0x7c01
	s_and_saveexec_b64 s[38:39], s[0:1]
	s_cbranch_execz .LBB264_49
; %bb.48:                               ;   in Loop: Header=BB264_9 Depth=1
	v_and_b32_e32 v26, 7, v2
	v_ffbh_u32_e32 v30, v26
	v_min_u32_e32 v32, 32, v30
	v_subrev_u32_e32 v30, 28, v32
	v_lshlrev_b64 v[30:31], v30, v[2:3]
	v_lshrrev_b32_e32 v29, 3, v28
	v_sub_u32_e32 v31, 29, v32
	v_cmp_gt_u32_e64 s[0:1], 8, v28
	v_lshlrev_b32_e32 v2, 8, v2
	s_nop 0
	v_cndmask_b32_e64 v28, v29, v31, s[0:1]
	v_lshl_add_u32 v28, v28, 10, v17
	v_and_b32_e32 v29, 7, v30
	v_and_b32_e32 v28, 0xfc00, v28
	v_cndmask_b32_e64 v26, v26, v29, s[0:1]
	v_and_or_b32 v2, v2, s44, v28
	v_lshl_or_b32 v26, v26, 7, v2
.LBB264_49:                             ;   in Loop: Header=BB264_9 Depth=1
	s_or_b64 exec, exec, s[38:39]
.LBB264_50:                             ;   in Loop: Header=BB264_9 Depth=1
	s_or_b64 exec, exec, s[36:37]
.LBB264_51:                             ;   in Loop: Header=BB264_9 Depth=1
	s_or_b64 exec, exec, s[34:35]
	v_cmp_lt_u32_e64 s[0:1], s45, v10
	v_mov_b32_e32 v29, 0
	v_mov_b32_e32 v28, 0
	s_and_saveexec_b64 s[34:35], s[0:1]
	s_cbranch_execz .LBB264_57
; %bb.52:                               ;   in Loop: Header=BB264_9 Depth=1
	v_lshrrev_b32_e32 v2, 24, v10
	v_cmp_ne_u32_e64 s[0:1], s42, v2
	v_bfrev_b32_e32 v28, 1
	s_and_saveexec_b64 s[36:37], s[0:1]
	s_cbranch_execz .LBB264_56
; %bb.53:                               ;   in Loop: Header=BB264_9 Depth=1
	v_and_b32_e32 v10, 0x7f, v2
	v_cmp_ne_u32_e64 s[0:1], s43, v10
	v_mov_b32_e32 v28, 0x7c010000
	s_and_saveexec_b64 s[38:39], s[0:1]
	s_cbranch_execz .LBB264_55
; %bb.54:                               ;   in Loop: Header=BB264_9 Depth=1
	v_and_b32_e32 v28, 7, v2
	v_ffbh_u32_e32 v30, v28
	v_min_u32_e32 v33, 32, v30
	v_subrev_u32_e32 v30, 28, v33
	v_lshlrev_b64 v[30:31], v30, v[2:3]
	v_lshrrev_b32_e32 v32, 3, v10
	v_sub_u32_e32 v31, 29, v33
	v_cmp_gt_u32_e64 s[0:1], 8, v10
	v_lshlrev_b32_e32 v2, 8, v2
	v_and_b32_e32 v30, 7, v30
	v_cndmask_b32_e64 v10, v32, v31, s[0:1]
	v_lshl_add_u32 v10, v10, 10, v17
	v_and_or_b32 v2, v2, s44, v10
	v_cndmask_b32_e64 v28, v28, v30, s[0:1]
	v_lshlrev_b32_e32 v2, 16, v2
	v_lshl_or_b32 v28, v28, 23, v2
.LBB264_55:                             ;   in Loop: Header=BB264_9 Depth=1
	s_or_b64 exec, exec, s[38:39]
.LBB264_56:                             ;   in Loop: Header=BB264_9 Depth=1
	s_or_b64 exec, exec, s[36:37]
.LBB264_57:                             ;   in Loop: Header=BB264_9 Depth=1
	s_or_b64 exec, exec, s[34:35]
	global_load_dword v10, v[8:9], off offset:512
	s_waitcnt vmcnt(0)
	v_cmp_ne_u16_sdwa s[0:1], v10, v3 src0_sel:BYTE_0 src1_sel:DWORD
	s_and_saveexec_b64 s[34:35], s[0:1]
	s_cbranch_execz .LBB264_63
; %bb.58:                               ;   in Loop: Header=BB264_9 Depth=1
	v_cmp_ne_u16_sdwa s[0:1], v10, s42 src0_sel:BYTE_0 src1_sel:DWORD
	v_mov_b32_e32 v29, 0x8000
	s_and_saveexec_b64 s[36:37], s[0:1]
	s_cbranch_execz .LBB264_62
; %bb.59:                               ;   in Loop: Header=BB264_9 Depth=1
	v_and_b32_e32 v2, 0x7f, v10
	v_cmp_ne_u32_e64 s[0:1], s43, v2
	v_mov_b32_e32 v29, 0x7c01
	s_and_saveexec_b64 s[38:39], s[0:1]
	s_cbranch_execz .LBB264_61
; %bb.60:                               ;   in Loop: Header=BB264_9 Depth=1
	v_and_b32_e32 v29, 7, v10
	v_ffbh_u32_e32 v30, v29
	v_min_u32_e32 v33, 32, v30
	v_subrev_u32_e32 v30, 28, v33
	v_lshlrev_b64 v[30:31], v30, v[10:11]
	v_lshrrev_b32_e32 v32, 3, v2
	v_sub_u32_e32 v31, 29, v33
	v_cmp_gt_u32_e64 s[0:1], 8, v2
	v_and_b32_e32 v30, 7, v30
	s_nop 0
	v_cndmask_b32_e64 v2, v32, v31, s[0:1]
	v_lshl_add_u32 v2, v2, 10, v17
	v_lshlrev_b32_e32 v31, 8, v10
	v_and_b32_e32 v2, 0xfc00, v2
	v_cndmask_b32_e64 v29, v29, v30, s[0:1]
	v_and_or_b32 v2, v31, s44, v2
	v_lshl_or_b32 v29, v29, 7, v2
.LBB264_61:                             ;   in Loop: Header=BB264_9 Depth=1
	s_or_b64 exec, exec, s[38:39]
.LBB264_62:                             ;   in Loop: Header=BB264_9 Depth=1
	s_or_b64 exec, exec, s[36:37]
.LBB264_63:                             ;   in Loop: Header=BB264_9 Depth=1
	s_or_b64 exec, exec, s[34:35]
	v_lshrrev_b16_e32 v2, 8, v10
	v_cmp_ne_u16_e64 s[0:1], 0, v2
	v_mov_b32_e32 v30, 0
	v_mov_b32_e32 v31, 0
	s_and_saveexec_b64 s[34:35], s[0:1]
	s_cbranch_execz .LBB264_69
; %bb.64:                               ;   in Loop: Header=BB264_9 Depth=1
	v_cmp_ne_u16_e64 s[0:1], s42, v2
	v_bfrev_b32_e32 v31, 1
	s_and_saveexec_b64 s[36:37], s[0:1]
	s_cbranch_execz .LBB264_68
; %bb.65:                               ;   in Loop: Header=BB264_9 Depth=1
	v_and_b32_e32 v32, 0x7f, v2
	v_cmp_ne_u32_e64 s[0:1], s43, v32
	v_mov_b32_e32 v31, 0x7c010000
	s_and_saveexec_b64 s[38:39], s[0:1]
	s_cbranch_execz .LBB264_67
; %bb.66:                               ;   in Loop: Header=BB264_9 Depth=1
	v_and_b32_e32 v31, 7, v2
	v_ffbh_u32_e32 v34, v31
	v_min_u32_e32 v36, 32, v34
	v_subrev_u32_e32 v34, 28, v36
	v_lshlrev_b64 v[34:35], v34, v[2:3]
	v_lshrrev_b32_e32 v33, 3, v32
	v_sub_u32_e32 v35, 29, v36
	v_cmp_gt_u32_e64 s[0:1], 8, v32
	v_lshlrev_b32_e32 v2, 8, v2
	s_nop 0
	v_cndmask_b32_e64 v32, v33, v35, s[0:1]
	v_lshl_add_u32 v32, v32, 10, v17
	v_and_b32_e32 v33, 7, v34
	v_and_or_b32 v2, v2, s44, v32
	v_cndmask_b32_e64 v31, v31, v33, s[0:1]
	v_lshlrev_b32_e32 v2, 16, v2
	v_lshl_or_b32 v31, v31, 23, v2
.LBB264_67:                             ;   in Loop: Header=BB264_9 Depth=1
	s_or_b64 exec, exec, s[38:39]
.LBB264_68:                             ;   in Loop: Header=BB264_9 Depth=1
	s_or_b64 exec, exec, s[36:37]
.LBB264_69:                             ;   in Loop: Header=BB264_9 Depth=1
	s_or_b64 exec, exec, s[34:35]
	v_lshrrev_b32_e32 v2, 16, v10
	v_cmp_ne_u16_sdwa s[0:1], v2, v3 src0_sel:BYTE_0 src1_sel:DWORD
	s_and_saveexec_b64 s[34:35], s[0:1]
	s_cbranch_execz .LBB264_75
; %bb.70:                               ;   in Loop: Header=BB264_9 Depth=1
	v_cmp_ne_u16_sdwa s[0:1], v2, s42 src0_sel:BYTE_0 src1_sel:DWORD
	v_mov_b32_e32 v30, 0x8000
	s_and_saveexec_b64 s[36:37], s[0:1]
	s_cbranch_execz .LBB264_74
; %bb.71:                               ;   in Loop: Header=BB264_9 Depth=1
	v_bfe_u32 v32, v10, 16, 7
	v_cmp_ne_u32_e64 s[0:1], s43, v32
	v_mov_b32_e32 v30, 0x7c01
	s_and_saveexec_b64 s[38:39], s[0:1]
	s_cbranch_execz .LBB264_73
; %bb.72:                               ;   in Loop: Header=BB264_9 Depth=1
	v_and_b32_e32 v30, 7, v2
	v_ffbh_u32_e32 v34, v30
	v_min_u32_e32 v36, 32, v34
	v_subrev_u32_e32 v34, 28, v36
	v_lshlrev_b64 v[34:35], v34, v[2:3]
	v_lshrrev_b32_e32 v33, 3, v32
	v_sub_u32_e32 v35, 29, v36
	v_cmp_gt_u32_e64 s[0:1], 8, v32
	v_lshlrev_b32_e32 v2, 8, v2
	s_nop 0
	v_cndmask_b32_e64 v32, v33, v35, s[0:1]
	v_lshl_add_u32 v32, v32, 10, v17
	v_and_b32_e32 v33, 7, v34
	v_and_b32_e32 v32, 0xfc00, v32
	v_cndmask_b32_e64 v30, v30, v33, s[0:1]
	v_and_or_b32 v2, v2, s44, v32
	v_lshl_or_b32 v30, v30, 7, v2
.LBB264_73:                             ;   in Loop: Header=BB264_9 Depth=1
	s_or_b64 exec, exec, s[38:39]
.LBB264_74:                             ;   in Loop: Header=BB264_9 Depth=1
	s_or_b64 exec, exec, s[36:37]
.LBB264_75:                             ;   in Loop: Header=BB264_9 Depth=1
	s_or_b64 exec, exec, s[34:35]
	v_cmp_lt_u32_e64 s[0:1], s45, v10
	v_mov_b32_e32 v33, 0
	v_mov_b32_e32 v32, 0
	s_and_saveexec_b64 s[34:35], s[0:1]
	s_cbranch_execz .LBB264_81
; %bb.76:                               ;   in Loop: Header=BB264_9 Depth=1
	v_lshrrev_b32_e32 v2, 24, v10
	v_cmp_ne_u32_e64 s[0:1], s42, v2
	v_bfrev_b32_e32 v32, 1
	s_and_saveexec_b64 s[36:37], s[0:1]
	s_cbranch_execz .LBB264_80
; %bb.77:                               ;   in Loop: Header=BB264_9 Depth=1
	v_and_b32_e32 v10, 0x7f, v2
	v_cmp_ne_u32_e64 s[0:1], s43, v10
	v_mov_b32_e32 v32, 0x7c010000
	s_and_saveexec_b64 s[38:39], s[0:1]
	s_cbranch_execz .LBB264_79
; %bb.78:                               ;   in Loop: Header=BB264_9 Depth=1
	v_and_b32_e32 v32, 7, v2
	v_ffbh_u32_e32 v34, v32
	v_min_u32_e32 v37, 32, v34
	v_subrev_u32_e32 v34, 28, v37
	v_lshlrev_b64 v[34:35], v34, v[2:3]
	v_lshrrev_b32_e32 v36, 3, v10
	v_sub_u32_e32 v35, 29, v37
	v_cmp_gt_u32_e64 s[0:1], 8, v10
	v_lshlrev_b32_e32 v2, 8, v2
	v_and_b32_e32 v34, 7, v34
	v_cndmask_b32_e64 v10, v36, v35, s[0:1]
	v_lshl_add_u32 v10, v10, 10, v17
	v_and_or_b32 v2, v2, s44, v10
	v_cndmask_b32_e64 v32, v32, v34, s[0:1]
	v_lshlrev_b32_e32 v2, 16, v2
	v_lshl_or_b32 v32, v32, 23, v2
.LBB264_79:                             ;   in Loop: Header=BB264_9 Depth=1
	s_or_b64 exec, exec, s[38:39]
.LBB264_80:                             ;   in Loop: Header=BB264_9 Depth=1
	s_or_b64 exec, exec, s[36:37]
.LBB264_81:                             ;   in Loop: Header=BB264_9 Depth=1
	s_or_b64 exec, exec, s[34:35]
	global_load_dword v10, v[8:9], off offset:520
	s_waitcnt vmcnt(0)
	v_cmp_ne_u16_sdwa s[0:1], v10, v3 src0_sel:BYTE_0 src1_sel:DWORD
	s_and_saveexec_b64 s[34:35], s[0:1]
	s_cbranch_execz .LBB264_87
; %bb.82:                               ;   in Loop: Header=BB264_9 Depth=1
	v_cmp_ne_u16_sdwa s[0:1], v10, s42 src0_sel:BYTE_0 src1_sel:DWORD
	v_mov_b32_e32 v33, 0x8000
	s_and_saveexec_b64 s[36:37], s[0:1]
	s_cbranch_execz .LBB264_86
; %bb.83:                               ;   in Loop: Header=BB264_9 Depth=1
	v_and_b32_e32 v2, 0x7f, v10
	v_cmp_ne_u32_e64 s[0:1], s43, v2
	v_mov_b32_e32 v33, 0x7c01
	s_and_saveexec_b64 s[38:39], s[0:1]
	s_cbranch_execz .LBB264_85
; %bb.84:                               ;   in Loop: Header=BB264_9 Depth=1
	v_and_b32_e32 v33, 7, v10
	v_ffbh_u32_e32 v34, v33
	v_min_u32_e32 v37, 32, v34
	v_subrev_u32_e32 v34, 28, v37
	v_lshlrev_b64 v[34:35], v34, v[10:11]
	v_lshrrev_b32_e32 v36, 3, v2
	v_sub_u32_e32 v35, 29, v37
	v_cmp_gt_u32_e64 s[0:1], 8, v2
	v_and_b32_e32 v34, 7, v34
	s_nop 0
	v_cndmask_b32_e64 v2, v36, v35, s[0:1]
	v_lshl_add_u32 v2, v2, 10, v17
	v_lshlrev_b32_e32 v35, 8, v10
	v_and_b32_e32 v2, 0xfc00, v2
	v_cndmask_b32_e64 v33, v33, v34, s[0:1]
	v_and_or_b32 v2, v35, s44, v2
	v_lshl_or_b32 v33, v33, 7, v2
.LBB264_85:                             ;   in Loop: Header=BB264_9 Depth=1
	s_or_b64 exec, exec, s[38:39]
.LBB264_86:                             ;   in Loop: Header=BB264_9 Depth=1
	s_or_b64 exec, exec, s[36:37]
.LBB264_87:                             ;   in Loop: Header=BB264_9 Depth=1
	s_or_b64 exec, exec, s[34:35]
	v_lshrrev_b16_e32 v2, 8, v10
	v_cmp_ne_u16_e64 s[0:1], 0, v2
	v_mov_b32_e32 v34, 0
	v_mov_b32_e32 v35, 0
	s_and_saveexec_b64 s[34:35], s[0:1]
	s_cbranch_execz .LBB264_93
; %bb.88:                               ;   in Loop: Header=BB264_9 Depth=1
	v_cmp_ne_u16_e64 s[0:1], s42, v2
	v_bfrev_b32_e32 v35, 1
	s_and_saveexec_b64 s[36:37], s[0:1]
	s_cbranch_execz .LBB264_92
; %bb.89:                               ;   in Loop: Header=BB264_9 Depth=1
	v_and_b32_e32 v36, 0x7f, v2
	v_cmp_ne_u32_e64 s[0:1], s43, v36
	v_mov_b32_e32 v35, 0x7c010000
	s_and_saveexec_b64 s[38:39], s[0:1]
	s_cbranch_execz .LBB264_91
; %bb.90:                               ;   in Loop: Header=BB264_9 Depth=1
	v_and_b32_e32 v35, 7, v2
	v_ffbh_u32_e32 v38, v35
	v_min_u32_e32 v40, 32, v38
	v_subrev_u32_e32 v38, 28, v40
	v_lshlrev_b64 v[38:39], v38, v[2:3]
	v_lshrrev_b32_e32 v37, 3, v36
	v_sub_u32_e32 v39, 29, v40
	v_cmp_gt_u32_e64 s[0:1], 8, v36
	v_lshlrev_b32_e32 v2, 8, v2
	s_nop 0
	v_cndmask_b32_e64 v36, v37, v39, s[0:1]
	v_lshl_add_u32 v36, v36, 10, v17
	v_and_b32_e32 v37, 7, v38
	v_and_or_b32 v2, v2, s44, v36
	v_cndmask_b32_e64 v35, v35, v37, s[0:1]
	v_lshlrev_b32_e32 v2, 16, v2
	v_lshl_or_b32 v35, v35, 23, v2
.LBB264_91:                             ;   in Loop: Header=BB264_9 Depth=1
	s_or_b64 exec, exec, s[38:39]
.LBB264_92:                             ;   in Loop: Header=BB264_9 Depth=1
	s_or_b64 exec, exec, s[36:37]
.LBB264_93:                             ;   in Loop: Header=BB264_9 Depth=1
	s_or_b64 exec, exec, s[34:35]
	v_lshrrev_b32_e32 v2, 16, v10
	v_cmp_ne_u16_sdwa s[0:1], v2, v3 src0_sel:BYTE_0 src1_sel:DWORD
	s_and_saveexec_b64 s[34:35], s[0:1]
	s_cbranch_execz .LBB264_99
; %bb.94:                               ;   in Loop: Header=BB264_9 Depth=1
	v_cmp_ne_u16_sdwa s[0:1], v2, s42 src0_sel:BYTE_0 src1_sel:DWORD
	v_mov_b32_e32 v34, 0x8000
	s_and_saveexec_b64 s[36:37], s[0:1]
	s_cbranch_execz .LBB264_98
; %bb.95:                               ;   in Loop: Header=BB264_9 Depth=1
	v_bfe_u32 v36, v10, 16, 7
	v_cmp_ne_u32_e64 s[0:1], s43, v36
	v_mov_b32_e32 v34, 0x7c01
	s_and_saveexec_b64 s[38:39], s[0:1]
	s_cbranch_execz .LBB264_97
; %bb.96:                               ;   in Loop: Header=BB264_9 Depth=1
	v_and_b32_e32 v34, 7, v2
	v_ffbh_u32_e32 v38, v34
	v_min_u32_e32 v40, 32, v38
	v_subrev_u32_e32 v38, 28, v40
	v_lshlrev_b64 v[38:39], v38, v[2:3]
	v_lshrrev_b32_e32 v37, 3, v36
	v_sub_u32_e32 v39, 29, v40
	v_cmp_gt_u32_e64 s[0:1], 8, v36
	v_lshlrev_b32_e32 v2, 8, v2
	s_nop 0
	v_cndmask_b32_e64 v36, v37, v39, s[0:1]
	v_lshl_add_u32 v36, v36, 10, v17
	v_and_b32_e32 v37, 7, v38
	v_and_b32_e32 v36, 0xfc00, v36
	v_cndmask_b32_e64 v34, v34, v37, s[0:1]
	v_and_or_b32 v2, v2, s44, v36
	v_lshl_or_b32 v34, v34, 7, v2
.LBB264_97:                             ;   in Loop: Header=BB264_9 Depth=1
	s_or_b64 exec, exec, s[38:39]
.LBB264_98:                             ;   in Loop: Header=BB264_9 Depth=1
	s_or_b64 exec, exec, s[36:37]
.LBB264_99:                             ;   in Loop: Header=BB264_9 Depth=1
	s_or_b64 exec, exec, s[34:35]
	v_cmp_lt_u32_e64 s[0:1], s45, v10
	v_mov_b32_e32 v37, 0
	v_mov_b32_e32 v36, 0
	s_and_saveexec_b64 s[34:35], s[0:1]
	s_cbranch_execz .LBB264_105
; %bb.100:                              ;   in Loop: Header=BB264_9 Depth=1
	v_lshrrev_b32_e32 v2, 24, v10
	v_cmp_ne_u32_e64 s[0:1], s42, v2
	v_bfrev_b32_e32 v36, 1
	s_and_saveexec_b64 s[36:37], s[0:1]
	s_cbranch_execz .LBB264_104
; %bb.101:                              ;   in Loop: Header=BB264_9 Depth=1
	v_and_b32_e32 v10, 0x7f, v2
	v_cmp_ne_u32_e64 s[0:1], s43, v10
	v_mov_b32_e32 v36, 0x7c010000
	s_and_saveexec_b64 s[38:39], s[0:1]
	s_cbranch_execz .LBB264_103
; %bb.102:                              ;   in Loop: Header=BB264_9 Depth=1
	v_and_b32_e32 v36, 7, v2
	v_ffbh_u32_e32 v38, v36
	v_min_u32_e32 v41, 32, v38
	v_subrev_u32_e32 v38, 28, v41
	v_lshlrev_b64 v[38:39], v38, v[2:3]
	v_lshrrev_b32_e32 v40, 3, v10
	v_sub_u32_e32 v39, 29, v41
	v_cmp_gt_u32_e64 s[0:1], 8, v10
	v_lshlrev_b32_e32 v2, 8, v2
	v_and_b32_e32 v38, 7, v38
	v_cndmask_b32_e64 v10, v40, v39, s[0:1]
	v_lshl_add_u32 v10, v10, 10, v17
	v_and_or_b32 v2, v2, s44, v10
	v_cndmask_b32_e64 v36, v36, v38, s[0:1]
	v_lshlrev_b32_e32 v2, 16, v2
	v_lshl_or_b32 v36, v36, 23, v2
.LBB264_103:                            ;   in Loop: Header=BB264_9 Depth=1
	s_or_b64 exec, exec, s[38:39]
.LBB264_104:                            ;   in Loop: Header=BB264_9 Depth=1
	s_or_b64 exec, exec, s[36:37]
.LBB264_105:                            ;   in Loop: Header=BB264_9 Depth=1
	s_or_b64 exec, exec, s[34:35]
	global_load_dword v10, v[8:9], off offset:1024
	s_waitcnt vmcnt(0)
	v_cmp_ne_u16_sdwa s[0:1], v10, v3 src0_sel:BYTE_0 src1_sel:DWORD
	s_and_saveexec_b64 s[34:35], s[0:1]
	s_cbranch_execz .LBB264_111
; %bb.106:                              ;   in Loop: Header=BB264_9 Depth=1
	v_cmp_ne_u16_sdwa s[0:1], v10, s42 src0_sel:BYTE_0 src1_sel:DWORD
	v_mov_b32_e32 v37, 0x8000
	s_and_saveexec_b64 s[36:37], s[0:1]
	s_cbranch_execz .LBB264_110
; %bb.107:                              ;   in Loop: Header=BB264_9 Depth=1
	v_and_b32_e32 v2, 0x7f, v10
	v_cmp_ne_u32_e64 s[0:1], s43, v2
	v_mov_b32_e32 v37, 0x7c01
	s_and_saveexec_b64 s[38:39], s[0:1]
	s_cbranch_execz .LBB264_109
; %bb.108:                              ;   in Loop: Header=BB264_9 Depth=1
	v_and_b32_e32 v37, 7, v10
	v_ffbh_u32_e32 v38, v37
	v_min_u32_e32 v41, 32, v38
	v_subrev_u32_e32 v38, 28, v41
	v_lshlrev_b64 v[38:39], v38, v[10:11]
	v_lshrrev_b32_e32 v40, 3, v2
	v_sub_u32_e32 v39, 29, v41
	v_cmp_gt_u32_e64 s[0:1], 8, v2
	v_and_b32_e32 v38, 7, v38
	s_nop 0
	v_cndmask_b32_e64 v2, v40, v39, s[0:1]
	v_lshl_add_u32 v2, v2, 10, v17
	v_lshlrev_b32_e32 v39, 8, v10
	v_and_b32_e32 v2, 0xfc00, v2
	v_cndmask_b32_e64 v37, v37, v38, s[0:1]
	v_and_or_b32 v2, v39, s44, v2
	v_lshl_or_b32 v37, v37, 7, v2
.LBB264_109:                            ;   in Loop: Header=BB264_9 Depth=1
	s_or_b64 exec, exec, s[38:39]
.LBB264_110:                            ;   in Loop: Header=BB264_9 Depth=1
	s_or_b64 exec, exec, s[36:37]
.LBB264_111:                            ;   in Loop: Header=BB264_9 Depth=1
	s_or_b64 exec, exec, s[34:35]
	v_lshrrev_b16_e32 v2, 8, v10
	v_cmp_ne_u16_e64 s[0:1], 0, v2
	v_mov_b32_e32 v38, 0
	v_mov_b32_e32 v39, 0
	s_and_saveexec_b64 s[34:35], s[0:1]
	s_cbranch_execz .LBB264_117
; %bb.112:                              ;   in Loop: Header=BB264_9 Depth=1
	v_cmp_ne_u16_e64 s[0:1], s42, v2
	v_bfrev_b32_e32 v39, 1
	s_and_saveexec_b64 s[36:37], s[0:1]
	s_cbranch_execz .LBB264_116
; %bb.113:                              ;   in Loop: Header=BB264_9 Depth=1
	v_and_b32_e32 v40, 0x7f, v2
	v_cmp_ne_u32_e64 s[0:1], s43, v40
	v_mov_b32_e32 v39, 0x7c010000
	s_and_saveexec_b64 s[38:39], s[0:1]
	s_cbranch_execz .LBB264_115
; %bb.114:                              ;   in Loop: Header=BB264_9 Depth=1
	v_and_b32_e32 v39, 7, v2
	v_ffbh_u32_e32 v42, v39
	v_min_u32_e32 v44, 32, v42
	v_subrev_u32_e32 v42, 28, v44
	v_lshlrev_b64 v[42:43], v42, v[2:3]
	v_lshrrev_b32_e32 v41, 3, v40
	v_sub_u32_e32 v43, 29, v44
	v_cmp_gt_u32_e64 s[0:1], 8, v40
	v_lshlrev_b32_e32 v2, 8, v2
	s_nop 0
	v_cndmask_b32_e64 v40, v41, v43, s[0:1]
	v_lshl_add_u32 v40, v40, 10, v17
	v_and_b32_e32 v41, 7, v42
	v_and_or_b32 v2, v2, s44, v40
	v_cndmask_b32_e64 v39, v39, v41, s[0:1]
	v_lshlrev_b32_e32 v2, 16, v2
	v_lshl_or_b32 v39, v39, 23, v2
.LBB264_115:                            ;   in Loop: Header=BB264_9 Depth=1
	s_or_b64 exec, exec, s[38:39]
.LBB264_116:                            ;   in Loop: Header=BB264_9 Depth=1
	s_or_b64 exec, exec, s[36:37]
.LBB264_117:                            ;   in Loop: Header=BB264_9 Depth=1
	s_or_b64 exec, exec, s[34:35]
	v_lshrrev_b32_e32 v2, 16, v10
	v_cmp_ne_u16_sdwa s[0:1], v2, v3 src0_sel:BYTE_0 src1_sel:DWORD
	s_and_saveexec_b64 s[34:35], s[0:1]
	s_cbranch_execz .LBB264_123
; %bb.118:                              ;   in Loop: Header=BB264_9 Depth=1
	v_cmp_ne_u16_sdwa s[0:1], v2, s42 src0_sel:BYTE_0 src1_sel:DWORD
	v_mov_b32_e32 v38, 0x8000
	s_and_saveexec_b64 s[36:37], s[0:1]
	s_cbranch_execz .LBB264_122
; %bb.119:                              ;   in Loop: Header=BB264_9 Depth=1
	v_bfe_u32 v40, v10, 16, 7
	v_cmp_ne_u32_e64 s[0:1], s43, v40
	v_mov_b32_e32 v38, 0x7c01
	s_and_saveexec_b64 s[38:39], s[0:1]
	s_cbranch_execz .LBB264_121
; %bb.120:                              ;   in Loop: Header=BB264_9 Depth=1
	v_and_b32_e32 v38, 7, v2
	v_ffbh_u32_e32 v42, v38
	v_min_u32_e32 v44, 32, v42
	v_subrev_u32_e32 v42, 28, v44
	v_lshlrev_b64 v[42:43], v42, v[2:3]
	v_lshrrev_b32_e32 v41, 3, v40
	v_sub_u32_e32 v43, 29, v44
	v_cmp_gt_u32_e64 s[0:1], 8, v40
	v_lshlrev_b32_e32 v2, 8, v2
	s_nop 0
	v_cndmask_b32_e64 v40, v41, v43, s[0:1]
	v_lshl_add_u32 v40, v40, 10, v17
	v_and_b32_e32 v41, 7, v42
	v_and_b32_e32 v40, 0xfc00, v40
	v_cndmask_b32_e64 v38, v38, v41, s[0:1]
	v_and_or_b32 v2, v2, s44, v40
	v_lshl_or_b32 v38, v38, 7, v2
.LBB264_121:                            ;   in Loop: Header=BB264_9 Depth=1
	s_or_b64 exec, exec, s[38:39]
.LBB264_122:                            ;   in Loop: Header=BB264_9 Depth=1
	s_or_b64 exec, exec, s[36:37]
.LBB264_123:                            ;   in Loop: Header=BB264_9 Depth=1
	s_or_b64 exec, exec, s[34:35]
	v_cmp_lt_u32_e64 s[0:1], s45, v10
	v_mov_b32_e32 v41, 0
	v_mov_b32_e32 v40, 0
	s_and_saveexec_b64 s[34:35], s[0:1]
	s_cbranch_execz .LBB264_129
; %bb.124:                              ;   in Loop: Header=BB264_9 Depth=1
	v_lshrrev_b32_e32 v2, 24, v10
	v_cmp_ne_u32_e64 s[0:1], s42, v2
	v_bfrev_b32_e32 v40, 1
	s_and_saveexec_b64 s[36:37], s[0:1]
	s_cbranch_execz .LBB264_128
; %bb.125:                              ;   in Loop: Header=BB264_9 Depth=1
	v_and_b32_e32 v10, 0x7f, v2
	v_cmp_ne_u32_e64 s[0:1], s43, v10
	v_mov_b32_e32 v40, 0x7c010000
	s_and_saveexec_b64 s[38:39], s[0:1]
	s_cbranch_execz .LBB264_127
; %bb.126:                              ;   in Loop: Header=BB264_9 Depth=1
	v_and_b32_e32 v40, 7, v2
	v_ffbh_u32_e32 v42, v40
	v_min_u32_e32 v45, 32, v42
	v_subrev_u32_e32 v42, 28, v45
	v_lshlrev_b64 v[42:43], v42, v[2:3]
	v_lshrrev_b32_e32 v44, 3, v10
	v_sub_u32_e32 v43, 29, v45
	v_cmp_gt_u32_e64 s[0:1], 8, v10
	v_lshlrev_b32_e32 v2, 8, v2
	v_and_b32_e32 v42, 7, v42
	v_cndmask_b32_e64 v10, v44, v43, s[0:1]
	v_lshl_add_u32 v10, v10, 10, v17
	v_and_or_b32 v2, v2, s44, v10
	v_cndmask_b32_e64 v40, v40, v42, s[0:1]
	v_lshlrev_b32_e32 v2, 16, v2
	v_lshl_or_b32 v40, v40, 23, v2
.LBB264_127:                            ;   in Loop: Header=BB264_9 Depth=1
	s_or_b64 exec, exec, s[38:39]
.LBB264_128:                            ;   in Loop: Header=BB264_9 Depth=1
	s_or_b64 exec, exec, s[36:37]
.LBB264_129:                            ;   in Loop: Header=BB264_9 Depth=1
	s_or_b64 exec, exec, s[34:35]
	global_load_dword v10, v[8:9], off offset:1032
	s_waitcnt vmcnt(0)
	v_cmp_ne_u16_sdwa s[0:1], v10, v3 src0_sel:BYTE_0 src1_sel:DWORD
	s_and_saveexec_b64 s[34:35], s[0:1]
	s_cbranch_execz .LBB264_135
; %bb.130:                              ;   in Loop: Header=BB264_9 Depth=1
	v_cmp_ne_u16_sdwa s[0:1], v10, s42 src0_sel:BYTE_0 src1_sel:DWORD
	v_mov_b32_e32 v41, 0x8000
	s_and_saveexec_b64 s[36:37], s[0:1]
	s_cbranch_execz .LBB264_134
; %bb.131:                              ;   in Loop: Header=BB264_9 Depth=1
	v_and_b32_e32 v2, 0x7f, v10
	v_cmp_ne_u32_e64 s[0:1], s43, v2
	v_mov_b32_e32 v41, 0x7c01
	s_and_saveexec_b64 s[38:39], s[0:1]
	s_cbranch_execz .LBB264_133
; %bb.132:                              ;   in Loop: Header=BB264_9 Depth=1
	v_and_b32_e32 v41, 7, v10
	v_ffbh_u32_e32 v42, v41
	v_min_u32_e32 v45, 32, v42
	v_subrev_u32_e32 v42, 28, v45
	v_lshlrev_b64 v[42:43], v42, v[10:11]
	v_lshrrev_b32_e32 v44, 3, v2
	v_sub_u32_e32 v43, 29, v45
	v_cmp_gt_u32_e64 s[0:1], 8, v2
	v_and_b32_e32 v42, 7, v42
	s_nop 0
	v_cndmask_b32_e64 v2, v44, v43, s[0:1]
	v_lshl_add_u32 v2, v2, 10, v17
	v_lshlrev_b32_e32 v43, 8, v10
	v_and_b32_e32 v2, 0xfc00, v2
	v_cndmask_b32_e64 v41, v41, v42, s[0:1]
	v_and_or_b32 v2, v43, s44, v2
	v_lshl_or_b32 v41, v41, 7, v2
.LBB264_133:                            ;   in Loop: Header=BB264_9 Depth=1
	s_or_b64 exec, exec, s[38:39]
.LBB264_134:                            ;   in Loop: Header=BB264_9 Depth=1
	s_or_b64 exec, exec, s[36:37]
.LBB264_135:                            ;   in Loop: Header=BB264_9 Depth=1
	s_or_b64 exec, exec, s[34:35]
	v_lshrrev_b16_e32 v2, 8, v10
	v_cmp_ne_u16_e64 s[0:1], 0, v2
	v_mov_b32_e32 v42, 0
	v_mov_b32_e32 v43, 0
	s_and_saveexec_b64 s[34:35], s[0:1]
	s_cbranch_execz .LBB264_141
; %bb.136:                              ;   in Loop: Header=BB264_9 Depth=1
	v_cmp_ne_u16_e64 s[0:1], s42, v2
	v_bfrev_b32_e32 v43, 1
	s_and_saveexec_b64 s[36:37], s[0:1]
	s_cbranch_execz .LBB264_140
; %bb.137:                              ;   in Loop: Header=BB264_9 Depth=1
	v_and_b32_e32 v44, 0x7f, v2
	v_cmp_ne_u32_e64 s[0:1], s43, v44
	v_mov_b32_e32 v43, 0x7c010000
	s_and_saveexec_b64 s[38:39], s[0:1]
	s_cbranch_execz .LBB264_139
; %bb.138:                              ;   in Loop: Header=BB264_9 Depth=1
	v_and_b32_e32 v43, 7, v2
	v_ffbh_u32_e32 v46, v43
	v_min_u32_e32 v48, 32, v46
	v_subrev_u32_e32 v46, 28, v48
	v_lshlrev_b64 v[46:47], v46, v[2:3]
	v_lshrrev_b32_e32 v45, 3, v44
	v_sub_u32_e32 v47, 29, v48
	v_cmp_gt_u32_e64 s[0:1], 8, v44
	v_lshlrev_b32_e32 v2, 8, v2
	s_nop 0
	v_cndmask_b32_e64 v44, v45, v47, s[0:1]
	v_lshl_add_u32 v44, v44, 10, v17
	v_and_b32_e32 v45, 7, v46
	v_and_or_b32 v2, v2, s44, v44
	v_cndmask_b32_e64 v43, v43, v45, s[0:1]
	v_lshlrev_b32_e32 v2, 16, v2
	v_lshl_or_b32 v43, v43, 23, v2
.LBB264_139:                            ;   in Loop: Header=BB264_9 Depth=1
	s_or_b64 exec, exec, s[38:39]
.LBB264_140:                            ;   in Loop: Header=BB264_9 Depth=1
	s_or_b64 exec, exec, s[36:37]
.LBB264_141:                            ;   in Loop: Header=BB264_9 Depth=1
	s_or_b64 exec, exec, s[34:35]
	v_lshrrev_b32_e32 v2, 16, v10
	v_cmp_ne_u16_sdwa s[0:1], v2, v3 src0_sel:BYTE_0 src1_sel:DWORD
	s_and_saveexec_b64 s[34:35], s[0:1]
	s_cbranch_execz .LBB264_147
; %bb.142:                              ;   in Loop: Header=BB264_9 Depth=1
	v_cmp_ne_u16_sdwa s[0:1], v2, s42 src0_sel:BYTE_0 src1_sel:DWORD
	v_mov_b32_e32 v42, 0x8000
	s_and_saveexec_b64 s[36:37], s[0:1]
	s_cbranch_execz .LBB264_146
; %bb.143:                              ;   in Loop: Header=BB264_9 Depth=1
	v_bfe_u32 v44, v10, 16, 7
	v_cmp_ne_u32_e64 s[0:1], s43, v44
	v_mov_b32_e32 v42, 0x7c01
	s_and_saveexec_b64 s[38:39], s[0:1]
	s_cbranch_execz .LBB264_145
; %bb.144:                              ;   in Loop: Header=BB264_9 Depth=1
	v_and_b32_e32 v42, 7, v2
	v_ffbh_u32_e32 v46, v42
	v_min_u32_e32 v48, 32, v46
	v_subrev_u32_e32 v46, 28, v48
	v_lshlrev_b64 v[46:47], v46, v[2:3]
	v_lshrrev_b32_e32 v45, 3, v44
	v_sub_u32_e32 v47, 29, v48
	v_cmp_gt_u32_e64 s[0:1], 8, v44
	v_lshlrev_b32_e32 v2, 8, v2
	s_nop 0
	v_cndmask_b32_e64 v44, v45, v47, s[0:1]
	v_lshl_add_u32 v44, v44, 10, v17
	v_and_b32_e32 v45, 7, v46
	v_and_b32_e32 v44, 0xfc00, v44
	v_cndmask_b32_e64 v42, v42, v45, s[0:1]
	v_and_or_b32 v2, v2, s44, v44
	v_lshl_or_b32 v42, v42, 7, v2
.LBB264_145:                            ;   in Loop: Header=BB264_9 Depth=1
	s_or_b64 exec, exec, s[38:39]
.LBB264_146:                            ;   in Loop: Header=BB264_9 Depth=1
	s_or_b64 exec, exec, s[36:37]
.LBB264_147:                            ;   in Loop: Header=BB264_9 Depth=1
	s_or_b64 exec, exec, s[34:35]
	v_cmp_lt_u32_e64 s[0:1], s45, v10
	v_mov_b32_e32 v45, 0
	v_mov_b32_e32 v44, 0
	s_and_saveexec_b64 s[34:35], s[0:1]
	s_cbranch_execz .LBB264_153
; %bb.148:                              ;   in Loop: Header=BB264_9 Depth=1
	v_lshrrev_b32_e32 v2, 24, v10
	v_cmp_ne_u32_e64 s[0:1], s42, v2
	v_bfrev_b32_e32 v44, 1
	s_and_saveexec_b64 s[36:37], s[0:1]
	s_cbranch_execz .LBB264_152
; %bb.149:                              ;   in Loop: Header=BB264_9 Depth=1
	v_and_b32_e32 v10, 0x7f, v2
	v_cmp_ne_u32_e64 s[0:1], s43, v10
	v_mov_b32_e32 v44, 0x7c010000
	s_and_saveexec_b64 s[38:39], s[0:1]
	s_cbranch_execz .LBB264_151
; %bb.150:                              ;   in Loop: Header=BB264_9 Depth=1
	v_and_b32_e32 v44, 7, v2
	v_ffbh_u32_e32 v46, v44
	v_min_u32_e32 v49, 32, v46
	v_subrev_u32_e32 v46, 28, v49
	v_lshlrev_b64 v[46:47], v46, v[2:3]
	v_lshrrev_b32_e32 v48, 3, v10
	v_sub_u32_e32 v47, 29, v49
	v_cmp_gt_u32_e64 s[0:1], 8, v10
	v_lshlrev_b32_e32 v2, 8, v2
	v_and_b32_e32 v46, 7, v46
	v_cndmask_b32_e64 v10, v48, v47, s[0:1]
	v_lshl_add_u32 v10, v10, 10, v17
	v_and_or_b32 v2, v2, s44, v10
	v_cndmask_b32_e64 v44, v44, v46, s[0:1]
	v_lshlrev_b32_e32 v2, 16, v2
	v_lshl_or_b32 v44, v44, 23, v2
.LBB264_151:                            ;   in Loop: Header=BB264_9 Depth=1
	s_or_b64 exec, exec, s[38:39]
.LBB264_152:                            ;   in Loop: Header=BB264_9 Depth=1
	s_or_b64 exec, exec, s[36:37]
.LBB264_153:                            ;   in Loop: Header=BB264_9 Depth=1
	s_or_b64 exec, exec, s[34:35]
	global_load_dword v10, v[8:9], off offset:1536
	s_waitcnt vmcnt(0)
	v_cmp_ne_u16_sdwa s[0:1], v10, v3 src0_sel:BYTE_0 src1_sel:DWORD
	s_and_saveexec_b64 s[34:35], s[0:1]
	s_cbranch_execz .LBB264_159
; %bb.154:                              ;   in Loop: Header=BB264_9 Depth=1
	v_cmp_ne_u16_sdwa s[0:1], v10, s42 src0_sel:BYTE_0 src1_sel:DWORD
	v_mov_b32_e32 v45, 0x8000
	s_and_saveexec_b64 s[36:37], s[0:1]
	s_cbranch_execz .LBB264_158
; %bb.155:                              ;   in Loop: Header=BB264_9 Depth=1
	v_and_b32_e32 v2, 0x7f, v10
	v_cmp_ne_u32_e64 s[0:1], s43, v2
	v_mov_b32_e32 v45, 0x7c01
	s_and_saveexec_b64 s[38:39], s[0:1]
	s_cbranch_execz .LBB264_157
; %bb.156:                              ;   in Loop: Header=BB264_9 Depth=1
	v_and_b32_e32 v45, 7, v10
	v_ffbh_u32_e32 v46, v45
	v_min_u32_e32 v49, 32, v46
	v_subrev_u32_e32 v46, 28, v49
	v_lshlrev_b64 v[46:47], v46, v[10:11]
	v_lshrrev_b32_e32 v48, 3, v2
	v_sub_u32_e32 v47, 29, v49
	v_cmp_gt_u32_e64 s[0:1], 8, v2
	v_and_b32_e32 v46, 7, v46
	s_nop 0
	v_cndmask_b32_e64 v2, v48, v47, s[0:1]
	v_lshl_add_u32 v2, v2, 10, v17
	v_lshlrev_b32_e32 v47, 8, v10
	v_and_b32_e32 v2, 0xfc00, v2
	v_cndmask_b32_e64 v45, v45, v46, s[0:1]
	v_and_or_b32 v2, v47, s44, v2
	v_lshl_or_b32 v45, v45, 7, v2
.LBB264_157:                            ;   in Loop: Header=BB264_9 Depth=1
	s_or_b64 exec, exec, s[38:39]
.LBB264_158:                            ;   in Loop: Header=BB264_9 Depth=1
	s_or_b64 exec, exec, s[36:37]
.LBB264_159:                            ;   in Loop: Header=BB264_9 Depth=1
	s_or_b64 exec, exec, s[34:35]
	v_lshrrev_b16_e32 v2, 8, v10
	v_cmp_ne_u16_e64 s[0:1], 0, v2
	v_mov_b32_e32 v46, 0
	v_mov_b32_e32 v47, 0
	s_and_saveexec_b64 s[34:35], s[0:1]
	s_cbranch_execz .LBB264_165
; %bb.160:                              ;   in Loop: Header=BB264_9 Depth=1
	v_cmp_ne_u16_e64 s[0:1], s42, v2
	v_bfrev_b32_e32 v47, 1
	s_and_saveexec_b64 s[36:37], s[0:1]
	s_cbranch_execz .LBB264_164
; %bb.161:                              ;   in Loop: Header=BB264_9 Depth=1
	v_and_b32_e32 v48, 0x7f, v2
	v_cmp_ne_u32_e64 s[0:1], s43, v48
	v_mov_b32_e32 v47, 0x7c010000
	s_and_saveexec_b64 s[38:39], s[0:1]
	s_cbranch_execz .LBB264_163
; %bb.162:                              ;   in Loop: Header=BB264_9 Depth=1
	v_and_b32_e32 v47, 7, v2
	v_ffbh_u32_e32 v50, v47
	v_min_u32_e32 v52, 32, v50
	v_subrev_u32_e32 v50, 28, v52
	v_lshlrev_b64 v[50:51], v50, v[2:3]
	v_lshrrev_b32_e32 v49, 3, v48
	v_sub_u32_e32 v51, 29, v52
	v_cmp_gt_u32_e64 s[0:1], 8, v48
	v_lshlrev_b32_e32 v2, 8, v2
	s_nop 0
	v_cndmask_b32_e64 v48, v49, v51, s[0:1]
	v_lshl_add_u32 v48, v48, 10, v17
	v_and_b32_e32 v49, 7, v50
	v_and_or_b32 v2, v2, s44, v48
	v_cndmask_b32_e64 v47, v47, v49, s[0:1]
	v_lshlrev_b32_e32 v2, 16, v2
	v_lshl_or_b32 v47, v47, 23, v2
.LBB264_163:                            ;   in Loop: Header=BB264_9 Depth=1
	s_or_b64 exec, exec, s[38:39]
.LBB264_164:                            ;   in Loop: Header=BB264_9 Depth=1
	s_or_b64 exec, exec, s[36:37]
.LBB264_165:                            ;   in Loop: Header=BB264_9 Depth=1
	s_or_b64 exec, exec, s[34:35]
	v_lshrrev_b32_e32 v2, 16, v10
	v_cmp_ne_u16_sdwa s[0:1], v2, v3 src0_sel:BYTE_0 src1_sel:DWORD
	s_and_saveexec_b64 s[34:35], s[0:1]
	s_cbranch_execz .LBB264_171
; %bb.166:                              ;   in Loop: Header=BB264_9 Depth=1
	v_cmp_ne_u16_sdwa s[0:1], v2, s42 src0_sel:BYTE_0 src1_sel:DWORD
	v_mov_b32_e32 v46, 0x8000
	s_and_saveexec_b64 s[36:37], s[0:1]
	s_cbranch_execz .LBB264_170
; %bb.167:                              ;   in Loop: Header=BB264_9 Depth=1
	v_bfe_u32 v48, v10, 16, 7
	v_cmp_ne_u32_e64 s[0:1], s43, v48
	v_mov_b32_e32 v46, 0x7c01
	s_and_saveexec_b64 s[38:39], s[0:1]
	s_cbranch_execz .LBB264_169
; %bb.168:                              ;   in Loop: Header=BB264_9 Depth=1
	v_and_b32_e32 v46, 7, v2
	v_ffbh_u32_e32 v50, v46
	v_min_u32_e32 v52, 32, v50
	v_subrev_u32_e32 v50, 28, v52
	v_lshlrev_b64 v[50:51], v50, v[2:3]
	v_lshrrev_b32_e32 v49, 3, v48
	v_sub_u32_e32 v51, 29, v52
	v_cmp_gt_u32_e64 s[0:1], 8, v48
	v_lshlrev_b32_e32 v2, 8, v2
	s_nop 0
	v_cndmask_b32_e64 v48, v49, v51, s[0:1]
	v_lshl_add_u32 v48, v48, 10, v17
	v_and_b32_e32 v49, 7, v50
	v_and_b32_e32 v48, 0xfc00, v48
	v_cndmask_b32_e64 v46, v46, v49, s[0:1]
	v_and_or_b32 v2, v2, s44, v48
	v_lshl_or_b32 v46, v46, 7, v2
.LBB264_169:                            ;   in Loop: Header=BB264_9 Depth=1
	s_or_b64 exec, exec, s[38:39]
.LBB264_170:                            ;   in Loop: Header=BB264_9 Depth=1
	s_or_b64 exec, exec, s[36:37]
.LBB264_171:                            ;   in Loop: Header=BB264_9 Depth=1
	s_or_b64 exec, exec, s[34:35]
	v_cmp_lt_u32_e64 s[0:1], s45, v10
	v_mov_b32_e32 v49, 0
	v_mov_b32_e32 v48, 0
	s_and_saveexec_b64 s[34:35], s[0:1]
	s_cbranch_execz .LBB264_177
; %bb.172:                              ;   in Loop: Header=BB264_9 Depth=1
	v_lshrrev_b32_e32 v2, 24, v10
	v_cmp_ne_u32_e64 s[0:1], s42, v2
	v_bfrev_b32_e32 v48, 1
	s_and_saveexec_b64 s[36:37], s[0:1]
	s_cbranch_execz .LBB264_176
; %bb.173:                              ;   in Loop: Header=BB264_9 Depth=1
	v_and_b32_e32 v10, 0x7f, v2
	v_cmp_ne_u32_e64 s[0:1], s43, v10
	v_mov_b32_e32 v48, 0x7c010000
	s_and_saveexec_b64 s[38:39], s[0:1]
	s_cbranch_execz .LBB264_175
; %bb.174:                              ;   in Loop: Header=BB264_9 Depth=1
	v_and_b32_e32 v48, 7, v2
	v_ffbh_u32_e32 v50, v48
	v_min_u32_e32 v53, 32, v50
	v_subrev_u32_e32 v50, 28, v53
	v_lshlrev_b64 v[50:51], v50, v[2:3]
	v_lshrrev_b32_e32 v52, 3, v10
	v_sub_u32_e32 v51, 29, v53
	v_cmp_gt_u32_e64 s[0:1], 8, v10
	v_lshlrev_b32_e32 v2, 8, v2
	v_and_b32_e32 v50, 7, v50
	v_cndmask_b32_e64 v10, v52, v51, s[0:1]
	v_lshl_add_u32 v10, v10, 10, v17
	v_and_or_b32 v2, v2, s44, v10
	v_cndmask_b32_e64 v48, v48, v50, s[0:1]
	v_lshlrev_b32_e32 v2, 16, v2
	v_lshl_or_b32 v48, v48, 23, v2
.LBB264_175:                            ;   in Loop: Header=BB264_9 Depth=1
	s_or_b64 exec, exec, s[38:39]
.LBB264_176:                            ;   in Loop: Header=BB264_9 Depth=1
	s_or_b64 exec, exec, s[36:37]
.LBB264_177:                            ;   in Loop: Header=BB264_9 Depth=1
	s_or_b64 exec, exec, s[34:35]
	global_load_dword v10, v[8:9], off offset:1544
	s_waitcnt vmcnt(0)
	v_cmp_ne_u16_sdwa s[0:1], v10, v3 src0_sel:BYTE_0 src1_sel:DWORD
	s_and_saveexec_b64 s[34:35], s[0:1]
	s_cbranch_execz .LBB264_183
; %bb.178:                              ;   in Loop: Header=BB264_9 Depth=1
	v_cmp_ne_u16_sdwa s[0:1], v10, s42 src0_sel:BYTE_0 src1_sel:DWORD
	v_mov_b32_e32 v49, 0x8000
	s_and_saveexec_b64 s[36:37], s[0:1]
	s_cbranch_execz .LBB264_182
; %bb.179:                              ;   in Loop: Header=BB264_9 Depth=1
	v_and_b32_e32 v2, 0x7f, v10
	v_cmp_ne_u32_e64 s[0:1], s43, v2
	v_mov_b32_e32 v49, 0x7c01
	s_and_saveexec_b64 s[38:39], s[0:1]
	s_cbranch_execz .LBB264_181
; %bb.180:                              ;   in Loop: Header=BB264_9 Depth=1
	v_and_b32_e32 v49, 7, v10
	v_ffbh_u32_e32 v50, v49
	v_min_u32_e32 v53, 32, v50
	v_subrev_u32_e32 v50, 28, v53
	v_lshlrev_b64 v[50:51], v50, v[10:11]
	v_lshrrev_b32_e32 v52, 3, v2
	v_sub_u32_e32 v51, 29, v53
	v_cmp_gt_u32_e64 s[0:1], 8, v2
	v_and_b32_e32 v50, 7, v50
	s_nop 0
	v_cndmask_b32_e64 v2, v52, v51, s[0:1]
	v_lshl_add_u32 v2, v2, 10, v17
	v_lshlrev_b32_e32 v51, 8, v10
	v_and_b32_e32 v2, 0xfc00, v2
	v_cndmask_b32_e64 v49, v49, v50, s[0:1]
	v_and_or_b32 v2, v51, s44, v2
	v_lshl_or_b32 v49, v49, 7, v2
.LBB264_181:                            ;   in Loop: Header=BB264_9 Depth=1
	s_or_b64 exec, exec, s[38:39]
.LBB264_182:                            ;   in Loop: Header=BB264_9 Depth=1
	s_or_b64 exec, exec, s[36:37]
.LBB264_183:                            ;   in Loop: Header=BB264_9 Depth=1
	s_or_b64 exec, exec, s[34:35]
	v_lshrrev_b16_e32 v2, 8, v10
	v_cmp_ne_u16_e64 s[0:1], 0, v2
	v_mov_b32_e32 v50, 0
	v_mov_b32_e32 v51, 0
	s_and_saveexec_b64 s[34:35], s[0:1]
	s_cbranch_execz .LBB264_189
; %bb.184:                              ;   in Loop: Header=BB264_9 Depth=1
	v_cmp_ne_u16_e64 s[0:1], s42, v2
	v_bfrev_b32_e32 v51, 1
	s_and_saveexec_b64 s[36:37], s[0:1]
	s_cbranch_execz .LBB264_188
; %bb.185:                              ;   in Loop: Header=BB264_9 Depth=1
	v_and_b32_e32 v52, 0x7f, v2
	v_cmp_ne_u32_e64 s[0:1], s43, v52
	v_mov_b32_e32 v51, 0x7c010000
	s_and_saveexec_b64 s[38:39], s[0:1]
	s_cbranch_execz .LBB264_187
; %bb.186:                              ;   in Loop: Header=BB264_9 Depth=1
	v_and_b32_e32 v51, 7, v2
	v_ffbh_u32_e32 v54, v51
	v_min_u32_e32 v56, 32, v54
	v_subrev_u32_e32 v54, 28, v56
	v_lshlrev_b64 v[54:55], v54, v[2:3]
	v_lshrrev_b32_e32 v53, 3, v52
	v_sub_u32_e32 v55, 29, v56
	v_cmp_gt_u32_e64 s[0:1], 8, v52
	v_lshlrev_b32_e32 v2, 8, v2
	s_nop 0
	v_cndmask_b32_e64 v52, v53, v55, s[0:1]
	v_lshl_add_u32 v52, v52, 10, v17
	v_and_b32_e32 v53, 7, v54
	v_and_or_b32 v2, v2, s44, v52
	v_cndmask_b32_e64 v51, v51, v53, s[0:1]
	v_lshlrev_b32_e32 v2, 16, v2
	v_lshl_or_b32 v51, v51, 23, v2
.LBB264_187:                            ;   in Loop: Header=BB264_9 Depth=1
	s_or_b64 exec, exec, s[38:39]
.LBB264_188:                            ;   in Loop: Header=BB264_9 Depth=1
	s_or_b64 exec, exec, s[36:37]
.LBB264_189:                            ;   in Loop: Header=BB264_9 Depth=1
	s_or_b64 exec, exec, s[34:35]
	v_lshrrev_b32_e32 v2, 16, v10
	v_cmp_ne_u16_sdwa s[0:1], v2, v3 src0_sel:BYTE_0 src1_sel:DWORD
	s_and_saveexec_b64 s[34:35], s[0:1]
	s_cbranch_execz .LBB264_195
; %bb.190:                              ;   in Loop: Header=BB264_9 Depth=1
	v_cmp_ne_u16_sdwa s[0:1], v2, s42 src0_sel:BYTE_0 src1_sel:DWORD
	v_mov_b32_e32 v50, 0x8000
	s_and_saveexec_b64 s[36:37], s[0:1]
	s_cbranch_execz .LBB264_194
; %bb.191:                              ;   in Loop: Header=BB264_9 Depth=1
	v_bfe_u32 v52, v10, 16, 7
	v_cmp_ne_u32_e64 s[0:1], s43, v52
	v_mov_b32_e32 v50, 0x7c01
	s_and_saveexec_b64 s[38:39], s[0:1]
	s_cbranch_execz .LBB264_193
; %bb.192:                              ;   in Loop: Header=BB264_9 Depth=1
	v_and_b32_e32 v50, 7, v2
	v_ffbh_u32_e32 v54, v50
	v_min_u32_e32 v56, 32, v54
	v_subrev_u32_e32 v54, 28, v56
	v_lshlrev_b64 v[54:55], v54, v[2:3]
	v_lshrrev_b32_e32 v53, 3, v52
	v_sub_u32_e32 v55, 29, v56
	v_cmp_gt_u32_e64 s[0:1], 8, v52
	v_lshlrev_b32_e32 v2, 8, v2
	s_nop 0
	v_cndmask_b32_e64 v52, v53, v55, s[0:1]
	v_lshl_add_u32 v52, v52, 10, v17
	v_and_b32_e32 v53, 7, v54
	v_and_b32_e32 v52, 0xfc00, v52
	v_cndmask_b32_e64 v50, v50, v53, s[0:1]
	v_and_or_b32 v2, v2, s44, v52
	v_lshl_or_b32 v50, v50, 7, v2
.LBB264_193:                            ;   in Loop: Header=BB264_9 Depth=1
	s_or_b64 exec, exec, s[38:39]
.LBB264_194:                            ;   in Loop: Header=BB264_9 Depth=1
	s_or_b64 exec, exec, s[36:37]
.LBB264_195:                            ;   in Loop: Header=BB264_9 Depth=1
	s_or_b64 exec, exec, s[34:35]
	v_cmp_lt_u32_e64 s[0:1], s45, v10
	v_mov_b32_e32 v53, 0
	v_mov_b32_e32 v52, 0
	s_and_saveexec_b64 s[34:35], s[0:1]
	s_cbranch_execz .LBB264_201
; %bb.196:                              ;   in Loop: Header=BB264_9 Depth=1
	v_lshrrev_b32_e32 v2, 24, v10
	v_cmp_ne_u32_e64 s[0:1], s42, v2
	v_bfrev_b32_e32 v52, 1
	s_and_saveexec_b64 s[36:37], s[0:1]
	s_cbranch_execz .LBB264_200
; %bb.197:                              ;   in Loop: Header=BB264_9 Depth=1
	v_and_b32_e32 v10, 0x7f, v2
	v_cmp_ne_u32_e64 s[0:1], s43, v10
	v_mov_b32_e32 v52, 0x7c010000
	s_and_saveexec_b64 s[38:39], s[0:1]
	s_cbranch_execz .LBB264_199
; %bb.198:                              ;   in Loop: Header=BB264_9 Depth=1
	v_and_b32_e32 v52, 7, v2
	v_ffbh_u32_e32 v54, v52
	v_min_u32_e32 v57, 32, v54
	v_subrev_u32_e32 v54, 28, v57
	v_lshlrev_b64 v[54:55], v54, v[2:3]
	v_lshrrev_b32_e32 v56, 3, v10
	v_sub_u32_e32 v55, 29, v57
	v_cmp_gt_u32_e64 s[0:1], 8, v10
	v_lshlrev_b32_e32 v2, 8, v2
	v_and_b32_e32 v54, 7, v54
	v_cndmask_b32_e64 v10, v56, v55, s[0:1]
	v_lshl_add_u32 v10, v10, 10, v17
	v_and_or_b32 v2, v2, s44, v10
	v_cndmask_b32_e64 v52, v52, v54, s[0:1]
	v_lshlrev_b32_e32 v2, 16, v2
	v_lshl_or_b32 v52, v52, 23, v2
.LBB264_199:                            ;   in Loop: Header=BB264_9 Depth=1
	s_or_b64 exec, exec, s[38:39]
.LBB264_200:                            ;   in Loop: Header=BB264_9 Depth=1
	s_or_b64 exec, exec, s[36:37]
.LBB264_201:                            ;   in Loop: Header=BB264_9 Depth=1
	s_or_b64 exec, exec, s[34:35]
	global_load_dword v10, v[8:9], off offset:2048
	s_waitcnt vmcnt(0)
	v_cmp_ne_u16_sdwa s[0:1], v10, v3 src0_sel:BYTE_0 src1_sel:DWORD
	s_and_saveexec_b64 s[34:35], s[0:1]
	s_cbranch_execz .LBB264_207
; %bb.202:                              ;   in Loop: Header=BB264_9 Depth=1
	v_cmp_ne_u16_sdwa s[0:1], v10, s42 src0_sel:BYTE_0 src1_sel:DWORD
	v_mov_b32_e32 v53, 0x8000
	s_and_saveexec_b64 s[36:37], s[0:1]
	s_cbranch_execz .LBB264_206
; %bb.203:                              ;   in Loop: Header=BB264_9 Depth=1
	v_and_b32_e32 v2, 0x7f, v10
	v_cmp_ne_u32_e64 s[0:1], s43, v2
	v_mov_b32_e32 v53, 0x7c01
	s_and_saveexec_b64 s[38:39], s[0:1]
	s_cbranch_execz .LBB264_205
; %bb.204:                              ;   in Loop: Header=BB264_9 Depth=1
	v_and_b32_e32 v53, 7, v10
	v_ffbh_u32_e32 v54, v53
	v_min_u32_e32 v57, 32, v54
	v_subrev_u32_e32 v54, 28, v57
	v_lshlrev_b64 v[54:55], v54, v[10:11]
	v_lshrrev_b32_e32 v56, 3, v2
	v_sub_u32_e32 v55, 29, v57
	v_cmp_gt_u32_e64 s[0:1], 8, v2
	v_and_b32_e32 v54, 7, v54
	s_nop 0
	v_cndmask_b32_e64 v2, v56, v55, s[0:1]
	v_lshl_add_u32 v2, v2, 10, v17
	v_lshlrev_b32_e32 v55, 8, v10
	v_and_b32_e32 v2, 0xfc00, v2
	v_cndmask_b32_e64 v53, v53, v54, s[0:1]
	v_and_or_b32 v2, v55, s44, v2
	v_lshl_or_b32 v53, v53, 7, v2
.LBB264_205:                            ;   in Loop: Header=BB264_9 Depth=1
	s_or_b64 exec, exec, s[38:39]
.LBB264_206:                            ;   in Loop: Header=BB264_9 Depth=1
	s_or_b64 exec, exec, s[36:37]
.LBB264_207:                            ;   in Loop: Header=BB264_9 Depth=1
	s_or_b64 exec, exec, s[34:35]
	v_lshrrev_b16_e32 v2, 8, v10
	v_cmp_ne_u16_e64 s[0:1], 0, v2
	v_mov_b32_e32 v54, 0
	v_mov_b32_e32 v55, 0
	s_and_saveexec_b64 s[34:35], s[0:1]
	s_cbranch_execz .LBB264_213
; %bb.208:                              ;   in Loop: Header=BB264_9 Depth=1
	v_cmp_ne_u16_e64 s[0:1], s42, v2
	v_bfrev_b32_e32 v55, 1
	s_and_saveexec_b64 s[36:37], s[0:1]
	s_cbranch_execz .LBB264_212
; %bb.209:                              ;   in Loop: Header=BB264_9 Depth=1
	v_and_b32_e32 v56, 0x7f, v2
	v_cmp_ne_u32_e64 s[0:1], s43, v56
	v_mov_b32_e32 v55, 0x7c010000
	s_and_saveexec_b64 s[38:39], s[0:1]
	s_cbranch_execz .LBB264_211
; %bb.210:                              ;   in Loop: Header=BB264_9 Depth=1
	v_and_b32_e32 v55, 7, v2
	v_ffbh_u32_e32 v58, v55
	v_min_u32_e32 v60, 32, v58
	v_subrev_u32_e32 v58, 28, v60
	v_lshlrev_b64 v[58:59], v58, v[2:3]
	v_lshrrev_b32_e32 v57, 3, v56
	v_sub_u32_e32 v59, 29, v60
	v_cmp_gt_u32_e64 s[0:1], 8, v56
	v_lshlrev_b32_e32 v2, 8, v2
	s_nop 0
	v_cndmask_b32_e64 v56, v57, v59, s[0:1]
	v_lshl_add_u32 v56, v56, 10, v17
	v_and_b32_e32 v57, 7, v58
	v_and_or_b32 v2, v2, s44, v56
	v_cndmask_b32_e64 v55, v55, v57, s[0:1]
	v_lshlrev_b32_e32 v2, 16, v2
	v_lshl_or_b32 v55, v55, 23, v2
.LBB264_211:                            ;   in Loop: Header=BB264_9 Depth=1
	s_or_b64 exec, exec, s[38:39]
.LBB264_212:                            ;   in Loop: Header=BB264_9 Depth=1
	s_or_b64 exec, exec, s[36:37]
.LBB264_213:                            ;   in Loop: Header=BB264_9 Depth=1
	s_or_b64 exec, exec, s[34:35]
	v_lshrrev_b32_e32 v2, 16, v10
	v_cmp_ne_u16_sdwa s[0:1], v2, v3 src0_sel:BYTE_0 src1_sel:DWORD
	s_and_saveexec_b64 s[34:35], s[0:1]
	s_cbranch_execz .LBB264_219
; %bb.214:                              ;   in Loop: Header=BB264_9 Depth=1
	v_cmp_ne_u16_sdwa s[0:1], v2, s42 src0_sel:BYTE_0 src1_sel:DWORD
	v_mov_b32_e32 v54, 0x8000
	s_and_saveexec_b64 s[36:37], s[0:1]
	s_cbranch_execz .LBB264_218
; %bb.215:                              ;   in Loop: Header=BB264_9 Depth=1
	v_bfe_u32 v56, v10, 16, 7
	v_cmp_ne_u32_e64 s[0:1], s43, v56
	v_mov_b32_e32 v54, 0x7c01
	s_and_saveexec_b64 s[38:39], s[0:1]
	s_cbranch_execz .LBB264_217
; %bb.216:                              ;   in Loop: Header=BB264_9 Depth=1
	v_and_b32_e32 v54, 7, v2
	v_ffbh_u32_e32 v58, v54
	v_min_u32_e32 v60, 32, v58
	v_subrev_u32_e32 v58, 28, v60
	v_lshlrev_b64 v[58:59], v58, v[2:3]
	v_lshrrev_b32_e32 v57, 3, v56
	v_sub_u32_e32 v59, 29, v60
	v_cmp_gt_u32_e64 s[0:1], 8, v56
	v_lshlrev_b32_e32 v2, 8, v2
	s_nop 0
	v_cndmask_b32_e64 v56, v57, v59, s[0:1]
	v_lshl_add_u32 v56, v56, 10, v17
	v_and_b32_e32 v57, 7, v58
	v_and_b32_e32 v56, 0xfc00, v56
	v_cndmask_b32_e64 v54, v54, v57, s[0:1]
	v_and_or_b32 v2, v2, s44, v56
	v_lshl_or_b32 v54, v54, 7, v2
.LBB264_217:                            ;   in Loop: Header=BB264_9 Depth=1
	s_or_b64 exec, exec, s[38:39]
.LBB264_218:                            ;   in Loop: Header=BB264_9 Depth=1
	s_or_b64 exec, exec, s[36:37]
.LBB264_219:                            ;   in Loop: Header=BB264_9 Depth=1
	s_or_b64 exec, exec, s[34:35]
	v_cmp_lt_u32_e64 s[0:1], s45, v10
	v_mov_b32_e32 v56, 0
	v_mov_b32_e32 v57, 0
	s_and_saveexec_b64 s[34:35], s[0:1]
	s_cbranch_execz .LBB264_225
; %bb.220:                              ;   in Loop: Header=BB264_9 Depth=1
	v_lshrrev_b32_e32 v2, 24, v10
	v_cmp_ne_u32_e64 s[0:1], s42, v2
	v_bfrev_b32_e32 v57, 1
	s_and_saveexec_b64 s[36:37], s[0:1]
	s_cbranch_execz .LBB264_224
; %bb.221:                              ;   in Loop: Header=BB264_9 Depth=1
	v_and_b32_e32 v10, 0x7f, v2
	v_cmp_ne_u32_e64 s[0:1], s43, v10
	v_mov_b32_e32 v57, 0x7c010000
	s_and_saveexec_b64 s[38:39], s[0:1]
	s_cbranch_execz .LBB264_223
; %bb.222:                              ;   in Loop: Header=BB264_9 Depth=1
	v_and_b32_e32 v57, 7, v2
	v_ffbh_u32_e32 v58, v57
	v_min_u32_e32 v61, 32, v58
	v_subrev_u32_e32 v58, 28, v61
	v_lshlrev_b64 v[58:59], v58, v[2:3]
	v_lshrrev_b32_e32 v60, 3, v10
	v_sub_u32_e32 v59, 29, v61
	v_cmp_gt_u32_e64 s[0:1], 8, v10
	v_lshlrev_b32_e32 v2, 8, v2
	v_and_b32_e32 v58, 7, v58
	v_cndmask_b32_e64 v10, v60, v59, s[0:1]
	v_lshl_add_u32 v10, v10, 10, v17
	v_and_or_b32 v2, v2, s44, v10
	v_cndmask_b32_e64 v57, v57, v58, s[0:1]
	v_lshlrev_b32_e32 v2, 16, v2
	v_lshl_or_b32 v57, v57, 23, v2
.LBB264_223:                            ;   in Loop: Header=BB264_9 Depth=1
	s_or_b64 exec, exec, s[38:39]
.LBB264_224:                            ;   in Loop: Header=BB264_9 Depth=1
	s_or_b64 exec, exec, s[36:37]
.LBB264_225:                            ;   in Loop: Header=BB264_9 Depth=1
	s_or_b64 exec, exec, s[34:35]
	global_load_dword v8, v[8:9], off offset:2056
	s_waitcnt vmcnt(0)
	v_cmp_ne_u16_sdwa s[0:1], v8, v3 src0_sel:BYTE_0 src1_sel:DWORD
	s_and_saveexec_b64 s[34:35], s[0:1]
	s_cbranch_execz .LBB264_231
; %bb.226:                              ;   in Loop: Header=BB264_9 Depth=1
	v_cmp_ne_u16_sdwa s[0:1], v8, s42 src0_sel:BYTE_0 src1_sel:DWORD
	v_mov_b32_e32 v56, 0x8000
	s_and_saveexec_b64 s[36:37], s[0:1]
	s_cbranch_execz .LBB264_230
; %bb.227:                              ;   in Loop: Header=BB264_9 Depth=1
	v_and_b32_e32 v2, 0x7f, v8
	v_cmp_ne_u32_e64 s[0:1], s43, v2
	v_mov_b32_e32 v56, 0x7c01
	s_and_saveexec_b64 s[38:39], s[0:1]
	s_cbranch_execz .LBB264_229
; %bb.228:                              ;   in Loop: Header=BB264_9 Depth=1
	v_and_b32_e32 v9, 7, v8
	v_ffbh_u32_e32 v56, v9
	v_min_u32_e32 v56, 32, v56
	v_lshrrev_b32_e32 v10, 3, v2
	v_subrev_u32_e32 v58, 28, v56
	v_sub_u32_e32 v56, 29, v56
	v_cmp_gt_u32_e64 s[0:1], 8, v2
	v_lshlrev_b64 v[58:59], v58, v[8:9]
	s_nop 0
	v_cndmask_b32_e64 v2, v10, v56, s[0:1]
	v_lshl_add_u32 v2, v2, 10, v17
	v_lshlrev_b32_e32 v10, 8, v8
	v_and_b32_e32 v56, 7, v58
	v_and_b32_e32 v2, 0xfc00, v2
	v_cndmask_b32_e64 v9, v9, v56, s[0:1]
	v_and_or_b32 v2, v10, s44, v2
	v_lshl_or_b32 v56, v9, 7, v2
.LBB264_229:                            ;   in Loop: Header=BB264_9 Depth=1
	s_or_b64 exec, exec, s[38:39]
.LBB264_230:                            ;   in Loop: Header=BB264_9 Depth=1
	s_or_b64 exec, exec, s[36:37]
.LBB264_231:                            ;   in Loop: Header=BB264_9 Depth=1
	s_or_b64 exec, exec, s[34:35]
	v_lshrrev_b16_e32 v2, 8, v8
	v_cmp_ne_u16_e64 s[0:1], 0, v2
	v_mov_b32_e32 v58, 0
	v_mov_b32_e32 v59, 0
	s_and_saveexec_b64 s[34:35], s[0:1]
	s_cbranch_execz .LBB264_237
; %bb.232:                              ;   in Loop: Header=BB264_9 Depth=1
	v_cmp_ne_u16_e64 s[0:1], s42, v2
	v_bfrev_b32_e32 v59, 1
	s_and_saveexec_b64 s[36:37], s[0:1]
	s_cbranch_execz .LBB264_236
; %bb.233:                              ;   in Loop: Header=BB264_9 Depth=1
	v_and_b32_e32 v9, 0x7f, v2
	v_cmp_ne_u32_e64 s[0:1], s43, v9
	v_mov_b32_e32 v59, 0x7c010000
	s_and_saveexec_b64 s[38:39], s[0:1]
	s_cbranch_execz .LBB264_235
; %bb.234:                              ;   in Loop: Header=BB264_9 Depth=1
	v_and_b32_e32 v10, 7, v2
	v_ffbh_u32_e32 v60, v10
	v_min_u32_e32 v62, 32, v60
	v_subrev_u32_e32 v60, 28, v62
	v_lshlrev_b64 v[60:61], v60, v[2:3]
	v_lshrrev_b32_e32 v59, 3, v9
	v_sub_u32_e32 v61, 29, v62
	v_cmp_gt_u32_e64 s[0:1], 8, v9
	v_lshlrev_b32_e32 v2, 8, v2
	s_nop 0
	v_cndmask_b32_e64 v9, v59, v61, s[0:1]
	v_lshl_add_u32 v9, v9, 10, v17
	v_and_b32_e32 v59, 7, v60
	v_and_or_b32 v2, v2, s44, v9
	v_cndmask_b32_e64 v10, v10, v59, s[0:1]
	v_lshlrev_b32_e32 v2, 16, v2
	v_lshl_or_b32 v59, v10, 23, v2
.LBB264_235:                            ;   in Loop: Header=BB264_9 Depth=1
	s_or_b64 exec, exec, s[38:39]
.LBB264_236:                            ;   in Loop: Header=BB264_9 Depth=1
	s_or_b64 exec, exec, s[36:37]
.LBB264_237:                            ;   in Loop: Header=BB264_9 Depth=1
	s_or_b64 exec, exec, s[34:35]
	v_lshrrev_b32_e32 v2, 16, v8
	v_cmp_ne_u16_sdwa s[0:1], v2, v3 src0_sel:BYTE_0 src1_sel:DWORD
	s_and_saveexec_b64 s[34:35], s[0:1]
	s_cbranch_execz .LBB264_243
; %bb.238:                              ;   in Loop: Header=BB264_9 Depth=1
	v_cmp_ne_u16_sdwa s[0:1], v2, s42 src0_sel:BYTE_0 src1_sel:DWORD
	v_mov_b32_e32 v58, 0x8000
	s_and_saveexec_b64 s[36:37], s[0:1]
	s_cbranch_execz .LBB264_242
; %bb.239:                              ;   in Loop: Header=BB264_9 Depth=1
	v_bfe_u32 v9, v8, 16, 7
	v_cmp_ne_u32_e64 s[0:1], s43, v9
	v_mov_b32_e32 v58, 0x7c01
	s_and_saveexec_b64 s[38:39], s[0:1]
	s_cbranch_execz .LBB264_241
; %bb.240:                              ;   in Loop: Header=BB264_9 Depth=1
	v_and_b32_e32 v10, 7, v2
	v_ffbh_u32_e32 v60, v10
	v_min_u32_e32 v62, 32, v60
	v_subrev_u32_e32 v60, 28, v62
	v_lshlrev_b64 v[60:61], v60, v[2:3]
	v_lshrrev_b32_e32 v58, 3, v9
	v_sub_u32_e32 v61, 29, v62
	v_cmp_gt_u32_e64 s[0:1], 8, v9
	v_lshlrev_b32_e32 v2, 8, v2
	s_nop 0
	v_cndmask_b32_e64 v9, v58, v61, s[0:1]
	v_lshl_add_u32 v9, v9, 10, v17
	v_and_b32_e32 v58, 7, v60
	v_and_b32_e32 v9, 0xfc00, v9
	v_cndmask_b32_e64 v10, v10, v58, s[0:1]
	v_and_or_b32 v2, v2, s44, v9
	v_lshl_or_b32 v58, v10, 7, v2
.LBB264_241:                            ;   in Loop: Header=BB264_9 Depth=1
	s_or_b64 exec, exec, s[38:39]
.LBB264_242:                            ;   in Loop: Header=BB264_9 Depth=1
	s_or_b64 exec, exec, s[36:37]
.LBB264_243:                            ;   in Loop: Header=BB264_9 Depth=1
	s_or_b64 exec, exec, s[34:35]
	v_cmp_lt_u32_e64 s[0:1], s45, v8
	v_mov_b32_e32 v60, 0
	s_and_saveexec_b64 s[34:35], s[0:1]
	s_cbranch_execz .LBB264_249
; %bb.244:                              ;   in Loop: Header=BB264_9 Depth=1
	v_lshrrev_b32_e32 v2, 24, v8
	v_cmp_ne_u32_e64 s[0:1], s42, v2
	v_bfrev_b32_e32 v60, 1
	s_and_saveexec_b64 s[36:37], s[0:1]
	s_cbranch_execz .LBB264_248
; %bb.245:                              ;   in Loop: Header=BB264_9 Depth=1
	v_and_b32_e32 v8, 0x7f, v2
	v_cmp_ne_u32_e64 s[0:1], s43, v8
	v_mov_b32_e32 v60, 0x7c010000
	s_and_saveexec_b64 s[38:39], s[0:1]
	s_cbranch_execz .LBB264_247
; %bb.246:                              ;   in Loop: Header=BB264_9 Depth=1
	v_and_b32_e32 v9, 7, v2
	v_ffbh_u32_e32 v60, v9
	v_min_u32_e32 v62, 32, v60
	v_subrev_u32_e32 v60, 28, v62
	v_lshlrev_b64 v[60:61], v60, v[2:3]
	v_lshrrev_b32_e32 v10, 3, v8
	v_sub_u32_e32 v61, 29, v62
	v_cmp_gt_u32_e64 s[0:1], 8, v8
	v_lshlrev_b32_e32 v2, 8, v2
	s_nop 0
	v_cndmask_b32_e64 v8, v10, v61, s[0:1]
	v_lshl_add_u32 v8, v8, 10, v17
	v_and_b32_e32 v10, 7, v60
	v_and_or_b32 v2, v2, s44, v8
	v_cndmask_b32_e64 v9, v9, v10, s[0:1]
	v_lshlrev_b32_e32 v2, 16, v2
	v_lshl_or_b32 v60, v9, 23, v2
.LBB264_247:                            ;   in Loop: Header=BB264_9 Depth=1
	s_or_b64 exec, exec, s[38:39]
.LBB264_248:                            ;   in Loop: Header=BB264_9 Depth=1
	s_or_b64 exec, exec, s[36:37]
.LBB264_249:                            ;   in Loop: Header=BB264_9 Depth=1
	s_or_b64 exec, exec, s[34:35]
	v_or_b32_e32 v49, v51, v49
	v_or_b32_e32 v2, v55, v53
	v_fma_mixlo_f16 v53, v19, v49, 0 op_sel_hi:[0,1,0]
	v_or_b32_e32 v49, v52, v50
	v_or_b32_e32 v45, v47, v45
	v_fma_mixlo_f16 v50, v19, v49, 0 op_sel_hi:[0,1,0]
	v_fma_mixlo_f16 v49, v19, v52, 0 op_sel:[0,1,0] op_sel_hi:[0,1,0]
	v_fma_mixlo_f16 v52, v19, v45, 0 op_sel_hi:[0,1,0]
	v_or_b32_e32 v45, v48, v46
	v_or_b32_e32 v29, v31, v29
	v_fma_mixlo_f16 v46, v19, v45, 0 op_sel_hi:[0,1,0]
	v_fma_mixlo_f16 v45, v19, v48, 0 op_sel:[0,1,0] op_sel_hi:[0,1,0]
	v_fma_mixlo_f16 v48, v19, v29, 0 op_sel_hi:[0,1,0]
	v_or_b32_e32 v29, v32, v30
	v_or_b32_e32 v25, v27, v25
	v_fma_mixlo_f16 v10, v19, v2, 0 op_sel_hi:[0,1,0]
	v_or_b32_e32 v2, v57, v54
	v_fma_mixlo_f16 v30, v19, v29, 0 op_sel_hi:[0,1,0]
	v_fma_mixlo_f16 v29, v19, v27, 0 op_sel:[0,1,0] op_sel_hi:[0,1,0]
	v_fma_mixlo_f16 v54, v19, v25, 0 op_sel_hi:[0,1,0]
	v_or_b32_e32 v25, v28, v26
	ds_read_b64 v[26:27], v14
	v_or_b32_e32 v20, v22, v20
	v_fma_mixlo_f16 v9, v19, v55, 0 op_sel:[0,1,0] op_sel_hi:[0,1,0]
	v_fma_mixlo_f16 v55, v19, v25, 0 op_sel_hi:[0,1,0]
	v_fma_mixlo_f16 v25, v19, v20, 0 op_sel_hi:[0,1,0]
	v_or_b32_e32 v20, v23, v21
	v_fma_mixlo_f16 v22, v19, v22, 0 op_sel:[0,1,0] op_sel_hi:[0,1,0]
	v_fma_mixlo_f16 v21, v19, v20, 0 op_sel_hi:[0,1,0]
	v_fma_mixlo_f16 v23, v19, v23, 0 op_sel:[0,1,0] op_sel_hi:[0,1,0]
	v_or_b32_e32 v56, v59, v56
	v_fma_mixlo_f16 v20, v19, v59, 0 op_sel:[0,1,0] op_sel_hi:[0,1,0]
	s_waitcnt lgkmcnt(0)
	v_lshrrev_b32_e32 v59, 16, v26
	v_and_b32_e32 v26, 0xffff, v26
	v_and_b32_e32 v25, 0xffff, v25
	;; [unrolled: 1-line block ×4, first 2 shown]
	v_fma_mixlo_f16 v8, v19, v2, 0 op_sel_hi:[0,1,0]
	v_fma_mixlo_f16 v2, v19, v57, 0 op_sel:[0,1,0] op_sel_hi:[0,1,0]
	;;#ASMSTART
	v_cvt_f32_f16 v57, v26;
	;;#ASMEND
	;;#ASMSTART
	v_cvt_f32_f16 v59, v59;
	;;#ASMEND
	;; [unrolled: 3-line block ×4, first 2 shown]
	v_lshrrev_b32_e32 v22, 16, v27
	v_and_b32_e32 v25, 0xffff, v27
	;;#ASMSTART
	v_cvt_f32_f16 v63, v25;
	;;#ASMEND
	;;#ASMSTART
	v_cvt_f32_f16 v64, v22;
	;;#ASMEND
	;; [unrolled: 3-line block ×3, first 2 shown]
	v_and_b32_e32 v21, 0xffff, v23
	;;#ASMSTART
	v_cvt_f32_f16 v66, v21;
	;;#ASMEND
	ds_read_b64 v[26:27], v14 offset:8
	v_and_b32_e32 v29, 0xffff, v29
	v_fma_mixlo_f16 v28, v19, v28, 0 op_sel:[0,1,0] op_sel_hi:[0,1,0]
	v_and_b32_e32 v28, 0xffff, v28
	v_fma_mixlo_f16 v31, v19, v31, 0 op_sel:[0,1,0] op_sel_hi:[0,1,0]
	s_waitcnt lgkmcnt(0)
	v_lshrrev_b32_e32 v23, 16, v26
	v_and_b32_e32 v22, 0xffff, v26
	v_and_b32_e32 v26, 0xffff, v54
	;;#ASMSTART
	v_cvt_f32_f16 v22, v22;
	;;#ASMEND
	;;#ASMSTART
	v_cvt_f32_f16 v23, v23;
	;;#ASMEND
	;; [unrolled: 3-line block ×4, first 2 shown]
	v_fma_mixlo_f16 v32, v19, v32, 0 op_sel:[0,1,0] op_sel_hi:[0,1,0]
	v_mul_f32_e32 v22, v22, v26
	v_mul_f32_e32 v23, v23, v29
	v_lshrrev_b32_e32 v29, 16, v27
	v_and_b32_e32 v26, 0xffff, v27
	;;#ASMSTART
	v_cvt_f32_f16 v26, v26;
	;;#ASMEND
	;;#ASMSTART
	v_cvt_f32_f16 v27, v29;
	;;#ASMEND
	v_and_b32_e32 v29, 0xffff, v55
	;;#ASMSTART
	v_cvt_f32_f16 v54, v29;
	;;#ASMEND
	;;#ASMSTART
	v_cvt_f32_f16 v55, v28;
	;;#ASMEND
	ds_read_b64 v[28:29], v14 offset:16
	v_mul_f32_e32 v27, v27, v55
	v_mul_f32_e32 v26, v26, v54
	v_fma_mixlo_f16 v25, v19, v56, 0 op_sel_hi:[0,1,0]
	v_fmac_f32_e32 v22, v57, v61
	s_waitcnt lgkmcnt(0)
	v_lshrrev_b32_e32 v55, 16, v28
	v_and_b32_e32 v28, 0xffff, v28
	;;#ASMSTART
	v_cvt_f32_f16 v54, v28;
	;;#ASMEND
	v_and_b32_e32 v28, 0xffff, v48
	;;#ASMSTART
	v_cvt_f32_f16 v55, v55;
	;;#ASMEND
	;;#ASMSTART
	v_cvt_f32_f16 v48, v28;
	;;#ASMEND
	v_and_b32_e32 v28, 0xffff, v31
	;;#ASMSTART
	v_cvt_f32_f16 v31, v28;
	;;#ASMEND
	v_lshrrev_b32_e32 v28, 16, v29
	v_and_b32_e32 v29, 0xffff, v29
	;;#ASMSTART
	v_cvt_f32_f16 v56, v29;
	;;#ASMEND
	;;#ASMSTART
	v_cvt_f32_f16 v57, v28;
	;;#ASMEND
	v_and_b32_e32 v28, 0xffff, v30
	;;#ASMSTART
	v_cvt_f32_f16 v30, v28;
	;;#ASMEND
	v_and_b32_e32 v28, 0xffff, v32
	;;#ASMSTART
	v_cvt_f32_f16 v32, v28;
	;;#ASMEND
	ds_read_b64 v[28:29], v14 offset:24
	v_or_b32_e32 v33, v35, v33
	v_fmac_f32_e32 v23, v59, v62
	v_fma_mixlo_f16 v33, v19, v33, 0 op_sel_hi:[0,1,0]
	v_fmac_f32_e32 v26, v63, v65
	v_fmac_f32_e32 v23, v55, v31
	s_waitcnt lgkmcnt(0)
	v_lshrrev_b32_e32 v31, 16, v28
	v_and_b32_e32 v28, 0xffff, v28
	v_fma_mixlo_f16 v35, v19, v35, 0 op_sel:[0,1,0] op_sel_hi:[0,1,0]
	v_fmac_f32_e32 v27, v64, v66
	v_fmac_f32_e32 v26, v56, v30
	;;#ASMSTART
	v_cvt_f32_f16 v30, v28;
	;;#ASMEND
	v_and_b32_e32 v28, 0xffff, v33
	v_or_b32_e32 v34, v36, v34
	v_fmac_f32_e32 v27, v57, v32
	;;#ASMSTART
	v_cvt_f32_f16 v31, v31;
	;;#ASMEND
	;;#ASMSTART
	v_cvt_f32_f16 v32, v28;
	;;#ASMEND
	v_and_b32_e32 v28, 0xffff, v35
	v_fma_mixlo_f16 v34, v19, v34, 0 op_sel_hi:[0,1,0]
	;;#ASMSTART
	v_cvt_f32_f16 v33, v28;
	;;#ASMEND
	v_lshrrev_b32_e32 v28, 16, v29
	v_fma_mixlo_f16 v36, v19, v36, 0 op_sel:[0,1,0] op_sel_hi:[0,1,0]
	v_fmac_f32_e32 v22, v54, v48
	v_and_b32_e32 v29, 0xffff, v29
	;;#ASMSTART
	v_cvt_f32_f16 v35, v29;
	;;#ASMEND
	;;#ASMSTART
	v_cvt_f32_f16 v48, v28;
	;;#ASMEND
	v_and_b32_e32 v28, 0xffff, v34
	;;#ASMSTART
	v_cvt_f32_f16 v34, v28;
	;;#ASMEND
	v_and_b32_e32 v28, 0xffff, v36
	;;#ASMSTART
	v_cvt_f32_f16 v36, v28;
	;;#ASMEND
	ds_read_b64 v[28:29], v14 offset:32
	v_or_b32_e32 v37, v39, v37
	v_fma_mixlo_f16 v37, v19, v37, 0 op_sel_hi:[0,1,0]
	v_fmac_f32_e32 v23, v31, v33
	v_fma_mixlo_f16 v39, v19, v39, 0 op_sel:[0,1,0] op_sel_hi:[0,1,0]
	s_waitcnt lgkmcnt(0)
	v_lshrrev_b32_e32 v31, 16, v28
	v_and_b32_e32 v28, 0xffff, v28
	v_fmac_f32_e32 v22, v30, v32
	;;#ASMSTART
	v_cvt_f32_f16 v30, v28;
	;;#ASMEND
	v_and_b32_e32 v28, 0xffff, v37
	v_or_b32_e32 v38, v40, v38
	;;#ASMSTART
	v_cvt_f32_f16 v31, v31;
	;;#ASMEND
	;;#ASMSTART
	v_cvt_f32_f16 v32, v28;
	;;#ASMEND
	v_and_b32_e32 v28, 0xffff, v39
	v_fma_mixlo_f16 v38, v19, v38, 0 op_sel_hi:[0,1,0]
	;;#ASMSTART
	v_cvt_f32_f16 v33, v28;
	;;#ASMEND
	v_lshrrev_b32_e32 v28, 16, v29
	v_fma_mixlo_f16 v40, v19, v40, 0 op_sel:[0,1,0] op_sel_hi:[0,1,0]
	v_fmac_f32_e32 v26, v35, v34
	v_and_b32_e32 v29, 0xffff, v29
	;;#ASMSTART
	v_cvt_f32_f16 v34, v29;
	;;#ASMEND
	;;#ASMSTART
	v_cvt_f32_f16 v35, v28;
	;;#ASMEND
	v_and_b32_e32 v28, 0xffff, v38
	v_fmac_f32_e32 v27, v48, v36
	;;#ASMSTART
	v_cvt_f32_f16 v36, v28;
	;;#ASMEND
	v_and_b32_e32 v28, 0xffff, v40
	;;#ASMSTART
	v_cvt_f32_f16 v37, v28;
	;;#ASMEND
	ds_read_b64 v[28:29], v14 offset:40
	v_or_b32_e32 v41, v43, v41
	v_fma_mixlo_f16 v41, v19, v41, 0 op_sel_hi:[0,1,0]
	v_fmac_f32_e32 v23, v31, v33
	v_fma_mixlo_f16 v43, v19, v43, 0 op_sel:[0,1,0] op_sel_hi:[0,1,0]
	s_waitcnt lgkmcnt(0)
	v_lshrrev_b32_e32 v31, 16, v28
	v_and_b32_e32 v28, 0xffff, v28
	v_fmac_f32_e32 v22, v30, v32
	;;#ASMSTART
	v_cvt_f32_f16 v30, v28;
	;;#ASMEND
	v_and_b32_e32 v28, 0xffff, v41
	v_or_b32_e32 v42, v44, v42
	;;#ASMSTART
	v_cvt_f32_f16 v31, v31;
	;;#ASMEND
	;;#ASMSTART
	v_cvt_f32_f16 v32, v28;
	;;#ASMEND
	v_and_b32_e32 v28, 0xffff, v43
	v_fma_mixlo_f16 v42, v19, v42, 0 op_sel_hi:[0,1,0]
	;;#ASMSTART
	v_cvt_f32_f16 v33, v28;
	;;#ASMEND
	v_lshrrev_b32_e32 v28, 16, v29
	v_fma_mixlo_f16 v44, v19, v44, 0 op_sel:[0,1,0] op_sel_hi:[0,1,0]
	v_fmac_f32_e32 v26, v34, v36
	v_fmac_f32_e32 v27, v35, v37
	v_and_b32_e32 v29, 0xffff, v29
	;;#ASMSTART
	v_cvt_f32_f16 v34, v29;
	;;#ASMEND
	;;#ASMSTART
	v_cvt_f32_f16 v35, v28;
	;;#ASMEND
	v_and_b32_e32 v28, 0xffff, v42
	;;#ASMSTART
	v_cvt_f32_f16 v36, v28;
	;;#ASMEND
	v_and_b32_e32 v28, 0xffff, v44
	;;#ASMSTART
	v_cvt_f32_f16 v37, v28;
	;;#ASMEND
	ds_read_b64 v[28:29], v14 offset:48
	v_fmac_f32_e32 v23, v31, v33
	v_fma_mixlo_f16 v47, v19, v47, 0 op_sel:[0,1,0] op_sel_hi:[0,1,0]
	v_fmac_f32_e32 v22, v30, v32
	v_fmac_f32_e32 v26, v34, v36
	s_waitcnt lgkmcnt(0)
	v_lshrrev_b32_e32 v31, 16, v28
	v_and_b32_e32 v28, 0xffff, v28
	;;#ASMSTART
	v_cvt_f32_f16 v30, v28;
	;;#ASMEND
	v_and_b32_e32 v28, 0xffff, v52
	;;#ASMSTART
	v_cvt_f32_f16 v31, v31;
	;;#ASMEND
	;;#ASMSTART
	v_cvt_f32_f16 v32, v28;
	;;#ASMEND
	v_and_b32_e32 v28, 0xffff, v47
	;;#ASMSTART
	v_cvt_f32_f16 v33, v28;
	;;#ASMEND
	v_lshrrev_b32_e32 v28, 16, v29
	v_fmac_f32_e32 v27, v35, v37
	v_and_b32_e32 v29, 0xffff, v29
	;;#ASMSTART
	v_cvt_f32_f16 v34, v29;
	;;#ASMEND
	;;#ASMSTART
	v_cvt_f32_f16 v35, v28;
	;;#ASMEND
	v_and_b32_e32 v28, 0xffff, v46
	;;#ASMSTART
	v_cvt_f32_f16 v36, v28;
	;;#ASMEND
	v_and_b32_e32 v28, 0xffff, v45
	;;#ASMSTART
	v_cvt_f32_f16 v37, v28;
	;;#ASMEND
	ds_read_b64 v[28:29], v14 offset:56
	v_fmac_f32_e32 v23, v31, v33
	v_fma_mixlo_f16 v51, v19, v51, 0 op_sel:[0,1,0] op_sel_hi:[0,1,0]
	v_fmac_f32_e32 v22, v30, v32
	v_fmac_f32_e32 v26, v34, v36
	s_waitcnt lgkmcnt(0)
	v_lshrrev_b32_e32 v31, 16, v28
	v_and_b32_e32 v28, 0xffff, v28
	;;#ASMSTART
	v_cvt_f32_f16 v30, v28;
	;;#ASMEND
	v_and_b32_e32 v28, 0xffff, v53
	;;#ASMSTART
	v_cvt_f32_f16 v31, v31;
	;;#ASMEND
	;;#ASMSTART
	v_cvt_f32_f16 v32, v28;
	;;#ASMEND
	v_and_b32_e32 v28, 0xffff, v51
	;;#ASMSTART
	v_cvt_f32_f16 v33, v28;
	;;#ASMEND
	v_lshrrev_b32_e32 v28, 16, v29
	v_fmac_f32_e32 v27, v35, v37
	v_and_b32_e32 v29, 0xffff, v29
	;;#ASMSTART
	v_cvt_f32_f16 v34, v29;
	;;#ASMEND
	;;#ASMSTART
	v_cvt_f32_f16 v35, v28;
	;;#ASMEND
	v_and_b32_e32 v28, 0xffff, v50
	;;#ASMSTART
	v_cvt_f32_f16 v36, v28;
	;;#ASMEND
	v_and_b32_e32 v28, 0xffff, v49
	;;#ASMSTART
	v_cvt_f32_f16 v37, v28;
	;;#ASMEND
	ds_read_b64 v[28:29], v14 offset:64
	v_fmac_f32_e32 v22, v30, v32
	v_and_b32_e32 v10, 0xffff, v10
	v_and_b32_e32 v9, 0xffff, v9
	v_fmac_f32_e32 v23, v31, v33
	s_waitcnt lgkmcnt(0)
	v_lshrrev_b32_e32 v30, 16, v28
	v_and_b32_e32 v28, 0xffff, v28
	;;#ASMSTART
	v_cvt_f32_f16 v28, v28;
	;;#ASMEND
	;;#ASMSTART
	v_cvt_f32_f16 v30, v30;
	;;#ASMEND
	;; [unrolled: 3-line block ×4, first 2 shown]
	v_lshrrev_b32_e32 v9, 16, v29
	v_and_b32_e32 v29, 0xffff, v29
	v_and_b32_e32 v8, 0xffff, v8
	;; [unrolled: 1-line block ×3, first 2 shown]
	;;#ASMSTART
	v_cvt_f32_f16 v29, v29;
	;;#ASMEND
	;;#ASMSTART
	v_cvt_f32_f16 v32, v9;
	;;#ASMEND
	;;#ASMSTART
	v_cvt_f32_f16 v33, v8;
	;;#ASMEND
	;;#ASMSTART
	v_cvt_f32_f16 v2, v2;
	;;#ASMEND
	ds_read_b64 v[8:9], v14 offset:72
	v_fmac_f32_e32 v27, v35, v37
	v_fmac_f32_e32 v22, v28, v10
	;; [unrolled: 1-line block ×3, first 2 shown]
	v_or_b32_e32 v21, v60, v58
	s_waitcnt lgkmcnt(0)
	v_lshrrev_b32_e32 v10, 16, v8
	v_and_b32_e32 v2, 0xffff, v8
	;;#ASMSTART
	v_cvt_f32_f16 v2, v2;
	;;#ASMEND
	;;#ASMSTART
	v_cvt_f32_f16 v8, v10;
	;;#ASMEND
	v_and_b32_e32 v10, 0xffff, v25
	v_fma_mixlo_f16 v21, v19, v21, 0 op_sel_hi:[0,1,0]
	v_fmac_f32_e32 v26, v34, v36
	v_fmac_f32_e32 v23, v30, v31
	;;#ASMSTART
	v_cvt_f32_f16 v10, v10;
	;;#ASMEND
	v_and_b32_e32 v20, 0xffff, v20
	v_fmac_f32_e32 v22, v2, v10
	v_and_b32_e32 v2, 0xffff, v9
	v_fma_mixlo_f16 v19, v19, v60, 0 op_sel:[0,1,0] op_sel_hi:[0,1,0]
	v_fmac_f32_e32 v26, v29, v33
	;;#ASMSTART
	v_cvt_f32_f16 v20, v20;
	;;#ASMEND
	;;#ASMSTART
	v_cvt_f32_f16 v2, v2;
	;;#ASMEND
	v_and_b32_e32 v10, 0xffff, v19
	v_fmac_f32_e32 v23, v8, v20
	v_lshrrev_b32_e32 v8, 16, v9
	v_and_b32_e32 v9, 0xffff, v21
	;;#ASMSTART
	v_cvt_f32_f16 v8, v8;
	;;#ASMEND
	;;#ASMSTART
	v_cvt_f32_f16 v9, v9;
	;;#ASMEND
	;; [unrolled: 3-line block ×3, first 2 shown]
	s_nop 0
	v_fmac_f32_e32 v26, v2, v9
	v_add_f32_e32 v2, v22, v23
	v_fmac_f32_e32 v27, v8, v10
	v_add_f32_e32 v2, v2, v26
	v_add_f32_e32 v9, v27, v2
	v_and_b32_e32 v2, 64, v12
	v_xor_b32_e32 v10, 1, v12
	v_add_u32_e32 v8, 64, v2
	v_cmp_lt_i32_e64 s[0:1], v10, v8
	s_nop 1
	v_cndmask_b32_e64 v10, v12, v10, s[0:1]
	v_lshlrev_b32_e32 v10, 2, v10
	ds_bpermute_b32 v10, v10, v9
	s_and_saveexec_b64 s[34:35], vcc
	s_cbranch_execz .LBB264_8
; %bb.250:                              ;   in Loop: Header=BB264_9 Depth=1
	v_add_u32_e32 v19, s41, v15
	v_cvt_f32_i32_e32 v19, v19
	s_waitcnt lgkmcnt(0)
	v_add_f32_e32 v9, v9, v10
	v_cmp_gt_i32_e64 s[0:1], s33, v15
	v_max_f32_e32 v10, v13, v13
	v_mul_f32_e32 v19, s28, v19
	v_cndmask_b32_e64 v19, 0, v19, s[2:3]
	v_fmac_f32_e32 v19, s29, v9
	v_cndmask_b32_e64 v9, 0, v19, s[0:1]
	ds_write_b32 v16, v9
	v_max_f32_e32 v9, v10, v19
	v_cndmask_b32_e64 v13, v13, v9, s[0:1]
	s_branch .LBB264_8
.LBB264_251:
	s_or_b64 exec, exec, s[14:15]
.LBB264_252:
	s_or_b64 exec, exec, s[30:31]
	v_xor_b32_e32 v3, 32, v12
	v_cmp_lt_i32_e32 vcc, v3, v8
	v_xor_b32_e32 v6, 16, v12
	v_max_f32_e32 v5, v13, v13
	v_cndmask_b32_e32 v3, v12, v3, vcc
	v_lshlrev_b32_e32 v3, 2, v3
	ds_bpermute_b32 v4, v3, v13
	v_cmp_lt_i32_e32 vcc, v6, v8
	v_xor_b32_e32 v7, 8, v12
	v_xor_b32_e32 v9, 4, v12
	s_waitcnt lgkmcnt(0)
	v_xor_b32_e32 v10, 2, v12
	v_max_f32_e32 v4, v4, v4
	v_max_f32_e32 v5, v5, v4
	v_cndmask_b32_e32 v4, v12, v6, vcc
	v_lshlrev_b32_e32 v4, 2, v4
	ds_bpermute_b32 v6, v4, v5
	v_cmp_lt_i32_e32 vcc, v7, v8
	v_and_b32_e32 v25, 63, v0
	s_waitcnt lgkmcnt(0)
	v_max_f32_e32 v6, v6, v6
	v_max_f32_e32 v6, v5, v6
	v_cndmask_b32_e32 v5, v12, v7, vcc
	v_lshlrev_b32_e32 v5, 2, v5
	ds_bpermute_b32 v7, v5, v6
	v_cmp_lt_i32_e32 vcc, v9, v8
	s_waitcnt lgkmcnt(0)
	v_max_f32_e32 v7, v7, v7
	v_max_f32_e32 v7, v6, v7
	v_cndmask_b32_e32 v6, v12, v9, vcc
	v_lshlrev_b32_e32 v6, 2, v6
	ds_bpermute_b32 v9, v6, v7
	v_cmp_lt_i32_e32 vcc, v10, v8
	s_waitcnt lgkmcnt(0)
	v_max_f32_e32 v9, v9, v9
	v_max_f32_e32 v9, v7, v9
	v_cndmask_b32_e32 v7, v12, v10, vcc
	v_lshlrev_b32_e32 v26, 2, v7
	ds_bpermute_b32 v10, v26, v9
	v_cmp_eq_u32_e32 vcc, 0, v25
	v_lshlrev_b32_e32 v7, 2, v24
	s_and_saveexec_b64 s[0:1], vcc
	s_cbranch_execz .LBB264_254
; %bb.253:
	s_waitcnt lgkmcnt(0)
	v_max_f32_e32 v10, v10, v10
	v_max_f32_e32 v9, v9, v9
	;; [unrolled: 1-line block ×3, first 2 shown]
	ds_write_b32 v7, v9 offset:160
.LBB264_254:
	s_or_b64 exec, exec, s[0:1]
	v_cmp_gt_u32_e64 s[0:1], 2, v25
	s_waitcnt lgkmcnt(0)
	v_mov_b32_e32 v10, 0xff7fffff
	v_lshlrev_b32_e32 v9, 2, v25
	s_barrier
	s_and_saveexec_b64 s[2:3], s[0:1]
; %bb.255:
	ds_read_b32 v10, v9 offset:160
; %bb.256:
	s_or_b64 exec, exec, s[2:3]
	v_xor_b32_e32 v13, 1, v12
	v_cmp_lt_i32_e64 s[2:3], v13, v8
	v_lshlrev_b32_e32 v2, 2, v2
	s_nop 0
	v_cndmask_b32_e64 v8, v12, v13, s[2:3]
	v_lshlrev_b32_e32 v27, 2, v8
	s_waitcnt lgkmcnt(0)
	ds_bpermute_b32 v8, v27, v10
	v_max_f32_e32 v10, v10, v10
	s_lshl_b32 s2, s19, 5
	s_min_i32 s30, s2, s33
	v_cmp_gt_i32_e64 s[2:3], s30, v0
	s_waitcnt lgkmcnt(0)
	v_max_f32_e32 v8, v8, v8
	v_max_f32_e32 v8, v10, v8
	ds_bpermute_b32 v8, v2, v8
	v_mov_b32_e32 v2, 0
	s_and_saveexec_b64 s[14:15], s[2:3]
	s_cbranch_execz .LBB264_260
; %bb.257:
	v_mov_b32_e32 v2, 0xb0
	v_lshl_add_u32 v10, v0, 2, v2
	v_mov_b32_e32 v2, 0
	s_mov_b64 s[28:29], 0
	v_mov_b32_e32 v13, v0
.LBB264_258:                            ; =>This Inner Loop Header: Depth=1
	ds_read_b32 v14, v10
	v_add_u32_e32 v13, 0x80, v13
	v_cmp_le_i32_e64 s[8:9], s30, v13
	s_or_b64 s[28:29], s[8:9], s[28:29]
	s_waitcnt lgkmcnt(0)
	v_sub_f32_e32 v14, v14, v8
	v_mul_f32_e32 v14, 0x3fb8aa3b, v14
	v_exp_f32_e32 v14, v14
	ds_write_b32 v10, v14
	v_add_f32_e32 v2, v2, v14
	v_add_u32_e32 v10, 0x200, v10
	s_andn2_b64 exec, exec, s[28:29]
	s_cbranch_execnz .LBB264_258
; %bb.259:
	s_or_b64 exec, exec, s[28:29]
.LBB264_260:
	s_or_b64 exec, exec, s[14:15]
	ds_bpermute_b32 v3, v3, v2
	s_waitcnt lgkmcnt(0)
	v_add_f32_e32 v2, v2, v3
	ds_bpermute_b32 v3, v4, v2
	s_waitcnt lgkmcnt(0)
	v_add_f32_e32 v2, v2, v3
	;; [unrolled: 3-line block ×6, first 2 shown]
	s_and_saveexec_b64 s[8:9], vcc
; %bb.261:
	ds_write_b32 v7, v2 offset:168
; %bb.262:
	s_or_b64 exec, exec, s[8:9]
	s_waitcnt lgkmcnt(0)
	s_barrier
	s_and_saveexec_b64 s[8:9], s[0:1]
; %bb.263:
	ds_read_b32 v2, v9 offset:168
; %bb.264:
	s_or_b64 exec, exec, s[8:9]
	s_waitcnt lgkmcnt(0)
	ds_bpermute_b32 v3, v27, v2
	v_lshlrev_b32_e32 v4, 2, v12
	s_waitcnt lgkmcnt(0)
	v_add_f32_e32 v2, v2, v3
	v_and_b32_e32 v3, 0xffffff00, v4
	ds_bpermute_b32 v2, v3, v2
	s_and_saveexec_b64 s[0:1], s[2:3]
	s_cbranch_execz .LBB264_277
; %bb.265:
	s_waitcnt lgkmcnt(0)
	v_add_f32_e32 v2, 0x358637bd, v2
	v_div_scale_f32 v3, s[2:3], v2, v2, 1.0
	v_rcp_f32_e32 v4, v3
	v_div_scale_f32 v5, vcc, 1.0, v2, 1.0
	s_movk_i32 s2, 0x7f
	v_fma_f32 v6, -v3, v4, 1.0
	v_fmac_f32_e32 v4, v6, v4
	v_mul_f32_e32 v6, v5, v4
	v_fma_f32 v7, -v3, v6, v5
	v_fmac_f32_e32 v6, v7, v4
	v_fma_f32 v3, -v3, v6, v5
	v_div_fmas_f32 v3, v3, v4, v6
	v_xad_u32 v4, v0, -1, s30
	v_div_fixup_f32 v2, v3, v2, 1.0
	v_cmp_lt_u32_e32 vcc, s2, v4
	s_mov_b64 s[8:9], -1
	v_mov_b32_e32 v3, v0
	s_and_saveexec_b64 s[2:3], vcc
	s_cbranch_execz .LBB264_274
; %bb.266:
	v_lshrrev_b32_e32 v4, 7, v4
	v_add_u32_e32 v6, -1, v4
	v_lshrrev_b32_e32 v5, 1, v6
	v_mov_b32_e32 v3, v2
	v_add_u32_e32 v5, 1, v5
	v_cmp_lt_u32_e32 vcc, 13, v6
	v_mov_b32_e32 v8, 0
	s_and_saveexec_b64 s[8:9], vcc
	s_cbranch_execz .LBB264_270
; %bb.267:
	v_mov_b32_e32 v7, 0xb0
	v_and_b32_e32 v6, -8, v5
	v_lshl_add_u32 v7, v0, 2, v7
	s_mov_b32 s28, 0
	s_mov_b64 s[14:15], 0
.LBB264_268:                            ; =>This Inner Loop Header: Depth=1
	ds_read2st64_b32 v[8:9], v7 offset1:2
	ds_read2st64_b32 v[12:13], v7 offset0:4 offset1:6
	ds_read2st64_b32 v[14:15], v7 offset0:8 offset1:10
	;; [unrolled: 1-line block ×3, first 2 shown]
	v_add_u32_e32 v6, -8, v6
	s_waitcnt lgkmcnt(3)
	v_pk_mul_f32 v[8:9], v[2:3], v[8:9]
	s_waitcnt lgkmcnt(2)
	v_pk_mul_f32 v[12:13], v[2:3], v[12:13]
	ds_write2st64_b32 v7, v8, v9 offset1:2
	ds_write2st64_b32 v7, v12, v13 offset0:4 offset1:6
	ds_read2st64_b32 v[12:13], v7 offset0:16 offset1:18
	s_waitcnt lgkmcnt(4)
	v_pk_mul_f32 v[8:9], v[2:3], v[14:15]
	ds_write2st64_b32 v7, v8, v9 offset0:8 offset1:10
	s_waitcnt lgkmcnt(4)
	v_pk_mul_f32 v[8:9], v[2:3], v[16:17]
	ds_write2st64_b32 v7, v8, v9 offset0:12 offset1:14
	ds_read2st64_b32 v[8:9], v7 offset0:20 offset1:22
	s_waitcnt lgkmcnt(3)
	v_pk_mul_f32 v[12:13], v[2:3], v[12:13]
	ds_read2st64_b32 v[14:15], v7 offset0:24 offset1:26
	ds_write2st64_b32 v7, v12, v13 offset0:16 offset1:18
	ds_read2st64_b32 v[12:13], v7 offset0:28 offset1:30
	s_waitcnt lgkmcnt(3)
	v_pk_mul_f32 v[8:9], v[2:3], v[8:9]
	ds_write2st64_b32 v7, v8, v9 offset0:20 offset1:22
	s_waitcnt lgkmcnt(3)
	v_pk_mul_f32 v[8:9], v[2:3], v[14:15]
	ds_write2st64_b32 v7, v8, v9 offset0:24 offset1:26
	s_waitcnt lgkmcnt(2)
	v_pk_mul_f32 v[8:9], v[2:3], v[12:13]
	s_add_i32 s28, s28, 16
	v_cmp_eq_u32_e32 vcc, 0, v6
	ds_write2st64_b32 v7, v8, v9 offset0:28 offset1:30
	v_add_u32_e32 v7, 0x2000, v7
	s_or_b64 s[14:15], vcc, s[14:15]
	v_mov_b32_e32 v8, s28
	s_andn2_b64 exec, exec, s[14:15]
	s_cbranch_execnz .LBB264_268
; %bb.269:
	s_or_b64 exec, exec, s[14:15]
.LBB264_270:
	s_or_b64 exec, exec, s[8:9]
	v_and_b32_e32 v5, 7, v5
	v_cmp_ne_u32_e32 vcc, 0, v5
	s_and_saveexec_b64 s[8:9], vcc
	s_cbranch_execz .LBB264_273
; %bb.271:
	v_lshlrev_b32_e32 v6, 9, v8
	v_lshlrev_b32_e32 v7, 2, v0
	s_movk_i32 s14, 0xb0
	v_add3_u32 v6, v6, v7, s14
	s_mov_b64 s[14:15], 0
.LBB264_272:                            ; =>This Inner Loop Header: Depth=1
	ds_read2st64_b32 v[8:9], v6 offset1:2
	v_add_u32_e32 v5, -1, v5
	v_cmp_eq_u32_e32 vcc, 0, v5
	s_or_b64 s[14:15], vcc, s[14:15]
	s_waitcnt lgkmcnt(0)
	v_pk_mul_f32 v[8:9], v[2:3], v[8:9]
	ds_write2st64_b32 v6, v8, v9 offset1:2
	v_add_u32_e32 v6, 0x400, v6
	s_andn2_b64 exec, exec, s[14:15]
	s_cbranch_execnz .LBB264_272
.LBB264_273:
	s_or_b64 exec, exec, s[8:9]
	v_add_u32_e32 v4, 1, v4
	v_and_b32_e32 v5, 0x3fffffe, v4
	v_cmp_ne_u32_e32 vcc, v4, v5
	v_lshl_add_u32 v3, v5, 7, v0
	s_orn2_b64 s[8:9], vcc, exec
.LBB264_274:
	s_or_b64 exec, exec, s[2:3]
	s_and_b64 exec, exec, s[8:9]
	s_cbranch_execz .LBB264_277
; %bb.275:
	v_mov_b32_e32 v4, 0xb0
	v_lshl_add_u32 v4, v3, 2, v4
	s_mov_b64 s[2:3], 0
.LBB264_276:                            ; =>This Inner Loop Header: Depth=1
	ds_read_b32 v5, v4
	v_add_u32_e32 v3, 0x80, v3
	v_cmp_le_i32_e32 vcc, s30, v3
	s_or_b64 s[2:3], vcc, s[2:3]
	s_waitcnt lgkmcnt(0)
	v_mul_f32_e32 v5, v2, v5
	ds_write_b32 v4, v5
	v_add_u32_e32 v4, 0x200, v4
	s_andn2_b64 exec, exec, s[2:3]
	s_cbranch_execnz .LBB264_276
.LBB264_277:
	s_or_b64 exec, exec, s[0:1]
	v_mov_b32_e32 v3, 0
	v_and_b32_e32 v28, 3, v0
	s_waitcnt lgkmcnt(0)
	v_mov_b32_e32 v2, 0
	v_mov_b32_e32 v5, 0
	;; [unrolled: 1-line block ×4, first 2 shown]
	s_barrier
	s_and_saveexec_b64 s[2:3], s[6:7]
	s_cbranch_execz .LBB264_531
; %bb.278:
	s_ashr_i32 s1, s12, 31
	s_add_u32 s0, s26, s12
	s_addc_u32 s1, s27, s1
	v_and_b32_e32 v6, 0x1f8, v1
	v_mov_b32_e32 v7, 0
	s_add_i32 s26, s19, -1
	v_lshl_add_u64 v[8:9], s[0:1], 0, v[6:7]
	s_lshl_b64 s[0:1], s[24:25], 2
	v_and_b32_e32 v2, 24, v1
	v_lshlrev_b32_e32 v1, 5, v28
	s_add_u32 s0, s22, s0
	s_mov_b32 s6, -1
	v_lshl_or_b32 v1, v24, 7, v1
	v_and_b32_e32 v6, 60, v11
	s_addc_u32 s1, s23, s1
	s_mov_b32 s28, s13
	s_mov_b32 s7, 0xffffff
	;; [unrolled: 1-line block ×3, first 2 shown]
	v_lshl_or_b32 v30, v24, 5, v2
	v_add_u32_e32 v31, 0xb0, v1
	v_lshl_add_u64 v[10:11], s[0:1], 0, v[6:7]
	s_mov_b64 s[8:9], 0
	s_movk_i32 s24, 0x80
	s_movk_i32 s25, 0x7f
	s_mov_b32 s29, 0x8000
	v_mov_b32_e32 v32, 0x2000
	v_mov_b32_e32 v29, 0
	;; [unrolled: 1-line block ×6, first 2 shown]
	s_branch .LBB264_280
.LBB264_279:                            ;   in Loop: Header=BB264_280 Depth=1
	s_or_b64 exec, exec, s[0:1]
	v_add_f32_e32 v12, v22, v23
	v_add_f32_e32 v3, v3, v12
	;; [unrolled: 1-line block ×7, first 2 shown]
	;;#ASMSTART
	v_pk_mul_f16 v1, v43, v1;

	;;#ASMEND
	v_add_f32_e32 v4, v4, v12
	;;#ASMSTART
	v_pk_mul_f16 v6, v42, v6;

	;;#ASMEND
	;;#ASMSTART
	v_pk_mul_f16 v12, v41, v19;

	;;#ASMEND
	;; [unrolled: 4-line block ×3, first 2 shown]
	v_add_u32_e32 v24, 2, v24
	;;#ASMSTART
	v_pk_add_f16 v1, v1, v6;

	;;#ASMEND
	v_cmp_le_i32_e32 vcc, s19, v24
	;;#ASMSTART
	v_pk_add_f16 v1, v1, v12;

	;;#ASMEND
	v_add_u32_e32 v30, 64, v30
	;;#ASMSTART
	v_pk_add_f16 v1, v1, v13;

	;;#ASMEND
	v_add_u32_e32 v31, 0x100, v31
	v_lshrrev_b32_e32 v6, 16, v1
	v_and_b32_e32 v1, 0xffff, v1
	;;#ASMSTART
	v_cvt_f32_f16 v1, v1;
	;;#ASMEND
	;;#ASMSTART
	v_cvt_f32_f16 v6, v6;
	;;#ASMEND
	s_or_b64 s[8:9], vcc, s[8:9]
	v_add_f32_e32 v1, v1, v6
	v_add_f32_e32 v29, v29, v1
	v_lshl_add_u64 v[10:11], v[10:11], 0, 8
	s_andn2_b64 exec, exec, s[8:9]
	s_cbranch_execz .LBB264_530
.LBB264_280:                            ; =>This Inner Loop Header: Depth=1
	global_load_dword v1, v[10:11], off
	ds_read2_b64 v[12:15], v31 offset1:1
	ds_read2_b64 v[16:19], v31 offset0:2 offset1:3
	s_waitcnt lgkmcnt(1)
	;;#ASMSTART
	v_cvt_f16_f32 v40, v12;

	;;#ASMEND
	;;#ASMSTART
	v_cvt_f16_f32 v41, v13;

	;;#ASMEND
	;; [unrolled: 4-line block ×4, first 2 shown]
	s_waitcnt lgkmcnt(0)
	;;#ASMSTART
	v_cvt_f16_f32 v45, v16;

	;;#ASMEND
	;;#ASMSTART
	v_cvt_f16_f32 v46, v17;

	;;#ASMEND
	;;#ASMSTART
	v_cvt_f16_f32 v47, v18;

	;;#ASMEND
	;;#ASMSTART
	v_cvt_f16_f32 v48, v19;

	;;#ASMEND
	s_waitcnt vmcnt(0)
	v_mad_i64_i32 v[12:13], s[0:1], v1, s28, v[8:9]
	global_load_dwordx2 v[16:17], v[12:13], off
	global_load_dword v14, v7, s[10:11]
	v_mov_b32_e32 v1, 0
	s_waitcnt vmcnt(1)
	v_cmp_ne_u16_sdwa s[12:13], v16, v7 src0_sel:BYTE_0 src1_sel:DWORD
	s_and_saveexec_b64 s[0:1], s[12:13]
	s_cbranch_execz .LBB264_286
; %bb.281:                              ;   in Loop: Header=BB264_280 Depth=1
	v_cmp_ne_u16_sdwa s[14:15], v16, s24 src0_sel:BYTE_0 src1_sel:DWORD
	v_mov_b32_e32 v1, 0x8000
	s_and_saveexec_b64 s[12:13], s[14:15]
	s_cbranch_execz .LBB264_285
; %bb.282:                              ;   in Loop: Header=BB264_280 Depth=1
	v_and_b32_e32 v6, 0x7f, v16
	v_cmp_ne_u32_e32 vcc, s25, v6
	v_mov_b32_e32 v1, 0x7c01
	s_and_saveexec_b64 s[14:15], vcc
	s_cbranch_execz .LBB264_284
; %bb.283:                              ;   in Loop: Header=BB264_280 Depth=1
	v_and_b32_e32 v1, 7, v16
	v_ffbh_u32_e32 v18, v1
	v_min_u32_e32 v20, 32, v18
	v_subrev_u32_e32 v18, 28, v20
	v_lshlrev_b64 v[18:19], v18, v[16:17]
	v_lshrrev_b32_e32 v15, 3, v6
	v_sub_u32_e32 v19, 29, v20
	v_cmp_gt_u32_e32 vcc, 8, v6
	v_and_b32_e32 v18, 7, v18
	s_nop 0
	v_cndmask_b32_e32 v6, v15, v19, vcc
	v_lshl_add_u32 v6, v6, 10, v32
	v_lshlrev_b32_e32 v15, 8, v16
	v_and_b32_e32 v6, 0xfc00, v6
	v_cndmask_b32_e32 v1, v1, v18, vcc
	v_and_or_b32 v6, v15, s29, v6
	v_lshl_or_b32 v1, v1, 7, v6
.LBB264_284:                            ;   in Loop: Header=BB264_280 Depth=1
	s_or_b64 exec, exec, s[14:15]
.LBB264_285:                            ;   in Loop: Header=BB264_280 Depth=1
	s_or_b64 exec, exec, s[12:13]
.LBB264_286:                            ;   in Loop: Header=BB264_280 Depth=1
	s_or_b64 exec, exec, s[0:1]
	v_lshrrev_b16_e32 v6, 8, v16
	v_cmp_ne_u16_e32 vcc, 0, v6
	v_mov_b32_e32 v15, 0
	v_mov_b32_e32 v18, 0
	s_and_saveexec_b64 s[0:1], vcc
	s_cbranch_execz .LBB264_292
; %bb.287:                              ;   in Loop: Header=BB264_280 Depth=1
	v_cmp_ne_u16_e32 vcc, s24, v6
	v_bfrev_b32_e32 v18, 1
	s_and_saveexec_b64 s[12:13], vcc
	s_cbranch_execz .LBB264_291
; %bb.288:                              ;   in Loop: Header=BB264_280 Depth=1
	v_and_b32_e32 v19, 0x7f, v6
	v_cmp_ne_u32_e32 vcc, s25, v19
	v_mov_b32_e32 v18, 0x7c010000
	s_and_saveexec_b64 s[14:15], vcc
	s_cbranch_execz .LBB264_290
; %bb.289:                              ;   in Loop: Header=BB264_280 Depth=1
	v_and_b32_e32 v18, 7, v6
	v_ffbh_u32_e32 v20, v18
	v_min_u32_e32 v23, 32, v20
	v_subrev_u32_e32 v20, 28, v23
	v_lshlrev_b64 v[20:21], v20, v[6:7]
	v_lshrrev_b32_e32 v22, 3, v19
	v_sub_u32_e32 v21, 29, v23
	v_cmp_gt_u32_e32 vcc, 8, v19
	v_lshlrev_b32_e32 v6, 8, v6
	v_and_b32_e32 v20, 7, v20
	v_cndmask_b32_e32 v19, v22, v21, vcc
	v_lshl_add_u32 v19, v19, 10, v32
	v_and_or_b32 v6, v6, s29, v19
	v_cndmask_b32_e32 v18, v18, v20, vcc
	v_lshlrev_b32_e32 v6, 16, v6
	v_lshl_or_b32 v18, v18, 23, v6
.LBB264_290:                            ;   in Loop: Header=BB264_280 Depth=1
	s_or_b64 exec, exec, s[14:15]
.LBB264_291:                            ;   in Loop: Header=BB264_280 Depth=1
	s_or_b64 exec, exec, s[12:13]
.LBB264_292:                            ;   in Loop: Header=BB264_280 Depth=1
	s_or_b64 exec, exec, s[0:1]
	v_lshrrev_b32_e32 v6, 16, v16
	v_cmp_ne_u16_sdwa s[12:13], v6, v7 src0_sel:BYTE_0 src1_sel:DWORD
	s_and_saveexec_b64 s[0:1], s[12:13]
	s_cbranch_execz .LBB264_298
; %bb.293:                              ;   in Loop: Header=BB264_280 Depth=1
	v_cmp_ne_u16_sdwa s[14:15], v6, s24 src0_sel:BYTE_0 src1_sel:DWORD
	v_mov_b32_e32 v15, 0x8000
	s_and_saveexec_b64 s[12:13], s[14:15]
	s_cbranch_execz .LBB264_297
; %bb.294:                              ;   in Loop: Header=BB264_280 Depth=1
	v_bfe_u32 v19, v16, 16, 7
	v_cmp_ne_u32_e32 vcc, s25, v19
	v_mov_b32_e32 v15, 0x7c01
	s_and_saveexec_b64 s[14:15], vcc
	s_cbranch_execz .LBB264_296
; %bb.295:                              ;   in Loop: Header=BB264_280 Depth=1
	v_and_b32_e32 v15, 7, v6
	v_ffbh_u32_e32 v20, v15
	v_min_u32_e32 v23, 32, v20
	v_subrev_u32_e32 v20, 28, v23
	v_lshlrev_b64 v[20:21], v20, v[6:7]
	v_lshrrev_b32_e32 v22, 3, v19
	v_sub_u32_e32 v21, 29, v23
	v_cmp_gt_u32_e32 vcc, 8, v19
	v_lshlrev_b32_e32 v6, 8, v6
	v_and_b32_e32 v20, 7, v20
	v_cndmask_b32_e32 v19, v22, v21, vcc
	v_lshl_add_u32 v19, v19, 10, v32
	v_and_b32_e32 v19, 0xfc00, v19
	v_cndmask_b32_e32 v15, v15, v20, vcc
	v_and_or_b32 v6, v6, s29, v19
	v_lshl_or_b32 v15, v15, 7, v6
.LBB264_296:                            ;   in Loop: Header=BB264_280 Depth=1
	s_or_b64 exec, exec, s[14:15]
.LBB264_297:                            ;   in Loop: Header=BB264_280 Depth=1
	s_or_b64 exec, exec, s[12:13]
.LBB264_298:                            ;   in Loop: Header=BB264_280 Depth=1
	s_or_b64 exec, exec, s[0:1]
	v_cmp_lt_u32_e32 vcc, s7, v16
	v_mov_b32_e32 v19, 0
	v_mov_b32_e32 v20, 0
	s_and_saveexec_b64 s[0:1], vcc
	s_cbranch_execz .LBB264_304
; %bb.299:                              ;   in Loop: Header=BB264_280 Depth=1
	v_lshrrev_b32_e32 v6, 24, v16
	v_cmp_ne_u32_e32 vcc, s24, v6
	v_bfrev_b32_e32 v20, 1
	s_and_saveexec_b64 s[12:13], vcc
	s_cbranch_execz .LBB264_303
; %bb.300:                              ;   in Loop: Header=BB264_280 Depth=1
	v_and_b32_e32 v21, 0x7f, v6
	v_cmp_ne_u32_e32 vcc, s25, v21
	v_mov_b32_e32 v20, 0x7c010000
	s_and_saveexec_b64 s[14:15], vcc
	s_cbranch_execz .LBB264_302
; %bb.301:                              ;   in Loop: Header=BB264_280 Depth=1
	v_and_b32_e32 v20, 7, v6
	v_ffbh_u32_e32 v22, v20
	v_min_u32_e32 v34, 32, v22
	v_subrev_u32_e32 v22, 28, v34
	v_lshlrev_b64 v[22:23], v22, v[6:7]
	v_lshrrev_b32_e32 v33, 3, v21
	v_sub_u32_e32 v23, 29, v34
	v_cmp_gt_u32_e32 vcc, 8, v21
	v_lshlrev_b32_e32 v6, 8, v6
	v_and_b32_e32 v22, 7, v22
	v_cndmask_b32_e32 v21, v33, v23, vcc
	v_lshl_add_u32 v21, v21, 10, v32
	v_and_or_b32 v6, v6, s29, v21
	v_cndmask_b32_e32 v20, v20, v22, vcc
	v_lshlrev_b32_e32 v6, 16, v6
	v_lshl_or_b32 v20, v20, 23, v6
.LBB264_302:                            ;   in Loop: Header=BB264_280 Depth=1
	s_or_b64 exec, exec, s[14:15]
.LBB264_303:                            ;   in Loop: Header=BB264_280 Depth=1
	s_or_b64 exec, exec, s[12:13]
.LBB264_304:                            ;   in Loop: Header=BB264_280 Depth=1
	s_or_b64 exec, exec, s[0:1]
	v_mov_b32_e32 v6, v17
	v_cmp_ne_u16_sdwa s[12:13], v17, v7 src0_sel:BYTE_0 src1_sel:DWORD
	s_and_saveexec_b64 s[0:1], s[12:13]
	s_cbranch_execz .LBB264_310
; %bb.305:                              ;   in Loop: Header=BB264_280 Depth=1
	v_cmp_ne_u16_sdwa s[14:15], v17, s24 src0_sel:BYTE_0 src1_sel:DWORD
	v_mov_b32_e32 v19, 0x8000
	s_and_saveexec_b64 s[12:13], s[14:15]
	s_cbranch_execz .LBB264_309
; %bb.306:                              ;   in Loop: Header=BB264_280 Depth=1
	v_and_b32_e32 v21, 0x7f, v17
	v_cmp_ne_u32_e32 vcc, s25, v21
	v_mov_b32_e32 v19, 0x7c01
	s_and_saveexec_b64 s[14:15], vcc
	s_cbranch_execz .LBB264_308
; %bb.307:                              ;   in Loop: Header=BB264_280 Depth=1
	v_and_b32_e32 v19, 7, v17
	v_ffbh_u32_e32 v22, v19
	v_min_u32_e32 v34, 32, v22
	v_subrev_u32_e32 v22, 28, v34
	v_lshlrev_b64 v[22:23], v22, v[6:7]
	v_lshrrev_b32_e32 v33, 3, v21
	v_sub_u32_e32 v23, 29, v34
	v_cmp_gt_u32_e32 vcc, 8, v21
	v_and_b32_e32 v22, 7, v22
	s_nop 0
	v_cndmask_b32_e32 v21, v33, v23, vcc
	v_lshl_add_u32 v21, v21, 10, v32
	v_lshlrev_b32_e32 v23, 8, v17
	v_and_b32_e32 v21, 0xfc00, v21
	v_cndmask_b32_e32 v19, v19, v22, vcc
	v_and_or_b32 v21, v23, s29, v21
	v_lshl_or_b32 v19, v19, 7, v21
.LBB264_308:                            ;   in Loop: Header=BB264_280 Depth=1
	s_or_b64 exec, exec, s[14:15]
.LBB264_309:                            ;   in Loop: Header=BB264_280 Depth=1
	s_or_b64 exec, exec, s[12:13]
.LBB264_310:                            ;   in Loop: Header=BB264_280 Depth=1
	s_or_b64 exec, exec, s[0:1]
	v_lshrrev_b16_e32 v6, 8, v6
	v_cmp_ne_u16_e32 vcc, 0, v6
	v_mov_b32_e32 v22, 0
	v_mov_b32_e32 v21, 0
	s_and_saveexec_b64 s[0:1], vcc
	s_cbranch_execz .LBB264_316
; %bb.311:                              ;   in Loop: Header=BB264_280 Depth=1
	v_cmp_ne_u16_e32 vcc, s24, v6
	v_bfrev_b32_e32 v21, 1
	s_and_saveexec_b64 s[12:13], vcc
	s_cbranch_execz .LBB264_315
; %bb.312:                              ;   in Loop: Header=BB264_280 Depth=1
	v_and_b32_e32 v23, 0x7f, v6
	v_cmp_ne_u32_e32 vcc, s25, v23
	v_mov_b32_e32 v21, 0x7c010000
	s_and_saveexec_b64 s[14:15], vcc
	s_cbranch_execz .LBB264_314
; %bb.313:                              ;   in Loop: Header=BB264_280 Depth=1
	v_and_b32_e32 v21, 7, v6
	v_ffbh_u32_e32 v34, v21
	v_min_u32_e32 v36, 32, v34
	v_subrev_u32_e32 v34, 28, v36
	v_lshlrev_b64 v[34:35], v34, v[6:7]
	v_lshrrev_b32_e32 v33, 3, v23
	v_sub_u32_e32 v35, 29, v36
	v_cmp_gt_u32_e32 vcc, 8, v23
	v_lshlrev_b32_e32 v6, 8, v6
	s_nop 0
	v_cndmask_b32_e32 v23, v33, v35, vcc
	v_lshl_add_u32 v23, v23, 10, v32
	v_and_b32_e32 v33, 7, v34
	v_and_or_b32 v6, v6, s29, v23
	v_cndmask_b32_e32 v21, v21, v33, vcc
	v_lshlrev_b32_e32 v6, 16, v6
	v_lshl_or_b32 v21, v21, 23, v6
.LBB264_314:                            ;   in Loop: Header=BB264_280 Depth=1
	s_or_b64 exec, exec, s[14:15]
.LBB264_315:                            ;   in Loop: Header=BB264_280 Depth=1
	s_or_b64 exec, exec, s[12:13]
.LBB264_316:                            ;   in Loop: Header=BB264_280 Depth=1
	s_or_b64 exec, exec, s[0:1]
	v_lshrrev_b32_e32 v6, 16, v17
	v_cmp_ne_u16_sdwa s[12:13], v6, v7 src0_sel:BYTE_0 src1_sel:DWORD
	s_and_saveexec_b64 s[0:1], s[12:13]
	s_cbranch_execz .LBB264_322
; %bb.317:                              ;   in Loop: Header=BB264_280 Depth=1
	v_cmp_ne_u16_sdwa s[14:15], v6, s24 src0_sel:BYTE_0 src1_sel:DWORD
	v_mov_b32_e32 v22, 0x8000
	s_and_saveexec_b64 s[12:13], s[14:15]
	s_cbranch_execz .LBB264_321
; %bb.318:                              ;   in Loop: Header=BB264_280 Depth=1
	v_bfe_u32 v23, v17, 16, 7
	v_cmp_ne_u32_e32 vcc, s25, v23
	v_mov_b32_e32 v22, 0x7c01
	s_and_saveexec_b64 s[14:15], vcc
	s_cbranch_execz .LBB264_320
; %bb.319:                              ;   in Loop: Header=BB264_280 Depth=1
	v_and_b32_e32 v22, 7, v6
	v_ffbh_u32_e32 v34, v22
	v_min_u32_e32 v36, 32, v34
	v_subrev_u32_e32 v34, 28, v36
	v_lshlrev_b64 v[34:35], v34, v[6:7]
	v_lshrrev_b32_e32 v33, 3, v23
	v_sub_u32_e32 v35, 29, v36
	v_cmp_gt_u32_e32 vcc, 8, v23
	v_lshlrev_b32_e32 v6, 8, v6
	s_nop 0
	v_cndmask_b32_e32 v23, v33, v35, vcc
	v_lshl_add_u32 v23, v23, 10, v32
	v_and_b32_e32 v33, 7, v34
	v_and_b32_e32 v23, 0xfc00, v23
	v_cndmask_b32_e32 v22, v22, v33, vcc
	v_and_or_b32 v6, v6, s29, v23
	v_lshl_or_b32 v22, v22, 7, v6
.LBB264_320:                            ;   in Loop: Header=BB264_280 Depth=1
	s_or_b64 exec, exec, s[14:15]
.LBB264_321:                            ;   in Loop: Header=BB264_280 Depth=1
	s_or_b64 exec, exec, s[12:13]
.LBB264_322:                            ;   in Loop: Header=BB264_280 Depth=1
	s_or_b64 exec, exec, s[0:1]
	v_cmp_lt_u64_e32 vcc, s[6:7], v[16:17]
	v_mov_b32_e32 v23, 0
	s_and_saveexec_b64 s[0:1], vcc
	s_cbranch_execz .LBB264_328
; %bb.323:                              ;   in Loop: Header=BB264_280 Depth=1
	v_lshrrev_b32_e32 v6, 24, v17
	v_cmp_ne_u32_e32 vcc, s24, v6
	v_bfrev_b32_e32 v23, 1
	s_and_saveexec_b64 s[12:13], vcc
	s_cbranch_execz .LBB264_327
; %bb.324:                              ;   in Loop: Header=BB264_280 Depth=1
	v_and_b32_e32 v16, 0x7f, v6
	v_cmp_ne_u32_e32 vcc, s25, v16
	v_mov_b32_e32 v23, 0x7c010000
	s_and_saveexec_b64 s[14:15], vcc
	s_cbranch_execz .LBB264_326
; %bb.325:                              ;   in Loop: Header=BB264_280 Depth=1
	v_and_b32_e32 v17, 7, v6
	v_ffbh_u32_e32 v33, v17
	v_min_u32_e32 v33, 32, v33
	v_lshrrev_b32_e32 v23, 3, v16
	v_subrev_u32_e32 v34, 28, v33
	v_sub_u32_e32 v33, 29, v33
	v_cmp_gt_u32_e32 vcc, 8, v16
	v_lshlrev_b64 v[34:35], v34, v[6:7]
	v_lshlrev_b32_e32 v6, 8, v6
	v_cndmask_b32_e32 v16, v23, v33, vcc
	v_lshl_add_u32 v16, v16, 10, v32
	v_and_b32_e32 v23, 7, v34
	v_and_or_b32 v6, v6, s29, v16
	v_cndmask_b32_e32 v17, v17, v23, vcc
	v_lshlrev_b32_e32 v6, 16, v6
	v_lshl_or_b32 v23, v17, 23, v6
.LBB264_326:                            ;   in Loop: Header=BB264_280 Depth=1
	s_or_b64 exec, exec, s[14:15]
.LBB264_327:                            ;   in Loop: Header=BB264_280 Depth=1
	s_or_b64 exec, exec, s[12:13]
.LBB264_328:                            ;   in Loop: Header=BB264_280 Depth=1
	s_or_b64 exec, exec, s[0:1]
	v_cvt_f32_f16_sdwa v17, v18 dst_sel:DWORD dst_unused:UNUSED_PAD src0_sel:WORD_1
	v_cvt_f32_f16_sdwa v16, v20 dst_sel:DWORD dst_unused:UNUSED_PAD src0_sel:WORD_1
	v_or_b32_e32 v1, v18, v1
	v_or_b32_e32 v6, v20, v15
	v_cvt_f32_f16_e32 v34, v6
	v_cvt_f32_f16_e32 v35, v1
	s_waitcnt vmcnt(0)
	v_pk_mul_f32 v[16:17], v[14:15], v[16:17] op_sel_hi:[0,1]
	v_cvt_pk_f16_f32 v1, v16, v17
	v_and_b32_e32 v15, 0xffff0000, v1
	v_pk_mul_f32 v[34:35], v[14:15], v[34:35] op_sel_hi:[0,1]
	v_or_b32_e32 v6, v21, v19
	v_or_b32_e32 v19, v23, v22
	v_lshlrev_b32_e32 v16, 16, v1
	v_cvt_pk_f16_f32 v1, v34, v35
	v_cvt_f32_f16_e32 v34, v19
	v_cvt_f32_f16_e32 v35, v6
	v_cvt_f32_f16_sdwa v21, v21 dst_sel:DWORD dst_unused:UNUSED_PAD src0_sel:WORD_1
	v_cvt_f32_f16_sdwa v20, v23 dst_sel:DWORD dst_unused:UNUSED_PAD src0_sel:WORD_1
	v_lshrrev_b32_e32 v17, 16, v1
	v_pk_mul_f32 v[22:23], v[14:15], v[34:35] op_sel_hi:[0,1]
	v_cvt_pk_f16_f32 v22, v22, v23
	v_pk_mul_f32 v[20:21], v[14:15], v[20:21] op_sel_hi:[0,1]
	v_cvt_pk_f16_f32 v14, v20, v21
	v_and_b32_e32 v18, 0xffff, v1
	v_and_b32_e32 v19, 0xffff0000, v14
	v_lshlrev_b32_e32 v14, 16, v14
	v_lshrrev_b32_e32 v23, 16, v22
	v_and_b32_e32 v22, 0xffff, v22
	v_cmp_eq_u32_e32 vcc, s26, v24
	v_or_b32_e32 v1, v15, v17
	v_or_b32_e32 v6, v16, v18
	;; [unrolled: 1-line block ×4, first 2 shown]
	v_add_u32_e32 v39, 2, v30
	v_or_b32_e32 v38, 1, v30
	v_or_b32_e32 v37, 3, v30
	;; [unrolled: 1-line block ×6, first 2 shown]
	s_and_saveexec_b64 s[12:13], vcc
	s_cbranch_execz .LBB264_330
; %bb.329:                              ;   in Loop: Header=BB264_280 Depth=1
	v_cmp_gt_i32_e64 s[0:1], s27, v30
	s_nop 1
	v_cndmask_b32_e64 v1, 0, v17, s[0:1]
	v_cmp_gt_i32_e64 s[0:1], s33, v39
	s_nop 1
	v_cndmask_b32_e64 v6, 0, v18, s[0:1]
	;; [unrolled: 3-line block ×3, first 2 shown]
	v_cmp_gt_i32_e64 s[0:1], s33, v37
	v_or_b32_e32 v1, v15, v1
	s_nop 0
	v_cndmask_b32_e64 v16, 0, v16, s[0:1]
	v_cmp_gt_i32_e64 s[0:1], s27, v36
	v_or_b32_e32 v6, v16, v6
	s_nop 0
	v_cndmask_b32_e64 v15, 0, v23, s[0:1]
	v_cmp_gt_i32_e64 s[0:1], s33, v35
	s_nop 1
	v_cndmask_b32_e64 v16, 0, v22, s[0:1]
	v_cmp_gt_i32_e64 s[0:1], s27, v34
	;; [unrolled: 3-line block ×3, first 2 shown]
	v_or_b32_e32 v21, v17, v15
	s_nop 0
	v_cndmask_b32_e64 v14, 0, v14, s[0:1]
	v_or_b32_e32 v20, v14, v16
.LBB264_330:                            ;   in Loop: Header=BB264_280 Depth=1
	s_or_b64 exec, exec, s[12:13]
	v_and_b32_e32 v14, 0xffff, v40
	v_lshl_or_b32 v43, v41, 16, v14
	v_and_b32_e32 v14, 0xffff, v42
	v_lshl_or_b32 v42, v44, 16, v14
	;; [unrolled: 2-line block ×3, first 2 shown]
	v_and_b32_e32 v14, 0xffff, v47
	;;#ASMSTART
	v_pk_mul_f16 v1, v43, v1;

	;;#ASMEND
	v_lshl_or_b32 v40, v48, 16, v14
	;;#ASMSTART
	v_pk_mul_f16 v6, v42, v6;

	;;#ASMEND
	;;#ASMSTART
	v_pk_mul_f16 v14, v41, v21;

	;;#ASMEND
	;; [unrolled: 4-line block ×3, first 2 shown]
	s_nop 0
	;;#ASMSTART
	v_pk_add_f16 v1, v1, v6;

	;;#ASMEND
	s_nop 0
	;;#ASMSTART
	v_pk_add_f16 v1, v1, v14;

	;;#ASMEND
	;; [unrolled: 5-line block ×3, first 2 shown]
	v_mov_b32_e32 v15, 0
	v_lshrrev_b32_e32 v6, 16, v1
	v_and_b32_e32 v1, 0xffff, v1
	;;#ASMSTART
	v_cvt_f32_f16 v44, v1;
	;;#ASMEND
	;;#ASMSTART
	v_cvt_f32_f16 v45, v6;
	;;#ASMEND
	global_load_dwordx2 v[16:17], v[12:13], off offset:512
	v_mov_b32_e32 v1, 0
	global_load_dword v14, v1, s[10:11]
	s_waitcnt vmcnt(1)
	v_cmp_ne_u16_sdwa s[0:1], v16, v7 src0_sel:BYTE_0 src1_sel:DWORD
	s_and_saveexec_b64 s[12:13], s[0:1]
	s_cbranch_execz .LBB264_336
; %bb.331:                              ;   in Loop: Header=BB264_280 Depth=1
	v_cmp_ne_u16_sdwa s[0:1], v16, s24 src0_sel:BYTE_0 src1_sel:DWORD
	v_mov_b32_e32 v15, 0x8000
	s_and_saveexec_b64 s[14:15], s[0:1]
	s_cbranch_execz .LBB264_335
; %bb.332:                              ;   in Loop: Header=BB264_280 Depth=1
	v_and_b32_e32 v6, 0x7f, v16
	v_cmp_ne_u32_e64 s[0:1], s25, v6
	v_mov_b32_e32 v15, 0x7c01
	s_and_saveexec_b64 s[22:23], s[0:1]
	s_cbranch_execz .LBB264_334
; %bb.333:                              ;   in Loop: Header=BB264_280 Depth=1
	v_and_b32_e32 v15, 7, v16
	v_ffbh_u32_e32 v18, v15
	v_min_u32_e32 v21, 32, v18
	v_subrev_u32_e32 v18, 28, v21
	v_lshlrev_b64 v[18:19], v18, v[16:17]
	v_lshrrev_b32_e32 v20, 3, v6
	v_sub_u32_e32 v19, 29, v21
	v_cmp_gt_u32_e64 s[0:1], 8, v6
	v_and_b32_e32 v18, 7, v18
	s_nop 0
	v_cndmask_b32_e64 v6, v20, v19, s[0:1]
	v_lshl_add_u32 v6, v6, 10, v32
	v_lshlrev_b32_e32 v19, 8, v16
	v_and_b32_e32 v6, 0xfc00, v6
	v_cndmask_b32_e64 v15, v15, v18, s[0:1]
	v_and_or_b32 v6, v19, s29, v6
	v_lshl_or_b32 v15, v15, 7, v6
.LBB264_334:                            ;   in Loop: Header=BB264_280 Depth=1
	s_or_b64 exec, exec, s[22:23]
.LBB264_335:                            ;   in Loop: Header=BB264_280 Depth=1
	s_or_b64 exec, exec, s[14:15]
.LBB264_336:                            ;   in Loop: Header=BB264_280 Depth=1
	s_or_b64 exec, exec, s[12:13]
	v_lshrrev_b16_e32 v6, 8, v16
	v_cmp_ne_u16_e64 s[0:1], 0, v6
	s_and_saveexec_b64 s[12:13], s[0:1]
	s_cbranch_execz .LBB264_342
; %bb.337:                              ;   in Loop: Header=BB264_280 Depth=1
	v_cmp_ne_u16_e64 s[0:1], s24, v6
	v_bfrev_b32_e32 v1, 1
	s_and_saveexec_b64 s[14:15], s[0:1]
	s_cbranch_execz .LBB264_341
; %bb.338:                              ;   in Loop: Header=BB264_280 Depth=1
	v_and_b32_e32 v18, 0x7f, v6
	v_cmp_ne_u32_e64 s[0:1], s25, v18
	v_mov_b32_e32 v1, 0x7c010000
	s_and_saveexec_b64 s[22:23], s[0:1]
	s_cbranch_execz .LBB264_340
; %bb.339:                              ;   in Loop: Header=BB264_280 Depth=1
	v_and_b32_e32 v1, 7, v6
	v_ffbh_u32_e32 v20, v1
	v_min_u32_e32 v22, 32, v20
	v_subrev_u32_e32 v20, 28, v22
	v_lshlrev_b64 v[20:21], v20, v[6:7]
	v_lshrrev_b32_e32 v19, 3, v18
	v_sub_u32_e32 v21, 29, v22
	v_cmp_gt_u32_e64 s[0:1], 8, v18
	v_lshlrev_b32_e32 v6, 8, v6
	s_nop 0
	v_cndmask_b32_e64 v18, v19, v21, s[0:1]
	v_lshl_add_u32 v18, v18, 10, v32
	v_and_b32_e32 v19, 7, v20
	v_and_or_b32 v6, v6, s29, v18
	v_cndmask_b32_e64 v1, v1, v19, s[0:1]
	v_lshlrev_b32_e32 v6, 16, v6
	v_lshl_or_b32 v1, v1, 23, v6
.LBB264_340:                            ;   in Loop: Header=BB264_280 Depth=1
	s_or_b64 exec, exec, s[22:23]
.LBB264_341:                            ;   in Loop: Header=BB264_280 Depth=1
	s_or_b64 exec, exec, s[14:15]
.LBB264_342:                            ;   in Loop: Header=BB264_280 Depth=1
	s_or_b64 exec, exec, s[12:13]
	v_lshrrev_b32_e32 v6, 16, v16
	v_cmp_ne_u16_sdwa s[0:1], v6, v7 src0_sel:BYTE_0 src1_sel:DWORD
	v_mov_b32_e32 v19, 0
	v_mov_b32_e32 v18, 0
	s_and_saveexec_b64 s[12:13], s[0:1]
	s_cbranch_execz .LBB264_348
; %bb.343:                              ;   in Loop: Header=BB264_280 Depth=1
	v_cmp_ne_u16_sdwa s[0:1], v6, s24 src0_sel:BYTE_0 src1_sel:DWORD
	v_mov_b32_e32 v18, 0x8000
	s_and_saveexec_b64 s[14:15], s[0:1]
	s_cbranch_execz .LBB264_347
; %bb.344:                              ;   in Loop: Header=BB264_280 Depth=1
	v_bfe_u32 v20, v16, 16, 7
	v_cmp_ne_u32_e64 s[0:1], s25, v20
	v_mov_b32_e32 v18, 0x7c01
	s_and_saveexec_b64 s[22:23], s[0:1]
	s_cbranch_execz .LBB264_346
; %bb.345:                              ;   in Loop: Header=BB264_280 Depth=1
	v_and_b32_e32 v18, 7, v6
	v_ffbh_u32_e32 v22, v18
	v_min_u32_e32 v46, 32, v22
	v_subrev_u32_e32 v22, 28, v46
	v_lshlrev_b64 v[22:23], v22, v[6:7]
	v_lshrrev_b32_e32 v21, 3, v20
	v_sub_u32_e32 v23, 29, v46
	v_cmp_gt_u32_e64 s[0:1], 8, v20
	v_lshlrev_b32_e32 v6, 8, v6
	s_nop 0
	v_cndmask_b32_e64 v20, v21, v23, s[0:1]
	v_lshl_add_u32 v20, v20, 10, v32
	v_and_b32_e32 v21, 7, v22
	v_and_b32_e32 v20, 0xfc00, v20
	v_cndmask_b32_e64 v18, v18, v21, s[0:1]
	v_and_or_b32 v6, v6, s29, v20
	v_lshl_or_b32 v18, v18, 7, v6
.LBB264_346:                            ;   in Loop: Header=BB264_280 Depth=1
	s_or_b64 exec, exec, s[22:23]
.LBB264_347:                            ;   in Loop: Header=BB264_280 Depth=1
	s_or_b64 exec, exec, s[14:15]
.LBB264_348:                            ;   in Loop: Header=BB264_280 Depth=1
	s_or_b64 exec, exec, s[12:13]
	v_cmp_lt_u32_e64 s[0:1], s7, v16
	s_and_saveexec_b64 s[12:13], s[0:1]
	s_cbranch_execz .LBB264_354
; %bb.349:                              ;   in Loop: Header=BB264_280 Depth=1
	v_lshrrev_b32_e32 v6, 24, v16
	v_cmp_ne_u32_e64 s[0:1], s24, v6
	v_bfrev_b32_e32 v19, 1
	s_and_saveexec_b64 s[14:15], s[0:1]
	s_cbranch_execz .LBB264_353
; %bb.350:                              ;   in Loop: Header=BB264_280 Depth=1
	v_and_b32_e32 v20, 0x7f, v6
	v_cmp_ne_u32_e64 s[0:1], s25, v20
	v_mov_b32_e32 v19, 0x7c010000
	s_and_saveexec_b64 s[22:23], s[0:1]
	s_cbranch_execz .LBB264_352
; %bb.351:                              ;   in Loop: Header=BB264_280 Depth=1
	v_and_b32_e32 v19, 7, v6
	v_ffbh_u32_e32 v22, v19
	v_min_u32_e32 v46, 32, v22
	v_subrev_u32_e32 v22, 28, v46
	v_lshlrev_b64 v[22:23], v22, v[6:7]
	v_lshrrev_b32_e32 v21, 3, v20
	v_sub_u32_e32 v23, 29, v46
	v_cmp_gt_u32_e64 s[0:1], 8, v20
	v_lshlrev_b32_e32 v6, 8, v6
	s_nop 0
	v_cndmask_b32_e64 v20, v21, v23, s[0:1]
	v_lshl_add_u32 v20, v20, 10, v32
	v_and_b32_e32 v21, 7, v22
	v_and_or_b32 v6, v6, s29, v20
	v_cndmask_b32_e64 v19, v19, v21, s[0:1]
	v_lshlrev_b32_e32 v6, 16, v6
	v_lshl_or_b32 v19, v19, 23, v6
.LBB264_352:                            ;   in Loop: Header=BB264_280 Depth=1
	s_or_b64 exec, exec, s[22:23]
.LBB264_353:                            ;   in Loop: Header=BB264_280 Depth=1
	s_or_b64 exec, exec, s[14:15]
.LBB264_354:                            ;   in Loop: Header=BB264_280 Depth=1
	s_or_b64 exec, exec, s[12:13]
	v_mov_b32_e32 v6, v17
	v_cmp_ne_u16_sdwa s[0:1], v17, v7 src0_sel:BYTE_0 src1_sel:DWORD
	v_mov_b32_e32 v20, 0
	v_mov_b32_e32 v21, 0
	s_and_saveexec_b64 s[12:13], s[0:1]
	s_cbranch_execz .LBB264_360
; %bb.355:                              ;   in Loop: Header=BB264_280 Depth=1
	v_cmp_ne_u16_sdwa s[0:1], v17, s24 src0_sel:BYTE_0 src1_sel:DWORD
	v_mov_b32_e32 v21, 0x8000
	s_and_saveexec_b64 s[14:15], s[0:1]
	s_cbranch_execz .LBB264_359
; %bb.356:                              ;   in Loop: Header=BB264_280 Depth=1
	v_and_b32_e32 v22, 0x7f, v17
	v_cmp_ne_u32_e64 s[0:1], s25, v22
	v_mov_b32_e32 v21, 0x7c01
	s_and_saveexec_b64 s[22:23], s[0:1]
	s_cbranch_execz .LBB264_358
; %bb.357:                              ;   in Loop: Header=BB264_280 Depth=1
	v_and_b32_e32 v21, 7, v17
	v_ffbh_u32_e32 v46, v21
	v_min_u32_e32 v48, 32, v46
	v_subrev_u32_e32 v46, 28, v48
	v_lshlrev_b64 v[46:47], v46, v[6:7]
	v_lshrrev_b32_e32 v23, 3, v22
	v_sub_u32_e32 v47, 29, v48
	v_cmp_gt_u32_e64 s[0:1], 8, v22
	v_and_b32_e32 v46, 7, v46
	s_nop 0
	v_cndmask_b32_e64 v22, v23, v47, s[0:1]
	v_lshl_add_u32 v22, v22, 10, v32
	v_lshlrev_b32_e32 v23, 8, v17
	v_and_b32_e32 v22, 0xfc00, v22
	v_cndmask_b32_e64 v21, v21, v46, s[0:1]
	v_and_or_b32 v22, v23, s29, v22
	v_lshl_or_b32 v21, v21, 7, v22
.LBB264_358:                            ;   in Loop: Header=BB264_280 Depth=1
	s_or_b64 exec, exec, s[22:23]
.LBB264_359:                            ;   in Loop: Header=BB264_280 Depth=1
	s_or_b64 exec, exec, s[14:15]
.LBB264_360:                            ;   in Loop: Header=BB264_280 Depth=1
	s_or_b64 exec, exec, s[12:13]
	v_lshrrev_b16_e32 v6, 8, v6
	v_cmp_ne_u16_e64 s[0:1], 0, v6
	v_mov_b32_e32 v22, 0
	s_and_saveexec_b64 s[12:13], s[0:1]
	s_cbranch_execz .LBB264_366
; %bb.361:                              ;   in Loop: Header=BB264_280 Depth=1
	v_cmp_ne_u16_e64 s[0:1], s24, v6
	v_bfrev_b32_e32 v22, 1
	s_and_saveexec_b64 s[14:15], s[0:1]
	s_cbranch_execz .LBB264_365
; %bb.362:                              ;   in Loop: Header=BB264_280 Depth=1
	v_and_b32_e32 v23, 0x7f, v6
	v_cmp_ne_u32_e64 s[0:1], s25, v23
	v_mov_b32_e32 v22, 0x7c010000
	s_and_saveexec_b64 s[22:23], s[0:1]
	s_cbranch_execz .LBB264_364
; %bb.363:                              ;   in Loop: Header=BB264_280 Depth=1
	v_and_b32_e32 v22, 7, v6
	v_ffbh_u32_e32 v46, v22
	v_min_u32_e32 v49, 32, v46
	v_subrev_u32_e32 v46, 28, v49
	v_lshlrev_b64 v[46:47], v46, v[6:7]
	v_lshrrev_b32_e32 v48, 3, v23
	v_sub_u32_e32 v47, 29, v49
	v_cmp_gt_u32_e64 s[0:1], 8, v23
	v_lshlrev_b32_e32 v6, 8, v6
	v_and_b32_e32 v46, 7, v46
	v_cndmask_b32_e64 v23, v48, v47, s[0:1]
	v_lshl_add_u32 v23, v23, 10, v32
	v_and_or_b32 v6, v6, s29, v23
	v_cndmask_b32_e64 v22, v22, v46, s[0:1]
	v_lshlrev_b32_e32 v6, 16, v6
	v_lshl_or_b32 v22, v22, 23, v6
.LBB264_364:                            ;   in Loop: Header=BB264_280 Depth=1
	s_or_b64 exec, exec, s[22:23]
.LBB264_365:                            ;   in Loop: Header=BB264_280 Depth=1
	s_or_b64 exec, exec, s[14:15]
.LBB264_366:                            ;   in Loop: Header=BB264_280 Depth=1
	s_or_b64 exec, exec, s[12:13]
	v_lshrrev_b32_e32 v6, 16, v17
	v_cmp_ne_u16_sdwa s[0:1], v6, v7 src0_sel:BYTE_0 src1_sel:DWORD
	s_and_saveexec_b64 s[12:13], s[0:1]
	s_cbranch_execz .LBB264_372
; %bb.367:                              ;   in Loop: Header=BB264_280 Depth=1
	v_cmp_ne_u16_sdwa s[0:1], v6, s24 src0_sel:BYTE_0 src1_sel:DWORD
	v_mov_b32_e32 v20, 0x8000
	s_and_saveexec_b64 s[14:15], s[0:1]
	s_cbranch_execz .LBB264_371
; %bb.368:                              ;   in Loop: Header=BB264_280 Depth=1
	v_bfe_u32 v23, v17, 16, 7
	v_cmp_ne_u32_e64 s[0:1], s25, v23
	v_mov_b32_e32 v20, 0x7c01
	s_and_saveexec_b64 s[22:23], s[0:1]
	s_cbranch_execz .LBB264_370
; %bb.369:                              ;   in Loop: Header=BB264_280 Depth=1
	v_and_b32_e32 v20, 7, v6
	v_ffbh_u32_e32 v46, v20
	v_min_u32_e32 v49, 32, v46
	v_subrev_u32_e32 v46, 28, v49
	v_lshlrev_b64 v[46:47], v46, v[6:7]
	v_lshrrev_b32_e32 v48, 3, v23
	v_sub_u32_e32 v47, 29, v49
	v_cmp_gt_u32_e64 s[0:1], 8, v23
	v_lshlrev_b32_e32 v6, 8, v6
	v_and_b32_e32 v46, 7, v46
	v_cndmask_b32_e64 v23, v48, v47, s[0:1]
	v_lshl_add_u32 v23, v23, 10, v32
	v_and_b32_e32 v23, 0xfc00, v23
	v_cndmask_b32_e64 v20, v20, v46, s[0:1]
	v_and_or_b32 v6, v6, s29, v23
	v_lshl_or_b32 v20, v20, 7, v6
.LBB264_370:                            ;   in Loop: Header=BB264_280 Depth=1
	s_or_b64 exec, exec, s[22:23]
.LBB264_371:                            ;   in Loop: Header=BB264_280 Depth=1
	s_or_b64 exec, exec, s[14:15]
.LBB264_372:                            ;   in Loop: Header=BB264_280 Depth=1
	s_or_b64 exec, exec, s[12:13]
	v_cmp_lt_u64_e64 s[0:1], s[6:7], v[16:17]
	v_mov_b32_e32 v16, 0
	s_and_saveexec_b64 s[12:13], s[0:1]
	s_cbranch_execz .LBB264_378
; %bb.373:                              ;   in Loop: Header=BB264_280 Depth=1
	v_lshrrev_b32_e32 v6, 24, v17
	v_cmp_ne_u32_e64 s[0:1], s24, v6
	v_bfrev_b32_e32 v16, 1
	s_and_saveexec_b64 s[14:15], s[0:1]
	s_cbranch_execz .LBB264_377
; %bb.374:                              ;   in Loop: Header=BB264_280 Depth=1
	v_and_b32_e32 v17, 0x7f, v6
	v_cmp_ne_u32_e64 s[0:1], s25, v17
	v_mov_b32_e32 v16, 0x7c010000
	s_and_saveexec_b64 s[22:23], s[0:1]
	s_cbranch_execz .LBB264_376
; %bb.375:                              ;   in Loop: Header=BB264_280 Depth=1
	v_and_b32_e32 v16, 7, v6
	v_ffbh_u32_e32 v46, v16
	v_min_u32_e32 v48, 32, v46
	v_subrev_u32_e32 v46, 28, v48
	v_lshlrev_b64 v[46:47], v46, v[6:7]
	v_lshrrev_b32_e32 v23, 3, v17
	v_sub_u32_e32 v47, 29, v48
	v_cmp_gt_u32_e64 s[0:1], 8, v17
	v_lshlrev_b32_e32 v6, 8, v6
	s_nop 0
	v_cndmask_b32_e64 v17, v23, v47, s[0:1]
	v_lshl_add_u32 v17, v17, 10, v32
	v_and_b32_e32 v23, 7, v46
	v_and_or_b32 v6, v6, s29, v17
	v_cndmask_b32_e64 v16, v16, v23, s[0:1]
	v_lshlrev_b32_e32 v6, 16, v6
	v_lshl_or_b32 v16, v16, 23, v6
.LBB264_376:                            ;   in Loop: Header=BB264_280 Depth=1
	s_or_b64 exec, exec, s[22:23]
.LBB264_377:                            ;   in Loop: Header=BB264_280 Depth=1
	s_or_b64 exec, exec, s[14:15]
.LBB264_378:                            ;   in Loop: Header=BB264_280 Depth=1
	s_or_b64 exec, exec, s[12:13]
	v_cvt_f32_f16_sdwa v47, v1 dst_sel:DWORD dst_unused:UNUSED_PAD src0_sel:WORD_1
	v_cvt_f32_f16_sdwa v46, v19 dst_sel:DWORD dst_unused:UNUSED_PAD src0_sel:WORD_1
	v_or_b32_e32 v1, v1, v15
	v_or_b32_e32 v6, v19, v18
	v_or_b32_e32 v20, v16, v20
	s_waitcnt vmcnt(0)
	v_pk_mul_f32 v[18:19], v[14:15], v[46:47] op_sel_hi:[0,1]
	v_cvt_f32_f16_e32 v46, v6
	v_cvt_f32_f16_e32 v47, v1
	v_cvt_pk_f16_f32 v1, v18, v19
	v_and_b32_e32 v15, 0xffff0000, v1
	v_lshlrev_b32_e32 v6, 16, v1
	v_pk_mul_f32 v[18:19], v[14:15], v[46:47] op_sel_hi:[0,1]
	v_cvt_pk_f16_f32 v1, v18, v19
	v_or_b32_e32 v19, v22, v21
	v_cvt_f32_f16_e32 v20, v20
	v_cvt_f32_f16_e32 v21, v19
	v_cvt_f32_f16_sdwa v23, v22 dst_sel:DWORD dst_unused:UNUSED_PAD src0_sel:WORD_1
	v_cvt_f32_f16_sdwa v22, v16 dst_sel:DWORD dst_unused:UNUSED_PAD src0_sel:WORD_1
	v_lshrrev_b32_e32 v17, 16, v1
	v_pk_mul_f32 v[20:21], v[14:15], v[20:21] op_sel_hi:[0,1]
	v_cvt_pk_f16_f32 v46, v20, v21
	v_pk_mul_f32 v[20:21], v[14:15], v[22:23] op_sel_hi:[0,1]
	v_cvt_pk_f16_f32 v14, v20, v21
	v_and_b32_e32 v18, 0xffff, v1
	v_and_b32_e32 v19, 0xffff0000, v14
	v_lshlrev_b32_e32 v14, 16, v14
	v_lshrrev_b32_e32 v21, 16, v46
	v_and_b32_e32 v20, 0xffff, v46
	v_or_b32_e32 v1, v15, v17
	v_or_b32_e32 v16, v6, v18
	;; [unrolled: 1-line block ×4, first 2 shown]
	s_and_saveexec_b64 s[12:13], vcc
	s_cbranch_execz .LBB264_380
; %bb.379:                              ;   in Loop: Header=BB264_280 Depth=1
	v_cmp_gt_i32_e64 s[0:1], s27, v30
	s_nop 1
	v_cndmask_b32_e64 v1, 0, v17, s[0:1]
	v_cmp_gt_i32_e64 s[0:1], s33, v39
	s_nop 1
	v_cndmask_b32_e64 v16, 0, v18, s[0:1]
	;; [unrolled: 3-line block ×3, first 2 shown]
	v_cmp_gt_i32_e64 s[0:1], s33, v37
	v_or_b32_e32 v1, v15, v1
	s_nop 0
	v_cndmask_b32_e64 v6, 0, v6, s[0:1]
	v_cmp_gt_i32_e64 s[0:1], s27, v36
	v_or_b32_e32 v16, v6, v16
	s_nop 0
	v_cndmask_b32_e64 v6, 0, v21, s[0:1]
	v_cmp_gt_i32_e64 s[0:1], s33, v35
	s_nop 1
	v_cndmask_b32_e64 v15, 0, v20, s[0:1]
	v_cmp_gt_i32_e64 s[0:1], s27, v34
	;; [unrolled: 3-line block ×3, first 2 shown]
	v_or_b32_e32 v23, v17, v6
	s_nop 0
	v_cndmask_b32_e64 v14, 0, v14, s[0:1]
	v_or_b32_e32 v22, v14, v15
.LBB264_380:                            ;   in Loop: Header=BB264_280 Depth=1
	s_or_b64 exec, exec, s[12:13]
	;;#ASMSTART
	v_pk_mul_f16 v1, v43, v1;

	;;#ASMEND
	;;#ASMSTART
	v_pk_mul_f16 v6, v42, v16;

	;;#ASMEND
	;; [unrolled: 4-line block ×4, first 2 shown]
	s_nop 0
	;;#ASMSTART
	v_pk_add_f16 v1, v1, v6;

	;;#ASMEND
	s_nop 0
	;;#ASMSTART
	v_pk_add_f16 v1, v1, v14;

	;;#ASMEND
	;; [unrolled: 5-line block ×3, first 2 shown]
	v_mov_b32_e32 v15, 0
	v_lshrrev_b32_e32 v6, 16, v1
	v_and_b32_e32 v1, 0xffff, v1
	;;#ASMSTART
	v_cvt_f32_f16 v46, v1;
	;;#ASMEND
	;;#ASMSTART
	v_cvt_f32_f16 v47, v6;
	;;#ASMEND
	global_load_dwordx2 v[16:17], v[12:13], off offset:1024
	v_mov_b32_e32 v1, 0
	global_load_dword v14, v1, s[10:11]
	s_waitcnt vmcnt(1)
	v_cmp_ne_u16_sdwa s[0:1], v16, v7 src0_sel:BYTE_0 src1_sel:DWORD
	s_and_saveexec_b64 s[12:13], s[0:1]
	s_cbranch_execz .LBB264_386
; %bb.381:                              ;   in Loop: Header=BB264_280 Depth=1
	v_cmp_ne_u16_sdwa s[0:1], v16, s24 src0_sel:BYTE_0 src1_sel:DWORD
	v_mov_b32_e32 v15, 0x8000
	s_and_saveexec_b64 s[14:15], s[0:1]
	s_cbranch_execz .LBB264_385
; %bb.382:                              ;   in Loop: Header=BB264_280 Depth=1
	v_and_b32_e32 v6, 0x7f, v16
	v_cmp_ne_u32_e64 s[0:1], s25, v6
	v_mov_b32_e32 v15, 0x7c01
	s_and_saveexec_b64 s[22:23], s[0:1]
	s_cbranch_execz .LBB264_384
; %bb.383:                              ;   in Loop: Header=BB264_280 Depth=1
	v_and_b32_e32 v15, 7, v16
	v_ffbh_u32_e32 v18, v15
	v_min_u32_e32 v21, 32, v18
	v_subrev_u32_e32 v18, 28, v21
	v_lshlrev_b64 v[18:19], v18, v[16:17]
	v_lshrrev_b32_e32 v20, 3, v6
	v_sub_u32_e32 v19, 29, v21
	v_cmp_gt_u32_e64 s[0:1], 8, v6
	v_and_b32_e32 v18, 7, v18
	s_nop 0
	v_cndmask_b32_e64 v6, v20, v19, s[0:1]
	v_lshl_add_u32 v6, v6, 10, v32
	v_lshlrev_b32_e32 v19, 8, v16
	v_and_b32_e32 v6, 0xfc00, v6
	v_cndmask_b32_e64 v15, v15, v18, s[0:1]
	v_and_or_b32 v6, v19, s29, v6
	v_lshl_or_b32 v15, v15, 7, v6
.LBB264_384:                            ;   in Loop: Header=BB264_280 Depth=1
	s_or_b64 exec, exec, s[22:23]
.LBB264_385:                            ;   in Loop: Header=BB264_280 Depth=1
	s_or_b64 exec, exec, s[14:15]
.LBB264_386:                            ;   in Loop: Header=BB264_280 Depth=1
	s_or_b64 exec, exec, s[12:13]
	v_lshrrev_b16_e32 v6, 8, v16
	v_cmp_ne_u16_e64 s[0:1], 0, v6
	s_and_saveexec_b64 s[12:13], s[0:1]
	s_cbranch_execz .LBB264_392
; %bb.387:                              ;   in Loop: Header=BB264_280 Depth=1
	v_cmp_ne_u16_e64 s[0:1], s24, v6
	v_bfrev_b32_e32 v1, 1
	s_and_saveexec_b64 s[14:15], s[0:1]
	s_cbranch_execz .LBB264_391
; %bb.388:                              ;   in Loop: Header=BB264_280 Depth=1
	v_and_b32_e32 v18, 0x7f, v6
	v_cmp_ne_u32_e64 s[0:1], s25, v18
	v_mov_b32_e32 v1, 0x7c010000
	s_and_saveexec_b64 s[22:23], s[0:1]
	s_cbranch_execz .LBB264_390
; %bb.389:                              ;   in Loop: Header=BB264_280 Depth=1
	v_and_b32_e32 v1, 7, v6
	v_ffbh_u32_e32 v20, v1
	v_min_u32_e32 v22, 32, v20
	v_subrev_u32_e32 v20, 28, v22
	v_lshlrev_b64 v[20:21], v20, v[6:7]
	v_lshrrev_b32_e32 v19, 3, v18
	v_sub_u32_e32 v21, 29, v22
	v_cmp_gt_u32_e64 s[0:1], 8, v18
	v_lshlrev_b32_e32 v6, 8, v6
	s_nop 0
	v_cndmask_b32_e64 v18, v19, v21, s[0:1]
	v_lshl_add_u32 v18, v18, 10, v32
	v_and_b32_e32 v19, 7, v20
	v_and_or_b32 v6, v6, s29, v18
	v_cndmask_b32_e64 v1, v1, v19, s[0:1]
	v_lshlrev_b32_e32 v6, 16, v6
	v_lshl_or_b32 v1, v1, 23, v6
.LBB264_390:                            ;   in Loop: Header=BB264_280 Depth=1
	s_or_b64 exec, exec, s[22:23]
.LBB264_391:                            ;   in Loop: Header=BB264_280 Depth=1
	s_or_b64 exec, exec, s[14:15]
.LBB264_392:                            ;   in Loop: Header=BB264_280 Depth=1
	s_or_b64 exec, exec, s[12:13]
	v_lshrrev_b32_e32 v6, 16, v16
	v_cmp_ne_u16_sdwa s[0:1], v6, v7 src0_sel:BYTE_0 src1_sel:DWORD
	v_mov_b32_e32 v19, 0
	v_mov_b32_e32 v18, 0
	s_and_saveexec_b64 s[12:13], s[0:1]
	s_cbranch_execz .LBB264_398
; %bb.393:                              ;   in Loop: Header=BB264_280 Depth=1
	v_cmp_ne_u16_sdwa s[0:1], v6, s24 src0_sel:BYTE_0 src1_sel:DWORD
	v_mov_b32_e32 v18, 0x8000
	s_and_saveexec_b64 s[14:15], s[0:1]
	s_cbranch_execz .LBB264_397
; %bb.394:                              ;   in Loop: Header=BB264_280 Depth=1
	v_bfe_u32 v20, v16, 16, 7
	v_cmp_ne_u32_e64 s[0:1], s25, v20
	v_mov_b32_e32 v18, 0x7c01
	s_and_saveexec_b64 s[22:23], s[0:1]
	s_cbranch_execz .LBB264_396
; %bb.395:                              ;   in Loop: Header=BB264_280 Depth=1
	v_and_b32_e32 v18, 7, v6
	v_ffbh_u32_e32 v22, v18
	v_min_u32_e32 v48, 32, v22
	v_subrev_u32_e32 v22, 28, v48
	v_lshlrev_b64 v[22:23], v22, v[6:7]
	v_lshrrev_b32_e32 v21, 3, v20
	v_sub_u32_e32 v23, 29, v48
	v_cmp_gt_u32_e64 s[0:1], 8, v20
	v_lshlrev_b32_e32 v6, 8, v6
	s_nop 0
	v_cndmask_b32_e64 v20, v21, v23, s[0:1]
	v_lshl_add_u32 v20, v20, 10, v32
	v_and_b32_e32 v21, 7, v22
	v_and_b32_e32 v20, 0xfc00, v20
	v_cndmask_b32_e64 v18, v18, v21, s[0:1]
	v_and_or_b32 v6, v6, s29, v20
	v_lshl_or_b32 v18, v18, 7, v6
.LBB264_396:                            ;   in Loop: Header=BB264_280 Depth=1
	s_or_b64 exec, exec, s[22:23]
.LBB264_397:                            ;   in Loop: Header=BB264_280 Depth=1
	s_or_b64 exec, exec, s[14:15]
.LBB264_398:                            ;   in Loop: Header=BB264_280 Depth=1
	s_or_b64 exec, exec, s[12:13]
	v_cmp_lt_u32_e64 s[0:1], s7, v16
	s_and_saveexec_b64 s[12:13], s[0:1]
	s_cbranch_execz .LBB264_404
; %bb.399:                              ;   in Loop: Header=BB264_280 Depth=1
	v_lshrrev_b32_e32 v6, 24, v16
	v_cmp_ne_u32_e64 s[0:1], s24, v6
	v_bfrev_b32_e32 v19, 1
	s_and_saveexec_b64 s[14:15], s[0:1]
	s_cbranch_execz .LBB264_403
; %bb.400:                              ;   in Loop: Header=BB264_280 Depth=1
	v_and_b32_e32 v20, 0x7f, v6
	v_cmp_ne_u32_e64 s[0:1], s25, v20
	v_mov_b32_e32 v19, 0x7c010000
	s_and_saveexec_b64 s[22:23], s[0:1]
	s_cbranch_execz .LBB264_402
; %bb.401:                              ;   in Loop: Header=BB264_280 Depth=1
	v_and_b32_e32 v19, 7, v6
	v_ffbh_u32_e32 v22, v19
	v_min_u32_e32 v48, 32, v22
	v_subrev_u32_e32 v22, 28, v48
	v_lshlrev_b64 v[22:23], v22, v[6:7]
	v_lshrrev_b32_e32 v21, 3, v20
	v_sub_u32_e32 v23, 29, v48
	v_cmp_gt_u32_e64 s[0:1], 8, v20
	v_lshlrev_b32_e32 v6, 8, v6
	s_nop 0
	v_cndmask_b32_e64 v20, v21, v23, s[0:1]
	v_lshl_add_u32 v20, v20, 10, v32
	v_and_b32_e32 v21, 7, v22
	v_and_or_b32 v6, v6, s29, v20
	v_cndmask_b32_e64 v19, v19, v21, s[0:1]
	v_lshlrev_b32_e32 v6, 16, v6
	v_lshl_or_b32 v19, v19, 23, v6
.LBB264_402:                            ;   in Loop: Header=BB264_280 Depth=1
	s_or_b64 exec, exec, s[22:23]
.LBB264_403:                            ;   in Loop: Header=BB264_280 Depth=1
	s_or_b64 exec, exec, s[14:15]
.LBB264_404:                            ;   in Loop: Header=BB264_280 Depth=1
	s_or_b64 exec, exec, s[12:13]
	v_mov_b32_e32 v6, v17
	v_cmp_ne_u16_sdwa s[0:1], v17, v7 src0_sel:BYTE_0 src1_sel:DWORD
	v_mov_b32_e32 v20, 0
	v_mov_b32_e32 v21, 0
	s_and_saveexec_b64 s[12:13], s[0:1]
	s_cbranch_execz .LBB264_410
; %bb.405:                              ;   in Loop: Header=BB264_280 Depth=1
	v_cmp_ne_u16_sdwa s[0:1], v17, s24 src0_sel:BYTE_0 src1_sel:DWORD
	v_mov_b32_e32 v21, 0x8000
	s_and_saveexec_b64 s[14:15], s[0:1]
	s_cbranch_execz .LBB264_409
; %bb.406:                              ;   in Loop: Header=BB264_280 Depth=1
	v_and_b32_e32 v22, 0x7f, v17
	v_cmp_ne_u32_e64 s[0:1], s25, v22
	v_mov_b32_e32 v21, 0x7c01
	s_and_saveexec_b64 s[22:23], s[0:1]
	s_cbranch_execz .LBB264_408
; %bb.407:                              ;   in Loop: Header=BB264_280 Depth=1
	v_and_b32_e32 v21, 7, v17
	v_ffbh_u32_e32 v48, v21
	v_min_u32_e32 v50, 32, v48
	v_subrev_u32_e32 v48, 28, v50
	v_lshlrev_b64 v[48:49], v48, v[6:7]
	v_lshrrev_b32_e32 v23, 3, v22
	v_sub_u32_e32 v49, 29, v50
	v_cmp_gt_u32_e64 s[0:1], 8, v22
	v_and_b32_e32 v48, 7, v48
	s_nop 0
	v_cndmask_b32_e64 v22, v23, v49, s[0:1]
	v_lshl_add_u32 v22, v22, 10, v32
	v_lshlrev_b32_e32 v23, 8, v17
	v_and_b32_e32 v22, 0xfc00, v22
	v_cndmask_b32_e64 v21, v21, v48, s[0:1]
	v_and_or_b32 v22, v23, s29, v22
	v_lshl_or_b32 v21, v21, 7, v22
.LBB264_408:                            ;   in Loop: Header=BB264_280 Depth=1
	s_or_b64 exec, exec, s[22:23]
.LBB264_409:                            ;   in Loop: Header=BB264_280 Depth=1
	s_or_b64 exec, exec, s[14:15]
.LBB264_410:                            ;   in Loop: Header=BB264_280 Depth=1
	s_or_b64 exec, exec, s[12:13]
	v_lshrrev_b16_e32 v6, 8, v6
	v_cmp_ne_u16_e64 s[0:1], 0, v6
	v_mov_b32_e32 v22, 0
	s_and_saveexec_b64 s[12:13], s[0:1]
	s_cbranch_execz .LBB264_416
; %bb.411:                              ;   in Loop: Header=BB264_280 Depth=1
	v_cmp_ne_u16_e64 s[0:1], s24, v6
	v_bfrev_b32_e32 v22, 1
	s_and_saveexec_b64 s[14:15], s[0:1]
	s_cbranch_execz .LBB264_415
; %bb.412:                              ;   in Loop: Header=BB264_280 Depth=1
	v_and_b32_e32 v23, 0x7f, v6
	v_cmp_ne_u32_e64 s[0:1], s25, v23
	v_mov_b32_e32 v22, 0x7c010000
	s_and_saveexec_b64 s[22:23], s[0:1]
	s_cbranch_execz .LBB264_414
; %bb.413:                              ;   in Loop: Header=BB264_280 Depth=1
	v_and_b32_e32 v22, 7, v6
	v_ffbh_u32_e32 v48, v22
	v_min_u32_e32 v51, 32, v48
	v_subrev_u32_e32 v48, 28, v51
	v_lshlrev_b64 v[48:49], v48, v[6:7]
	v_lshrrev_b32_e32 v50, 3, v23
	v_sub_u32_e32 v49, 29, v51
	v_cmp_gt_u32_e64 s[0:1], 8, v23
	v_lshlrev_b32_e32 v6, 8, v6
	v_and_b32_e32 v48, 7, v48
	v_cndmask_b32_e64 v23, v50, v49, s[0:1]
	v_lshl_add_u32 v23, v23, 10, v32
	v_and_or_b32 v6, v6, s29, v23
	v_cndmask_b32_e64 v22, v22, v48, s[0:1]
	v_lshlrev_b32_e32 v6, 16, v6
	v_lshl_or_b32 v22, v22, 23, v6
.LBB264_414:                            ;   in Loop: Header=BB264_280 Depth=1
	s_or_b64 exec, exec, s[22:23]
.LBB264_415:                            ;   in Loop: Header=BB264_280 Depth=1
	s_or_b64 exec, exec, s[14:15]
.LBB264_416:                            ;   in Loop: Header=BB264_280 Depth=1
	s_or_b64 exec, exec, s[12:13]
	v_lshrrev_b32_e32 v6, 16, v17
	v_cmp_ne_u16_sdwa s[0:1], v6, v7 src0_sel:BYTE_0 src1_sel:DWORD
	s_and_saveexec_b64 s[12:13], s[0:1]
	s_cbranch_execz .LBB264_422
; %bb.417:                              ;   in Loop: Header=BB264_280 Depth=1
	v_cmp_ne_u16_sdwa s[0:1], v6, s24 src0_sel:BYTE_0 src1_sel:DWORD
	v_mov_b32_e32 v20, 0x8000
	s_and_saveexec_b64 s[14:15], s[0:1]
	s_cbranch_execz .LBB264_421
; %bb.418:                              ;   in Loop: Header=BB264_280 Depth=1
	v_bfe_u32 v23, v17, 16, 7
	v_cmp_ne_u32_e64 s[0:1], s25, v23
	v_mov_b32_e32 v20, 0x7c01
	s_and_saveexec_b64 s[22:23], s[0:1]
	s_cbranch_execz .LBB264_420
; %bb.419:                              ;   in Loop: Header=BB264_280 Depth=1
	v_and_b32_e32 v20, 7, v6
	v_ffbh_u32_e32 v48, v20
	v_min_u32_e32 v51, 32, v48
	v_subrev_u32_e32 v48, 28, v51
	v_lshlrev_b64 v[48:49], v48, v[6:7]
	v_lshrrev_b32_e32 v50, 3, v23
	v_sub_u32_e32 v49, 29, v51
	v_cmp_gt_u32_e64 s[0:1], 8, v23
	v_lshlrev_b32_e32 v6, 8, v6
	v_and_b32_e32 v48, 7, v48
	v_cndmask_b32_e64 v23, v50, v49, s[0:1]
	v_lshl_add_u32 v23, v23, 10, v32
	v_and_b32_e32 v23, 0xfc00, v23
	v_cndmask_b32_e64 v20, v20, v48, s[0:1]
	v_and_or_b32 v6, v6, s29, v23
	v_lshl_or_b32 v20, v20, 7, v6
.LBB264_420:                            ;   in Loop: Header=BB264_280 Depth=1
	s_or_b64 exec, exec, s[22:23]
.LBB264_421:                            ;   in Loop: Header=BB264_280 Depth=1
	s_or_b64 exec, exec, s[14:15]
.LBB264_422:                            ;   in Loop: Header=BB264_280 Depth=1
	s_or_b64 exec, exec, s[12:13]
	v_cmp_lt_u64_e64 s[0:1], s[6:7], v[16:17]
	v_mov_b32_e32 v16, 0
	s_and_saveexec_b64 s[12:13], s[0:1]
	s_cbranch_execz .LBB264_428
; %bb.423:                              ;   in Loop: Header=BB264_280 Depth=1
	v_lshrrev_b32_e32 v6, 24, v17
	v_cmp_ne_u32_e64 s[0:1], s24, v6
	v_bfrev_b32_e32 v16, 1
	s_and_saveexec_b64 s[14:15], s[0:1]
	s_cbranch_execz .LBB264_427
; %bb.424:                              ;   in Loop: Header=BB264_280 Depth=1
	v_and_b32_e32 v17, 0x7f, v6
	v_cmp_ne_u32_e64 s[0:1], s25, v17
	v_mov_b32_e32 v16, 0x7c010000
	s_and_saveexec_b64 s[22:23], s[0:1]
	s_cbranch_execz .LBB264_426
; %bb.425:                              ;   in Loop: Header=BB264_280 Depth=1
	v_and_b32_e32 v16, 7, v6
	v_ffbh_u32_e32 v48, v16
	v_min_u32_e32 v50, 32, v48
	v_subrev_u32_e32 v48, 28, v50
	v_lshlrev_b64 v[48:49], v48, v[6:7]
	v_lshrrev_b32_e32 v23, 3, v17
	v_sub_u32_e32 v49, 29, v50
	v_cmp_gt_u32_e64 s[0:1], 8, v17
	v_lshlrev_b32_e32 v6, 8, v6
	s_nop 0
	v_cndmask_b32_e64 v17, v23, v49, s[0:1]
	v_lshl_add_u32 v17, v17, 10, v32
	v_and_b32_e32 v23, 7, v48
	v_and_or_b32 v6, v6, s29, v17
	v_cndmask_b32_e64 v16, v16, v23, s[0:1]
	v_lshlrev_b32_e32 v6, 16, v6
	v_lshl_or_b32 v16, v16, 23, v6
.LBB264_426:                            ;   in Loop: Header=BB264_280 Depth=1
	s_or_b64 exec, exec, s[22:23]
.LBB264_427:                            ;   in Loop: Header=BB264_280 Depth=1
	s_or_b64 exec, exec, s[14:15]
.LBB264_428:                            ;   in Loop: Header=BB264_280 Depth=1
	s_or_b64 exec, exec, s[12:13]
	v_cvt_f32_f16_sdwa v49, v1 dst_sel:DWORD dst_unused:UNUSED_PAD src0_sel:WORD_1
	v_cvt_f32_f16_sdwa v48, v19 dst_sel:DWORD dst_unused:UNUSED_PAD src0_sel:WORD_1
	v_or_b32_e32 v1, v1, v15
	v_or_b32_e32 v6, v19, v18
	;; [unrolled: 1-line block ×3, first 2 shown]
	s_waitcnt vmcnt(0)
	v_pk_mul_f32 v[18:19], v[14:15], v[48:49] op_sel_hi:[0,1]
	v_cvt_f32_f16_e32 v48, v6
	v_cvt_f32_f16_e32 v49, v1
	v_cvt_pk_f16_f32 v1, v18, v19
	v_and_b32_e32 v15, 0xffff0000, v1
	v_lshlrev_b32_e32 v6, 16, v1
	v_pk_mul_f32 v[18:19], v[14:15], v[48:49] op_sel_hi:[0,1]
	v_cvt_pk_f16_f32 v1, v18, v19
	v_or_b32_e32 v19, v22, v21
	v_cvt_f32_f16_e32 v20, v20
	v_cvt_f32_f16_e32 v21, v19
	v_cvt_f32_f16_sdwa v23, v22 dst_sel:DWORD dst_unused:UNUSED_PAD src0_sel:WORD_1
	v_cvt_f32_f16_sdwa v22, v16 dst_sel:DWORD dst_unused:UNUSED_PAD src0_sel:WORD_1
	v_lshrrev_b32_e32 v17, 16, v1
	v_pk_mul_f32 v[20:21], v[14:15], v[20:21] op_sel_hi:[0,1]
	v_cvt_pk_f16_f32 v48, v20, v21
	v_pk_mul_f32 v[20:21], v[14:15], v[22:23] op_sel_hi:[0,1]
	v_cvt_pk_f16_f32 v14, v20, v21
	v_and_b32_e32 v18, 0xffff, v1
	v_and_b32_e32 v19, 0xffff0000, v14
	v_lshlrev_b32_e32 v14, 16, v14
	v_lshrrev_b32_e32 v21, 16, v48
	v_and_b32_e32 v20, 0xffff, v48
	v_or_b32_e32 v1, v15, v17
	v_or_b32_e32 v16, v6, v18
	;; [unrolled: 1-line block ×4, first 2 shown]
	s_and_saveexec_b64 s[12:13], vcc
	s_cbranch_execz .LBB264_430
; %bb.429:                              ;   in Loop: Header=BB264_280 Depth=1
	v_cmp_gt_i32_e64 s[0:1], s27, v30
	s_nop 1
	v_cndmask_b32_e64 v1, 0, v17, s[0:1]
	v_cmp_gt_i32_e64 s[0:1], s33, v39
	s_nop 1
	v_cndmask_b32_e64 v16, 0, v18, s[0:1]
	;; [unrolled: 3-line block ×3, first 2 shown]
	v_cmp_gt_i32_e64 s[0:1], s33, v37
	v_or_b32_e32 v1, v15, v1
	s_nop 0
	v_cndmask_b32_e64 v6, 0, v6, s[0:1]
	v_cmp_gt_i32_e64 s[0:1], s27, v36
	v_or_b32_e32 v16, v6, v16
	s_nop 0
	v_cndmask_b32_e64 v6, 0, v21, s[0:1]
	v_cmp_gt_i32_e64 s[0:1], s33, v35
	s_nop 1
	v_cndmask_b32_e64 v15, 0, v20, s[0:1]
	v_cmp_gt_i32_e64 s[0:1], s27, v34
	;; [unrolled: 3-line block ×3, first 2 shown]
	v_or_b32_e32 v23, v17, v6
	s_nop 0
	v_cndmask_b32_e64 v14, 0, v14, s[0:1]
	v_or_b32_e32 v22, v14, v15
.LBB264_430:                            ;   in Loop: Header=BB264_280 Depth=1
	s_or_b64 exec, exec, s[12:13]
	;;#ASMSTART
	v_pk_mul_f16 v1, v43, v1;

	;;#ASMEND
	;;#ASMSTART
	v_pk_mul_f16 v6, v42, v16;

	;;#ASMEND
	;; [unrolled: 4-line block ×4, first 2 shown]
	s_nop 0
	;;#ASMSTART
	v_pk_add_f16 v1, v1, v6;

	;;#ASMEND
	s_nop 0
	;;#ASMSTART
	v_pk_add_f16 v1, v1, v14;

	;;#ASMEND
	s_nop 0
	;;#ASMSTART
	v_pk_add_f16 v1, v1, v15;

	;;#ASMEND
	v_mov_b32_e32 v15, 0
	v_lshrrev_b32_e32 v6, 16, v1
	v_and_b32_e32 v1, 0xffff, v1
	;;#ASMSTART
	v_cvt_f32_f16 v48, v1;
	;;#ASMEND
	;;#ASMSTART
	v_cvt_f32_f16 v49, v6;
	;;#ASMEND
	global_load_dwordx2 v[16:17], v[12:13], off offset:1536
	v_mov_b32_e32 v1, 0
	global_load_dword v14, v1, s[10:11]
	s_waitcnt vmcnt(1)
	v_cmp_ne_u16_sdwa s[0:1], v16, v7 src0_sel:BYTE_0 src1_sel:DWORD
	s_and_saveexec_b64 s[12:13], s[0:1]
	s_cbranch_execz .LBB264_436
; %bb.431:                              ;   in Loop: Header=BB264_280 Depth=1
	v_cmp_ne_u16_sdwa s[0:1], v16, s24 src0_sel:BYTE_0 src1_sel:DWORD
	v_mov_b32_e32 v15, 0x8000
	s_and_saveexec_b64 s[14:15], s[0:1]
	s_cbranch_execz .LBB264_435
; %bb.432:                              ;   in Loop: Header=BB264_280 Depth=1
	v_and_b32_e32 v6, 0x7f, v16
	v_cmp_ne_u32_e64 s[0:1], s25, v6
	v_mov_b32_e32 v15, 0x7c01
	s_and_saveexec_b64 s[22:23], s[0:1]
	s_cbranch_execz .LBB264_434
; %bb.433:                              ;   in Loop: Header=BB264_280 Depth=1
	v_and_b32_e32 v15, 7, v16
	v_ffbh_u32_e32 v18, v15
	v_min_u32_e32 v21, 32, v18
	v_subrev_u32_e32 v18, 28, v21
	v_lshlrev_b64 v[18:19], v18, v[16:17]
	v_lshrrev_b32_e32 v20, 3, v6
	v_sub_u32_e32 v19, 29, v21
	v_cmp_gt_u32_e64 s[0:1], 8, v6
	v_and_b32_e32 v18, 7, v18
	s_nop 0
	v_cndmask_b32_e64 v6, v20, v19, s[0:1]
	v_lshl_add_u32 v6, v6, 10, v32
	v_lshlrev_b32_e32 v19, 8, v16
	v_and_b32_e32 v6, 0xfc00, v6
	v_cndmask_b32_e64 v15, v15, v18, s[0:1]
	v_and_or_b32 v6, v19, s29, v6
	v_lshl_or_b32 v15, v15, 7, v6
.LBB264_434:                            ;   in Loop: Header=BB264_280 Depth=1
	s_or_b64 exec, exec, s[22:23]
.LBB264_435:                            ;   in Loop: Header=BB264_280 Depth=1
	s_or_b64 exec, exec, s[14:15]
.LBB264_436:                            ;   in Loop: Header=BB264_280 Depth=1
	s_or_b64 exec, exec, s[12:13]
	v_lshrrev_b16_e32 v6, 8, v16
	v_cmp_ne_u16_e64 s[0:1], 0, v6
	s_and_saveexec_b64 s[12:13], s[0:1]
	s_cbranch_execz .LBB264_442
; %bb.437:                              ;   in Loop: Header=BB264_280 Depth=1
	v_cmp_ne_u16_e64 s[0:1], s24, v6
	v_bfrev_b32_e32 v1, 1
	s_and_saveexec_b64 s[14:15], s[0:1]
	s_cbranch_execz .LBB264_441
; %bb.438:                              ;   in Loop: Header=BB264_280 Depth=1
	v_and_b32_e32 v18, 0x7f, v6
	v_cmp_ne_u32_e64 s[0:1], s25, v18
	v_mov_b32_e32 v1, 0x7c010000
	s_and_saveexec_b64 s[22:23], s[0:1]
	s_cbranch_execz .LBB264_440
; %bb.439:                              ;   in Loop: Header=BB264_280 Depth=1
	v_and_b32_e32 v1, 7, v6
	v_ffbh_u32_e32 v20, v1
	v_min_u32_e32 v22, 32, v20
	v_subrev_u32_e32 v20, 28, v22
	v_lshlrev_b64 v[20:21], v20, v[6:7]
	v_lshrrev_b32_e32 v19, 3, v18
	v_sub_u32_e32 v21, 29, v22
	v_cmp_gt_u32_e64 s[0:1], 8, v18
	v_lshlrev_b32_e32 v6, 8, v6
	s_nop 0
	v_cndmask_b32_e64 v18, v19, v21, s[0:1]
	v_lshl_add_u32 v18, v18, 10, v32
	v_and_b32_e32 v19, 7, v20
	v_and_or_b32 v6, v6, s29, v18
	v_cndmask_b32_e64 v1, v1, v19, s[0:1]
	v_lshlrev_b32_e32 v6, 16, v6
	v_lshl_or_b32 v1, v1, 23, v6
.LBB264_440:                            ;   in Loop: Header=BB264_280 Depth=1
	s_or_b64 exec, exec, s[22:23]
.LBB264_441:                            ;   in Loop: Header=BB264_280 Depth=1
	s_or_b64 exec, exec, s[14:15]
.LBB264_442:                            ;   in Loop: Header=BB264_280 Depth=1
	s_or_b64 exec, exec, s[12:13]
	v_lshrrev_b32_e32 v6, 16, v16
	v_cmp_ne_u16_sdwa s[0:1], v6, v7 src0_sel:BYTE_0 src1_sel:DWORD
	v_mov_b32_e32 v19, 0
	v_mov_b32_e32 v18, 0
	s_and_saveexec_b64 s[12:13], s[0:1]
	s_cbranch_execz .LBB264_448
; %bb.443:                              ;   in Loop: Header=BB264_280 Depth=1
	v_cmp_ne_u16_sdwa s[0:1], v6, s24 src0_sel:BYTE_0 src1_sel:DWORD
	v_mov_b32_e32 v18, 0x8000
	s_and_saveexec_b64 s[14:15], s[0:1]
	s_cbranch_execz .LBB264_447
; %bb.444:                              ;   in Loop: Header=BB264_280 Depth=1
	v_bfe_u32 v20, v16, 16, 7
	v_cmp_ne_u32_e64 s[0:1], s25, v20
	v_mov_b32_e32 v18, 0x7c01
	s_and_saveexec_b64 s[22:23], s[0:1]
	s_cbranch_execz .LBB264_446
; %bb.445:                              ;   in Loop: Header=BB264_280 Depth=1
	v_and_b32_e32 v18, 7, v6
	v_ffbh_u32_e32 v22, v18
	v_min_u32_e32 v50, 32, v22
	v_subrev_u32_e32 v22, 28, v50
	v_lshlrev_b64 v[22:23], v22, v[6:7]
	v_lshrrev_b32_e32 v21, 3, v20
	v_sub_u32_e32 v23, 29, v50
	v_cmp_gt_u32_e64 s[0:1], 8, v20
	v_lshlrev_b32_e32 v6, 8, v6
	s_nop 0
	v_cndmask_b32_e64 v20, v21, v23, s[0:1]
	v_lshl_add_u32 v20, v20, 10, v32
	v_and_b32_e32 v21, 7, v22
	v_and_b32_e32 v20, 0xfc00, v20
	v_cndmask_b32_e64 v18, v18, v21, s[0:1]
	v_and_or_b32 v6, v6, s29, v20
	v_lshl_or_b32 v18, v18, 7, v6
.LBB264_446:                            ;   in Loop: Header=BB264_280 Depth=1
	s_or_b64 exec, exec, s[22:23]
.LBB264_447:                            ;   in Loop: Header=BB264_280 Depth=1
	s_or_b64 exec, exec, s[14:15]
.LBB264_448:                            ;   in Loop: Header=BB264_280 Depth=1
	s_or_b64 exec, exec, s[12:13]
	v_cmp_lt_u32_e64 s[0:1], s7, v16
	s_and_saveexec_b64 s[12:13], s[0:1]
	s_cbranch_execz .LBB264_454
; %bb.449:                              ;   in Loop: Header=BB264_280 Depth=1
	v_lshrrev_b32_e32 v6, 24, v16
	v_cmp_ne_u32_e64 s[0:1], s24, v6
	v_bfrev_b32_e32 v19, 1
	s_and_saveexec_b64 s[14:15], s[0:1]
	s_cbranch_execz .LBB264_453
; %bb.450:                              ;   in Loop: Header=BB264_280 Depth=1
	v_and_b32_e32 v20, 0x7f, v6
	v_cmp_ne_u32_e64 s[0:1], s25, v20
	v_mov_b32_e32 v19, 0x7c010000
	s_and_saveexec_b64 s[22:23], s[0:1]
	s_cbranch_execz .LBB264_452
; %bb.451:                              ;   in Loop: Header=BB264_280 Depth=1
	v_and_b32_e32 v19, 7, v6
	v_ffbh_u32_e32 v22, v19
	v_min_u32_e32 v50, 32, v22
	v_subrev_u32_e32 v22, 28, v50
	v_lshlrev_b64 v[22:23], v22, v[6:7]
	v_lshrrev_b32_e32 v21, 3, v20
	v_sub_u32_e32 v23, 29, v50
	v_cmp_gt_u32_e64 s[0:1], 8, v20
	v_lshlrev_b32_e32 v6, 8, v6
	s_nop 0
	v_cndmask_b32_e64 v20, v21, v23, s[0:1]
	v_lshl_add_u32 v20, v20, 10, v32
	v_and_b32_e32 v21, 7, v22
	v_and_or_b32 v6, v6, s29, v20
	v_cndmask_b32_e64 v19, v19, v21, s[0:1]
	v_lshlrev_b32_e32 v6, 16, v6
	v_lshl_or_b32 v19, v19, 23, v6
.LBB264_452:                            ;   in Loop: Header=BB264_280 Depth=1
	s_or_b64 exec, exec, s[22:23]
.LBB264_453:                            ;   in Loop: Header=BB264_280 Depth=1
	s_or_b64 exec, exec, s[14:15]
.LBB264_454:                            ;   in Loop: Header=BB264_280 Depth=1
	s_or_b64 exec, exec, s[12:13]
	v_mov_b32_e32 v6, v17
	v_cmp_ne_u16_sdwa s[0:1], v17, v7 src0_sel:BYTE_0 src1_sel:DWORD
	v_mov_b32_e32 v20, 0
	v_mov_b32_e32 v21, 0
	s_and_saveexec_b64 s[12:13], s[0:1]
	s_cbranch_execz .LBB264_460
; %bb.455:                              ;   in Loop: Header=BB264_280 Depth=1
	v_cmp_ne_u16_sdwa s[0:1], v17, s24 src0_sel:BYTE_0 src1_sel:DWORD
	v_mov_b32_e32 v21, 0x8000
	s_and_saveexec_b64 s[14:15], s[0:1]
	s_cbranch_execz .LBB264_459
; %bb.456:                              ;   in Loop: Header=BB264_280 Depth=1
	v_and_b32_e32 v22, 0x7f, v17
	v_cmp_ne_u32_e64 s[0:1], s25, v22
	v_mov_b32_e32 v21, 0x7c01
	s_and_saveexec_b64 s[22:23], s[0:1]
	s_cbranch_execz .LBB264_458
; %bb.457:                              ;   in Loop: Header=BB264_280 Depth=1
	v_and_b32_e32 v21, 7, v17
	v_ffbh_u32_e32 v50, v21
	v_min_u32_e32 v52, 32, v50
	v_subrev_u32_e32 v50, 28, v52
	v_lshlrev_b64 v[50:51], v50, v[6:7]
	v_lshrrev_b32_e32 v23, 3, v22
	v_sub_u32_e32 v51, 29, v52
	v_cmp_gt_u32_e64 s[0:1], 8, v22
	v_and_b32_e32 v50, 7, v50
	s_nop 0
	v_cndmask_b32_e64 v22, v23, v51, s[0:1]
	v_lshl_add_u32 v22, v22, 10, v32
	v_lshlrev_b32_e32 v23, 8, v17
	v_and_b32_e32 v22, 0xfc00, v22
	v_cndmask_b32_e64 v21, v21, v50, s[0:1]
	v_and_or_b32 v22, v23, s29, v22
	v_lshl_or_b32 v21, v21, 7, v22
.LBB264_458:                            ;   in Loop: Header=BB264_280 Depth=1
	s_or_b64 exec, exec, s[22:23]
.LBB264_459:                            ;   in Loop: Header=BB264_280 Depth=1
	s_or_b64 exec, exec, s[14:15]
.LBB264_460:                            ;   in Loop: Header=BB264_280 Depth=1
	s_or_b64 exec, exec, s[12:13]
	v_lshrrev_b16_e32 v6, 8, v6
	v_cmp_ne_u16_e64 s[0:1], 0, v6
	v_mov_b32_e32 v22, 0
	s_and_saveexec_b64 s[12:13], s[0:1]
	s_cbranch_execz .LBB264_466
; %bb.461:                              ;   in Loop: Header=BB264_280 Depth=1
	v_cmp_ne_u16_e64 s[0:1], s24, v6
	v_bfrev_b32_e32 v22, 1
	s_and_saveexec_b64 s[14:15], s[0:1]
	s_cbranch_execz .LBB264_465
; %bb.462:                              ;   in Loop: Header=BB264_280 Depth=1
	v_and_b32_e32 v23, 0x7f, v6
	v_cmp_ne_u32_e64 s[0:1], s25, v23
	v_mov_b32_e32 v22, 0x7c010000
	s_and_saveexec_b64 s[22:23], s[0:1]
	s_cbranch_execz .LBB264_464
; %bb.463:                              ;   in Loop: Header=BB264_280 Depth=1
	v_and_b32_e32 v22, 7, v6
	v_ffbh_u32_e32 v50, v22
	v_min_u32_e32 v53, 32, v50
	v_subrev_u32_e32 v50, 28, v53
	v_lshlrev_b64 v[50:51], v50, v[6:7]
	v_lshrrev_b32_e32 v52, 3, v23
	v_sub_u32_e32 v51, 29, v53
	v_cmp_gt_u32_e64 s[0:1], 8, v23
	v_lshlrev_b32_e32 v6, 8, v6
	v_and_b32_e32 v50, 7, v50
	v_cndmask_b32_e64 v23, v52, v51, s[0:1]
	v_lshl_add_u32 v23, v23, 10, v32
	v_and_or_b32 v6, v6, s29, v23
	v_cndmask_b32_e64 v22, v22, v50, s[0:1]
	v_lshlrev_b32_e32 v6, 16, v6
	v_lshl_or_b32 v22, v22, 23, v6
.LBB264_464:                            ;   in Loop: Header=BB264_280 Depth=1
	s_or_b64 exec, exec, s[22:23]
.LBB264_465:                            ;   in Loop: Header=BB264_280 Depth=1
	s_or_b64 exec, exec, s[14:15]
.LBB264_466:                            ;   in Loop: Header=BB264_280 Depth=1
	s_or_b64 exec, exec, s[12:13]
	v_lshrrev_b32_e32 v6, 16, v17
	v_cmp_ne_u16_sdwa s[0:1], v6, v7 src0_sel:BYTE_0 src1_sel:DWORD
	s_and_saveexec_b64 s[12:13], s[0:1]
	s_cbranch_execz .LBB264_472
; %bb.467:                              ;   in Loop: Header=BB264_280 Depth=1
	v_cmp_ne_u16_sdwa s[0:1], v6, s24 src0_sel:BYTE_0 src1_sel:DWORD
	v_mov_b32_e32 v20, 0x8000
	s_and_saveexec_b64 s[14:15], s[0:1]
	s_cbranch_execz .LBB264_471
; %bb.468:                              ;   in Loop: Header=BB264_280 Depth=1
	v_bfe_u32 v23, v17, 16, 7
	v_cmp_ne_u32_e64 s[0:1], s25, v23
	v_mov_b32_e32 v20, 0x7c01
	s_and_saveexec_b64 s[22:23], s[0:1]
	s_cbranch_execz .LBB264_470
; %bb.469:                              ;   in Loop: Header=BB264_280 Depth=1
	v_and_b32_e32 v20, 7, v6
	v_ffbh_u32_e32 v50, v20
	v_min_u32_e32 v53, 32, v50
	v_subrev_u32_e32 v50, 28, v53
	v_lshlrev_b64 v[50:51], v50, v[6:7]
	v_lshrrev_b32_e32 v52, 3, v23
	v_sub_u32_e32 v51, 29, v53
	v_cmp_gt_u32_e64 s[0:1], 8, v23
	v_lshlrev_b32_e32 v6, 8, v6
	v_and_b32_e32 v50, 7, v50
	v_cndmask_b32_e64 v23, v52, v51, s[0:1]
	v_lshl_add_u32 v23, v23, 10, v32
	v_and_b32_e32 v23, 0xfc00, v23
	v_cndmask_b32_e64 v20, v20, v50, s[0:1]
	v_and_or_b32 v6, v6, s29, v23
	v_lshl_or_b32 v20, v20, 7, v6
.LBB264_470:                            ;   in Loop: Header=BB264_280 Depth=1
	s_or_b64 exec, exec, s[22:23]
.LBB264_471:                            ;   in Loop: Header=BB264_280 Depth=1
	s_or_b64 exec, exec, s[14:15]
.LBB264_472:                            ;   in Loop: Header=BB264_280 Depth=1
	s_or_b64 exec, exec, s[12:13]
	v_cmp_lt_u64_e64 s[0:1], s[6:7], v[16:17]
	v_mov_b32_e32 v16, 0
	s_and_saveexec_b64 s[12:13], s[0:1]
	s_cbranch_execz .LBB264_478
; %bb.473:                              ;   in Loop: Header=BB264_280 Depth=1
	v_lshrrev_b32_e32 v6, 24, v17
	v_cmp_ne_u32_e64 s[0:1], s24, v6
	v_bfrev_b32_e32 v16, 1
	s_and_saveexec_b64 s[14:15], s[0:1]
	s_cbranch_execz .LBB264_477
; %bb.474:                              ;   in Loop: Header=BB264_280 Depth=1
	v_and_b32_e32 v17, 0x7f, v6
	v_cmp_ne_u32_e64 s[0:1], s25, v17
	v_mov_b32_e32 v16, 0x7c010000
	s_and_saveexec_b64 s[22:23], s[0:1]
	s_cbranch_execz .LBB264_476
; %bb.475:                              ;   in Loop: Header=BB264_280 Depth=1
	v_and_b32_e32 v16, 7, v6
	v_ffbh_u32_e32 v50, v16
	v_min_u32_e32 v52, 32, v50
	v_subrev_u32_e32 v50, 28, v52
	v_lshlrev_b64 v[50:51], v50, v[6:7]
	v_lshrrev_b32_e32 v23, 3, v17
	v_sub_u32_e32 v51, 29, v52
	v_cmp_gt_u32_e64 s[0:1], 8, v17
	v_lshlrev_b32_e32 v6, 8, v6
	s_nop 0
	v_cndmask_b32_e64 v17, v23, v51, s[0:1]
	v_lshl_add_u32 v17, v17, 10, v32
	v_and_b32_e32 v23, 7, v50
	v_and_or_b32 v6, v6, s29, v17
	v_cndmask_b32_e64 v16, v16, v23, s[0:1]
	v_lshlrev_b32_e32 v6, 16, v6
	v_lshl_or_b32 v16, v16, 23, v6
.LBB264_476:                            ;   in Loop: Header=BB264_280 Depth=1
	s_or_b64 exec, exec, s[22:23]
.LBB264_477:                            ;   in Loop: Header=BB264_280 Depth=1
	s_or_b64 exec, exec, s[14:15]
.LBB264_478:                            ;   in Loop: Header=BB264_280 Depth=1
	s_or_b64 exec, exec, s[12:13]
	v_cvt_f32_f16_sdwa v51, v1 dst_sel:DWORD dst_unused:UNUSED_PAD src0_sel:WORD_1
	v_cvt_f32_f16_sdwa v50, v19 dst_sel:DWORD dst_unused:UNUSED_PAD src0_sel:WORD_1
	v_or_b32_e32 v1, v1, v15
	v_or_b32_e32 v6, v19, v18
	;; [unrolled: 1-line block ×3, first 2 shown]
	s_waitcnt vmcnt(0)
	v_pk_mul_f32 v[18:19], v[14:15], v[50:51] op_sel_hi:[0,1]
	v_cvt_f32_f16_e32 v50, v6
	v_cvt_f32_f16_e32 v51, v1
	v_cvt_pk_f16_f32 v1, v18, v19
	v_and_b32_e32 v15, 0xffff0000, v1
	v_lshlrev_b32_e32 v6, 16, v1
	v_pk_mul_f32 v[18:19], v[14:15], v[50:51] op_sel_hi:[0,1]
	v_cvt_pk_f16_f32 v1, v18, v19
	v_or_b32_e32 v19, v22, v21
	v_cvt_f32_f16_e32 v20, v20
	v_cvt_f32_f16_e32 v21, v19
	v_cvt_f32_f16_sdwa v23, v22 dst_sel:DWORD dst_unused:UNUSED_PAD src0_sel:WORD_1
	v_cvt_f32_f16_sdwa v22, v16 dst_sel:DWORD dst_unused:UNUSED_PAD src0_sel:WORD_1
	v_lshrrev_b32_e32 v17, 16, v1
	v_pk_mul_f32 v[20:21], v[14:15], v[20:21] op_sel_hi:[0,1]
	v_cvt_pk_f16_f32 v50, v20, v21
	v_pk_mul_f32 v[20:21], v[14:15], v[22:23] op_sel_hi:[0,1]
	v_cvt_pk_f16_f32 v14, v20, v21
	v_and_b32_e32 v18, 0xffff, v1
	v_and_b32_e32 v19, 0xffff0000, v14
	v_lshlrev_b32_e32 v14, 16, v14
	v_lshrrev_b32_e32 v21, 16, v50
	v_and_b32_e32 v20, 0xffff, v50
	v_or_b32_e32 v1, v15, v17
	v_or_b32_e32 v16, v6, v18
	;; [unrolled: 1-line block ×4, first 2 shown]
	s_and_saveexec_b64 s[12:13], vcc
	s_cbranch_execz .LBB264_480
; %bb.479:                              ;   in Loop: Header=BB264_280 Depth=1
	v_cmp_gt_i32_e64 s[0:1], s27, v30
	s_nop 1
	v_cndmask_b32_e64 v1, 0, v17, s[0:1]
	v_cmp_gt_i32_e64 s[0:1], s33, v39
	s_nop 1
	v_cndmask_b32_e64 v16, 0, v18, s[0:1]
	;; [unrolled: 3-line block ×3, first 2 shown]
	v_cmp_gt_i32_e64 s[0:1], s33, v37
	v_or_b32_e32 v1, v15, v1
	s_nop 0
	v_cndmask_b32_e64 v6, 0, v6, s[0:1]
	v_cmp_gt_i32_e64 s[0:1], s27, v36
	v_or_b32_e32 v16, v6, v16
	s_nop 0
	v_cndmask_b32_e64 v6, 0, v21, s[0:1]
	v_cmp_gt_i32_e64 s[0:1], s33, v35
	s_nop 1
	v_cndmask_b32_e64 v15, 0, v20, s[0:1]
	v_cmp_gt_i32_e64 s[0:1], s27, v34
	;; [unrolled: 3-line block ×3, first 2 shown]
	v_or_b32_e32 v23, v17, v6
	s_nop 0
	v_cndmask_b32_e64 v14, 0, v14, s[0:1]
	v_or_b32_e32 v22, v14, v15
.LBB264_480:                            ;   in Loop: Header=BB264_280 Depth=1
	s_or_b64 exec, exec, s[12:13]
	;;#ASMSTART
	v_pk_mul_f16 v1, v43, v1;

	;;#ASMEND
	;;#ASMSTART
	v_pk_mul_f16 v6, v42, v16;

	;;#ASMEND
	;; [unrolled: 4-line block ×4, first 2 shown]
	s_nop 0
	;;#ASMSTART
	v_pk_add_f16 v1, v1, v6;

	;;#ASMEND
	s_nop 0
	;;#ASMSTART
	v_pk_add_f16 v1, v1, v14;

	;;#ASMEND
	;; [unrolled: 5-line block ×3, first 2 shown]
	s_nop 0
	v_lshrrev_b32_e32 v6, 16, v1
	v_and_b32_e32 v1, 0xffff, v1
	;;#ASMSTART
	v_cvt_f32_f16 v22, v1;
	;;#ASMEND
	;;#ASMSTART
	v_cvt_f32_f16 v23, v6;
	;;#ASMEND
	global_load_dwordx2 v[14:15], v[12:13], off offset:2048
	v_mov_b32_e32 v1, 0
	global_load_dword v12, v1, s[10:11]
	v_mov_b32_e32 v13, 0
	s_waitcnt vmcnt(1)
	v_cmp_ne_u16_sdwa s[0:1], v14, v7 src0_sel:BYTE_0 src1_sel:DWORD
	s_and_saveexec_b64 s[12:13], s[0:1]
	s_cbranch_execz .LBB264_486
; %bb.481:                              ;   in Loop: Header=BB264_280 Depth=1
	v_cmp_ne_u16_sdwa s[0:1], v14, s24 src0_sel:BYTE_0 src1_sel:DWORD
	v_mov_b32_e32 v13, 0x8000
	s_and_saveexec_b64 s[14:15], s[0:1]
	s_cbranch_execz .LBB264_485
; %bb.482:                              ;   in Loop: Header=BB264_280 Depth=1
	v_and_b32_e32 v6, 0x7f, v14
	v_cmp_ne_u32_e64 s[0:1], s25, v6
	v_mov_b32_e32 v13, 0x7c01
	s_and_saveexec_b64 s[22:23], s[0:1]
	s_cbranch_execz .LBB264_484
; %bb.483:                              ;   in Loop: Header=BB264_280 Depth=1
	v_and_b32_e32 v13, 7, v14
	v_ffbh_u32_e32 v16, v13
	v_min_u32_e32 v19, 32, v16
	v_subrev_u32_e32 v16, 28, v19
	v_lshlrev_b64 v[16:17], v16, v[14:15]
	v_lshrrev_b32_e32 v18, 3, v6
	v_sub_u32_e32 v17, 29, v19
	v_cmp_gt_u32_e64 s[0:1], 8, v6
	v_and_b32_e32 v16, 7, v16
	s_nop 0
	v_cndmask_b32_e64 v6, v18, v17, s[0:1]
	v_lshl_add_u32 v6, v6, 10, v32
	v_lshlrev_b32_e32 v17, 8, v14
	v_and_b32_e32 v6, 0xfc00, v6
	v_cndmask_b32_e64 v13, v13, v16, s[0:1]
	v_and_or_b32 v6, v17, s29, v6
	v_lshl_or_b32 v13, v13, 7, v6
.LBB264_484:                            ;   in Loop: Header=BB264_280 Depth=1
	s_or_b64 exec, exec, s[22:23]
.LBB264_485:                            ;   in Loop: Header=BB264_280 Depth=1
	s_or_b64 exec, exec, s[14:15]
.LBB264_486:                            ;   in Loop: Header=BB264_280 Depth=1
	s_or_b64 exec, exec, s[12:13]
	v_lshrrev_b16_e32 v6, 8, v14
	v_cmp_ne_u16_e64 s[0:1], 0, v6
	s_and_saveexec_b64 s[12:13], s[0:1]
	s_cbranch_execz .LBB264_492
; %bb.487:                              ;   in Loop: Header=BB264_280 Depth=1
	v_cmp_ne_u16_e64 s[0:1], s24, v6
	v_bfrev_b32_e32 v1, 1
	s_and_saveexec_b64 s[14:15], s[0:1]
	s_cbranch_execz .LBB264_491
; %bb.488:                              ;   in Loop: Header=BB264_280 Depth=1
	v_and_b32_e32 v16, 0x7f, v6
	v_cmp_ne_u32_e64 s[0:1], s25, v16
	v_mov_b32_e32 v1, 0x7c010000
	s_and_saveexec_b64 s[22:23], s[0:1]
	s_cbranch_execz .LBB264_490
; %bb.489:                              ;   in Loop: Header=BB264_280 Depth=1
	v_and_b32_e32 v1, 7, v6
	v_ffbh_u32_e32 v18, v1
	v_min_u32_e32 v20, 32, v18
	v_subrev_u32_e32 v18, 28, v20
	v_lshlrev_b64 v[18:19], v18, v[6:7]
	v_lshrrev_b32_e32 v17, 3, v16
	v_sub_u32_e32 v19, 29, v20
	v_cmp_gt_u32_e64 s[0:1], 8, v16
	v_lshlrev_b32_e32 v6, 8, v6
	s_nop 0
	v_cndmask_b32_e64 v16, v17, v19, s[0:1]
	v_lshl_add_u32 v16, v16, 10, v32
	v_and_b32_e32 v17, 7, v18
	v_and_or_b32 v6, v6, s29, v16
	v_cndmask_b32_e64 v1, v1, v17, s[0:1]
	v_lshlrev_b32_e32 v6, 16, v6
	v_lshl_or_b32 v1, v1, 23, v6
.LBB264_490:                            ;   in Loop: Header=BB264_280 Depth=1
	s_or_b64 exec, exec, s[22:23]
.LBB264_491:                            ;   in Loop: Header=BB264_280 Depth=1
	s_or_b64 exec, exec, s[14:15]
.LBB264_492:                            ;   in Loop: Header=BB264_280 Depth=1
	s_or_b64 exec, exec, s[12:13]
	v_lshrrev_b32_e32 v6, 16, v14
	v_cmp_ne_u16_sdwa s[0:1], v6, v7 src0_sel:BYTE_0 src1_sel:DWORD
	v_mov_b32_e32 v17, 0
	v_mov_b32_e32 v16, 0
	s_and_saveexec_b64 s[12:13], s[0:1]
	s_cbranch_execz .LBB264_498
; %bb.493:                              ;   in Loop: Header=BB264_280 Depth=1
	v_cmp_ne_u16_sdwa s[0:1], v6, s24 src0_sel:BYTE_0 src1_sel:DWORD
	v_mov_b32_e32 v16, 0x8000
	s_and_saveexec_b64 s[14:15], s[0:1]
	s_cbranch_execz .LBB264_497
; %bb.494:                              ;   in Loop: Header=BB264_280 Depth=1
	v_bfe_u32 v18, v14, 16, 7
	v_cmp_ne_u32_e64 s[0:1], s25, v18
	v_mov_b32_e32 v16, 0x7c01
	s_and_saveexec_b64 s[22:23], s[0:1]
	s_cbranch_execz .LBB264_496
; %bb.495:                              ;   in Loop: Header=BB264_280 Depth=1
	v_and_b32_e32 v16, 7, v6
	v_ffbh_u32_e32 v20, v16
	v_min_u32_e32 v50, 32, v20
	v_subrev_u32_e32 v20, 28, v50
	v_lshlrev_b64 v[20:21], v20, v[6:7]
	v_lshrrev_b32_e32 v19, 3, v18
	v_sub_u32_e32 v21, 29, v50
	v_cmp_gt_u32_e64 s[0:1], 8, v18
	v_lshlrev_b32_e32 v6, 8, v6
	s_nop 0
	v_cndmask_b32_e64 v18, v19, v21, s[0:1]
	v_lshl_add_u32 v18, v18, 10, v32
	v_and_b32_e32 v19, 7, v20
	v_and_b32_e32 v18, 0xfc00, v18
	v_cndmask_b32_e64 v16, v16, v19, s[0:1]
	v_and_or_b32 v6, v6, s29, v18
	v_lshl_or_b32 v16, v16, 7, v6
.LBB264_496:                            ;   in Loop: Header=BB264_280 Depth=1
	s_or_b64 exec, exec, s[22:23]
.LBB264_497:                            ;   in Loop: Header=BB264_280 Depth=1
	s_or_b64 exec, exec, s[14:15]
.LBB264_498:                            ;   in Loop: Header=BB264_280 Depth=1
	s_or_b64 exec, exec, s[12:13]
	v_cmp_lt_u32_e64 s[0:1], s7, v14
	s_and_saveexec_b64 s[12:13], s[0:1]
	s_cbranch_execz .LBB264_504
; %bb.499:                              ;   in Loop: Header=BB264_280 Depth=1
	v_lshrrev_b32_e32 v6, 24, v14
	v_cmp_ne_u32_e64 s[0:1], s24, v6
	v_bfrev_b32_e32 v17, 1
	s_and_saveexec_b64 s[14:15], s[0:1]
	s_cbranch_execz .LBB264_503
; %bb.500:                              ;   in Loop: Header=BB264_280 Depth=1
	v_and_b32_e32 v18, 0x7f, v6
	v_cmp_ne_u32_e64 s[0:1], s25, v18
	v_mov_b32_e32 v17, 0x7c010000
	s_and_saveexec_b64 s[22:23], s[0:1]
	s_cbranch_execz .LBB264_502
; %bb.501:                              ;   in Loop: Header=BB264_280 Depth=1
	v_and_b32_e32 v17, 7, v6
	v_ffbh_u32_e32 v20, v17
	v_min_u32_e32 v50, 32, v20
	v_subrev_u32_e32 v20, 28, v50
	v_lshlrev_b64 v[20:21], v20, v[6:7]
	v_lshrrev_b32_e32 v19, 3, v18
	v_sub_u32_e32 v21, 29, v50
	v_cmp_gt_u32_e64 s[0:1], 8, v18
	v_lshlrev_b32_e32 v6, 8, v6
	s_nop 0
	v_cndmask_b32_e64 v18, v19, v21, s[0:1]
	v_lshl_add_u32 v18, v18, 10, v32
	v_and_b32_e32 v19, 7, v20
	v_and_or_b32 v6, v6, s29, v18
	v_cndmask_b32_e64 v17, v17, v19, s[0:1]
	v_lshlrev_b32_e32 v6, 16, v6
	v_lshl_or_b32 v17, v17, 23, v6
.LBB264_502:                            ;   in Loop: Header=BB264_280 Depth=1
	s_or_b64 exec, exec, s[22:23]
.LBB264_503:                            ;   in Loop: Header=BB264_280 Depth=1
	s_or_b64 exec, exec, s[14:15]
.LBB264_504:                            ;   in Loop: Header=BB264_280 Depth=1
	s_or_b64 exec, exec, s[12:13]
	v_mov_b32_e32 v6, v15
	v_cmp_ne_u16_sdwa s[0:1], v15, v7 src0_sel:BYTE_0 src1_sel:DWORD
	v_mov_b32_e32 v18, 0
	v_mov_b32_e32 v19, 0
	s_and_saveexec_b64 s[12:13], s[0:1]
	s_cbranch_execz .LBB264_510
; %bb.505:                              ;   in Loop: Header=BB264_280 Depth=1
	v_cmp_ne_u16_sdwa s[0:1], v15, s24 src0_sel:BYTE_0 src1_sel:DWORD
	v_mov_b32_e32 v19, 0x8000
	s_and_saveexec_b64 s[14:15], s[0:1]
	s_cbranch_execz .LBB264_509
; %bb.506:                              ;   in Loop: Header=BB264_280 Depth=1
	v_and_b32_e32 v20, 0x7f, v15
	v_cmp_ne_u32_e64 s[0:1], s25, v20
	v_mov_b32_e32 v19, 0x7c01
	s_and_saveexec_b64 s[22:23], s[0:1]
	s_cbranch_execz .LBB264_508
; %bb.507:                              ;   in Loop: Header=BB264_280 Depth=1
	v_and_b32_e32 v19, 7, v15
	v_ffbh_u32_e32 v50, v19
	v_min_u32_e32 v52, 32, v50
	v_subrev_u32_e32 v50, 28, v52
	v_lshlrev_b64 v[50:51], v50, v[6:7]
	v_lshrrev_b32_e32 v21, 3, v20
	v_sub_u32_e32 v51, 29, v52
	v_cmp_gt_u32_e64 s[0:1], 8, v20
	v_and_b32_e32 v50, 7, v50
	s_nop 0
	v_cndmask_b32_e64 v20, v21, v51, s[0:1]
	v_lshl_add_u32 v20, v20, 10, v32
	v_lshlrev_b32_e32 v21, 8, v15
	v_and_b32_e32 v20, 0xfc00, v20
	v_cndmask_b32_e64 v19, v19, v50, s[0:1]
	v_and_or_b32 v20, v21, s29, v20
	v_lshl_or_b32 v19, v19, 7, v20
.LBB264_508:                            ;   in Loop: Header=BB264_280 Depth=1
	s_or_b64 exec, exec, s[22:23]
.LBB264_509:                            ;   in Loop: Header=BB264_280 Depth=1
	s_or_b64 exec, exec, s[14:15]
.LBB264_510:                            ;   in Loop: Header=BB264_280 Depth=1
	s_or_b64 exec, exec, s[12:13]
	v_lshrrev_b16_e32 v6, 8, v6
	v_cmp_ne_u16_e64 s[0:1], 0, v6
	v_mov_b32_e32 v20, 0
	s_and_saveexec_b64 s[12:13], s[0:1]
	s_cbranch_execz .LBB264_516
; %bb.511:                              ;   in Loop: Header=BB264_280 Depth=1
	v_cmp_ne_u16_e64 s[0:1], s24, v6
	v_bfrev_b32_e32 v20, 1
	s_and_saveexec_b64 s[14:15], s[0:1]
	s_cbranch_execz .LBB264_515
; %bb.512:                              ;   in Loop: Header=BB264_280 Depth=1
	v_and_b32_e32 v21, 0x7f, v6
	v_cmp_ne_u32_e64 s[0:1], s25, v21
	v_mov_b32_e32 v20, 0x7c010000
	s_and_saveexec_b64 s[22:23], s[0:1]
	s_cbranch_execz .LBB264_514
; %bb.513:                              ;   in Loop: Header=BB264_280 Depth=1
	v_and_b32_e32 v20, 7, v6
	v_ffbh_u32_e32 v50, v20
	v_min_u32_e32 v53, 32, v50
	v_subrev_u32_e32 v50, 28, v53
	v_lshlrev_b64 v[50:51], v50, v[6:7]
	v_lshrrev_b32_e32 v52, 3, v21
	v_sub_u32_e32 v51, 29, v53
	v_cmp_gt_u32_e64 s[0:1], 8, v21
	v_lshlrev_b32_e32 v6, 8, v6
	v_and_b32_e32 v50, 7, v50
	v_cndmask_b32_e64 v21, v52, v51, s[0:1]
	v_lshl_add_u32 v21, v21, 10, v32
	v_and_or_b32 v6, v6, s29, v21
	v_cndmask_b32_e64 v20, v20, v50, s[0:1]
	v_lshlrev_b32_e32 v6, 16, v6
	v_lshl_or_b32 v20, v20, 23, v6
.LBB264_514:                            ;   in Loop: Header=BB264_280 Depth=1
	s_or_b64 exec, exec, s[22:23]
.LBB264_515:                            ;   in Loop: Header=BB264_280 Depth=1
	s_or_b64 exec, exec, s[14:15]
.LBB264_516:                            ;   in Loop: Header=BB264_280 Depth=1
	s_or_b64 exec, exec, s[12:13]
	v_lshrrev_b32_e32 v6, 16, v15
	v_cmp_ne_u16_sdwa s[0:1], v6, v7 src0_sel:BYTE_0 src1_sel:DWORD
	s_and_saveexec_b64 s[12:13], s[0:1]
	s_cbranch_execz .LBB264_522
; %bb.517:                              ;   in Loop: Header=BB264_280 Depth=1
	v_cmp_ne_u16_sdwa s[0:1], v6, s24 src0_sel:BYTE_0 src1_sel:DWORD
	v_mov_b32_e32 v18, 0x8000
	s_and_saveexec_b64 s[14:15], s[0:1]
	s_cbranch_execz .LBB264_521
; %bb.518:                              ;   in Loop: Header=BB264_280 Depth=1
	v_bfe_u32 v21, v15, 16, 7
	v_cmp_ne_u32_e64 s[0:1], s25, v21
	v_mov_b32_e32 v18, 0x7c01
	s_and_saveexec_b64 s[22:23], s[0:1]
	s_cbranch_execz .LBB264_520
; %bb.519:                              ;   in Loop: Header=BB264_280 Depth=1
	v_and_b32_e32 v18, 7, v6
	v_ffbh_u32_e32 v50, v18
	v_min_u32_e32 v53, 32, v50
	v_subrev_u32_e32 v50, 28, v53
	v_lshlrev_b64 v[50:51], v50, v[6:7]
	v_lshrrev_b32_e32 v52, 3, v21
	v_sub_u32_e32 v51, 29, v53
	v_cmp_gt_u32_e64 s[0:1], 8, v21
	v_lshlrev_b32_e32 v6, 8, v6
	v_and_b32_e32 v50, 7, v50
	v_cndmask_b32_e64 v21, v52, v51, s[0:1]
	v_lshl_add_u32 v21, v21, 10, v32
	v_and_b32_e32 v21, 0xfc00, v21
	v_cndmask_b32_e64 v18, v18, v50, s[0:1]
	v_and_or_b32 v6, v6, s29, v21
	v_lshl_or_b32 v18, v18, 7, v6
.LBB264_520:                            ;   in Loop: Header=BB264_280 Depth=1
	s_or_b64 exec, exec, s[22:23]
.LBB264_521:                            ;   in Loop: Header=BB264_280 Depth=1
	s_or_b64 exec, exec, s[14:15]
.LBB264_522:                            ;   in Loop: Header=BB264_280 Depth=1
	s_or_b64 exec, exec, s[12:13]
	v_cmp_lt_u64_e64 s[0:1], s[6:7], v[14:15]
	v_mov_b32_e32 v21, 0
	s_and_saveexec_b64 s[12:13], s[0:1]
	s_cbranch_execz .LBB264_528
; %bb.523:                              ;   in Loop: Header=BB264_280 Depth=1
	v_lshrrev_b32_e32 v6, 24, v15
	v_cmp_ne_u32_e64 s[0:1], s24, v6
	v_bfrev_b32_e32 v21, 1
	s_and_saveexec_b64 s[14:15], s[0:1]
	s_cbranch_execz .LBB264_527
; %bb.524:                              ;   in Loop: Header=BB264_280 Depth=1
	v_and_b32_e32 v14, 0x7f, v6
	v_cmp_ne_u32_e64 s[0:1], s25, v14
	v_mov_b32_e32 v21, 0x7c010000
	s_and_saveexec_b64 s[22:23], s[0:1]
	s_cbranch_execz .LBB264_526
; %bb.525:                              ;   in Loop: Header=BB264_280 Depth=1
	v_and_b32_e32 v15, 7, v6
	v_ffbh_u32_e32 v50, v15
	v_min_u32_e32 v52, 32, v50
	v_subrev_u32_e32 v50, 28, v52
	v_lshlrev_b64 v[50:51], v50, v[6:7]
	v_lshrrev_b32_e32 v21, 3, v14
	v_sub_u32_e32 v51, 29, v52
	v_cmp_gt_u32_e64 s[0:1], 8, v14
	v_lshlrev_b32_e32 v6, 8, v6
	s_nop 0
	v_cndmask_b32_e64 v14, v21, v51, s[0:1]
	v_lshl_add_u32 v14, v14, 10, v32
	v_and_b32_e32 v21, 7, v50
	v_and_or_b32 v6, v6, s29, v14
	v_cndmask_b32_e64 v15, v15, v21, s[0:1]
	v_lshlrev_b32_e32 v6, 16, v6
	v_lshl_or_b32 v21, v15, 23, v6
.LBB264_526:                            ;   in Loop: Header=BB264_280 Depth=1
	s_or_b64 exec, exec, s[22:23]
.LBB264_527:                            ;   in Loop: Header=BB264_280 Depth=1
	s_or_b64 exec, exec, s[14:15]
.LBB264_528:                            ;   in Loop: Header=BB264_280 Depth=1
	s_or_b64 exec, exec, s[12:13]
	v_cvt_f32_f16_sdwa v15, v1 dst_sel:DWORD dst_unused:UNUSED_PAD src0_sel:WORD_1
	v_cvt_f32_f16_sdwa v14, v17 dst_sel:DWORD dst_unused:UNUSED_PAD src0_sel:WORD_1
	v_or_b32_e32 v1, v1, v13
	v_or_b32_e32 v6, v17, v16
	v_cvt_f32_f16_e32 v16, v6
	v_cvt_f32_f16_e32 v17, v1
	s_waitcnt vmcnt(0)
	v_pk_mul_f32 v[14:15], v[12:13], v[14:15] op_sel_hi:[0,1]
	v_cvt_pk_f16_f32 v1, v14, v15
	v_and_b32_e32 v13, 0xffff0000, v1
	v_pk_mul_f32 v[16:17], v[12:13], v[16:17] op_sel_hi:[0,1]
	v_lshlrev_b32_e32 v14, 16, v1
	v_cvt_pk_f16_f32 v1, v16, v17
	v_or_b32_e32 v6, v20, v19
	v_or_b32_e32 v17, v21, v18
	v_cvt_f32_f16_e32 v18, v17
	v_cvt_f32_f16_e32 v19, v6
	v_cvt_f32_f16_sdwa v51, v20 dst_sel:DWORD dst_unused:UNUSED_PAD src0_sel:WORD_1
	v_cvt_f32_f16_sdwa v50, v21 dst_sel:DWORD dst_unused:UNUSED_PAD src0_sel:WORD_1
	v_lshrrev_b32_e32 v15, 16, v1
	v_pk_mul_f32 v[18:19], v[12:13], v[18:19] op_sel_hi:[0,1]
	v_cvt_pk_f16_f32 v20, v18, v19
	v_pk_mul_f32 v[18:19], v[12:13], v[50:51] op_sel_hi:[0,1]
	v_cvt_pk_f16_f32 v12, v18, v19
	v_and_b32_e32 v16, 0xffff, v1
	v_and_b32_e32 v17, 0xffff0000, v12
	v_lshlrev_b32_e32 v12, 16, v12
	v_lshrrev_b32_e32 v21, 16, v20
	v_and_b32_e32 v20, 0xffff, v20
	v_or_b32_e32 v1, v13, v15
	v_or_b32_e32 v6, v14, v16
	v_or_b32_e32 v19, v17, v21
	v_or_b32_e32 v18, v12, v20
	s_and_saveexec_b64 s[0:1], vcc
	s_cbranch_execz .LBB264_279
; %bb.529:                              ;   in Loop: Header=BB264_280 Depth=1
	v_cmp_gt_i32_e32 vcc, s27, v30
	s_nop 1
	v_cndmask_b32_e32 v1, 0, v15, vcc
	v_cmp_gt_i32_e32 vcc, s33, v39
	s_nop 1
	v_cndmask_b32_e32 v6, 0, v16, vcc
	;; [unrolled: 3-line block ×3, first 2 shown]
	v_cmp_gt_i32_e32 vcc, s33, v37
	v_or_b32_e32 v1, v13, v1
	s_nop 0
	v_cndmask_b32_e32 v14, 0, v14, vcc
	v_cmp_gt_i32_e32 vcc, s27, v36
	v_or_b32_e32 v6, v14, v6
	s_nop 0
	v_cndmask_b32_e32 v13, 0, v21, vcc
	v_cmp_gt_i32_e32 vcc, s33, v35
	s_nop 1
	v_cndmask_b32_e32 v14, 0, v20, vcc
	v_cmp_gt_i32_e32 vcc, s27, v34
	;; [unrolled: 3-line block ×3, first 2 shown]
	v_or_b32_e32 v19, v15, v13
	s_nop 0
	v_cndmask_b32_e32 v12, 0, v12, vcc
	v_or_b32_e32 v18, v12, v14
	s_branch .LBB264_279
.LBB264_530:
	s_or_b64 exec, exec, s[8:9]
.LBB264_531:
	s_or_b64 exec, exec, s[2:3]
	ds_bpermute_b32 v6, v26, v4
	ds_bpermute_b32 v7, v26, v5
	;; [unrolled: 1-line block ×5, first 2 shown]
	s_waitcnt lgkmcnt(0)
	v_pk_add_f32 v[4:5], v[4:5], v[6:7]
	ds_bpermute_b32 v6, v27, v4
	ds_bpermute_b32 v7, v27, v5
	v_pk_add_f32 v[2:3], v[2:3], v[8:9]
	ds_bpermute_b32 v8, v27, v2
	ds_bpermute_b32 v9, v27, v3
	v_add_f32_e32 v1, v29, v1
	s_waitcnt lgkmcnt(2)
	v_pk_add_f32 v[4:5], v[4:5], v[6:7]
	ds_bpermute_b32 v7, v27, v1
	v_and_b32_e32 v6, 0x3c3, v0
	s_waitcnt lgkmcnt(1)
	v_pk_add_f32 v[2:3], v[2:3], v[8:9]
	v_cmp_ne_u32_e32 vcc, 64, v6
	s_barrier
	s_waitcnt lgkmcnt(0)
	s_and_saveexec_b64 s[0:1], vcc
	s_xor_b64 s[0:1], exec, s[0:1]
; %bb.532:
                                        ; implicit-def: $vgpr25
; %bb.533:
	s_or_saveexec_b64 s[0:1], s[0:1]
	v_add_f32_e32 v1, v1, v7
	s_xor_b64 exec, exec, s[0:1]
	s_cbranch_execz .LBB264_535
; %bb.534:
	v_add_u32_e32 v7, 0xb0, v25
	ds_write2_b32 v7, v4, v5 offset1:16
	ds_write2_b32 v7, v2, v3 offset0:32 offset1:48
	ds_write_b32 v7, v1 offset:256
.LBB264_535:
	s_or_b64 exec, exec, s[0:1]
	v_cmp_gt_u32_e32 vcc, 64, v0
	v_lshrrev_b32_e32 v0, 2, v0
	s_waitcnt lgkmcnt(0)
	s_barrier
	s_and_saveexec_b64 s[0:1], vcc
	s_cbranch_execz .LBB264_543
; %bb.536:
	v_mov_b32_e32 v7, 0xb0
	v_cmp_eq_u32_e32 vcc, 0, v28
	v_lshl_add_u32 v7, v0, 2, v7
	s_and_saveexec_b64 s[2:3], vcc
	s_cbranch_execnz .LBB264_546
; %bb.537:
	s_or_b64 exec, exec, s[2:3]
	s_and_saveexec_b64 s[2:3], vcc
	s_cbranch_execnz .LBB264_547
.LBB264_538:
	s_or_b64 exec, exec, s[2:3]
	s_and_saveexec_b64 s[2:3], vcc
	s_cbranch_execnz .LBB264_548
.LBB264_539:
	s_or_b64 exec, exec, s[2:3]
	s_and_saveexec_b64 s[2:3], vcc
	s_cbranch_execnz .LBB264_549
.LBB264_540:
	s_or_b64 exec, exec, s[2:3]
	s_and_saveexec_b64 s[2:3], vcc
	s_cbranch_execz .LBB264_542
.LBB264_541:
	ds_read_b32 v7, v7 offset:256
	s_waitcnt lgkmcnt(0)
	v_add_f32_e32 v1, v1, v7
.LBB264_542:
	s_or_b64 exec, exec, s[2:3]
.LBB264_543:
	s_or_b64 exec, exec, s[0:1]
	v_cmp_eq_u32_e32 vcc, 0, v6
	s_barrier
	s_and_saveexec_b64 s[0:1], vcc
	s_cbranch_execz .LBB264_545
; %bb.544:
	s_mul_i32 s0, s16, s17
	s_mul_i32 s0, s0, s5
	s_mulk_i32 s0, 0x50
	s_ashr_i32 s1, s0, 31
	s_lshl_b64 s[0:1], s[0:1], 1
	s_add_u32 s2, s20, s0
	s_mul_i32 s0, s17, s18
	s_addc_u32 s3, s21, s1
	s_ashr_i32 s1, s0, 31
	s_lshl_b64 s[0:1], s[0:1], 1
	s_add_u32 s2, s2, s0
	s_mul_i32 s0, s4, 0x50
	s_addc_u32 s3, s3, s1
	s_ashr_i32 s1, s0, 31
	s_lshl_b64 s[0:1], s[0:1], 1
	s_add_u32 s0, s2, s0
	s_addc_u32 s1, s3, s1
	v_lshlrev_b32_e32 v0, 1, v0
	;;#ASMSTART
	v_cvt_f16_f32 v4, v4;

	;;#ASMEND
	global_store_short v0, v4, s[0:1]
	;;#ASMSTART
	v_cvt_f16_f32 v4, v5;

	;;#ASMEND
	global_store_short v0, v4, s[0:1] offset:32
	;;#ASMSTART
	v_cvt_f16_f32 v2, v2;

	;;#ASMEND
	global_store_short v0, v2, s[0:1] offset:64
	;; [unrolled: 5-line block ×4, first 2 shown]
.LBB264_545:
	s_endpgm
.LBB264_546:
	ds_read_b32 v8, v7
	s_waitcnt lgkmcnt(0)
	v_add_f32_e32 v4, v4, v8
	s_or_b64 exec, exec, s[2:3]
	s_and_saveexec_b64 s[2:3], vcc
	s_cbranch_execz .LBB264_538
.LBB264_547:
	ds_read_b32 v8, v7 offset:64
	s_waitcnt lgkmcnt(0)
	v_add_f32_e32 v5, v5, v8
	s_or_b64 exec, exec, s[2:3]
	s_and_saveexec_b64 s[2:3], vcc
	s_cbranch_execz .LBB264_539
.LBB264_548:
	ds_read_b32 v8, v7 offset:128
	s_waitcnt lgkmcnt(0)
	v_add_f32_e32 v2, v2, v8
	s_or_b64 exec, exec, s[2:3]
	s_and_saveexec_b64 s[2:3], vcc
	s_cbranch_execz .LBB264_540
.LBB264_549:
	ds_read_b32 v8, v7 offset:192
	s_waitcnt lgkmcnt(0)
	v_add_f32_e32 v3, v3, v8
	s_or_b64 exec, exec, s[2:3]
	s_and_saveexec_b64 s[2:3], vcc
	s_cbranch_execnz .LBB264_541
	s_branch .LBB264_542
	.section	.rodata,"a",@progbits
	.p2align	6, 0x0
	.amdhsa_kernel _ZN4vllm25paged_attention_v1_kernelIthLi80ELi32ELi128ELNS_18Fp8KVCacheDataTypeE1ELb0EEEvPT_PKS2_PKT0_S8_ifPKiSA_iPKfiiiSC_SC_iiiii
		.amdhsa_group_segment_fixed_size 176
		.amdhsa_private_segment_fixed_size 0
		.amdhsa_kernarg_size 384
		.amdhsa_user_sgpr_count 2
		.amdhsa_user_sgpr_dispatch_ptr 0
		.amdhsa_user_sgpr_queue_ptr 0
		.amdhsa_user_sgpr_kernarg_segment_ptr 1
		.amdhsa_user_sgpr_dispatch_id 0
		.amdhsa_user_sgpr_kernarg_preload_length 0
		.amdhsa_user_sgpr_kernarg_preload_offset 0
		.amdhsa_user_sgpr_private_segment_size 0
		.amdhsa_uses_dynamic_stack 0
		.amdhsa_enable_private_segment 0
		.amdhsa_system_sgpr_workgroup_id_x 1
		.amdhsa_system_sgpr_workgroup_id_y 1
		.amdhsa_system_sgpr_workgroup_id_z 1
		.amdhsa_system_sgpr_workgroup_info 0
		.amdhsa_system_vgpr_workitem_id 0
		.amdhsa_next_free_vgpr 67
		.amdhsa_next_free_sgpr 46
		.amdhsa_accum_offset 68
		.amdhsa_reserve_vcc 1
		.amdhsa_float_round_mode_32 0
		.amdhsa_float_round_mode_16_64 0
		.amdhsa_float_denorm_mode_32 3
		.amdhsa_float_denorm_mode_16_64 3
		.amdhsa_dx10_clamp 1
		.amdhsa_ieee_mode 1
		.amdhsa_fp16_overflow 0
		.amdhsa_tg_split 0
		.amdhsa_exception_fp_ieee_invalid_op 0
		.amdhsa_exception_fp_denorm_src 0
		.amdhsa_exception_fp_ieee_div_zero 0
		.amdhsa_exception_fp_ieee_overflow 0
		.amdhsa_exception_fp_ieee_underflow 0
		.amdhsa_exception_fp_ieee_inexact 0
		.amdhsa_exception_int_div_zero 0
	.end_amdhsa_kernel
	.section	.text._ZN4vllm25paged_attention_v1_kernelIthLi80ELi32ELi128ELNS_18Fp8KVCacheDataTypeE1ELb0EEEvPT_PKS2_PKT0_S8_ifPKiSA_iPKfiiiSC_SC_iiiii,"axG",@progbits,_ZN4vllm25paged_attention_v1_kernelIthLi80ELi32ELi128ELNS_18Fp8KVCacheDataTypeE1ELb0EEEvPT_PKS2_PKT0_S8_ifPKiSA_iPKfiiiSC_SC_iiiii,comdat
.Lfunc_end264:
	.size	_ZN4vllm25paged_attention_v1_kernelIthLi80ELi32ELi128ELNS_18Fp8KVCacheDataTypeE1ELb0EEEvPT_PKS2_PKT0_S8_ifPKiSA_iPKfiiiSC_SC_iiiii, .Lfunc_end264-_ZN4vllm25paged_attention_v1_kernelIthLi80ELi32ELi128ELNS_18Fp8KVCacheDataTypeE1ELb0EEEvPT_PKS2_PKT0_S8_ifPKiSA_iPKfiiiSC_SC_iiiii
                                        ; -- End function
	.set _ZN4vllm25paged_attention_v1_kernelIthLi80ELi32ELi128ELNS_18Fp8KVCacheDataTypeE1ELb0EEEvPT_PKS2_PKT0_S8_ifPKiSA_iPKfiiiSC_SC_iiiii.num_vgpr, 67
	.set _ZN4vllm25paged_attention_v1_kernelIthLi80ELi32ELi128ELNS_18Fp8KVCacheDataTypeE1ELb0EEEvPT_PKS2_PKT0_S8_ifPKiSA_iPKfiiiSC_SC_iiiii.num_agpr, 0
	.set _ZN4vllm25paged_attention_v1_kernelIthLi80ELi32ELi128ELNS_18Fp8KVCacheDataTypeE1ELb0EEEvPT_PKS2_PKT0_S8_ifPKiSA_iPKfiiiSC_SC_iiiii.numbered_sgpr, 46
	.set _ZN4vllm25paged_attention_v1_kernelIthLi80ELi32ELi128ELNS_18Fp8KVCacheDataTypeE1ELb0EEEvPT_PKS2_PKT0_S8_ifPKiSA_iPKfiiiSC_SC_iiiii.num_named_barrier, 0
	.set _ZN4vllm25paged_attention_v1_kernelIthLi80ELi32ELi128ELNS_18Fp8KVCacheDataTypeE1ELb0EEEvPT_PKS2_PKT0_S8_ifPKiSA_iPKfiiiSC_SC_iiiii.private_seg_size, 0
	.set _ZN4vllm25paged_attention_v1_kernelIthLi80ELi32ELi128ELNS_18Fp8KVCacheDataTypeE1ELb0EEEvPT_PKS2_PKT0_S8_ifPKiSA_iPKfiiiSC_SC_iiiii.uses_vcc, 1
	.set _ZN4vllm25paged_attention_v1_kernelIthLi80ELi32ELi128ELNS_18Fp8KVCacheDataTypeE1ELb0EEEvPT_PKS2_PKT0_S8_ifPKiSA_iPKfiiiSC_SC_iiiii.uses_flat_scratch, 0
	.set _ZN4vllm25paged_attention_v1_kernelIthLi80ELi32ELi128ELNS_18Fp8KVCacheDataTypeE1ELb0EEEvPT_PKS2_PKT0_S8_ifPKiSA_iPKfiiiSC_SC_iiiii.has_dyn_sized_stack, 0
	.set _ZN4vllm25paged_attention_v1_kernelIthLi80ELi32ELi128ELNS_18Fp8KVCacheDataTypeE1ELb0EEEvPT_PKS2_PKT0_S8_ifPKiSA_iPKfiiiSC_SC_iiiii.has_recursion, 0
	.set _ZN4vllm25paged_attention_v1_kernelIthLi80ELi32ELi128ELNS_18Fp8KVCacheDataTypeE1ELb0EEEvPT_PKS2_PKT0_S8_ifPKiSA_iPKfiiiSC_SC_iiiii.has_indirect_call, 0
	.section	.AMDGPU.csdata,"",@progbits
; Kernel info:
; codeLenInByte = 23780
; TotalNumSgprs: 52
; NumVgprs: 67
; NumAgprs: 0
; TotalNumVgprs: 67
; ScratchSize: 0
; MemoryBound: 0
; FloatMode: 240
; IeeeMode: 1
; LDSByteSize: 176 bytes/workgroup (compile time only)
; SGPRBlocks: 6
; VGPRBlocks: 8
; NumSGPRsForWavesPerEU: 52
; NumVGPRsForWavesPerEU: 67
; AccumOffset: 68
; Occupancy: 7
; WaveLimiterHint : 1
; COMPUTE_PGM_RSRC2:SCRATCH_EN: 0
; COMPUTE_PGM_RSRC2:USER_SGPR: 2
; COMPUTE_PGM_RSRC2:TRAP_HANDLER: 0
; COMPUTE_PGM_RSRC2:TGID_X_EN: 1
; COMPUTE_PGM_RSRC2:TGID_Y_EN: 1
; COMPUTE_PGM_RSRC2:TGID_Z_EN: 1
; COMPUTE_PGM_RSRC2:TIDIG_COMP_CNT: 0
; COMPUTE_PGM_RSRC3_GFX90A:ACCUM_OFFSET: 16
; COMPUTE_PGM_RSRC3_GFX90A:TG_SPLIT: 0
	.section	.text._ZN4vllm25paged_attention_v1_kernelIthLi96ELi32ELi128ELNS_18Fp8KVCacheDataTypeE1ELb0EEEvPT_PKS2_PKT0_S8_ifPKiSA_iPKfiiiSC_SC_iiiii,"axG",@progbits,_ZN4vllm25paged_attention_v1_kernelIthLi96ELi32ELi128ELNS_18Fp8KVCacheDataTypeE1ELb0EEEvPT_PKS2_PKT0_S8_ifPKiSA_iPKfiiiSC_SC_iiiii,comdat
	.protected	_ZN4vllm25paged_attention_v1_kernelIthLi96ELi32ELi128ELNS_18Fp8KVCacheDataTypeE1ELb0EEEvPT_PKS2_PKT0_S8_ifPKiSA_iPKfiiiSC_SC_iiiii ; -- Begin function _ZN4vllm25paged_attention_v1_kernelIthLi96ELi32ELi128ELNS_18Fp8KVCacheDataTypeE1ELb0EEEvPT_PKS2_PKT0_S8_ifPKiSA_iPKfiiiSC_SC_iiiii
	.globl	_ZN4vllm25paged_attention_v1_kernelIthLi96ELi32ELi128ELNS_18Fp8KVCacheDataTypeE1ELb0EEEvPT_PKS2_PKT0_S8_ifPKiSA_iPKfiiiSC_SC_iiiii
	.p2align	8
	.type	_ZN4vllm25paged_attention_v1_kernelIthLi96ELi32ELi128ELNS_18Fp8KVCacheDataTypeE1ELb0EEEvPT_PKS2_PKT0_S8_ifPKiSA_iPKfiiiSC_SC_iiiii,@function
_ZN4vllm25paged_attention_v1_kernelIthLi96ELi32ELi128ELNS_18Fp8KVCacheDataTypeE1ELb0EEEvPT_PKS2_PKT0_S8_ifPKiSA_iPKfiiiSC_SC_iiiii: ; @_ZN4vllm25paged_attention_v1_kernelIthLi96ELi32ELi128ELNS_18Fp8KVCacheDataTypeE1ELb0EEEvPT_PKS2_PKT0_S8_ifPKiSA_iPKfiiiSC_SC_iiiii
; %bb.0:
	s_load_dword s5, s[0:1], 0x80
	s_load_dwordx2 s[6:7], s[0:1], 0x30
	s_load_dwordx2 s[28:29], s[0:1], 0x20
	s_mov_b32 s16, s3
	s_ashr_i32 s17, s3, 31
	s_lshl_b64 s[8:9], s[16:17], 2
	s_waitcnt lgkmcnt(0)
	s_add_u32 s6, s6, s8
	s_addc_u32 s7, s7, s9
	s_abs_i32 s3, s28
	v_cvt_f32_u32_e32 v1, s3
	s_sub_i32 s10, 0, s3
	s_abs_i32 s9, s5
	s_xor_b32 s8, s5, s28
	v_rcp_iflag_f32_e32 v1, v1
	s_ashr_i32 s8, s8, 31
	s_mov_b32 s28, 0
	v_mul_f32_e32 v1, 0x4f7ffffe, v1
	v_cvt_u32_f32_e32 v1, v1
	s_nop 0
	v_readfirstlane_b32 s11, v1
	s_mul_i32 s10, s10, s11
	s_mul_hi_u32 s10, s11, s10
	s_add_i32 s11, s11, s10
	s_mul_hi_u32 s10, s9, s11
	s_mul_i32 s11, s10, s3
	s_sub_i32 s9, s9, s11
	s_add_i32 s11, s10, 1
	s_sub_i32 s12, s9, s3
	s_cmp_ge_u32 s9, s3
	s_cselect_b32 s10, s11, s10
	s_cselect_b32 s9, s12, s9
	s_add_i32 s11, s10, 1
	s_cmp_ge_u32 s9, s3
	s_cselect_b32 s3, s11, s10
	s_xor_b32 s3, s3, s8
	s_sub_i32 s12, s3, s8
	s_abs_i32 s10, s12
	v_cvt_f32_u32_e32 v1, s10
	s_load_dwordx2 s[8:9], s[0:1], 0x40
	s_sub_i32 s3, 0, s10
	s_abs_i32 s11, s2
	v_rcp_iflag_f32_e32 v1, v1
	s_nop 0
	v_mul_f32_e32 v1, 0x4f7ffffe, v1
	v_cvt_u32_f32_e32 v1, v1
	s_nop 0
	v_readfirstlane_b32 s13, v1
	s_mul_i32 s3, s3, s13
	s_mul_hi_u32 s3, s13, s3
	s_add_i32 s13, s13, s3
	s_waitcnt lgkmcnt(0)
	s_cmp_eq_u64 s[8:9], 0
	s_mul_hi_u32 s17, s11, s13
	s_cbranch_scc1 .LBB265_2
; %bb.1:
	s_ashr_i32 s3, s2, 31
	s_lshl_b64 s[14:15], s[2:3], 2
	s_add_u32 s8, s8, s14
	s_addc_u32 s9, s9, s15
	s_load_dword s28, s[8:9], 0x0
.LBB265_2:
	s_load_dword s33, s[6:7], 0x0
	s_ashr_i32 s7, s12, 31
	s_load_dwordx4 s[12:15], s[0:1], 0x48
	s_ashr_i32 s6, s2, 31
	v_and_b32_e32 v4, 1, v0
	s_movk_i32 s8, 0x60
	s_mul_i32 s18, s2, 0x60
	v_cmp_gt_u32_e32 vcc, 24, v0
	v_lshlrev_b32_e32 v1, 3, v0
	s_and_saveexec_b64 s[2:3], vcc
	s_cbranch_execz .LBB265_4
; %bb.3:
	s_load_dwordx2 s[20:21], s[0:1], 0x8
	s_waitcnt lgkmcnt(0)
	s_mul_i32 s22, s12, s16
	s_ashr_i32 s23, s22, 31
	s_lshl_b64 s[22:23], s[22:23], 1
	v_lshlrev_b32_e32 v5, 2, v0
	s_add_u32 s9, s20, s22
	s_addc_u32 s12, s21, s23
	s_ashr_i32 s19, s18, 31
	s_lshl_b64 s[20:21], s[18:19], 1
	s_add_u32 s20, s9, s20
	s_addc_u32 s21, s12, s21
	global_load_dwordx2 v[2:3], v1, s[20:21]
	v_and_b32_e32 v5, 0xff8, v5
	v_mad_u32_u24 v5, v4, s8, v5
	s_waitcnt vmcnt(0)
	ds_write_b64 v5, v[2:3]
.LBB265_4:
	s_or_b64 exec, exec, s[2:3]
	s_waitcnt lgkmcnt(0)
	s_add_i32 s3, s33, 31
	s_ashr_i32 s8, s3, 31
	s_lshr_b32 s8, s8, 27
	s_add_i32 s3, s3, s8
	s_ashr_i32 s19, s3, 5
	s_xor_b32 s3, s6, s7
	s_mul_i32 s6, s17, s10
	s_sub_i32 s6, s11, s6
	s_add_i32 s7, s17, 1
	s_sub_i32 s8, s6, s10
	s_load_dwordx2 s[22:23], s[0:1], 0x28
	s_load_dword s2, s[0:1], 0x38
	s_cmp_ge_u32 s6, s10
	s_cselect_b32 s7, s7, s17
	s_cselect_b32 s6, s8, s6
	s_add_i32 s8, s7, 1
	s_cmp_ge_u32 s6, s10
	s_cselect_b32 s6, s8, s7
	v_lshrrev_b32_e32 v26, 6, v0
	s_xor_b32 s6, s6, s3
	s_waitcnt lgkmcnt(0)
	s_mul_i32 s24, s2, s16
	s_sub_i32 s12, s6, s3
	s_ashr_i32 s25, s24, 31
	v_cmp_gt_i32_e64 s[6:7], s19, v26
	v_cmp_le_i32_e32 vcc, s19, v26
	v_mbcnt_lo_u32_b32 v9, -1, 0
	s_barrier
                                        ; implicit-def: $vgpr11
                                        ; implicit-def: $vgpr2
                                        ; implicit-def: $vgpr8
	s_and_saveexec_b64 s[2:3], vcc
	s_xor_b64 s[2:3], exec, s[2:3]
; %bb.5:
	v_mbcnt_hi_u32_b32 v11, -1, v9
	v_and_b32_e32 v2, 64, v11
	v_add_u32_e32 v8, 64, v2
                                        ; implicit-def: $vgpr4
                                        ; implicit-def: $vgpr9
; %bb.6:
	s_or_saveexec_b64 s[30:31], s[2:3]
	s_load_dwordx2 s[20:21], s[0:1], 0x0
	s_load_dwordx2 s[26:27], s[0:1], 0x18
	s_load_dword s17, s[0:1], 0x88
	s_load_dwordx4 s[8:11], s[0:1], 0x58
	v_mov_b32_e32 v13, 0xff7fffff
	s_mul_i32 s12, s12, s14
	v_lshrrev_b32_e32 v12, 4, v0
	s_xor_b64 exec, exec, s[30:31]
	s_cbranch_execz .LBB265_300
; %bb.7:
	s_load_dwordx2 s[0:1], s[0:1], 0x10
	s_ashr_i32 s2, s12, 31
	v_bfe_u32 v8, v0, 1, 5
	v_lshlrev_b32_e32 v2, 4, v8
	v_mov_b32_e32 v3, 0
	s_waitcnt lgkmcnt(0)
	s_add_u32 s0, s0, s12
	s_addc_u32 s1, s1, s2
	v_lshl_add_u64 v[6:7], s[0:1], 0, v[2:3]
	v_lshlrev_b32_e32 v2, 2, v4
	v_mul_u32_u24_e32 v14, 0x60, v4
	v_cmp_eq_u32_e32 vcc, 0, v4
	v_lshl_add_u64 v[4:5], v[6:7], 0, v[2:3]
	s_sub_i32 s41, 1, s33
	v_lshlrev_b32_e32 v2, 2, v8
	s_lshl_b64 s[0:1], s[24:25], 2
	v_lshl_or_b32 v2, v26, 7, v2
	s_add_u32 s0, s22, s0
	v_add_u32_e32 v16, 0xd0, v2
	v_and_b32_e32 v2, 60, v12
	s_addc_u32 s1, s23, s1
	s_mov_b32 s40, s13
	v_cmp_neq_f32_e64 s[2:3], s28, 0
	v_lshl_or_b32 v15, v26, 5, v8
	v_lshl_add_u64 v[6:7], s[0:1], 0, v[2:3]
	v_mov_b32_e32 v13, 0xff7fffff
	s_mov_b64 s[14:15], 0
	s_movk_i32 s42, 0x80
	s_movk_i32 s43, 0x7f
	s_mov_b32 s44, 0x8000
	s_mov_b32 s45, 0xffffff
	v_mbcnt_hi_u32_b32 v11, -1, v9
	v_mov_b32_e32 v17, 0x2000
	v_mov_b32_e32 v18, v26
	s_branch .LBB265_9
.LBB265_8:                              ;   in Loop: Header=BB265_9 Depth=1
	s_or_b64 exec, exec, s[34:35]
	v_add_u32_e32 v18, 2, v18
	v_cmp_le_i32_e64 s[0:1], s19, v18
	v_add_u32_e32 v15, 64, v15
	v_add_u32_e32 v16, 0x100, v16
	s_or_b64 s[14:15], s[0:1], s[14:15]
	v_lshl_add_u64 v[6:7], v[6:7], 0, 8
	s_andn2_b64 exec, exec, s[14:15]
	s_cbranch_execz .LBB265_299
.LBB265_9:                              ; =>This Inner Loop Header: Depth=1
	global_load_dword v2, v[6:7], off
	v_mov_b32_e32 v20, 0
	s_waitcnt vmcnt(0)
	v_mad_i64_i32 v[8:9], s[0:1], v2, s40, v[4:5]
	s_waitcnt lgkmcnt(0)
	global_load_dword v10, v[8:9], off
	global_load_dword v19, v3, s[8:9]
	s_waitcnt vmcnt(1)
	v_cmp_ne_u16_sdwa s[0:1], v10, v3 src0_sel:BYTE_0 src1_sel:DWORD
	s_and_saveexec_b64 s[34:35], s[0:1]
	s_cbranch_execz .LBB265_15
; %bb.10:                               ;   in Loop: Header=BB265_9 Depth=1
	v_cmp_ne_u16_sdwa s[0:1], v10, s42 src0_sel:BYTE_0 src1_sel:DWORD
	v_mov_b32_e32 v20, 0x8000
	s_and_saveexec_b64 s[36:37], s[0:1]
	s_cbranch_execz .LBB265_14
; %bb.11:                               ;   in Loop: Header=BB265_9 Depth=1
	v_and_b32_e32 v2, 0x7f, v10
	v_cmp_ne_u32_e64 s[0:1], s43, v2
	v_mov_b32_e32 v20, 0x7c01
	s_and_saveexec_b64 s[38:39], s[0:1]
	s_cbranch_execz .LBB265_13
; %bb.12:                               ;   in Loop: Header=BB265_9 Depth=1
	v_and_b32_e32 v22, 7, v10
	v_ffbh_u32_e32 v20, v22
	v_min_u32_e32 v24, 32, v20
	v_subrev_u32_e32 v20, 28, v24
	v_lshlrev_b64 v[20:21], v20, v[10:11]
	v_lshrrev_b32_e32 v23, 3, v2
	v_sub_u32_e32 v21, 29, v24
	v_cmp_gt_u32_e64 s[0:1], 8, v2
	v_and_b32_e32 v20, 7, v20
	s_nop 0
	v_cndmask_b32_e64 v2, v23, v21, s[0:1]
	v_lshl_add_u32 v2, v2, 10, v17
	v_lshlrev_b32_e32 v21, 8, v10
	v_and_b32_e32 v2, 0xfc00, v2
	v_cndmask_b32_e64 v20, v22, v20, s[0:1]
	v_and_or_b32 v2, v21, s44, v2
	v_lshl_or_b32 v20, v20, 7, v2
.LBB265_13:                             ;   in Loop: Header=BB265_9 Depth=1
	s_or_b64 exec, exec, s[38:39]
.LBB265_14:                             ;   in Loop: Header=BB265_9 Depth=1
	s_or_b64 exec, exec, s[36:37]
.LBB265_15:                             ;   in Loop: Header=BB265_9 Depth=1
	s_or_b64 exec, exec, s[34:35]
	v_lshrrev_b16_e32 v2, 8, v10
	v_cmp_ne_u16_e64 s[0:1], 0, v2
	v_mov_b32_e32 v21, 0
	v_mov_b32_e32 v22, 0
	s_and_saveexec_b64 s[34:35], s[0:1]
	s_cbranch_execz .LBB265_21
; %bb.16:                               ;   in Loop: Header=BB265_9 Depth=1
	v_cmp_ne_u16_e64 s[0:1], s42, v2
	v_bfrev_b32_e32 v22, 1
	s_and_saveexec_b64 s[36:37], s[0:1]
	s_cbranch_execz .LBB265_20
; %bb.17:                               ;   in Loop: Header=BB265_9 Depth=1
	v_and_b32_e32 v23, 0x7f, v2
	v_cmp_ne_u32_e64 s[0:1], s43, v23
	v_mov_b32_e32 v22, 0x7c010000
	s_and_saveexec_b64 s[38:39], s[0:1]
	s_cbranch_execz .LBB265_19
; %bb.18:                               ;   in Loop: Header=BB265_9 Depth=1
	v_and_b32_e32 v22, 7, v2
	v_ffbh_u32_e32 v24, v22
	v_min_u32_e32 v28, 32, v24
	v_subrev_u32_e32 v24, 28, v28
	v_lshlrev_b64 v[24:25], v24, v[2:3]
	v_lshrrev_b32_e32 v27, 3, v23
	v_sub_u32_e32 v25, 29, v28
	v_cmp_gt_u32_e64 s[0:1], 8, v23
	v_lshlrev_b32_e32 v2, 8, v2
	v_and_b32_e32 v24, 7, v24
	v_cndmask_b32_e64 v23, v27, v25, s[0:1]
	v_lshl_add_u32 v23, v23, 10, v17
	v_and_or_b32 v2, v2, s44, v23
	v_cndmask_b32_e64 v22, v22, v24, s[0:1]
	v_lshlrev_b32_e32 v2, 16, v2
	v_lshl_or_b32 v22, v22, 23, v2
.LBB265_19:                             ;   in Loop: Header=BB265_9 Depth=1
	s_or_b64 exec, exec, s[38:39]
.LBB265_20:                             ;   in Loop: Header=BB265_9 Depth=1
	s_or_b64 exec, exec, s[36:37]
.LBB265_21:                             ;   in Loop: Header=BB265_9 Depth=1
	s_or_b64 exec, exec, s[34:35]
	v_lshrrev_b32_e32 v2, 16, v10
	v_cmp_ne_u16_sdwa s[0:1], v2, v3 src0_sel:BYTE_0 src1_sel:DWORD
	s_and_saveexec_b64 s[34:35], s[0:1]
	s_cbranch_execz .LBB265_27
; %bb.22:                               ;   in Loop: Header=BB265_9 Depth=1
	v_cmp_ne_u16_sdwa s[0:1], v2, s42 src0_sel:BYTE_0 src1_sel:DWORD
	v_mov_b32_e32 v21, 0x8000
	s_and_saveexec_b64 s[36:37], s[0:1]
	s_cbranch_execz .LBB265_26
; %bb.23:                               ;   in Loop: Header=BB265_9 Depth=1
	v_bfe_u32 v23, v10, 16, 7
	v_cmp_ne_u32_e64 s[0:1], s43, v23
	v_mov_b32_e32 v21, 0x7c01
	s_and_saveexec_b64 s[38:39], s[0:1]
	s_cbranch_execz .LBB265_25
; %bb.24:                               ;   in Loop: Header=BB265_9 Depth=1
	v_and_b32_e32 v21, 7, v2
	v_ffbh_u32_e32 v24, v21
	v_min_u32_e32 v28, 32, v24
	v_subrev_u32_e32 v24, 28, v28
	v_lshlrev_b64 v[24:25], v24, v[2:3]
	v_lshrrev_b32_e32 v27, 3, v23
	v_sub_u32_e32 v25, 29, v28
	v_cmp_gt_u32_e64 s[0:1], 8, v23
	v_lshlrev_b32_e32 v2, 8, v2
	v_and_b32_e32 v24, 7, v24
	v_cndmask_b32_e64 v23, v27, v25, s[0:1]
	v_lshl_add_u32 v23, v23, 10, v17
	v_and_b32_e32 v23, 0xfc00, v23
	v_cndmask_b32_e64 v21, v21, v24, s[0:1]
	v_and_or_b32 v2, v2, s44, v23
	v_lshl_or_b32 v21, v21, 7, v2
.LBB265_25:                             ;   in Loop: Header=BB265_9 Depth=1
	s_or_b64 exec, exec, s[38:39]
.LBB265_26:                             ;   in Loop: Header=BB265_9 Depth=1
	s_or_b64 exec, exec, s[36:37]
.LBB265_27:                             ;   in Loop: Header=BB265_9 Depth=1
	s_or_b64 exec, exec, s[34:35]
	v_cmp_lt_u32_e64 s[0:1], s45, v10
	v_mov_b32_e32 v24, 0
	v_mov_b32_e32 v23, 0
	s_and_saveexec_b64 s[34:35], s[0:1]
	s_cbranch_execz .LBB265_33
; %bb.28:                               ;   in Loop: Header=BB265_9 Depth=1
	v_lshrrev_b32_e32 v2, 24, v10
	v_cmp_ne_u32_e64 s[0:1], s42, v2
	v_bfrev_b32_e32 v23, 1
	s_and_saveexec_b64 s[36:37], s[0:1]
	s_cbranch_execz .LBB265_32
; %bb.29:                               ;   in Loop: Header=BB265_9 Depth=1
	v_and_b32_e32 v10, 0x7f, v2
	v_cmp_ne_u32_e64 s[0:1], s43, v10
	v_mov_b32_e32 v23, 0x7c010000
	s_and_saveexec_b64 s[38:39], s[0:1]
	s_cbranch_execz .LBB265_31
; %bb.30:                               ;   in Loop: Header=BB265_9 Depth=1
	v_and_b32_e32 v23, 7, v2
	v_ffbh_u32_e32 v27, v23
	v_min_u32_e32 v27, 32, v27
	v_lshrrev_b32_e32 v25, 3, v10
	v_subrev_u32_e32 v28, 28, v27
	v_sub_u32_e32 v27, 29, v27
	v_cmp_gt_u32_e64 s[0:1], 8, v10
	v_lshlrev_b64 v[28:29], v28, v[2:3]
	v_lshlrev_b32_e32 v2, 8, v2
	v_cndmask_b32_e64 v10, v25, v27, s[0:1]
	v_lshl_add_u32 v10, v10, 10, v17
	v_and_b32_e32 v25, 7, v28
	v_and_or_b32 v2, v2, s44, v10
	v_cndmask_b32_e64 v23, v23, v25, s[0:1]
	v_lshlrev_b32_e32 v2, 16, v2
	v_lshl_or_b32 v23, v23, 23, v2
.LBB265_31:                             ;   in Loop: Header=BB265_9 Depth=1
	s_or_b64 exec, exec, s[38:39]
.LBB265_32:                             ;   in Loop: Header=BB265_9 Depth=1
	s_or_b64 exec, exec, s[36:37]
.LBB265_33:                             ;   in Loop: Header=BB265_9 Depth=1
	s_or_b64 exec, exec, s[34:35]
	global_load_dword v10, v[8:9], off offset:8
	s_waitcnt vmcnt(0)
	v_cmp_ne_u16_sdwa s[0:1], v10, v3 src0_sel:BYTE_0 src1_sel:DWORD
	s_and_saveexec_b64 s[34:35], s[0:1]
	s_cbranch_execz .LBB265_39
; %bb.34:                               ;   in Loop: Header=BB265_9 Depth=1
	v_cmp_ne_u16_sdwa s[0:1], v10, s42 src0_sel:BYTE_0 src1_sel:DWORD
	v_mov_b32_e32 v24, 0x8000
	s_and_saveexec_b64 s[36:37], s[0:1]
	s_cbranch_execz .LBB265_38
; %bb.35:                               ;   in Loop: Header=BB265_9 Depth=1
	v_and_b32_e32 v2, 0x7f, v10
	v_cmp_ne_u32_e64 s[0:1], s43, v2
	v_mov_b32_e32 v24, 0x7c01
	s_and_saveexec_b64 s[38:39], s[0:1]
	s_cbranch_execz .LBB265_37
; %bb.36:                               ;   in Loop: Header=BB265_9 Depth=1
	v_and_b32_e32 v27, 7, v10
	v_ffbh_u32_e32 v24, v27
	v_min_u32_e32 v29, 32, v24
	v_subrev_u32_e32 v24, 28, v29
	v_lshlrev_b64 v[24:25], v24, v[10:11]
	v_lshrrev_b32_e32 v28, 3, v2
	v_sub_u32_e32 v25, 29, v29
	v_cmp_gt_u32_e64 s[0:1], 8, v2
	v_and_b32_e32 v24, 7, v24
	s_nop 0
	v_cndmask_b32_e64 v2, v28, v25, s[0:1]
	v_lshl_add_u32 v2, v2, 10, v17
	v_lshlrev_b32_e32 v25, 8, v10
	v_and_b32_e32 v2, 0xfc00, v2
	v_cndmask_b32_e64 v24, v27, v24, s[0:1]
	v_and_or_b32 v2, v25, s44, v2
	v_lshl_or_b32 v24, v24, 7, v2
.LBB265_37:                             ;   in Loop: Header=BB265_9 Depth=1
	s_or_b64 exec, exec, s[38:39]
.LBB265_38:                             ;   in Loop: Header=BB265_9 Depth=1
	s_or_b64 exec, exec, s[36:37]
.LBB265_39:                             ;   in Loop: Header=BB265_9 Depth=1
	s_or_b64 exec, exec, s[34:35]
	v_lshrrev_b16_e32 v2, 8, v10
	v_cmp_ne_u16_e64 s[0:1], 0, v2
	v_mov_b32_e32 v25, 0
	v_mov_b32_e32 v27, 0
	s_and_saveexec_b64 s[34:35], s[0:1]
	s_cbranch_execz .LBB265_45
; %bb.40:                               ;   in Loop: Header=BB265_9 Depth=1
	v_cmp_ne_u16_e64 s[0:1], s42, v2
	v_bfrev_b32_e32 v27, 1
	s_and_saveexec_b64 s[36:37], s[0:1]
	s_cbranch_execz .LBB265_44
; %bb.41:                               ;   in Loop: Header=BB265_9 Depth=1
	v_and_b32_e32 v28, 0x7f, v2
	v_cmp_ne_u32_e64 s[0:1], s43, v28
	v_mov_b32_e32 v27, 0x7c010000
	s_and_saveexec_b64 s[38:39], s[0:1]
	s_cbranch_execz .LBB265_43
; %bb.42:                               ;   in Loop: Header=BB265_9 Depth=1
	v_and_b32_e32 v27, 7, v2
	v_ffbh_u32_e32 v30, v27
	v_min_u32_e32 v32, 32, v30
	v_subrev_u32_e32 v30, 28, v32
	v_lshlrev_b64 v[30:31], v30, v[2:3]
	v_lshrrev_b32_e32 v29, 3, v28
	v_sub_u32_e32 v31, 29, v32
	v_cmp_gt_u32_e64 s[0:1], 8, v28
	v_lshlrev_b32_e32 v2, 8, v2
	s_nop 0
	v_cndmask_b32_e64 v28, v29, v31, s[0:1]
	v_lshl_add_u32 v28, v28, 10, v17
	v_and_b32_e32 v29, 7, v30
	v_and_or_b32 v2, v2, s44, v28
	v_cndmask_b32_e64 v27, v27, v29, s[0:1]
	v_lshlrev_b32_e32 v2, 16, v2
	v_lshl_or_b32 v27, v27, 23, v2
.LBB265_43:                             ;   in Loop: Header=BB265_9 Depth=1
	s_or_b64 exec, exec, s[38:39]
.LBB265_44:                             ;   in Loop: Header=BB265_9 Depth=1
	s_or_b64 exec, exec, s[36:37]
.LBB265_45:                             ;   in Loop: Header=BB265_9 Depth=1
	s_or_b64 exec, exec, s[34:35]
	v_lshrrev_b32_e32 v2, 16, v10
	v_cmp_ne_u16_sdwa s[0:1], v2, v3 src0_sel:BYTE_0 src1_sel:DWORD
	s_and_saveexec_b64 s[34:35], s[0:1]
	s_cbranch_execz .LBB265_51
; %bb.46:                               ;   in Loop: Header=BB265_9 Depth=1
	v_cmp_ne_u16_sdwa s[0:1], v2, s42 src0_sel:BYTE_0 src1_sel:DWORD
	v_mov_b32_e32 v25, 0x8000
	s_and_saveexec_b64 s[36:37], s[0:1]
	s_cbranch_execz .LBB265_50
; %bb.47:                               ;   in Loop: Header=BB265_9 Depth=1
	v_bfe_u32 v28, v10, 16, 7
	v_cmp_ne_u32_e64 s[0:1], s43, v28
	v_mov_b32_e32 v25, 0x7c01
	s_and_saveexec_b64 s[38:39], s[0:1]
	s_cbranch_execz .LBB265_49
; %bb.48:                               ;   in Loop: Header=BB265_9 Depth=1
	v_and_b32_e32 v25, 7, v2
	v_ffbh_u32_e32 v30, v25
	v_min_u32_e32 v32, 32, v30
	v_subrev_u32_e32 v30, 28, v32
	v_lshlrev_b64 v[30:31], v30, v[2:3]
	v_lshrrev_b32_e32 v29, 3, v28
	v_sub_u32_e32 v31, 29, v32
	v_cmp_gt_u32_e64 s[0:1], 8, v28
	v_lshlrev_b32_e32 v2, 8, v2
	s_nop 0
	v_cndmask_b32_e64 v28, v29, v31, s[0:1]
	v_lshl_add_u32 v28, v28, 10, v17
	v_and_b32_e32 v29, 7, v30
	v_and_b32_e32 v28, 0xfc00, v28
	v_cndmask_b32_e64 v25, v25, v29, s[0:1]
	v_and_or_b32 v2, v2, s44, v28
	v_lshl_or_b32 v25, v25, 7, v2
.LBB265_49:                             ;   in Loop: Header=BB265_9 Depth=1
	s_or_b64 exec, exec, s[38:39]
.LBB265_50:                             ;   in Loop: Header=BB265_9 Depth=1
	s_or_b64 exec, exec, s[36:37]
.LBB265_51:                             ;   in Loop: Header=BB265_9 Depth=1
	s_or_b64 exec, exec, s[34:35]
	v_cmp_lt_u32_e64 s[0:1], s45, v10
	v_mov_b32_e32 v29, 0
	v_mov_b32_e32 v28, 0
	s_and_saveexec_b64 s[34:35], s[0:1]
	s_cbranch_execz .LBB265_57
; %bb.52:                               ;   in Loop: Header=BB265_9 Depth=1
	v_lshrrev_b32_e32 v2, 24, v10
	v_cmp_ne_u32_e64 s[0:1], s42, v2
	v_bfrev_b32_e32 v28, 1
	s_and_saveexec_b64 s[36:37], s[0:1]
	s_cbranch_execz .LBB265_56
; %bb.53:                               ;   in Loop: Header=BB265_9 Depth=1
	v_and_b32_e32 v10, 0x7f, v2
	v_cmp_ne_u32_e64 s[0:1], s43, v10
	v_mov_b32_e32 v28, 0x7c010000
	s_and_saveexec_b64 s[38:39], s[0:1]
	s_cbranch_execz .LBB265_55
; %bb.54:                               ;   in Loop: Header=BB265_9 Depth=1
	v_and_b32_e32 v28, 7, v2
	v_ffbh_u32_e32 v30, v28
	v_min_u32_e32 v33, 32, v30
	v_subrev_u32_e32 v30, 28, v33
	v_lshlrev_b64 v[30:31], v30, v[2:3]
	v_lshrrev_b32_e32 v32, 3, v10
	v_sub_u32_e32 v31, 29, v33
	v_cmp_gt_u32_e64 s[0:1], 8, v10
	v_lshlrev_b32_e32 v2, 8, v2
	v_and_b32_e32 v30, 7, v30
	v_cndmask_b32_e64 v10, v32, v31, s[0:1]
	v_lshl_add_u32 v10, v10, 10, v17
	v_and_or_b32 v2, v2, s44, v10
	v_cndmask_b32_e64 v28, v28, v30, s[0:1]
	v_lshlrev_b32_e32 v2, 16, v2
	v_lshl_or_b32 v28, v28, 23, v2
.LBB265_55:                             ;   in Loop: Header=BB265_9 Depth=1
	s_or_b64 exec, exec, s[38:39]
.LBB265_56:                             ;   in Loop: Header=BB265_9 Depth=1
	s_or_b64 exec, exec, s[36:37]
.LBB265_57:                             ;   in Loop: Header=BB265_9 Depth=1
	s_or_b64 exec, exec, s[34:35]
	global_load_dword v10, v[8:9], off offset:512
	s_waitcnt vmcnt(0)
	v_cmp_ne_u16_sdwa s[0:1], v10, v3 src0_sel:BYTE_0 src1_sel:DWORD
	s_and_saveexec_b64 s[34:35], s[0:1]
	s_cbranch_execz .LBB265_63
; %bb.58:                               ;   in Loop: Header=BB265_9 Depth=1
	v_cmp_ne_u16_sdwa s[0:1], v10, s42 src0_sel:BYTE_0 src1_sel:DWORD
	v_mov_b32_e32 v29, 0x8000
	s_and_saveexec_b64 s[36:37], s[0:1]
	s_cbranch_execz .LBB265_62
; %bb.59:                               ;   in Loop: Header=BB265_9 Depth=1
	v_and_b32_e32 v2, 0x7f, v10
	v_cmp_ne_u32_e64 s[0:1], s43, v2
	v_mov_b32_e32 v29, 0x7c01
	s_and_saveexec_b64 s[38:39], s[0:1]
	s_cbranch_execz .LBB265_61
; %bb.60:                               ;   in Loop: Header=BB265_9 Depth=1
	v_and_b32_e32 v29, 7, v10
	v_ffbh_u32_e32 v30, v29
	v_min_u32_e32 v33, 32, v30
	v_subrev_u32_e32 v30, 28, v33
	v_lshlrev_b64 v[30:31], v30, v[10:11]
	v_lshrrev_b32_e32 v32, 3, v2
	v_sub_u32_e32 v31, 29, v33
	v_cmp_gt_u32_e64 s[0:1], 8, v2
	v_and_b32_e32 v30, 7, v30
	s_nop 0
	v_cndmask_b32_e64 v2, v32, v31, s[0:1]
	v_lshl_add_u32 v2, v2, 10, v17
	v_lshlrev_b32_e32 v31, 8, v10
	v_and_b32_e32 v2, 0xfc00, v2
	v_cndmask_b32_e64 v29, v29, v30, s[0:1]
	v_and_or_b32 v2, v31, s44, v2
	v_lshl_or_b32 v29, v29, 7, v2
.LBB265_61:                             ;   in Loop: Header=BB265_9 Depth=1
	s_or_b64 exec, exec, s[38:39]
.LBB265_62:                             ;   in Loop: Header=BB265_9 Depth=1
	s_or_b64 exec, exec, s[36:37]
.LBB265_63:                             ;   in Loop: Header=BB265_9 Depth=1
	s_or_b64 exec, exec, s[34:35]
	v_lshrrev_b16_e32 v2, 8, v10
	v_cmp_ne_u16_e64 s[0:1], 0, v2
	v_mov_b32_e32 v30, 0
	v_mov_b32_e32 v31, 0
	s_and_saveexec_b64 s[34:35], s[0:1]
	s_cbranch_execz .LBB265_69
; %bb.64:                               ;   in Loop: Header=BB265_9 Depth=1
	v_cmp_ne_u16_e64 s[0:1], s42, v2
	v_bfrev_b32_e32 v31, 1
	s_and_saveexec_b64 s[36:37], s[0:1]
	s_cbranch_execz .LBB265_68
; %bb.65:                               ;   in Loop: Header=BB265_9 Depth=1
	v_and_b32_e32 v32, 0x7f, v2
	v_cmp_ne_u32_e64 s[0:1], s43, v32
	v_mov_b32_e32 v31, 0x7c010000
	s_and_saveexec_b64 s[38:39], s[0:1]
	s_cbranch_execz .LBB265_67
; %bb.66:                               ;   in Loop: Header=BB265_9 Depth=1
	v_and_b32_e32 v31, 7, v2
	v_ffbh_u32_e32 v34, v31
	v_min_u32_e32 v36, 32, v34
	v_subrev_u32_e32 v34, 28, v36
	v_lshlrev_b64 v[34:35], v34, v[2:3]
	v_lshrrev_b32_e32 v33, 3, v32
	v_sub_u32_e32 v35, 29, v36
	v_cmp_gt_u32_e64 s[0:1], 8, v32
	v_lshlrev_b32_e32 v2, 8, v2
	s_nop 0
	v_cndmask_b32_e64 v32, v33, v35, s[0:1]
	v_lshl_add_u32 v32, v32, 10, v17
	v_and_b32_e32 v33, 7, v34
	v_and_or_b32 v2, v2, s44, v32
	v_cndmask_b32_e64 v31, v31, v33, s[0:1]
	v_lshlrev_b32_e32 v2, 16, v2
	v_lshl_or_b32 v31, v31, 23, v2
.LBB265_67:                             ;   in Loop: Header=BB265_9 Depth=1
	s_or_b64 exec, exec, s[38:39]
.LBB265_68:                             ;   in Loop: Header=BB265_9 Depth=1
	s_or_b64 exec, exec, s[36:37]
.LBB265_69:                             ;   in Loop: Header=BB265_9 Depth=1
	s_or_b64 exec, exec, s[34:35]
	v_lshrrev_b32_e32 v2, 16, v10
	v_cmp_ne_u16_sdwa s[0:1], v2, v3 src0_sel:BYTE_0 src1_sel:DWORD
	s_and_saveexec_b64 s[34:35], s[0:1]
	s_cbranch_execz .LBB265_75
; %bb.70:                               ;   in Loop: Header=BB265_9 Depth=1
	v_cmp_ne_u16_sdwa s[0:1], v2, s42 src0_sel:BYTE_0 src1_sel:DWORD
	v_mov_b32_e32 v30, 0x8000
	s_and_saveexec_b64 s[36:37], s[0:1]
	s_cbranch_execz .LBB265_74
; %bb.71:                               ;   in Loop: Header=BB265_9 Depth=1
	v_bfe_u32 v32, v10, 16, 7
	v_cmp_ne_u32_e64 s[0:1], s43, v32
	v_mov_b32_e32 v30, 0x7c01
	s_and_saveexec_b64 s[38:39], s[0:1]
	s_cbranch_execz .LBB265_73
; %bb.72:                               ;   in Loop: Header=BB265_9 Depth=1
	v_and_b32_e32 v30, 7, v2
	v_ffbh_u32_e32 v34, v30
	v_min_u32_e32 v36, 32, v34
	v_subrev_u32_e32 v34, 28, v36
	v_lshlrev_b64 v[34:35], v34, v[2:3]
	v_lshrrev_b32_e32 v33, 3, v32
	v_sub_u32_e32 v35, 29, v36
	v_cmp_gt_u32_e64 s[0:1], 8, v32
	v_lshlrev_b32_e32 v2, 8, v2
	s_nop 0
	v_cndmask_b32_e64 v32, v33, v35, s[0:1]
	v_lshl_add_u32 v32, v32, 10, v17
	v_and_b32_e32 v33, 7, v34
	v_and_b32_e32 v32, 0xfc00, v32
	v_cndmask_b32_e64 v30, v30, v33, s[0:1]
	v_and_or_b32 v2, v2, s44, v32
	v_lshl_or_b32 v30, v30, 7, v2
.LBB265_73:                             ;   in Loop: Header=BB265_9 Depth=1
	s_or_b64 exec, exec, s[38:39]
.LBB265_74:                             ;   in Loop: Header=BB265_9 Depth=1
	s_or_b64 exec, exec, s[36:37]
.LBB265_75:                             ;   in Loop: Header=BB265_9 Depth=1
	s_or_b64 exec, exec, s[34:35]
	v_cmp_lt_u32_e64 s[0:1], s45, v10
	v_mov_b32_e32 v33, 0
	v_mov_b32_e32 v32, 0
	s_and_saveexec_b64 s[34:35], s[0:1]
	s_cbranch_execz .LBB265_81
; %bb.76:                               ;   in Loop: Header=BB265_9 Depth=1
	v_lshrrev_b32_e32 v2, 24, v10
	v_cmp_ne_u32_e64 s[0:1], s42, v2
	v_bfrev_b32_e32 v32, 1
	s_and_saveexec_b64 s[36:37], s[0:1]
	s_cbranch_execz .LBB265_80
; %bb.77:                               ;   in Loop: Header=BB265_9 Depth=1
	v_and_b32_e32 v10, 0x7f, v2
	v_cmp_ne_u32_e64 s[0:1], s43, v10
	v_mov_b32_e32 v32, 0x7c010000
	s_and_saveexec_b64 s[38:39], s[0:1]
	s_cbranch_execz .LBB265_79
; %bb.78:                               ;   in Loop: Header=BB265_9 Depth=1
	v_and_b32_e32 v32, 7, v2
	v_ffbh_u32_e32 v34, v32
	v_min_u32_e32 v37, 32, v34
	v_subrev_u32_e32 v34, 28, v37
	v_lshlrev_b64 v[34:35], v34, v[2:3]
	v_lshrrev_b32_e32 v36, 3, v10
	v_sub_u32_e32 v35, 29, v37
	v_cmp_gt_u32_e64 s[0:1], 8, v10
	v_lshlrev_b32_e32 v2, 8, v2
	v_and_b32_e32 v34, 7, v34
	v_cndmask_b32_e64 v10, v36, v35, s[0:1]
	v_lshl_add_u32 v10, v10, 10, v17
	v_and_or_b32 v2, v2, s44, v10
	v_cndmask_b32_e64 v32, v32, v34, s[0:1]
	v_lshlrev_b32_e32 v2, 16, v2
	v_lshl_or_b32 v32, v32, 23, v2
.LBB265_79:                             ;   in Loop: Header=BB265_9 Depth=1
	s_or_b64 exec, exec, s[38:39]
.LBB265_80:                             ;   in Loop: Header=BB265_9 Depth=1
	s_or_b64 exec, exec, s[36:37]
.LBB265_81:                             ;   in Loop: Header=BB265_9 Depth=1
	s_or_b64 exec, exec, s[34:35]
	global_load_dword v10, v[8:9], off offset:520
	s_waitcnt vmcnt(0)
	v_cmp_ne_u16_sdwa s[0:1], v10, v3 src0_sel:BYTE_0 src1_sel:DWORD
	s_and_saveexec_b64 s[34:35], s[0:1]
	s_cbranch_execz .LBB265_87
; %bb.82:                               ;   in Loop: Header=BB265_9 Depth=1
	v_cmp_ne_u16_sdwa s[0:1], v10, s42 src0_sel:BYTE_0 src1_sel:DWORD
	v_mov_b32_e32 v33, 0x8000
	s_and_saveexec_b64 s[36:37], s[0:1]
	s_cbranch_execz .LBB265_86
; %bb.83:                               ;   in Loop: Header=BB265_9 Depth=1
	v_and_b32_e32 v2, 0x7f, v10
	v_cmp_ne_u32_e64 s[0:1], s43, v2
	v_mov_b32_e32 v33, 0x7c01
	s_and_saveexec_b64 s[38:39], s[0:1]
	s_cbranch_execz .LBB265_85
; %bb.84:                               ;   in Loop: Header=BB265_9 Depth=1
	v_and_b32_e32 v33, 7, v10
	v_ffbh_u32_e32 v34, v33
	v_min_u32_e32 v37, 32, v34
	v_subrev_u32_e32 v34, 28, v37
	v_lshlrev_b64 v[34:35], v34, v[10:11]
	v_lshrrev_b32_e32 v36, 3, v2
	v_sub_u32_e32 v35, 29, v37
	v_cmp_gt_u32_e64 s[0:1], 8, v2
	v_and_b32_e32 v34, 7, v34
	s_nop 0
	v_cndmask_b32_e64 v2, v36, v35, s[0:1]
	v_lshl_add_u32 v2, v2, 10, v17
	v_lshlrev_b32_e32 v35, 8, v10
	v_and_b32_e32 v2, 0xfc00, v2
	v_cndmask_b32_e64 v33, v33, v34, s[0:1]
	v_and_or_b32 v2, v35, s44, v2
	v_lshl_or_b32 v33, v33, 7, v2
.LBB265_85:                             ;   in Loop: Header=BB265_9 Depth=1
	s_or_b64 exec, exec, s[38:39]
.LBB265_86:                             ;   in Loop: Header=BB265_9 Depth=1
	s_or_b64 exec, exec, s[36:37]
.LBB265_87:                             ;   in Loop: Header=BB265_9 Depth=1
	s_or_b64 exec, exec, s[34:35]
	v_lshrrev_b16_e32 v2, 8, v10
	v_cmp_ne_u16_e64 s[0:1], 0, v2
	v_mov_b32_e32 v34, 0
	v_mov_b32_e32 v35, 0
	s_and_saveexec_b64 s[34:35], s[0:1]
	s_cbranch_execz .LBB265_93
; %bb.88:                               ;   in Loop: Header=BB265_9 Depth=1
	v_cmp_ne_u16_e64 s[0:1], s42, v2
	v_bfrev_b32_e32 v35, 1
	s_and_saveexec_b64 s[36:37], s[0:1]
	s_cbranch_execz .LBB265_92
; %bb.89:                               ;   in Loop: Header=BB265_9 Depth=1
	v_and_b32_e32 v36, 0x7f, v2
	v_cmp_ne_u32_e64 s[0:1], s43, v36
	v_mov_b32_e32 v35, 0x7c010000
	s_and_saveexec_b64 s[38:39], s[0:1]
	s_cbranch_execz .LBB265_91
; %bb.90:                               ;   in Loop: Header=BB265_9 Depth=1
	v_and_b32_e32 v35, 7, v2
	v_ffbh_u32_e32 v38, v35
	v_min_u32_e32 v40, 32, v38
	v_subrev_u32_e32 v38, 28, v40
	v_lshlrev_b64 v[38:39], v38, v[2:3]
	v_lshrrev_b32_e32 v37, 3, v36
	v_sub_u32_e32 v39, 29, v40
	v_cmp_gt_u32_e64 s[0:1], 8, v36
	v_lshlrev_b32_e32 v2, 8, v2
	s_nop 0
	v_cndmask_b32_e64 v36, v37, v39, s[0:1]
	v_lshl_add_u32 v36, v36, 10, v17
	v_and_b32_e32 v37, 7, v38
	v_and_or_b32 v2, v2, s44, v36
	v_cndmask_b32_e64 v35, v35, v37, s[0:1]
	v_lshlrev_b32_e32 v2, 16, v2
	v_lshl_or_b32 v35, v35, 23, v2
.LBB265_91:                             ;   in Loop: Header=BB265_9 Depth=1
	s_or_b64 exec, exec, s[38:39]
.LBB265_92:                             ;   in Loop: Header=BB265_9 Depth=1
	s_or_b64 exec, exec, s[36:37]
.LBB265_93:                             ;   in Loop: Header=BB265_9 Depth=1
	s_or_b64 exec, exec, s[34:35]
	v_lshrrev_b32_e32 v2, 16, v10
	v_cmp_ne_u16_sdwa s[0:1], v2, v3 src0_sel:BYTE_0 src1_sel:DWORD
	s_and_saveexec_b64 s[34:35], s[0:1]
	s_cbranch_execz .LBB265_99
; %bb.94:                               ;   in Loop: Header=BB265_9 Depth=1
	v_cmp_ne_u16_sdwa s[0:1], v2, s42 src0_sel:BYTE_0 src1_sel:DWORD
	v_mov_b32_e32 v34, 0x8000
	s_and_saveexec_b64 s[36:37], s[0:1]
	s_cbranch_execz .LBB265_98
; %bb.95:                               ;   in Loop: Header=BB265_9 Depth=1
	v_bfe_u32 v36, v10, 16, 7
	v_cmp_ne_u32_e64 s[0:1], s43, v36
	v_mov_b32_e32 v34, 0x7c01
	s_and_saveexec_b64 s[38:39], s[0:1]
	s_cbranch_execz .LBB265_97
; %bb.96:                               ;   in Loop: Header=BB265_9 Depth=1
	v_and_b32_e32 v34, 7, v2
	v_ffbh_u32_e32 v38, v34
	v_min_u32_e32 v40, 32, v38
	v_subrev_u32_e32 v38, 28, v40
	v_lshlrev_b64 v[38:39], v38, v[2:3]
	v_lshrrev_b32_e32 v37, 3, v36
	v_sub_u32_e32 v39, 29, v40
	v_cmp_gt_u32_e64 s[0:1], 8, v36
	v_lshlrev_b32_e32 v2, 8, v2
	s_nop 0
	v_cndmask_b32_e64 v36, v37, v39, s[0:1]
	v_lshl_add_u32 v36, v36, 10, v17
	v_and_b32_e32 v37, 7, v38
	v_and_b32_e32 v36, 0xfc00, v36
	v_cndmask_b32_e64 v34, v34, v37, s[0:1]
	v_and_or_b32 v2, v2, s44, v36
	v_lshl_or_b32 v34, v34, 7, v2
.LBB265_97:                             ;   in Loop: Header=BB265_9 Depth=1
	s_or_b64 exec, exec, s[38:39]
.LBB265_98:                             ;   in Loop: Header=BB265_9 Depth=1
	s_or_b64 exec, exec, s[36:37]
.LBB265_99:                             ;   in Loop: Header=BB265_9 Depth=1
	s_or_b64 exec, exec, s[34:35]
	v_cmp_lt_u32_e64 s[0:1], s45, v10
	v_mov_b32_e32 v37, 0
	v_mov_b32_e32 v36, 0
	s_and_saveexec_b64 s[34:35], s[0:1]
	s_cbranch_execz .LBB265_105
; %bb.100:                              ;   in Loop: Header=BB265_9 Depth=1
	v_lshrrev_b32_e32 v2, 24, v10
	v_cmp_ne_u32_e64 s[0:1], s42, v2
	v_bfrev_b32_e32 v36, 1
	s_and_saveexec_b64 s[36:37], s[0:1]
	s_cbranch_execz .LBB265_104
; %bb.101:                              ;   in Loop: Header=BB265_9 Depth=1
	v_and_b32_e32 v10, 0x7f, v2
	v_cmp_ne_u32_e64 s[0:1], s43, v10
	v_mov_b32_e32 v36, 0x7c010000
	s_and_saveexec_b64 s[38:39], s[0:1]
	s_cbranch_execz .LBB265_103
; %bb.102:                              ;   in Loop: Header=BB265_9 Depth=1
	v_and_b32_e32 v36, 7, v2
	v_ffbh_u32_e32 v38, v36
	v_min_u32_e32 v41, 32, v38
	v_subrev_u32_e32 v38, 28, v41
	v_lshlrev_b64 v[38:39], v38, v[2:3]
	v_lshrrev_b32_e32 v40, 3, v10
	v_sub_u32_e32 v39, 29, v41
	v_cmp_gt_u32_e64 s[0:1], 8, v10
	v_lshlrev_b32_e32 v2, 8, v2
	v_and_b32_e32 v38, 7, v38
	v_cndmask_b32_e64 v10, v40, v39, s[0:1]
	v_lshl_add_u32 v10, v10, 10, v17
	v_and_or_b32 v2, v2, s44, v10
	v_cndmask_b32_e64 v36, v36, v38, s[0:1]
	v_lshlrev_b32_e32 v2, 16, v2
	v_lshl_or_b32 v36, v36, 23, v2
.LBB265_103:                            ;   in Loop: Header=BB265_9 Depth=1
	s_or_b64 exec, exec, s[38:39]
.LBB265_104:                            ;   in Loop: Header=BB265_9 Depth=1
	s_or_b64 exec, exec, s[36:37]
.LBB265_105:                            ;   in Loop: Header=BB265_9 Depth=1
	s_or_b64 exec, exec, s[34:35]
	global_load_dword v10, v[8:9], off offset:1024
	s_waitcnt vmcnt(0)
	v_cmp_ne_u16_sdwa s[0:1], v10, v3 src0_sel:BYTE_0 src1_sel:DWORD
	s_and_saveexec_b64 s[34:35], s[0:1]
	s_cbranch_execz .LBB265_111
; %bb.106:                              ;   in Loop: Header=BB265_9 Depth=1
	v_cmp_ne_u16_sdwa s[0:1], v10, s42 src0_sel:BYTE_0 src1_sel:DWORD
	v_mov_b32_e32 v37, 0x8000
	s_and_saveexec_b64 s[36:37], s[0:1]
	s_cbranch_execz .LBB265_110
; %bb.107:                              ;   in Loop: Header=BB265_9 Depth=1
	v_and_b32_e32 v2, 0x7f, v10
	v_cmp_ne_u32_e64 s[0:1], s43, v2
	v_mov_b32_e32 v37, 0x7c01
	s_and_saveexec_b64 s[38:39], s[0:1]
	s_cbranch_execz .LBB265_109
; %bb.108:                              ;   in Loop: Header=BB265_9 Depth=1
	v_and_b32_e32 v37, 7, v10
	v_ffbh_u32_e32 v38, v37
	v_min_u32_e32 v41, 32, v38
	v_subrev_u32_e32 v38, 28, v41
	v_lshlrev_b64 v[38:39], v38, v[10:11]
	v_lshrrev_b32_e32 v40, 3, v2
	v_sub_u32_e32 v39, 29, v41
	v_cmp_gt_u32_e64 s[0:1], 8, v2
	v_and_b32_e32 v38, 7, v38
	s_nop 0
	v_cndmask_b32_e64 v2, v40, v39, s[0:1]
	v_lshl_add_u32 v2, v2, 10, v17
	v_lshlrev_b32_e32 v39, 8, v10
	v_and_b32_e32 v2, 0xfc00, v2
	v_cndmask_b32_e64 v37, v37, v38, s[0:1]
	v_and_or_b32 v2, v39, s44, v2
	v_lshl_or_b32 v37, v37, 7, v2
.LBB265_109:                            ;   in Loop: Header=BB265_9 Depth=1
	s_or_b64 exec, exec, s[38:39]
.LBB265_110:                            ;   in Loop: Header=BB265_9 Depth=1
	s_or_b64 exec, exec, s[36:37]
.LBB265_111:                            ;   in Loop: Header=BB265_9 Depth=1
	s_or_b64 exec, exec, s[34:35]
	v_lshrrev_b16_e32 v2, 8, v10
	v_cmp_ne_u16_e64 s[0:1], 0, v2
	v_mov_b32_e32 v38, 0
	v_mov_b32_e32 v39, 0
	s_and_saveexec_b64 s[34:35], s[0:1]
	s_cbranch_execz .LBB265_117
; %bb.112:                              ;   in Loop: Header=BB265_9 Depth=1
	v_cmp_ne_u16_e64 s[0:1], s42, v2
	v_bfrev_b32_e32 v39, 1
	s_and_saveexec_b64 s[36:37], s[0:1]
	s_cbranch_execz .LBB265_116
; %bb.113:                              ;   in Loop: Header=BB265_9 Depth=1
	v_and_b32_e32 v40, 0x7f, v2
	v_cmp_ne_u32_e64 s[0:1], s43, v40
	v_mov_b32_e32 v39, 0x7c010000
	s_and_saveexec_b64 s[38:39], s[0:1]
	s_cbranch_execz .LBB265_115
; %bb.114:                              ;   in Loop: Header=BB265_9 Depth=1
	v_and_b32_e32 v39, 7, v2
	v_ffbh_u32_e32 v42, v39
	v_min_u32_e32 v44, 32, v42
	v_subrev_u32_e32 v42, 28, v44
	v_lshlrev_b64 v[42:43], v42, v[2:3]
	v_lshrrev_b32_e32 v41, 3, v40
	v_sub_u32_e32 v43, 29, v44
	v_cmp_gt_u32_e64 s[0:1], 8, v40
	v_lshlrev_b32_e32 v2, 8, v2
	s_nop 0
	v_cndmask_b32_e64 v40, v41, v43, s[0:1]
	v_lshl_add_u32 v40, v40, 10, v17
	v_and_b32_e32 v41, 7, v42
	v_and_or_b32 v2, v2, s44, v40
	v_cndmask_b32_e64 v39, v39, v41, s[0:1]
	v_lshlrev_b32_e32 v2, 16, v2
	v_lshl_or_b32 v39, v39, 23, v2
.LBB265_115:                            ;   in Loop: Header=BB265_9 Depth=1
	s_or_b64 exec, exec, s[38:39]
.LBB265_116:                            ;   in Loop: Header=BB265_9 Depth=1
	s_or_b64 exec, exec, s[36:37]
.LBB265_117:                            ;   in Loop: Header=BB265_9 Depth=1
	s_or_b64 exec, exec, s[34:35]
	v_lshrrev_b32_e32 v2, 16, v10
	v_cmp_ne_u16_sdwa s[0:1], v2, v3 src0_sel:BYTE_0 src1_sel:DWORD
	s_and_saveexec_b64 s[34:35], s[0:1]
	s_cbranch_execz .LBB265_123
; %bb.118:                              ;   in Loop: Header=BB265_9 Depth=1
	v_cmp_ne_u16_sdwa s[0:1], v2, s42 src0_sel:BYTE_0 src1_sel:DWORD
	v_mov_b32_e32 v38, 0x8000
	s_and_saveexec_b64 s[36:37], s[0:1]
	s_cbranch_execz .LBB265_122
; %bb.119:                              ;   in Loop: Header=BB265_9 Depth=1
	v_bfe_u32 v40, v10, 16, 7
	v_cmp_ne_u32_e64 s[0:1], s43, v40
	v_mov_b32_e32 v38, 0x7c01
	s_and_saveexec_b64 s[38:39], s[0:1]
	s_cbranch_execz .LBB265_121
; %bb.120:                              ;   in Loop: Header=BB265_9 Depth=1
	v_and_b32_e32 v38, 7, v2
	v_ffbh_u32_e32 v42, v38
	v_min_u32_e32 v44, 32, v42
	v_subrev_u32_e32 v42, 28, v44
	v_lshlrev_b64 v[42:43], v42, v[2:3]
	v_lshrrev_b32_e32 v41, 3, v40
	v_sub_u32_e32 v43, 29, v44
	v_cmp_gt_u32_e64 s[0:1], 8, v40
	v_lshlrev_b32_e32 v2, 8, v2
	s_nop 0
	v_cndmask_b32_e64 v40, v41, v43, s[0:1]
	v_lshl_add_u32 v40, v40, 10, v17
	v_and_b32_e32 v41, 7, v42
	v_and_b32_e32 v40, 0xfc00, v40
	v_cndmask_b32_e64 v38, v38, v41, s[0:1]
	v_and_or_b32 v2, v2, s44, v40
	v_lshl_or_b32 v38, v38, 7, v2
.LBB265_121:                            ;   in Loop: Header=BB265_9 Depth=1
	s_or_b64 exec, exec, s[38:39]
.LBB265_122:                            ;   in Loop: Header=BB265_9 Depth=1
	s_or_b64 exec, exec, s[36:37]
.LBB265_123:                            ;   in Loop: Header=BB265_9 Depth=1
	s_or_b64 exec, exec, s[34:35]
	v_cmp_lt_u32_e64 s[0:1], s45, v10
	v_mov_b32_e32 v41, 0
	v_mov_b32_e32 v40, 0
	s_and_saveexec_b64 s[34:35], s[0:1]
	s_cbranch_execz .LBB265_129
; %bb.124:                              ;   in Loop: Header=BB265_9 Depth=1
	v_lshrrev_b32_e32 v2, 24, v10
	v_cmp_ne_u32_e64 s[0:1], s42, v2
	v_bfrev_b32_e32 v40, 1
	s_and_saveexec_b64 s[36:37], s[0:1]
	s_cbranch_execz .LBB265_128
; %bb.125:                              ;   in Loop: Header=BB265_9 Depth=1
	v_and_b32_e32 v10, 0x7f, v2
	v_cmp_ne_u32_e64 s[0:1], s43, v10
	v_mov_b32_e32 v40, 0x7c010000
	s_and_saveexec_b64 s[38:39], s[0:1]
	s_cbranch_execz .LBB265_127
; %bb.126:                              ;   in Loop: Header=BB265_9 Depth=1
	v_and_b32_e32 v40, 7, v2
	v_ffbh_u32_e32 v42, v40
	v_min_u32_e32 v45, 32, v42
	v_subrev_u32_e32 v42, 28, v45
	v_lshlrev_b64 v[42:43], v42, v[2:3]
	v_lshrrev_b32_e32 v44, 3, v10
	v_sub_u32_e32 v43, 29, v45
	v_cmp_gt_u32_e64 s[0:1], 8, v10
	v_lshlrev_b32_e32 v2, 8, v2
	v_and_b32_e32 v42, 7, v42
	v_cndmask_b32_e64 v10, v44, v43, s[0:1]
	v_lshl_add_u32 v10, v10, 10, v17
	v_and_or_b32 v2, v2, s44, v10
	v_cndmask_b32_e64 v40, v40, v42, s[0:1]
	v_lshlrev_b32_e32 v2, 16, v2
	v_lshl_or_b32 v40, v40, 23, v2
.LBB265_127:                            ;   in Loop: Header=BB265_9 Depth=1
	s_or_b64 exec, exec, s[38:39]
.LBB265_128:                            ;   in Loop: Header=BB265_9 Depth=1
	s_or_b64 exec, exec, s[36:37]
.LBB265_129:                            ;   in Loop: Header=BB265_9 Depth=1
	s_or_b64 exec, exec, s[34:35]
	global_load_dword v10, v[8:9], off offset:1032
	s_waitcnt vmcnt(0)
	v_cmp_ne_u16_sdwa s[0:1], v10, v3 src0_sel:BYTE_0 src1_sel:DWORD
	s_and_saveexec_b64 s[34:35], s[0:1]
	s_cbranch_execz .LBB265_135
; %bb.130:                              ;   in Loop: Header=BB265_9 Depth=1
	v_cmp_ne_u16_sdwa s[0:1], v10, s42 src0_sel:BYTE_0 src1_sel:DWORD
	v_mov_b32_e32 v41, 0x8000
	s_and_saveexec_b64 s[36:37], s[0:1]
	s_cbranch_execz .LBB265_134
; %bb.131:                              ;   in Loop: Header=BB265_9 Depth=1
	v_and_b32_e32 v2, 0x7f, v10
	v_cmp_ne_u32_e64 s[0:1], s43, v2
	v_mov_b32_e32 v41, 0x7c01
	s_and_saveexec_b64 s[38:39], s[0:1]
	s_cbranch_execz .LBB265_133
; %bb.132:                              ;   in Loop: Header=BB265_9 Depth=1
	v_and_b32_e32 v41, 7, v10
	v_ffbh_u32_e32 v42, v41
	v_min_u32_e32 v45, 32, v42
	v_subrev_u32_e32 v42, 28, v45
	v_lshlrev_b64 v[42:43], v42, v[10:11]
	v_lshrrev_b32_e32 v44, 3, v2
	v_sub_u32_e32 v43, 29, v45
	v_cmp_gt_u32_e64 s[0:1], 8, v2
	v_and_b32_e32 v42, 7, v42
	s_nop 0
	v_cndmask_b32_e64 v2, v44, v43, s[0:1]
	v_lshl_add_u32 v2, v2, 10, v17
	v_lshlrev_b32_e32 v43, 8, v10
	v_and_b32_e32 v2, 0xfc00, v2
	v_cndmask_b32_e64 v41, v41, v42, s[0:1]
	v_and_or_b32 v2, v43, s44, v2
	v_lshl_or_b32 v41, v41, 7, v2
.LBB265_133:                            ;   in Loop: Header=BB265_9 Depth=1
	s_or_b64 exec, exec, s[38:39]
.LBB265_134:                            ;   in Loop: Header=BB265_9 Depth=1
	s_or_b64 exec, exec, s[36:37]
.LBB265_135:                            ;   in Loop: Header=BB265_9 Depth=1
	s_or_b64 exec, exec, s[34:35]
	v_lshrrev_b16_e32 v2, 8, v10
	v_cmp_ne_u16_e64 s[0:1], 0, v2
	v_mov_b32_e32 v42, 0
	v_mov_b32_e32 v43, 0
	s_and_saveexec_b64 s[34:35], s[0:1]
	s_cbranch_execz .LBB265_141
; %bb.136:                              ;   in Loop: Header=BB265_9 Depth=1
	v_cmp_ne_u16_e64 s[0:1], s42, v2
	v_bfrev_b32_e32 v43, 1
	s_and_saveexec_b64 s[36:37], s[0:1]
	s_cbranch_execz .LBB265_140
; %bb.137:                              ;   in Loop: Header=BB265_9 Depth=1
	v_and_b32_e32 v44, 0x7f, v2
	v_cmp_ne_u32_e64 s[0:1], s43, v44
	v_mov_b32_e32 v43, 0x7c010000
	s_and_saveexec_b64 s[38:39], s[0:1]
	s_cbranch_execz .LBB265_139
; %bb.138:                              ;   in Loop: Header=BB265_9 Depth=1
	v_and_b32_e32 v43, 7, v2
	v_ffbh_u32_e32 v46, v43
	v_min_u32_e32 v48, 32, v46
	v_subrev_u32_e32 v46, 28, v48
	v_lshlrev_b64 v[46:47], v46, v[2:3]
	v_lshrrev_b32_e32 v45, 3, v44
	v_sub_u32_e32 v47, 29, v48
	v_cmp_gt_u32_e64 s[0:1], 8, v44
	v_lshlrev_b32_e32 v2, 8, v2
	s_nop 0
	v_cndmask_b32_e64 v44, v45, v47, s[0:1]
	v_lshl_add_u32 v44, v44, 10, v17
	v_and_b32_e32 v45, 7, v46
	v_and_or_b32 v2, v2, s44, v44
	v_cndmask_b32_e64 v43, v43, v45, s[0:1]
	v_lshlrev_b32_e32 v2, 16, v2
	v_lshl_or_b32 v43, v43, 23, v2
.LBB265_139:                            ;   in Loop: Header=BB265_9 Depth=1
	s_or_b64 exec, exec, s[38:39]
.LBB265_140:                            ;   in Loop: Header=BB265_9 Depth=1
	s_or_b64 exec, exec, s[36:37]
.LBB265_141:                            ;   in Loop: Header=BB265_9 Depth=1
	s_or_b64 exec, exec, s[34:35]
	v_lshrrev_b32_e32 v2, 16, v10
	v_cmp_ne_u16_sdwa s[0:1], v2, v3 src0_sel:BYTE_0 src1_sel:DWORD
	s_and_saveexec_b64 s[34:35], s[0:1]
	s_cbranch_execz .LBB265_147
; %bb.142:                              ;   in Loop: Header=BB265_9 Depth=1
	v_cmp_ne_u16_sdwa s[0:1], v2, s42 src0_sel:BYTE_0 src1_sel:DWORD
	v_mov_b32_e32 v42, 0x8000
	s_and_saveexec_b64 s[36:37], s[0:1]
	s_cbranch_execz .LBB265_146
; %bb.143:                              ;   in Loop: Header=BB265_9 Depth=1
	v_bfe_u32 v44, v10, 16, 7
	v_cmp_ne_u32_e64 s[0:1], s43, v44
	v_mov_b32_e32 v42, 0x7c01
	s_and_saveexec_b64 s[38:39], s[0:1]
	s_cbranch_execz .LBB265_145
; %bb.144:                              ;   in Loop: Header=BB265_9 Depth=1
	v_and_b32_e32 v42, 7, v2
	v_ffbh_u32_e32 v46, v42
	v_min_u32_e32 v48, 32, v46
	v_subrev_u32_e32 v46, 28, v48
	v_lshlrev_b64 v[46:47], v46, v[2:3]
	v_lshrrev_b32_e32 v45, 3, v44
	v_sub_u32_e32 v47, 29, v48
	v_cmp_gt_u32_e64 s[0:1], 8, v44
	v_lshlrev_b32_e32 v2, 8, v2
	s_nop 0
	v_cndmask_b32_e64 v44, v45, v47, s[0:1]
	v_lshl_add_u32 v44, v44, 10, v17
	v_and_b32_e32 v45, 7, v46
	v_and_b32_e32 v44, 0xfc00, v44
	v_cndmask_b32_e64 v42, v42, v45, s[0:1]
	v_and_or_b32 v2, v2, s44, v44
	v_lshl_or_b32 v42, v42, 7, v2
.LBB265_145:                            ;   in Loop: Header=BB265_9 Depth=1
	s_or_b64 exec, exec, s[38:39]
.LBB265_146:                            ;   in Loop: Header=BB265_9 Depth=1
	s_or_b64 exec, exec, s[36:37]
.LBB265_147:                            ;   in Loop: Header=BB265_9 Depth=1
	s_or_b64 exec, exec, s[34:35]
	v_cmp_lt_u32_e64 s[0:1], s45, v10
	v_mov_b32_e32 v45, 0
	v_mov_b32_e32 v44, 0
	s_and_saveexec_b64 s[34:35], s[0:1]
	s_cbranch_execz .LBB265_153
; %bb.148:                              ;   in Loop: Header=BB265_9 Depth=1
	v_lshrrev_b32_e32 v2, 24, v10
	v_cmp_ne_u32_e64 s[0:1], s42, v2
	v_bfrev_b32_e32 v44, 1
	s_and_saveexec_b64 s[36:37], s[0:1]
	s_cbranch_execz .LBB265_152
; %bb.149:                              ;   in Loop: Header=BB265_9 Depth=1
	v_and_b32_e32 v10, 0x7f, v2
	v_cmp_ne_u32_e64 s[0:1], s43, v10
	v_mov_b32_e32 v44, 0x7c010000
	s_and_saveexec_b64 s[38:39], s[0:1]
	s_cbranch_execz .LBB265_151
; %bb.150:                              ;   in Loop: Header=BB265_9 Depth=1
	v_and_b32_e32 v44, 7, v2
	v_ffbh_u32_e32 v46, v44
	v_min_u32_e32 v49, 32, v46
	v_subrev_u32_e32 v46, 28, v49
	v_lshlrev_b64 v[46:47], v46, v[2:3]
	v_lshrrev_b32_e32 v48, 3, v10
	v_sub_u32_e32 v47, 29, v49
	v_cmp_gt_u32_e64 s[0:1], 8, v10
	v_lshlrev_b32_e32 v2, 8, v2
	v_and_b32_e32 v46, 7, v46
	v_cndmask_b32_e64 v10, v48, v47, s[0:1]
	v_lshl_add_u32 v10, v10, 10, v17
	v_and_or_b32 v2, v2, s44, v10
	v_cndmask_b32_e64 v44, v44, v46, s[0:1]
	v_lshlrev_b32_e32 v2, 16, v2
	v_lshl_or_b32 v44, v44, 23, v2
.LBB265_151:                            ;   in Loop: Header=BB265_9 Depth=1
	s_or_b64 exec, exec, s[38:39]
.LBB265_152:                            ;   in Loop: Header=BB265_9 Depth=1
	s_or_b64 exec, exec, s[36:37]
.LBB265_153:                            ;   in Loop: Header=BB265_9 Depth=1
	s_or_b64 exec, exec, s[34:35]
	global_load_dword v10, v[8:9], off offset:1536
	s_waitcnt vmcnt(0)
	v_cmp_ne_u16_sdwa s[0:1], v10, v3 src0_sel:BYTE_0 src1_sel:DWORD
	s_and_saveexec_b64 s[34:35], s[0:1]
	s_cbranch_execz .LBB265_159
; %bb.154:                              ;   in Loop: Header=BB265_9 Depth=1
	v_cmp_ne_u16_sdwa s[0:1], v10, s42 src0_sel:BYTE_0 src1_sel:DWORD
	v_mov_b32_e32 v45, 0x8000
	s_and_saveexec_b64 s[36:37], s[0:1]
	s_cbranch_execz .LBB265_158
; %bb.155:                              ;   in Loop: Header=BB265_9 Depth=1
	v_and_b32_e32 v2, 0x7f, v10
	v_cmp_ne_u32_e64 s[0:1], s43, v2
	v_mov_b32_e32 v45, 0x7c01
	s_and_saveexec_b64 s[38:39], s[0:1]
	s_cbranch_execz .LBB265_157
; %bb.156:                              ;   in Loop: Header=BB265_9 Depth=1
	v_and_b32_e32 v45, 7, v10
	v_ffbh_u32_e32 v46, v45
	v_min_u32_e32 v49, 32, v46
	v_subrev_u32_e32 v46, 28, v49
	v_lshlrev_b64 v[46:47], v46, v[10:11]
	v_lshrrev_b32_e32 v48, 3, v2
	v_sub_u32_e32 v47, 29, v49
	v_cmp_gt_u32_e64 s[0:1], 8, v2
	v_and_b32_e32 v46, 7, v46
	s_nop 0
	v_cndmask_b32_e64 v2, v48, v47, s[0:1]
	v_lshl_add_u32 v2, v2, 10, v17
	v_lshlrev_b32_e32 v47, 8, v10
	v_and_b32_e32 v2, 0xfc00, v2
	v_cndmask_b32_e64 v45, v45, v46, s[0:1]
	v_and_or_b32 v2, v47, s44, v2
	v_lshl_or_b32 v45, v45, 7, v2
.LBB265_157:                            ;   in Loop: Header=BB265_9 Depth=1
	s_or_b64 exec, exec, s[38:39]
.LBB265_158:                            ;   in Loop: Header=BB265_9 Depth=1
	s_or_b64 exec, exec, s[36:37]
.LBB265_159:                            ;   in Loop: Header=BB265_9 Depth=1
	s_or_b64 exec, exec, s[34:35]
	v_lshrrev_b16_e32 v2, 8, v10
	v_cmp_ne_u16_e64 s[0:1], 0, v2
	v_mov_b32_e32 v46, 0
	v_mov_b32_e32 v47, 0
	s_and_saveexec_b64 s[34:35], s[0:1]
	s_cbranch_execz .LBB265_165
; %bb.160:                              ;   in Loop: Header=BB265_9 Depth=1
	v_cmp_ne_u16_e64 s[0:1], s42, v2
	v_bfrev_b32_e32 v47, 1
	s_and_saveexec_b64 s[36:37], s[0:1]
	s_cbranch_execz .LBB265_164
; %bb.161:                              ;   in Loop: Header=BB265_9 Depth=1
	v_and_b32_e32 v48, 0x7f, v2
	v_cmp_ne_u32_e64 s[0:1], s43, v48
	v_mov_b32_e32 v47, 0x7c010000
	s_and_saveexec_b64 s[38:39], s[0:1]
	s_cbranch_execz .LBB265_163
; %bb.162:                              ;   in Loop: Header=BB265_9 Depth=1
	v_and_b32_e32 v47, 7, v2
	v_ffbh_u32_e32 v50, v47
	v_min_u32_e32 v52, 32, v50
	v_subrev_u32_e32 v50, 28, v52
	v_lshlrev_b64 v[50:51], v50, v[2:3]
	v_lshrrev_b32_e32 v49, 3, v48
	v_sub_u32_e32 v51, 29, v52
	v_cmp_gt_u32_e64 s[0:1], 8, v48
	v_lshlrev_b32_e32 v2, 8, v2
	s_nop 0
	v_cndmask_b32_e64 v48, v49, v51, s[0:1]
	v_lshl_add_u32 v48, v48, 10, v17
	v_and_b32_e32 v49, 7, v50
	v_and_or_b32 v2, v2, s44, v48
	v_cndmask_b32_e64 v47, v47, v49, s[0:1]
	v_lshlrev_b32_e32 v2, 16, v2
	v_lshl_or_b32 v47, v47, 23, v2
.LBB265_163:                            ;   in Loop: Header=BB265_9 Depth=1
	s_or_b64 exec, exec, s[38:39]
.LBB265_164:                            ;   in Loop: Header=BB265_9 Depth=1
	s_or_b64 exec, exec, s[36:37]
.LBB265_165:                            ;   in Loop: Header=BB265_9 Depth=1
	s_or_b64 exec, exec, s[34:35]
	v_lshrrev_b32_e32 v2, 16, v10
	v_cmp_ne_u16_sdwa s[0:1], v2, v3 src0_sel:BYTE_0 src1_sel:DWORD
	s_and_saveexec_b64 s[34:35], s[0:1]
	s_cbranch_execz .LBB265_171
; %bb.166:                              ;   in Loop: Header=BB265_9 Depth=1
	v_cmp_ne_u16_sdwa s[0:1], v2, s42 src0_sel:BYTE_0 src1_sel:DWORD
	v_mov_b32_e32 v46, 0x8000
	s_and_saveexec_b64 s[36:37], s[0:1]
	s_cbranch_execz .LBB265_170
; %bb.167:                              ;   in Loop: Header=BB265_9 Depth=1
	v_bfe_u32 v48, v10, 16, 7
	v_cmp_ne_u32_e64 s[0:1], s43, v48
	v_mov_b32_e32 v46, 0x7c01
	s_and_saveexec_b64 s[38:39], s[0:1]
	s_cbranch_execz .LBB265_169
; %bb.168:                              ;   in Loop: Header=BB265_9 Depth=1
	v_and_b32_e32 v46, 7, v2
	v_ffbh_u32_e32 v50, v46
	v_min_u32_e32 v52, 32, v50
	v_subrev_u32_e32 v50, 28, v52
	v_lshlrev_b64 v[50:51], v50, v[2:3]
	v_lshrrev_b32_e32 v49, 3, v48
	v_sub_u32_e32 v51, 29, v52
	v_cmp_gt_u32_e64 s[0:1], 8, v48
	v_lshlrev_b32_e32 v2, 8, v2
	s_nop 0
	v_cndmask_b32_e64 v48, v49, v51, s[0:1]
	v_lshl_add_u32 v48, v48, 10, v17
	v_and_b32_e32 v49, 7, v50
	v_and_b32_e32 v48, 0xfc00, v48
	v_cndmask_b32_e64 v46, v46, v49, s[0:1]
	v_and_or_b32 v2, v2, s44, v48
	v_lshl_or_b32 v46, v46, 7, v2
.LBB265_169:                            ;   in Loop: Header=BB265_9 Depth=1
	s_or_b64 exec, exec, s[38:39]
.LBB265_170:                            ;   in Loop: Header=BB265_9 Depth=1
	s_or_b64 exec, exec, s[36:37]
.LBB265_171:                            ;   in Loop: Header=BB265_9 Depth=1
	s_or_b64 exec, exec, s[34:35]
	v_cmp_lt_u32_e64 s[0:1], s45, v10
	v_mov_b32_e32 v49, 0
	v_mov_b32_e32 v48, 0
	s_and_saveexec_b64 s[34:35], s[0:1]
	s_cbranch_execz .LBB265_177
; %bb.172:                              ;   in Loop: Header=BB265_9 Depth=1
	v_lshrrev_b32_e32 v2, 24, v10
	v_cmp_ne_u32_e64 s[0:1], s42, v2
	v_bfrev_b32_e32 v48, 1
	s_and_saveexec_b64 s[36:37], s[0:1]
	s_cbranch_execz .LBB265_176
; %bb.173:                              ;   in Loop: Header=BB265_9 Depth=1
	v_and_b32_e32 v10, 0x7f, v2
	v_cmp_ne_u32_e64 s[0:1], s43, v10
	v_mov_b32_e32 v48, 0x7c010000
	s_and_saveexec_b64 s[38:39], s[0:1]
	s_cbranch_execz .LBB265_175
; %bb.174:                              ;   in Loop: Header=BB265_9 Depth=1
	v_and_b32_e32 v48, 7, v2
	v_ffbh_u32_e32 v50, v48
	v_min_u32_e32 v53, 32, v50
	v_subrev_u32_e32 v50, 28, v53
	v_lshlrev_b64 v[50:51], v50, v[2:3]
	v_lshrrev_b32_e32 v52, 3, v10
	v_sub_u32_e32 v51, 29, v53
	v_cmp_gt_u32_e64 s[0:1], 8, v10
	v_lshlrev_b32_e32 v2, 8, v2
	v_and_b32_e32 v50, 7, v50
	v_cndmask_b32_e64 v10, v52, v51, s[0:1]
	v_lshl_add_u32 v10, v10, 10, v17
	v_and_or_b32 v2, v2, s44, v10
	v_cndmask_b32_e64 v48, v48, v50, s[0:1]
	v_lshlrev_b32_e32 v2, 16, v2
	v_lshl_or_b32 v48, v48, 23, v2
.LBB265_175:                            ;   in Loop: Header=BB265_9 Depth=1
	s_or_b64 exec, exec, s[38:39]
.LBB265_176:                            ;   in Loop: Header=BB265_9 Depth=1
	s_or_b64 exec, exec, s[36:37]
.LBB265_177:                            ;   in Loop: Header=BB265_9 Depth=1
	s_or_b64 exec, exec, s[34:35]
	global_load_dword v10, v[8:9], off offset:1544
	s_waitcnt vmcnt(0)
	v_cmp_ne_u16_sdwa s[0:1], v10, v3 src0_sel:BYTE_0 src1_sel:DWORD
	s_and_saveexec_b64 s[34:35], s[0:1]
	s_cbranch_execz .LBB265_183
; %bb.178:                              ;   in Loop: Header=BB265_9 Depth=1
	v_cmp_ne_u16_sdwa s[0:1], v10, s42 src0_sel:BYTE_0 src1_sel:DWORD
	v_mov_b32_e32 v49, 0x8000
	s_and_saveexec_b64 s[36:37], s[0:1]
	s_cbranch_execz .LBB265_182
; %bb.179:                              ;   in Loop: Header=BB265_9 Depth=1
	v_and_b32_e32 v2, 0x7f, v10
	v_cmp_ne_u32_e64 s[0:1], s43, v2
	v_mov_b32_e32 v49, 0x7c01
	s_and_saveexec_b64 s[38:39], s[0:1]
	s_cbranch_execz .LBB265_181
; %bb.180:                              ;   in Loop: Header=BB265_9 Depth=1
	v_and_b32_e32 v49, 7, v10
	v_ffbh_u32_e32 v50, v49
	v_min_u32_e32 v53, 32, v50
	v_subrev_u32_e32 v50, 28, v53
	v_lshlrev_b64 v[50:51], v50, v[10:11]
	v_lshrrev_b32_e32 v52, 3, v2
	v_sub_u32_e32 v51, 29, v53
	v_cmp_gt_u32_e64 s[0:1], 8, v2
	v_and_b32_e32 v50, 7, v50
	s_nop 0
	v_cndmask_b32_e64 v2, v52, v51, s[0:1]
	v_lshl_add_u32 v2, v2, 10, v17
	v_lshlrev_b32_e32 v51, 8, v10
	v_and_b32_e32 v2, 0xfc00, v2
	v_cndmask_b32_e64 v49, v49, v50, s[0:1]
	v_and_or_b32 v2, v51, s44, v2
	v_lshl_or_b32 v49, v49, 7, v2
.LBB265_181:                            ;   in Loop: Header=BB265_9 Depth=1
	s_or_b64 exec, exec, s[38:39]
.LBB265_182:                            ;   in Loop: Header=BB265_9 Depth=1
	s_or_b64 exec, exec, s[36:37]
.LBB265_183:                            ;   in Loop: Header=BB265_9 Depth=1
	s_or_b64 exec, exec, s[34:35]
	v_lshrrev_b16_e32 v2, 8, v10
	v_cmp_ne_u16_e64 s[0:1], 0, v2
	v_mov_b32_e32 v50, 0
	v_mov_b32_e32 v51, 0
	s_and_saveexec_b64 s[34:35], s[0:1]
	s_cbranch_execz .LBB265_189
; %bb.184:                              ;   in Loop: Header=BB265_9 Depth=1
	v_cmp_ne_u16_e64 s[0:1], s42, v2
	v_bfrev_b32_e32 v51, 1
	s_and_saveexec_b64 s[36:37], s[0:1]
	s_cbranch_execz .LBB265_188
; %bb.185:                              ;   in Loop: Header=BB265_9 Depth=1
	v_and_b32_e32 v52, 0x7f, v2
	v_cmp_ne_u32_e64 s[0:1], s43, v52
	v_mov_b32_e32 v51, 0x7c010000
	s_and_saveexec_b64 s[38:39], s[0:1]
	s_cbranch_execz .LBB265_187
; %bb.186:                              ;   in Loop: Header=BB265_9 Depth=1
	v_and_b32_e32 v51, 7, v2
	v_ffbh_u32_e32 v54, v51
	v_min_u32_e32 v56, 32, v54
	v_subrev_u32_e32 v54, 28, v56
	v_lshlrev_b64 v[54:55], v54, v[2:3]
	v_lshrrev_b32_e32 v53, 3, v52
	v_sub_u32_e32 v55, 29, v56
	v_cmp_gt_u32_e64 s[0:1], 8, v52
	v_lshlrev_b32_e32 v2, 8, v2
	s_nop 0
	v_cndmask_b32_e64 v52, v53, v55, s[0:1]
	v_lshl_add_u32 v52, v52, 10, v17
	v_and_b32_e32 v53, 7, v54
	v_and_or_b32 v2, v2, s44, v52
	v_cndmask_b32_e64 v51, v51, v53, s[0:1]
	v_lshlrev_b32_e32 v2, 16, v2
	v_lshl_or_b32 v51, v51, 23, v2
.LBB265_187:                            ;   in Loop: Header=BB265_9 Depth=1
	s_or_b64 exec, exec, s[38:39]
.LBB265_188:                            ;   in Loop: Header=BB265_9 Depth=1
	s_or_b64 exec, exec, s[36:37]
.LBB265_189:                            ;   in Loop: Header=BB265_9 Depth=1
	s_or_b64 exec, exec, s[34:35]
	v_lshrrev_b32_e32 v2, 16, v10
	v_cmp_ne_u16_sdwa s[0:1], v2, v3 src0_sel:BYTE_0 src1_sel:DWORD
	s_and_saveexec_b64 s[34:35], s[0:1]
	s_cbranch_execz .LBB265_195
; %bb.190:                              ;   in Loop: Header=BB265_9 Depth=1
	v_cmp_ne_u16_sdwa s[0:1], v2, s42 src0_sel:BYTE_0 src1_sel:DWORD
	v_mov_b32_e32 v50, 0x8000
	s_and_saveexec_b64 s[36:37], s[0:1]
	s_cbranch_execz .LBB265_194
; %bb.191:                              ;   in Loop: Header=BB265_9 Depth=1
	v_bfe_u32 v52, v10, 16, 7
	v_cmp_ne_u32_e64 s[0:1], s43, v52
	v_mov_b32_e32 v50, 0x7c01
	s_and_saveexec_b64 s[38:39], s[0:1]
	s_cbranch_execz .LBB265_193
; %bb.192:                              ;   in Loop: Header=BB265_9 Depth=1
	v_and_b32_e32 v50, 7, v2
	v_ffbh_u32_e32 v54, v50
	v_min_u32_e32 v56, 32, v54
	v_subrev_u32_e32 v54, 28, v56
	v_lshlrev_b64 v[54:55], v54, v[2:3]
	v_lshrrev_b32_e32 v53, 3, v52
	v_sub_u32_e32 v55, 29, v56
	v_cmp_gt_u32_e64 s[0:1], 8, v52
	v_lshlrev_b32_e32 v2, 8, v2
	s_nop 0
	v_cndmask_b32_e64 v52, v53, v55, s[0:1]
	v_lshl_add_u32 v52, v52, 10, v17
	v_and_b32_e32 v53, 7, v54
	v_and_b32_e32 v52, 0xfc00, v52
	v_cndmask_b32_e64 v50, v50, v53, s[0:1]
	v_and_or_b32 v2, v2, s44, v52
	v_lshl_or_b32 v50, v50, 7, v2
.LBB265_193:                            ;   in Loop: Header=BB265_9 Depth=1
	s_or_b64 exec, exec, s[38:39]
.LBB265_194:                            ;   in Loop: Header=BB265_9 Depth=1
	s_or_b64 exec, exec, s[36:37]
.LBB265_195:                            ;   in Loop: Header=BB265_9 Depth=1
	s_or_b64 exec, exec, s[34:35]
	v_cmp_lt_u32_e64 s[0:1], s45, v10
	v_mov_b32_e32 v53, 0
	v_mov_b32_e32 v52, 0
	s_and_saveexec_b64 s[34:35], s[0:1]
	s_cbranch_execz .LBB265_201
; %bb.196:                              ;   in Loop: Header=BB265_9 Depth=1
	v_lshrrev_b32_e32 v2, 24, v10
	v_cmp_ne_u32_e64 s[0:1], s42, v2
	v_bfrev_b32_e32 v52, 1
	s_and_saveexec_b64 s[36:37], s[0:1]
	s_cbranch_execz .LBB265_200
; %bb.197:                              ;   in Loop: Header=BB265_9 Depth=1
	v_and_b32_e32 v10, 0x7f, v2
	v_cmp_ne_u32_e64 s[0:1], s43, v10
	v_mov_b32_e32 v52, 0x7c010000
	s_and_saveexec_b64 s[38:39], s[0:1]
	s_cbranch_execz .LBB265_199
; %bb.198:                              ;   in Loop: Header=BB265_9 Depth=1
	v_and_b32_e32 v52, 7, v2
	v_ffbh_u32_e32 v54, v52
	v_min_u32_e32 v57, 32, v54
	v_subrev_u32_e32 v54, 28, v57
	v_lshlrev_b64 v[54:55], v54, v[2:3]
	v_lshrrev_b32_e32 v56, 3, v10
	v_sub_u32_e32 v55, 29, v57
	v_cmp_gt_u32_e64 s[0:1], 8, v10
	v_lshlrev_b32_e32 v2, 8, v2
	v_and_b32_e32 v54, 7, v54
	v_cndmask_b32_e64 v10, v56, v55, s[0:1]
	v_lshl_add_u32 v10, v10, 10, v17
	v_and_or_b32 v2, v2, s44, v10
	v_cndmask_b32_e64 v52, v52, v54, s[0:1]
	v_lshlrev_b32_e32 v2, 16, v2
	v_lshl_or_b32 v52, v52, 23, v2
.LBB265_199:                            ;   in Loop: Header=BB265_9 Depth=1
	s_or_b64 exec, exec, s[38:39]
.LBB265_200:                            ;   in Loop: Header=BB265_9 Depth=1
	s_or_b64 exec, exec, s[36:37]
.LBB265_201:                            ;   in Loop: Header=BB265_9 Depth=1
	s_or_b64 exec, exec, s[34:35]
	global_load_dword v10, v[8:9], off offset:2048
	s_waitcnt vmcnt(0)
	v_cmp_ne_u16_sdwa s[0:1], v10, v3 src0_sel:BYTE_0 src1_sel:DWORD
	s_and_saveexec_b64 s[34:35], s[0:1]
	s_cbranch_execz .LBB265_207
; %bb.202:                              ;   in Loop: Header=BB265_9 Depth=1
	v_cmp_ne_u16_sdwa s[0:1], v10, s42 src0_sel:BYTE_0 src1_sel:DWORD
	v_mov_b32_e32 v53, 0x8000
	s_and_saveexec_b64 s[36:37], s[0:1]
	s_cbranch_execz .LBB265_206
; %bb.203:                              ;   in Loop: Header=BB265_9 Depth=1
	v_and_b32_e32 v2, 0x7f, v10
	v_cmp_ne_u32_e64 s[0:1], s43, v2
	v_mov_b32_e32 v53, 0x7c01
	s_and_saveexec_b64 s[38:39], s[0:1]
	s_cbranch_execz .LBB265_205
; %bb.204:                              ;   in Loop: Header=BB265_9 Depth=1
	v_and_b32_e32 v53, 7, v10
	v_ffbh_u32_e32 v54, v53
	v_min_u32_e32 v57, 32, v54
	v_subrev_u32_e32 v54, 28, v57
	v_lshlrev_b64 v[54:55], v54, v[10:11]
	v_lshrrev_b32_e32 v56, 3, v2
	v_sub_u32_e32 v55, 29, v57
	v_cmp_gt_u32_e64 s[0:1], 8, v2
	v_and_b32_e32 v54, 7, v54
	s_nop 0
	v_cndmask_b32_e64 v2, v56, v55, s[0:1]
	v_lshl_add_u32 v2, v2, 10, v17
	v_lshlrev_b32_e32 v55, 8, v10
	v_and_b32_e32 v2, 0xfc00, v2
	v_cndmask_b32_e64 v53, v53, v54, s[0:1]
	v_and_or_b32 v2, v55, s44, v2
	v_lshl_or_b32 v53, v53, 7, v2
.LBB265_205:                            ;   in Loop: Header=BB265_9 Depth=1
	s_or_b64 exec, exec, s[38:39]
.LBB265_206:                            ;   in Loop: Header=BB265_9 Depth=1
	s_or_b64 exec, exec, s[36:37]
.LBB265_207:                            ;   in Loop: Header=BB265_9 Depth=1
	s_or_b64 exec, exec, s[34:35]
	v_lshrrev_b16_e32 v2, 8, v10
	v_cmp_ne_u16_e64 s[0:1], 0, v2
	v_mov_b32_e32 v54, 0
	v_mov_b32_e32 v55, 0
	s_and_saveexec_b64 s[34:35], s[0:1]
	s_cbranch_execz .LBB265_213
; %bb.208:                              ;   in Loop: Header=BB265_9 Depth=1
	v_cmp_ne_u16_e64 s[0:1], s42, v2
	v_bfrev_b32_e32 v55, 1
	s_and_saveexec_b64 s[36:37], s[0:1]
	s_cbranch_execz .LBB265_212
; %bb.209:                              ;   in Loop: Header=BB265_9 Depth=1
	v_and_b32_e32 v56, 0x7f, v2
	v_cmp_ne_u32_e64 s[0:1], s43, v56
	v_mov_b32_e32 v55, 0x7c010000
	s_and_saveexec_b64 s[38:39], s[0:1]
	s_cbranch_execz .LBB265_211
; %bb.210:                              ;   in Loop: Header=BB265_9 Depth=1
	v_and_b32_e32 v55, 7, v2
	v_ffbh_u32_e32 v58, v55
	v_min_u32_e32 v60, 32, v58
	v_subrev_u32_e32 v58, 28, v60
	v_lshlrev_b64 v[58:59], v58, v[2:3]
	v_lshrrev_b32_e32 v57, 3, v56
	v_sub_u32_e32 v59, 29, v60
	v_cmp_gt_u32_e64 s[0:1], 8, v56
	v_lshlrev_b32_e32 v2, 8, v2
	s_nop 0
	v_cndmask_b32_e64 v56, v57, v59, s[0:1]
	v_lshl_add_u32 v56, v56, 10, v17
	v_and_b32_e32 v57, 7, v58
	v_and_or_b32 v2, v2, s44, v56
	v_cndmask_b32_e64 v55, v55, v57, s[0:1]
	v_lshlrev_b32_e32 v2, 16, v2
	v_lshl_or_b32 v55, v55, 23, v2
.LBB265_211:                            ;   in Loop: Header=BB265_9 Depth=1
	s_or_b64 exec, exec, s[38:39]
.LBB265_212:                            ;   in Loop: Header=BB265_9 Depth=1
	s_or_b64 exec, exec, s[36:37]
.LBB265_213:                            ;   in Loop: Header=BB265_9 Depth=1
	s_or_b64 exec, exec, s[34:35]
	v_lshrrev_b32_e32 v2, 16, v10
	v_cmp_ne_u16_sdwa s[0:1], v2, v3 src0_sel:BYTE_0 src1_sel:DWORD
	s_and_saveexec_b64 s[34:35], s[0:1]
	s_cbranch_execz .LBB265_219
; %bb.214:                              ;   in Loop: Header=BB265_9 Depth=1
	v_cmp_ne_u16_sdwa s[0:1], v2, s42 src0_sel:BYTE_0 src1_sel:DWORD
	v_mov_b32_e32 v54, 0x8000
	s_and_saveexec_b64 s[36:37], s[0:1]
	s_cbranch_execz .LBB265_218
; %bb.215:                              ;   in Loop: Header=BB265_9 Depth=1
	v_bfe_u32 v56, v10, 16, 7
	v_cmp_ne_u32_e64 s[0:1], s43, v56
	v_mov_b32_e32 v54, 0x7c01
	s_and_saveexec_b64 s[38:39], s[0:1]
	s_cbranch_execz .LBB265_217
; %bb.216:                              ;   in Loop: Header=BB265_9 Depth=1
	v_and_b32_e32 v54, 7, v2
	v_ffbh_u32_e32 v58, v54
	v_min_u32_e32 v60, 32, v58
	v_subrev_u32_e32 v58, 28, v60
	v_lshlrev_b64 v[58:59], v58, v[2:3]
	v_lshrrev_b32_e32 v57, 3, v56
	v_sub_u32_e32 v59, 29, v60
	v_cmp_gt_u32_e64 s[0:1], 8, v56
	v_lshlrev_b32_e32 v2, 8, v2
	s_nop 0
	v_cndmask_b32_e64 v56, v57, v59, s[0:1]
	v_lshl_add_u32 v56, v56, 10, v17
	v_and_b32_e32 v57, 7, v58
	v_and_b32_e32 v56, 0xfc00, v56
	v_cndmask_b32_e64 v54, v54, v57, s[0:1]
	v_and_or_b32 v2, v2, s44, v56
	v_lshl_or_b32 v54, v54, 7, v2
.LBB265_217:                            ;   in Loop: Header=BB265_9 Depth=1
	s_or_b64 exec, exec, s[38:39]
.LBB265_218:                            ;   in Loop: Header=BB265_9 Depth=1
	s_or_b64 exec, exec, s[36:37]
.LBB265_219:                            ;   in Loop: Header=BB265_9 Depth=1
	s_or_b64 exec, exec, s[34:35]
	v_cmp_lt_u32_e64 s[0:1], s45, v10
	v_mov_b32_e32 v57, 0
	v_mov_b32_e32 v56, 0
	s_and_saveexec_b64 s[34:35], s[0:1]
	s_cbranch_execz .LBB265_225
; %bb.220:                              ;   in Loop: Header=BB265_9 Depth=1
	v_lshrrev_b32_e32 v2, 24, v10
	v_cmp_ne_u32_e64 s[0:1], s42, v2
	v_bfrev_b32_e32 v56, 1
	s_and_saveexec_b64 s[36:37], s[0:1]
	s_cbranch_execz .LBB265_224
; %bb.221:                              ;   in Loop: Header=BB265_9 Depth=1
	v_and_b32_e32 v10, 0x7f, v2
	v_cmp_ne_u32_e64 s[0:1], s43, v10
	v_mov_b32_e32 v56, 0x7c010000
	s_and_saveexec_b64 s[38:39], s[0:1]
	s_cbranch_execz .LBB265_223
; %bb.222:                              ;   in Loop: Header=BB265_9 Depth=1
	v_and_b32_e32 v56, 7, v2
	v_ffbh_u32_e32 v58, v56
	v_min_u32_e32 v61, 32, v58
	v_subrev_u32_e32 v58, 28, v61
	v_lshlrev_b64 v[58:59], v58, v[2:3]
	v_lshrrev_b32_e32 v60, 3, v10
	v_sub_u32_e32 v59, 29, v61
	v_cmp_gt_u32_e64 s[0:1], 8, v10
	v_lshlrev_b32_e32 v2, 8, v2
	v_and_b32_e32 v58, 7, v58
	v_cndmask_b32_e64 v10, v60, v59, s[0:1]
	v_lshl_add_u32 v10, v10, 10, v17
	v_and_or_b32 v2, v2, s44, v10
	v_cndmask_b32_e64 v56, v56, v58, s[0:1]
	v_lshlrev_b32_e32 v2, 16, v2
	v_lshl_or_b32 v56, v56, 23, v2
.LBB265_223:                            ;   in Loop: Header=BB265_9 Depth=1
	s_or_b64 exec, exec, s[38:39]
.LBB265_224:                            ;   in Loop: Header=BB265_9 Depth=1
	s_or_b64 exec, exec, s[36:37]
.LBB265_225:                            ;   in Loop: Header=BB265_9 Depth=1
	s_or_b64 exec, exec, s[34:35]
	global_load_dword v10, v[8:9], off offset:2056
	s_waitcnt vmcnt(0)
	v_cmp_ne_u16_sdwa s[0:1], v10, v3 src0_sel:BYTE_0 src1_sel:DWORD
	s_and_saveexec_b64 s[34:35], s[0:1]
	s_cbranch_execz .LBB265_231
; %bb.226:                              ;   in Loop: Header=BB265_9 Depth=1
	v_cmp_ne_u16_sdwa s[0:1], v10, s42 src0_sel:BYTE_0 src1_sel:DWORD
	v_mov_b32_e32 v57, 0x8000
	s_and_saveexec_b64 s[36:37], s[0:1]
	s_cbranch_execz .LBB265_230
; %bb.227:                              ;   in Loop: Header=BB265_9 Depth=1
	v_and_b32_e32 v2, 0x7f, v10
	v_cmp_ne_u32_e64 s[0:1], s43, v2
	v_mov_b32_e32 v57, 0x7c01
	s_and_saveexec_b64 s[38:39], s[0:1]
	s_cbranch_execz .LBB265_229
; %bb.228:                              ;   in Loop: Header=BB265_9 Depth=1
	v_and_b32_e32 v57, 7, v10
	v_ffbh_u32_e32 v58, v57
	v_min_u32_e32 v61, 32, v58
	v_subrev_u32_e32 v58, 28, v61
	v_lshlrev_b64 v[58:59], v58, v[10:11]
	v_lshrrev_b32_e32 v60, 3, v2
	v_sub_u32_e32 v59, 29, v61
	v_cmp_gt_u32_e64 s[0:1], 8, v2
	v_and_b32_e32 v58, 7, v58
	s_nop 0
	v_cndmask_b32_e64 v2, v60, v59, s[0:1]
	v_lshl_add_u32 v2, v2, 10, v17
	v_lshlrev_b32_e32 v59, 8, v10
	v_and_b32_e32 v2, 0xfc00, v2
	v_cndmask_b32_e64 v57, v57, v58, s[0:1]
	v_and_or_b32 v2, v59, s44, v2
	v_lshl_or_b32 v57, v57, 7, v2
.LBB265_229:                            ;   in Loop: Header=BB265_9 Depth=1
	s_or_b64 exec, exec, s[38:39]
.LBB265_230:                            ;   in Loop: Header=BB265_9 Depth=1
	s_or_b64 exec, exec, s[36:37]
.LBB265_231:                            ;   in Loop: Header=BB265_9 Depth=1
	s_or_b64 exec, exec, s[34:35]
	v_lshrrev_b16_e32 v2, 8, v10
	v_cmp_ne_u16_e64 s[0:1], 0, v2
	v_mov_b32_e32 v58, 0
	v_mov_b32_e32 v59, 0
	s_and_saveexec_b64 s[34:35], s[0:1]
	s_cbranch_execz .LBB265_237
; %bb.232:                              ;   in Loop: Header=BB265_9 Depth=1
	v_cmp_ne_u16_e64 s[0:1], s42, v2
	v_bfrev_b32_e32 v59, 1
	s_and_saveexec_b64 s[36:37], s[0:1]
	s_cbranch_execz .LBB265_236
; %bb.233:                              ;   in Loop: Header=BB265_9 Depth=1
	v_and_b32_e32 v60, 0x7f, v2
	v_cmp_ne_u32_e64 s[0:1], s43, v60
	v_mov_b32_e32 v59, 0x7c010000
	s_and_saveexec_b64 s[38:39], s[0:1]
	s_cbranch_execz .LBB265_235
; %bb.234:                              ;   in Loop: Header=BB265_9 Depth=1
	v_and_b32_e32 v59, 7, v2
	v_ffbh_u32_e32 v62, v59
	v_min_u32_e32 v64, 32, v62
	v_subrev_u32_e32 v62, 28, v64
	v_lshlrev_b64 v[62:63], v62, v[2:3]
	v_lshrrev_b32_e32 v61, 3, v60
	v_sub_u32_e32 v63, 29, v64
	v_cmp_gt_u32_e64 s[0:1], 8, v60
	v_lshlrev_b32_e32 v2, 8, v2
	s_nop 0
	v_cndmask_b32_e64 v60, v61, v63, s[0:1]
	v_lshl_add_u32 v60, v60, 10, v17
	v_and_b32_e32 v61, 7, v62
	v_and_or_b32 v2, v2, s44, v60
	v_cndmask_b32_e64 v59, v59, v61, s[0:1]
	v_lshlrev_b32_e32 v2, 16, v2
	v_lshl_or_b32 v59, v59, 23, v2
.LBB265_235:                            ;   in Loop: Header=BB265_9 Depth=1
	s_or_b64 exec, exec, s[38:39]
.LBB265_236:                            ;   in Loop: Header=BB265_9 Depth=1
	s_or_b64 exec, exec, s[36:37]
.LBB265_237:                            ;   in Loop: Header=BB265_9 Depth=1
	s_or_b64 exec, exec, s[34:35]
	v_lshrrev_b32_e32 v2, 16, v10
	v_cmp_ne_u16_sdwa s[0:1], v2, v3 src0_sel:BYTE_0 src1_sel:DWORD
	s_and_saveexec_b64 s[34:35], s[0:1]
	s_cbranch_execz .LBB265_243
; %bb.238:                              ;   in Loop: Header=BB265_9 Depth=1
	v_cmp_ne_u16_sdwa s[0:1], v2, s42 src0_sel:BYTE_0 src1_sel:DWORD
	v_mov_b32_e32 v58, 0x8000
	s_and_saveexec_b64 s[36:37], s[0:1]
	s_cbranch_execz .LBB265_242
; %bb.239:                              ;   in Loop: Header=BB265_9 Depth=1
	v_bfe_u32 v60, v10, 16, 7
	v_cmp_ne_u32_e64 s[0:1], s43, v60
	v_mov_b32_e32 v58, 0x7c01
	s_and_saveexec_b64 s[38:39], s[0:1]
	s_cbranch_execz .LBB265_241
; %bb.240:                              ;   in Loop: Header=BB265_9 Depth=1
	v_and_b32_e32 v58, 7, v2
	v_ffbh_u32_e32 v62, v58
	v_min_u32_e32 v64, 32, v62
	v_subrev_u32_e32 v62, 28, v64
	v_lshlrev_b64 v[62:63], v62, v[2:3]
	v_lshrrev_b32_e32 v61, 3, v60
	v_sub_u32_e32 v63, 29, v64
	v_cmp_gt_u32_e64 s[0:1], 8, v60
	v_lshlrev_b32_e32 v2, 8, v2
	s_nop 0
	v_cndmask_b32_e64 v60, v61, v63, s[0:1]
	v_lshl_add_u32 v60, v60, 10, v17
	v_and_b32_e32 v61, 7, v62
	v_and_b32_e32 v60, 0xfc00, v60
	v_cndmask_b32_e64 v58, v58, v61, s[0:1]
	v_and_or_b32 v2, v2, s44, v60
	v_lshl_or_b32 v58, v58, 7, v2
.LBB265_241:                            ;   in Loop: Header=BB265_9 Depth=1
	s_or_b64 exec, exec, s[38:39]
.LBB265_242:                            ;   in Loop: Header=BB265_9 Depth=1
	s_or_b64 exec, exec, s[36:37]
.LBB265_243:                            ;   in Loop: Header=BB265_9 Depth=1
	s_or_b64 exec, exec, s[34:35]
	v_cmp_lt_u32_e64 s[0:1], s45, v10
	v_mov_b32_e32 v61, 0
	v_mov_b32_e32 v60, 0
	s_and_saveexec_b64 s[34:35], s[0:1]
	s_cbranch_execz .LBB265_249
; %bb.244:                              ;   in Loop: Header=BB265_9 Depth=1
	v_lshrrev_b32_e32 v2, 24, v10
	v_cmp_ne_u32_e64 s[0:1], s42, v2
	v_bfrev_b32_e32 v60, 1
	s_and_saveexec_b64 s[36:37], s[0:1]
	s_cbranch_execz .LBB265_248
; %bb.245:                              ;   in Loop: Header=BB265_9 Depth=1
	v_and_b32_e32 v10, 0x7f, v2
	v_cmp_ne_u32_e64 s[0:1], s43, v10
	v_mov_b32_e32 v60, 0x7c010000
	s_and_saveexec_b64 s[38:39], s[0:1]
	s_cbranch_execz .LBB265_247
; %bb.246:                              ;   in Loop: Header=BB265_9 Depth=1
	v_and_b32_e32 v60, 7, v2
	v_ffbh_u32_e32 v62, v60
	v_min_u32_e32 v65, 32, v62
	v_subrev_u32_e32 v62, 28, v65
	v_lshlrev_b64 v[62:63], v62, v[2:3]
	v_lshrrev_b32_e32 v64, 3, v10
	v_sub_u32_e32 v63, 29, v65
	v_cmp_gt_u32_e64 s[0:1], 8, v10
	v_lshlrev_b32_e32 v2, 8, v2
	v_and_b32_e32 v62, 7, v62
	v_cndmask_b32_e64 v10, v64, v63, s[0:1]
	v_lshl_add_u32 v10, v10, 10, v17
	v_and_or_b32 v2, v2, s44, v10
	v_cndmask_b32_e64 v60, v60, v62, s[0:1]
	v_lshlrev_b32_e32 v2, 16, v2
	v_lshl_or_b32 v60, v60, 23, v2
.LBB265_247:                            ;   in Loop: Header=BB265_9 Depth=1
	s_or_b64 exec, exec, s[38:39]
.LBB265_248:                            ;   in Loop: Header=BB265_9 Depth=1
	s_or_b64 exec, exec, s[36:37]
.LBB265_249:                            ;   in Loop: Header=BB265_9 Depth=1
	s_or_b64 exec, exec, s[34:35]
	global_load_dword v10, v[8:9], off offset:2560
	s_waitcnt vmcnt(0)
	v_cmp_ne_u16_sdwa s[0:1], v10, v3 src0_sel:BYTE_0 src1_sel:DWORD
	s_and_saveexec_b64 s[34:35], s[0:1]
	s_cbranch_execz .LBB265_255
; %bb.250:                              ;   in Loop: Header=BB265_9 Depth=1
	v_cmp_ne_u16_sdwa s[0:1], v10, s42 src0_sel:BYTE_0 src1_sel:DWORD
	v_mov_b32_e32 v61, 0x8000
	s_and_saveexec_b64 s[36:37], s[0:1]
	s_cbranch_execz .LBB265_254
; %bb.251:                              ;   in Loop: Header=BB265_9 Depth=1
	v_and_b32_e32 v2, 0x7f, v10
	v_cmp_ne_u32_e64 s[0:1], s43, v2
	v_mov_b32_e32 v61, 0x7c01
	s_and_saveexec_b64 s[38:39], s[0:1]
	s_cbranch_execz .LBB265_253
; %bb.252:                              ;   in Loop: Header=BB265_9 Depth=1
	v_and_b32_e32 v61, 7, v10
	v_ffbh_u32_e32 v62, v61
	v_min_u32_e32 v65, 32, v62
	v_subrev_u32_e32 v62, 28, v65
	v_lshlrev_b64 v[62:63], v62, v[10:11]
	v_lshrrev_b32_e32 v64, 3, v2
	v_sub_u32_e32 v63, 29, v65
	v_cmp_gt_u32_e64 s[0:1], 8, v2
	v_and_b32_e32 v62, 7, v62
	s_nop 0
	v_cndmask_b32_e64 v2, v64, v63, s[0:1]
	v_lshl_add_u32 v2, v2, 10, v17
	v_lshlrev_b32_e32 v63, 8, v10
	v_and_b32_e32 v2, 0xfc00, v2
	v_cndmask_b32_e64 v61, v61, v62, s[0:1]
	v_and_or_b32 v2, v63, s44, v2
	v_lshl_or_b32 v61, v61, 7, v2
.LBB265_253:                            ;   in Loop: Header=BB265_9 Depth=1
	s_or_b64 exec, exec, s[38:39]
.LBB265_254:                            ;   in Loop: Header=BB265_9 Depth=1
	s_or_b64 exec, exec, s[36:37]
.LBB265_255:                            ;   in Loop: Header=BB265_9 Depth=1
	s_or_b64 exec, exec, s[34:35]
	v_lshrrev_b16_e32 v2, 8, v10
	v_cmp_ne_u16_e64 s[0:1], 0, v2
	v_mov_b32_e32 v62, 0
	v_mov_b32_e32 v63, 0
	s_and_saveexec_b64 s[34:35], s[0:1]
	s_cbranch_execz .LBB265_261
; %bb.256:                              ;   in Loop: Header=BB265_9 Depth=1
	v_cmp_ne_u16_e64 s[0:1], s42, v2
	v_bfrev_b32_e32 v63, 1
	s_and_saveexec_b64 s[36:37], s[0:1]
	s_cbranch_execz .LBB265_260
; %bb.257:                              ;   in Loop: Header=BB265_9 Depth=1
	v_and_b32_e32 v64, 0x7f, v2
	v_cmp_ne_u32_e64 s[0:1], s43, v64
	v_mov_b32_e32 v63, 0x7c010000
	s_and_saveexec_b64 s[38:39], s[0:1]
	s_cbranch_execz .LBB265_259
; %bb.258:                              ;   in Loop: Header=BB265_9 Depth=1
	v_and_b32_e32 v63, 7, v2
	v_ffbh_u32_e32 v66, v63
	v_min_u32_e32 v68, 32, v66
	v_subrev_u32_e32 v66, 28, v68
	v_lshlrev_b64 v[66:67], v66, v[2:3]
	v_lshrrev_b32_e32 v65, 3, v64
	v_sub_u32_e32 v67, 29, v68
	v_cmp_gt_u32_e64 s[0:1], 8, v64
	v_lshlrev_b32_e32 v2, 8, v2
	s_nop 0
	v_cndmask_b32_e64 v64, v65, v67, s[0:1]
	v_lshl_add_u32 v64, v64, 10, v17
	v_and_b32_e32 v65, 7, v66
	v_and_or_b32 v2, v2, s44, v64
	v_cndmask_b32_e64 v63, v63, v65, s[0:1]
	v_lshlrev_b32_e32 v2, 16, v2
	v_lshl_or_b32 v63, v63, 23, v2
.LBB265_259:                            ;   in Loop: Header=BB265_9 Depth=1
	s_or_b64 exec, exec, s[38:39]
.LBB265_260:                            ;   in Loop: Header=BB265_9 Depth=1
	s_or_b64 exec, exec, s[36:37]
.LBB265_261:                            ;   in Loop: Header=BB265_9 Depth=1
	s_or_b64 exec, exec, s[34:35]
	v_lshrrev_b32_e32 v2, 16, v10
	v_cmp_ne_u16_sdwa s[0:1], v2, v3 src0_sel:BYTE_0 src1_sel:DWORD
	s_and_saveexec_b64 s[34:35], s[0:1]
	s_cbranch_execz .LBB265_267
; %bb.262:                              ;   in Loop: Header=BB265_9 Depth=1
	v_cmp_ne_u16_sdwa s[0:1], v2, s42 src0_sel:BYTE_0 src1_sel:DWORD
	v_mov_b32_e32 v62, 0x8000
	s_and_saveexec_b64 s[36:37], s[0:1]
	s_cbranch_execz .LBB265_266
; %bb.263:                              ;   in Loop: Header=BB265_9 Depth=1
	v_bfe_u32 v64, v10, 16, 7
	v_cmp_ne_u32_e64 s[0:1], s43, v64
	v_mov_b32_e32 v62, 0x7c01
	s_and_saveexec_b64 s[38:39], s[0:1]
	s_cbranch_execz .LBB265_265
; %bb.264:                              ;   in Loop: Header=BB265_9 Depth=1
	v_and_b32_e32 v62, 7, v2
	v_ffbh_u32_e32 v66, v62
	v_min_u32_e32 v68, 32, v66
	v_subrev_u32_e32 v66, 28, v68
	v_lshlrev_b64 v[66:67], v66, v[2:3]
	v_lshrrev_b32_e32 v65, 3, v64
	v_sub_u32_e32 v67, 29, v68
	v_cmp_gt_u32_e64 s[0:1], 8, v64
	v_lshlrev_b32_e32 v2, 8, v2
	s_nop 0
	v_cndmask_b32_e64 v64, v65, v67, s[0:1]
	v_lshl_add_u32 v64, v64, 10, v17
	v_and_b32_e32 v65, 7, v66
	v_and_b32_e32 v64, 0xfc00, v64
	v_cndmask_b32_e64 v62, v62, v65, s[0:1]
	v_and_or_b32 v2, v2, s44, v64
	v_lshl_or_b32 v62, v62, 7, v2
.LBB265_265:                            ;   in Loop: Header=BB265_9 Depth=1
	s_or_b64 exec, exec, s[38:39]
.LBB265_266:                            ;   in Loop: Header=BB265_9 Depth=1
	s_or_b64 exec, exec, s[36:37]
.LBB265_267:                            ;   in Loop: Header=BB265_9 Depth=1
	s_or_b64 exec, exec, s[34:35]
	v_cmp_lt_u32_e64 s[0:1], s45, v10
	v_mov_b32_e32 v64, 0
	v_mov_b32_e32 v65, 0
	s_and_saveexec_b64 s[34:35], s[0:1]
	s_cbranch_execz .LBB265_273
; %bb.268:                              ;   in Loop: Header=BB265_9 Depth=1
	v_lshrrev_b32_e32 v2, 24, v10
	v_cmp_ne_u32_e64 s[0:1], s42, v2
	v_bfrev_b32_e32 v65, 1
	s_and_saveexec_b64 s[36:37], s[0:1]
	s_cbranch_execz .LBB265_272
; %bb.269:                              ;   in Loop: Header=BB265_9 Depth=1
	v_and_b32_e32 v10, 0x7f, v2
	v_cmp_ne_u32_e64 s[0:1], s43, v10
	v_mov_b32_e32 v65, 0x7c010000
	s_and_saveexec_b64 s[38:39], s[0:1]
	s_cbranch_execz .LBB265_271
; %bb.270:                              ;   in Loop: Header=BB265_9 Depth=1
	v_and_b32_e32 v65, 7, v2
	v_ffbh_u32_e32 v66, v65
	v_min_u32_e32 v69, 32, v66
	v_subrev_u32_e32 v66, 28, v69
	v_lshlrev_b64 v[66:67], v66, v[2:3]
	v_lshrrev_b32_e32 v68, 3, v10
	v_sub_u32_e32 v67, 29, v69
	v_cmp_gt_u32_e64 s[0:1], 8, v10
	v_lshlrev_b32_e32 v2, 8, v2
	v_and_b32_e32 v66, 7, v66
	v_cndmask_b32_e64 v10, v68, v67, s[0:1]
	v_lshl_add_u32 v10, v10, 10, v17
	v_and_or_b32 v2, v2, s44, v10
	v_cndmask_b32_e64 v65, v65, v66, s[0:1]
	v_lshlrev_b32_e32 v2, 16, v2
	v_lshl_or_b32 v65, v65, 23, v2
.LBB265_271:                            ;   in Loop: Header=BB265_9 Depth=1
	s_or_b64 exec, exec, s[38:39]
.LBB265_272:                            ;   in Loop: Header=BB265_9 Depth=1
	s_or_b64 exec, exec, s[36:37]
.LBB265_273:                            ;   in Loop: Header=BB265_9 Depth=1
	s_or_b64 exec, exec, s[34:35]
	global_load_dword v8, v[8:9], off offset:2568
	s_waitcnt vmcnt(0)
	v_cmp_ne_u16_sdwa s[0:1], v8, v3 src0_sel:BYTE_0 src1_sel:DWORD
	s_and_saveexec_b64 s[34:35], s[0:1]
	s_cbranch_execz .LBB265_279
; %bb.274:                              ;   in Loop: Header=BB265_9 Depth=1
	v_cmp_ne_u16_sdwa s[0:1], v8, s42 src0_sel:BYTE_0 src1_sel:DWORD
	v_mov_b32_e32 v64, 0x8000
	s_and_saveexec_b64 s[36:37], s[0:1]
	s_cbranch_execz .LBB265_278
; %bb.275:                              ;   in Loop: Header=BB265_9 Depth=1
	v_and_b32_e32 v2, 0x7f, v8
	v_cmp_ne_u32_e64 s[0:1], s43, v2
	v_mov_b32_e32 v64, 0x7c01
	s_and_saveexec_b64 s[38:39], s[0:1]
	s_cbranch_execz .LBB265_277
; %bb.276:                              ;   in Loop: Header=BB265_9 Depth=1
	v_and_b32_e32 v9, 7, v8
	v_ffbh_u32_e32 v64, v9
	v_min_u32_e32 v64, 32, v64
	v_lshrrev_b32_e32 v10, 3, v2
	v_subrev_u32_e32 v66, 28, v64
	v_sub_u32_e32 v64, 29, v64
	v_cmp_gt_u32_e64 s[0:1], 8, v2
	v_lshlrev_b64 v[66:67], v66, v[8:9]
	s_nop 0
	v_cndmask_b32_e64 v2, v10, v64, s[0:1]
	v_lshl_add_u32 v2, v2, 10, v17
	v_lshlrev_b32_e32 v10, 8, v8
	v_and_b32_e32 v64, 7, v66
	v_and_b32_e32 v2, 0xfc00, v2
	v_cndmask_b32_e64 v9, v9, v64, s[0:1]
	v_and_or_b32 v2, v10, s44, v2
	v_lshl_or_b32 v64, v9, 7, v2
.LBB265_277:                            ;   in Loop: Header=BB265_9 Depth=1
	s_or_b64 exec, exec, s[38:39]
.LBB265_278:                            ;   in Loop: Header=BB265_9 Depth=1
	s_or_b64 exec, exec, s[36:37]
.LBB265_279:                            ;   in Loop: Header=BB265_9 Depth=1
	s_or_b64 exec, exec, s[34:35]
	v_lshrrev_b16_e32 v2, 8, v8
	v_cmp_ne_u16_e64 s[0:1], 0, v2
	v_mov_b32_e32 v66, 0
	v_mov_b32_e32 v67, 0
	s_and_saveexec_b64 s[34:35], s[0:1]
	s_cbranch_execz .LBB265_285
; %bb.280:                              ;   in Loop: Header=BB265_9 Depth=1
	v_cmp_ne_u16_e64 s[0:1], s42, v2
	v_bfrev_b32_e32 v67, 1
	s_and_saveexec_b64 s[36:37], s[0:1]
	s_cbranch_execz .LBB265_284
; %bb.281:                              ;   in Loop: Header=BB265_9 Depth=1
	v_and_b32_e32 v9, 0x7f, v2
	v_cmp_ne_u32_e64 s[0:1], s43, v9
	v_mov_b32_e32 v67, 0x7c010000
	s_and_saveexec_b64 s[38:39], s[0:1]
	s_cbranch_execz .LBB265_283
; %bb.282:                              ;   in Loop: Header=BB265_9 Depth=1
	v_and_b32_e32 v10, 7, v2
	v_ffbh_u32_e32 v68, v10
	v_min_u32_e32 v70, 32, v68
	v_subrev_u32_e32 v68, 28, v70
	v_lshlrev_b64 v[68:69], v68, v[2:3]
	v_lshrrev_b32_e32 v67, 3, v9
	v_sub_u32_e32 v69, 29, v70
	v_cmp_gt_u32_e64 s[0:1], 8, v9
	v_lshlrev_b32_e32 v2, 8, v2
	s_nop 0
	v_cndmask_b32_e64 v9, v67, v69, s[0:1]
	v_lshl_add_u32 v9, v9, 10, v17
	v_and_b32_e32 v67, 7, v68
	v_and_or_b32 v2, v2, s44, v9
	v_cndmask_b32_e64 v10, v10, v67, s[0:1]
	v_lshlrev_b32_e32 v2, 16, v2
	v_lshl_or_b32 v67, v10, 23, v2
.LBB265_283:                            ;   in Loop: Header=BB265_9 Depth=1
	s_or_b64 exec, exec, s[38:39]
.LBB265_284:                            ;   in Loop: Header=BB265_9 Depth=1
	s_or_b64 exec, exec, s[36:37]
.LBB265_285:                            ;   in Loop: Header=BB265_9 Depth=1
	s_or_b64 exec, exec, s[34:35]
	v_lshrrev_b32_e32 v2, 16, v8
	v_cmp_ne_u16_sdwa s[0:1], v2, v3 src0_sel:BYTE_0 src1_sel:DWORD
	s_and_saveexec_b64 s[34:35], s[0:1]
	s_cbranch_execz .LBB265_291
; %bb.286:                              ;   in Loop: Header=BB265_9 Depth=1
	v_cmp_ne_u16_sdwa s[0:1], v2, s42 src0_sel:BYTE_0 src1_sel:DWORD
	v_mov_b32_e32 v66, 0x8000
	s_and_saveexec_b64 s[36:37], s[0:1]
	s_cbranch_execz .LBB265_290
; %bb.287:                              ;   in Loop: Header=BB265_9 Depth=1
	v_bfe_u32 v9, v8, 16, 7
	v_cmp_ne_u32_e64 s[0:1], s43, v9
	v_mov_b32_e32 v66, 0x7c01
	s_and_saveexec_b64 s[38:39], s[0:1]
	s_cbranch_execz .LBB265_289
; %bb.288:                              ;   in Loop: Header=BB265_9 Depth=1
	v_and_b32_e32 v10, 7, v2
	v_ffbh_u32_e32 v68, v10
	v_min_u32_e32 v70, 32, v68
	v_subrev_u32_e32 v68, 28, v70
	v_lshlrev_b64 v[68:69], v68, v[2:3]
	v_lshrrev_b32_e32 v66, 3, v9
	v_sub_u32_e32 v69, 29, v70
	v_cmp_gt_u32_e64 s[0:1], 8, v9
	v_lshlrev_b32_e32 v2, 8, v2
	s_nop 0
	v_cndmask_b32_e64 v9, v66, v69, s[0:1]
	v_lshl_add_u32 v9, v9, 10, v17
	v_and_b32_e32 v66, 7, v68
	v_and_b32_e32 v9, 0xfc00, v9
	v_cndmask_b32_e64 v10, v10, v66, s[0:1]
	v_and_or_b32 v2, v2, s44, v9
	v_lshl_or_b32 v66, v10, 7, v2
.LBB265_289:                            ;   in Loop: Header=BB265_9 Depth=1
	s_or_b64 exec, exec, s[38:39]
.LBB265_290:                            ;   in Loop: Header=BB265_9 Depth=1
	s_or_b64 exec, exec, s[36:37]
.LBB265_291:                            ;   in Loop: Header=BB265_9 Depth=1
	s_or_b64 exec, exec, s[34:35]
	v_cmp_lt_u32_e64 s[0:1], s45, v8
	v_mov_b32_e32 v68, 0
	s_and_saveexec_b64 s[34:35], s[0:1]
	s_cbranch_execz .LBB265_297
; %bb.292:                              ;   in Loop: Header=BB265_9 Depth=1
	v_lshrrev_b32_e32 v2, 24, v8
	v_cmp_ne_u32_e64 s[0:1], s42, v2
	v_bfrev_b32_e32 v68, 1
	s_and_saveexec_b64 s[36:37], s[0:1]
	s_cbranch_execz .LBB265_296
; %bb.293:                              ;   in Loop: Header=BB265_9 Depth=1
	v_and_b32_e32 v8, 0x7f, v2
	v_cmp_ne_u32_e64 s[0:1], s43, v8
	v_mov_b32_e32 v68, 0x7c010000
	s_and_saveexec_b64 s[38:39], s[0:1]
	s_cbranch_execz .LBB265_295
; %bb.294:                              ;   in Loop: Header=BB265_9 Depth=1
	v_and_b32_e32 v9, 7, v2
	v_ffbh_u32_e32 v68, v9
	v_min_u32_e32 v70, 32, v68
	v_subrev_u32_e32 v68, 28, v70
	v_lshlrev_b64 v[68:69], v68, v[2:3]
	v_lshrrev_b32_e32 v10, 3, v8
	v_sub_u32_e32 v69, 29, v70
	v_cmp_gt_u32_e64 s[0:1], 8, v8
	v_lshlrev_b32_e32 v2, 8, v2
	s_nop 0
	v_cndmask_b32_e64 v8, v10, v69, s[0:1]
	v_lshl_add_u32 v8, v8, 10, v17
	v_and_b32_e32 v10, 7, v68
	v_and_or_b32 v2, v2, s44, v8
	v_cndmask_b32_e64 v9, v9, v10, s[0:1]
	v_lshlrev_b32_e32 v2, 16, v2
	v_lshl_or_b32 v68, v9, 23, v2
.LBB265_295:                            ;   in Loop: Header=BB265_9 Depth=1
	s_or_b64 exec, exec, s[38:39]
.LBB265_296:                            ;   in Loop: Header=BB265_9 Depth=1
	s_or_b64 exec, exec, s[36:37]
.LBB265_297:                            ;   in Loop: Header=BB265_9 Depth=1
	s_or_b64 exec, exec, s[34:35]
	v_or_b32_e32 v2, v63, v61
	v_or_b32_e32 v24, v27, v24
	v_fma_mixlo_f16 v10, v19, v2, 0 op_sel_hi:[0,1,0]
	v_or_b32_e32 v2, v65, v62
	v_or_b32_e32 v57, v59, v57
	v_fma_mixlo_f16 v62, v19, v24, 0 op_sel_hi:[0,1,0]
	v_or_b32_e32 v24, v28, v25
	v_fma_mixlo_f16 v9, v19, v63, 0 op_sel:[0,1,0] op_sel_hi:[0,1,0]
	v_fma_mixlo_f16 v61, v19, v57, 0 op_sel_hi:[0,1,0]
	v_or_b32_e32 v57, v60, v58
	v_or_b32_e32 v53, v55, v53
	v_fma_mixlo_f16 v63, v19, v24, 0 op_sel_hi:[0,1,0]
	ds_read_b64 v[24:25], v14
	v_fma_mixlo_f16 v58, v19, v57, 0 op_sel_hi:[0,1,0]
	v_fma_mixlo_f16 v57, v19, v60, 0 op_sel:[0,1,0] op_sel_hi:[0,1,0]
	v_fma_mixlo_f16 v60, v19, v53, 0 op_sel_hi:[0,1,0]
	v_or_b32_e32 v53, v56, v54
	v_or_b32_e32 v49, v51, v49
	v_fma_mixlo_f16 v54, v19, v53, 0 op_sel_hi:[0,1,0]
	v_fma_mixlo_f16 v53, v19, v56, 0 op_sel:[0,1,0] op_sel_hi:[0,1,0]
	v_fma_mixlo_f16 v56, v19, v49, 0 op_sel_hi:[0,1,0]
	v_or_b32_e32 v49, v52, v50
	v_or_b32_e32 v45, v47, v45
	;; [unrolled: 5-line block ×3, first 2 shown]
	v_or_b32_e32 v20, v22, v20
	v_fma_mixlo_f16 v8, v19, v2, 0 op_sel_hi:[0,1,0]
	v_fma_mixlo_f16 v2, v19, v65, 0 op_sel:[0,1,0] op_sel_hi:[0,1,0]
	v_fma_mixlo_f16 v46, v19, v45, 0 op_sel_hi:[0,1,0]
	v_fma_mixlo_f16 v45, v19, v48, 0 op_sel:[0,1,0] op_sel_hi:[0,1,0]
	v_fma_mixlo_f16 v48, v19, v29, 0 op_sel_hi:[0,1,0]
	v_or_b32_e32 v29, v32, v30
	v_fma_mixlo_f16 v65, v19, v28, 0 op_sel:[0,1,0] op_sel_hi:[0,1,0]
	v_fma_mixlo_f16 v28, v19, v20, 0 op_sel_hi:[0,1,0]
	v_or_b32_e32 v20, v23, v21
	v_fma_mixlo_f16 v30, v19, v29, 0 op_sel_hi:[0,1,0]
	v_fma_mixlo_f16 v22, v19, v22, 0 op_sel:[0,1,0] op_sel_hi:[0,1,0]
	v_fma_mixlo_f16 v21, v19, v20, 0 op_sel_hi:[0,1,0]
	s_waitcnt lgkmcnt(0)
	v_lshrrev_b32_e32 v29, 16, v24
	v_and_b32_e32 v24, 0xffff, v24
	v_fma_mixlo_f16 v23, v19, v23, 0 op_sel:[0,1,0] op_sel_hi:[0,1,0]
	v_or_b32_e32 v64, v67, v64
	v_fma_mixlo_f16 v20, v19, v67, 0 op_sel:[0,1,0] op_sel_hi:[0,1,0]
	;;#ASMSTART
	v_cvt_f32_f16 v67, v24;
	;;#ASMEND
	v_and_b32_e32 v24, 0xffff, v28
	v_and_b32_e32 v22, 0xffff, v22
	;; [unrolled: 1-line block ×3, first 2 shown]
	;;#ASMSTART
	v_cvt_f32_f16 v69, v29;
	;;#ASMEND
	;;#ASMSTART
	v_cvt_f32_f16 v70, v24;
	;;#ASMEND
	;; [unrolled: 3-line block ×3, first 2 shown]
	v_lshrrev_b32_e32 v22, 16, v25
	v_and_b32_e32 v24, 0xffff, v25
	;;#ASMSTART
	v_cvt_f32_f16 v72, v24;
	;;#ASMEND
	;;#ASMSTART
	v_cvt_f32_f16 v73, v22;
	;;#ASMEND
	;; [unrolled: 3-line block ×3, first 2 shown]
	v_and_b32_e32 v21, 0xffff, v23
	;;#ASMSTART
	v_cvt_f32_f16 v75, v21;
	;;#ASMEND
	ds_read_b64 v[28:29], v14 offset:8
	v_fma_mixlo_f16 v27, v19, v27, 0 op_sel:[0,1,0] op_sel_hi:[0,1,0]
	v_and_b32_e32 v25, 0xffff, v62
	v_and_b32_e32 v27, 0xffff, v27
	v_fma_mixlo_f16 v31, v19, v31, 0 op_sel:[0,1,0] op_sel_hi:[0,1,0]
	s_waitcnt lgkmcnt(0)
	v_lshrrev_b32_e32 v23, 16, v28
	v_and_b32_e32 v22, 0xffff, v28
	;;#ASMSTART
	v_cvt_f32_f16 v22, v22;
	;;#ASMEND
	;;#ASMSTART
	v_cvt_f32_f16 v23, v23;
	;;#ASMEND
	;; [unrolled: 3-line block ×4, first 2 shown]
	v_and_b32_e32 v28, 0xffff, v63
	v_mul_f32_e32 v22, v22, v25
	v_mul_f32_e32 v23, v23, v27
	v_lshrrev_b32_e32 v27, 16, v29
	v_and_b32_e32 v25, 0xffff, v29
	;;#ASMSTART
	v_cvt_f32_f16 v25, v25;
	;;#ASMEND
	;;#ASMSTART
	v_cvt_f32_f16 v27, v27;
	;;#ASMEND
	;;#ASMSTART
	v_cvt_f32_f16 v62, v28;
	;;#ASMEND
	v_and_b32_e32 v28, 0xffff, v65
	;;#ASMSTART
	v_cvt_f32_f16 v63, v28;
	;;#ASMEND
	ds_read_b64 v[28:29], v14 offset:16
	v_mul_f32_e32 v27, v27, v63
	v_mul_f32_e32 v25, v25, v62
	v_fma_mixlo_f16 v32, v19, v32, 0 op_sel:[0,1,0] op_sel_hi:[0,1,0]
	v_fma_mixlo_f16 v24, v19, v64, 0 op_sel_hi:[0,1,0]
	s_waitcnt lgkmcnt(0)
	v_lshrrev_b32_e32 v63, 16, v28
	v_and_b32_e32 v28, 0xffff, v28
	;;#ASMSTART
	v_cvt_f32_f16 v62, v28;
	;;#ASMEND
	v_and_b32_e32 v28, 0xffff, v48
	;;#ASMSTART
	v_cvt_f32_f16 v63, v63;
	;;#ASMEND
	;;#ASMSTART
	v_cvt_f32_f16 v48, v28;
	;;#ASMEND
	v_and_b32_e32 v28, 0xffff, v31
	;;#ASMSTART
	v_cvt_f32_f16 v31, v28;
	;;#ASMEND
	v_lshrrev_b32_e32 v28, 16, v29
	v_and_b32_e32 v29, 0xffff, v29
	;;#ASMSTART
	v_cvt_f32_f16 v64, v29;
	;;#ASMEND
	;;#ASMSTART
	v_cvt_f32_f16 v65, v28;
	;;#ASMEND
	v_and_b32_e32 v28, 0xffff, v30
	;;#ASMSTART
	v_cvt_f32_f16 v30, v28;
	;;#ASMEND
	v_and_b32_e32 v28, 0xffff, v32
	;;#ASMSTART
	v_cvt_f32_f16 v32, v28;
	;;#ASMEND
	ds_read_b64 v[28:29], v14 offset:24
	v_or_b32_e32 v33, v35, v33
	v_fmac_f32_e32 v23, v69, v71
	v_fma_mixlo_f16 v33, v19, v33, 0 op_sel_hi:[0,1,0]
	v_fmac_f32_e32 v25, v72, v74
	v_fmac_f32_e32 v23, v63, v31
	s_waitcnt lgkmcnt(0)
	v_lshrrev_b32_e32 v31, 16, v28
	v_and_b32_e32 v28, 0xffff, v28
	v_fma_mixlo_f16 v35, v19, v35, 0 op_sel:[0,1,0] op_sel_hi:[0,1,0]
	v_fmac_f32_e32 v27, v73, v75
	v_fmac_f32_e32 v25, v64, v30
	;;#ASMSTART
	v_cvt_f32_f16 v30, v28;
	;;#ASMEND
	v_and_b32_e32 v28, 0xffff, v33
	v_or_b32_e32 v34, v36, v34
	v_fmac_f32_e32 v27, v65, v32
	;;#ASMSTART
	v_cvt_f32_f16 v31, v31;
	;;#ASMEND
	;;#ASMSTART
	v_cvt_f32_f16 v32, v28;
	;;#ASMEND
	v_and_b32_e32 v28, 0xffff, v35
	v_fma_mixlo_f16 v34, v19, v34, 0 op_sel_hi:[0,1,0]
	v_fmac_f32_e32 v22, v67, v70
	;;#ASMSTART
	v_cvt_f32_f16 v33, v28;
	;;#ASMEND
	v_lshrrev_b32_e32 v28, 16, v29
	v_fma_mixlo_f16 v36, v19, v36, 0 op_sel:[0,1,0] op_sel_hi:[0,1,0]
	v_fmac_f32_e32 v22, v62, v48
	v_and_b32_e32 v29, 0xffff, v29
	;;#ASMSTART
	v_cvt_f32_f16 v35, v29;
	;;#ASMEND
	;;#ASMSTART
	v_cvt_f32_f16 v48, v28;
	;;#ASMEND
	v_and_b32_e32 v28, 0xffff, v34
	;;#ASMSTART
	v_cvt_f32_f16 v34, v28;
	;;#ASMEND
	v_and_b32_e32 v28, 0xffff, v36
	;;#ASMSTART
	v_cvt_f32_f16 v36, v28;
	;;#ASMEND
	ds_read_b64 v[28:29], v14 offset:32
	v_or_b32_e32 v37, v39, v37
	v_fma_mixlo_f16 v37, v19, v37, 0 op_sel_hi:[0,1,0]
	v_fmac_f32_e32 v23, v31, v33
	v_fma_mixlo_f16 v39, v19, v39, 0 op_sel:[0,1,0] op_sel_hi:[0,1,0]
	s_waitcnt lgkmcnt(0)
	v_lshrrev_b32_e32 v31, 16, v28
	v_and_b32_e32 v28, 0xffff, v28
	v_fmac_f32_e32 v22, v30, v32
	;;#ASMSTART
	v_cvt_f32_f16 v30, v28;
	;;#ASMEND
	v_and_b32_e32 v28, 0xffff, v37
	v_or_b32_e32 v38, v40, v38
	;;#ASMSTART
	v_cvt_f32_f16 v31, v31;
	;;#ASMEND
	;;#ASMSTART
	v_cvt_f32_f16 v32, v28;
	;;#ASMEND
	v_and_b32_e32 v28, 0xffff, v39
	v_fma_mixlo_f16 v38, v19, v38, 0 op_sel_hi:[0,1,0]
	;;#ASMSTART
	v_cvt_f32_f16 v33, v28;
	;;#ASMEND
	v_lshrrev_b32_e32 v28, 16, v29
	v_fma_mixlo_f16 v40, v19, v40, 0 op_sel:[0,1,0] op_sel_hi:[0,1,0]
	v_fmac_f32_e32 v25, v35, v34
	v_and_b32_e32 v29, 0xffff, v29
	;;#ASMSTART
	v_cvt_f32_f16 v34, v29;
	;;#ASMEND
	;;#ASMSTART
	v_cvt_f32_f16 v35, v28;
	;;#ASMEND
	v_and_b32_e32 v28, 0xffff, v38
	v_fmac_f32_e32 v27, v48, v36
	;;#ASMSTART
	v_cvt_f32_f16 v36, v28;
	;;#ASMEND
	v_and_b32_e32 v28, 0xffff, v40
	;;#ASMSTART
	v_cvt_f32_f16 v37, v28;
	;;#ASMEND
	ds_read_b64 v[28:29], v14 offset:40
	v_or_b32_e32 v41, v43, v41
	v_fma_mixlo_f16 v41, v19, v41, 0 op_sel_hi:[0,1,0]
	v_fmac_f32_e32 v23, v31, v33
	v_fma_mixlo_f16 v43, v19, v43, 0 op_sel:[0,1,0] op_sel_hi:[0,1,0]
	s_waitcnt lgkmcnt(0)
	v_lshrrev_b32_e32 v31, 16, v28
	v_and_b32_e32 v28, 0xffff, v28
	v_fmac_f32_e32 v22, v30, v32
	;;#ASMSTART
	v_cvt_f32_f16 v30, v28;
	;;#ASMEND
	v_and_b32_e32 v28, 0xffff, v41
	v_or_b32_e32 v42, v44, v42
	;;#ASMSTART
	v_cvt_f32_f16 v31, v31;
	;;#ASMEND
	;;#ASMSTART
	v_cvt_f32_f16 v32, v28;
	;;#ASMEND
	v_and_b32_e32 v28, 0xffff, v43
	v_fma_mixlo_f16 v42, v19, v42, 0 op_sel_hi:[0,1,0]
	;;#ASMSTART
	v_cvt_f32_f16 v33, v28;
	;;#ASMEND
	v_lshrrev_b32_e32 v28, 16, v29
	v_fma_mixlo_f16 v44, v19, v44, 0 op_sel:[0,1,0] op_sel_hi:[0,1,0]
	v_fmac_f32_e32 v25, v34, v36
	v_fmac_f32_e32 v27, v35, v37
	v_and_b32_e32 v29, 0xffff, v29
	;;#ASMSTART
	v_cvt_f32_f16 v34, v29;
	;;#ASMEND
	;;#ASMSTART
	v_cvt_f32_f16 v35, v28;
	;;#ASMEND
	v_and_b32_e32 v28, 0xffff, v42
	;;#ASMSTART
	v_cvt_f32_f16 v36, v28;
	;;#ASMEND
	v_and_b32_e32 v28, 0xffff, v44
	;;#ASMSTART
	v_cvt_f32_f16 v37, v28;
	;;#ASMEND
	ds_read_b64 v[28:29], v14 offset:48
	v_fmac_f32_e32 v23, v31, v33
	v_fma_mixlo_f16 v47, v19, v47, 0 op_sel:[0,1,0] op_sel_hi:[0,1,0]
	v_fmac_f32_e32 v22, v30, v32
	v_fmac_f32_e32 v25, v34, v36
	s_waitcnt lgkmcnt(0)
	v_lshrrev_b32_e32 v31, 16, v28
	v_and_b32_e32 v28, 0xffff, v28
	;;#ASMSTART
	v_cvt_f32_f16 v30, v28;
	;;#ASMEND
	v_and_b32_e32 v28, 0xffff, v52
	;;#ASMSTART
	v_cvt_f32_f16 v31, v31;
	;;#ASMEND
	;;#ASMSTART
	v_cvt_f32_f16 v32, v28;
	;;#ASMEND
	v_and_b32_e32 v28, 0xffff, v47
	;;#ASMSTART
	v_cvt_f32_f16 v33, v28;
	;;#ASMEND
	v_lshrrev_b32_e32 v28, 16, v29
	v_fmac_f32_e32 v27, v35, v37
	v_and_b32_e32 v29, 0xffff, v29
	;;#ASMSTART
	v_cvt_f32_f16 v34, v29;
	;;#ASMEND
	;;#ASMSTART
	v_cvt_f32_f16 v35, v28;
	;;#ASMEND
	v_and_b32_e32 v28, 0xffff, v46
	;;#ASMSTART
	v_cvt_f32_f16 v36, v28;
	;;#ASMEND
	v_and_b32_e32 v28, 0xffff, v45
	;;#ASMSTART
	v_cvt_f32_f16 v37, v28;
	;;#ASMEND
	ds_read_b64 v[28:29], v14 offset:56
	v_fmac_f32_e32 v23, v31, v33
	v_fma_mixlo_f16 v51, v19, v51, 0 op_sel:[0,1,0] op_sel_hi:[0,1,0]
	v_fmac_f32_e32 v22, v30, v32
	v_fmac_f32_e32 v25, v34, v36
	s_waitcnt lgkmcnt(0)
	v_lshrrev_b32_e32 v31, 16, v28
	v_and_b32_e32 v28, 0xffff, v28
	;;#ASMSTART
	v_cvt_f32_f16 v30, v28;
	;;#ASMEND
	v_and_b32_e32 v28, 0xffff, v56
	;;#ASMSTART
	v_cvt_f32_f16 v31, v31;
	;;#ASMEND
	;;#ASMSTART
	v_cvt_f32_f16 v32, v28;
	;;#ASMEND
	v_and_b32_e32 v28, 0xffff, v51
	;;#ASMSTART
	v_cvt_f32_f16 v33, v28;
	;;#ASMEND
	v_lshrrev_b32_e32 v28, 16, v29
	;; [unrolled: 39-line block ×4, first 2 shown]
	v_fmac_f32_e32 v27, v35, v37
	v_and_b32_e32 v29, 0xffff, v29
	;;#ASMSTART
	v_cvt_f32_f16 v34, v29;
	;;#ASMEND
	;;#ASMSTART
	v_cvt_f32_f16 v35, v28;
	;;#ASMEND
	v_and_b32_e32 v28, 0xffff, v58
	;;#ASMSTART
	v_cvt_f32_f16 v36, v28;
	;;#ASMEND
	v_and_b32_e32 v28, 0xffff, v57
	;;#ASMSTART
	v_cvt_f32_f16 v37, v28;
	;;#ASMEND
	ds_read_b64 v[28:29], v14 offset:80
	v_fmac_f32_e32 v22, v30, v32
	v_and_b32_e32 v10, 0xffff, v10
	v_and_b32_e32 v9, 0xffff, v9
	v_fmac_f32_e32 v23, v31, v33
	s_waitcnt lgkmcnt(0)
	v_lshrrev_b32_e32 v30, 16, v28
	v_and_b32_e32 v28, 0xffff, v28
	;;#ASMSTART
	v_cvt_f32_f16 v28, v28;
	;;#ASMEND
	;;#ASMSTART
	v_cvt_f32_f16 v30, v30;
	;;#ASMEND
	;; [unrolled: 3-line block ×4, first 2 shown]
	v_lshrrev_b32_e32 v9, 16, v29
	v_and_b32_e32 v29, 0xffff, v29
	v_and_b32_e32 v8, 0xffff, v8
	;; [unrolled: 1-line block ×3, first 2 shown]
	;;#ASMSTART
	v_cvt_f32_f16 v29, v29;
	;;#ASMEND
	;;#ASMSTART
	v_cvt_f32_f16 v32, v9;
	;;#ASMEND
	;; [unrolled: 3-line block ×4, first 2 shown]
	ds_read_b64 v[8:9], v14 offset:88
	v_fmac_f32_e32 v27, v35, v37
	v_fmac_f32_e32 v22, v28, v10
	;; [unrolled: 1-line block ×3, first 2 shown]
	v_or_b32_e32 v21, v68, v66
	s_waitcnt lgkmcnt(0)
	v_lshrrev_b32_e32 v10, 16, v8
	v_and_b32_e32 v2, 0xffff, v8
	;;#ASMSTART
	v_cvt_f32_f16 v2, v2;
	;;#ASMEND
	;;#ASMSTART
	v_cvt_f32_f16 v8, v10;
	;;#ASMEND
	v_and_b32_e32 v10, 0xffff, v24
	v_fma_mixlo_f16 v21, v19, v21, 0 op_sel_hi:[0,1,0]
	v_fmac_f32_e32 v25, v34, v36
	v_fmac_f32_e32 v23, v30, v31
	;;#ASMSTART
	v_cvt_f32_f16 v10, v10;
	;;#ASMEND
	v_and_b32_e32 v20, 0xffff, v20
	v_fmac_f32_e32 v22, v2, v10
	v_and_b32_e32 v2, 0xffff, v9
	v_fma_mixlo_f16 v19, v19, v68, 0 op_sel:[0,1,0] op_sel_hi:[0,1,0]
	v_fmac_f32_e32 v25, v29, v33
	;;#ASMSTART
	v_cvt_f32_f16 v20, v20;
	;;#ASMEND
	;;#ASMSTART
	v_cvt_f32_f16 v2, v2;
	;;#ASMEND
	v_and_b32_e32 v10, 0xffff, v19
	v_fmac_f32_e32 v23, v8, v20
	v_lshrrev_b32_e32 v8, 16, v9
	v_and_b32_e32 v9, 0xffff, v21
	;;#ASMSTART
	v_cvt_f32_f16 v8, v8;
	;;#ASMEND
	;;#ASMSTART
	v_cvt_f32_f16 v9, v9;
	;;#ASMEND
	;; [unrolled: 3-line block ×3, first 2 shown]
	s_nop 0
	v_fmac_f32_e32 v25, v2, v9
	v_add_f32_e32 v2, v22, v23
	v_fmac_f32_e32 v27, v8, v10
	v_add_f32_e32 v2, v2, v25
	v_add_f32_e32 v9, v27, v2
	v_and_b32_e32 v2, 64, v11
	v_xor_b32_e32 v10, 1, v11
	v_add_u32_e32 v8, 64, v2
	v_cmp_lt_i32_e64 s[0:1], v10, v8
	s_nop 1
	v_cndmask_b32_e64 v10, v11, v10, s[0:1]
	v_lshlrev_b32_e32 v10, 2, v10
	ds_bpermute_b32 v10, v10, v9
	s_and_saveexec_b64 s[34:35], vcc
	s_cbranch_execz .LBB265_8
; %bb.298:                              ;   in Loop: Header=BB265_9 Depth=1
	v_add_u32_e32 v19, s41, v15
	v_cvt_f32_i32_e32 v19, v19
	s_waitcnt lgkmcnt(0)
	v_add_f32_e32 v9, v9, v10
	v_cmp_gt_i32_e64 s[0:1], s33, v15
	v_max_f32_e32 v10, v13, v13
	v_mul_f32_e32 v19, s28, v19
	v_cndmask_b32_e64 v19, 0, v19, s[2:3]
	v_fmac_f32_e32 v19, s29, v9
	v_cndmask_b32_e64 v9, 0, v19, s[0:1]
	ds_write_b32 v16, v9
	v_max_f32_e32 v9, v10, v19
	v_cndmask_b32_e64 v13, v13, v9, s[0:1]
	s_branch .LBB265_8
.LBB265_299:
	s_or_b64 exec, exec, s[14:15]
.LBB265_300:
	s_or_b64 exec, exec, s[30:31]
	v_xor_b32_e32 v3, 32, v11
	v_cmp_lt_i32_e32 vcc, v3, v8
	v_xor_b32_e32 v6, 16, v11
	v_max_f32_e32 v5, v13, v13
	v_cndmask_b32_e32 v3, v11, v3, vcc
	v_lshlrev_b32_e32 v3, 2, v3
	ds_bpermute_b32 v4, v3, v13
	v_cmp_lt_i32_e32 vcc, v6, v8
	v_xor_b32_e32 v7, 8, v11
	v_xor_b32_e32 v9, 4, v11
	s_waitcnt lgkmcnt(0)
	v_xor_b32_e32 v10, 2, v11
	v_max_f32_e32 v4, v4, v4
	v_max_f32_e32 v5, v5, v4
	v_cndmask_b32_e32 v4, v11, v6, vcc
	v_lshlrev_b32_e32 v4, 2, v4
	ds_bpermute_b32 v6, v4, v5
	v_cmp_lt_i32_e32 vcc, v7, v8
	v_and_b32_e32 v27, 63, v0
	s_waitcnt lgkmcnt(0)
	v_max_f32_e32 v6, v6, v6
	v_max_f32_e32 v6, v5, v6
	v_cndmask_b32_e32 v5, v11, v7, vcc
	v_lshlrev_b32_e32 v5, 2, v5
	ds_bpermute_b32 v7, v5, v6
	v_cmp_lt_i32_e32 vcc, v9, v8
	s_waitcnt lgkmcnt(0)
	v_max_f32_e32 v7, v7, v7
	v_max_f32_e32 v7, v6, v7
	v_cndmask_b32_e32 v6, v11, v9, vcc
	v_lshlrev_b32_e32 v6, 2, v6
	ds_bpermute_b32 v9, v6, v7
	v_cmp_lt_i32_e32 vcc, v10, v8
	s_waitcnt lgkmcnt(0)
	v_max_f32_e32 v9, v9, v9
	v_max_f32_e32 v9, v7, v9
	v_cndmask_b32_e32 v7, v11, v10, vcc
	v_lshlrev_b32_e32 v28, 2, v7
	ds_bpermute_b32 v10, v28, v9
	v_cmp_eq_u32_e32 vcc, 0, v27
	v_lshlrev_b32_e32 v7, 2, v26
	s_and_saveexec_b64 s[0:1], vcc
	s_cbranch_execz .LBB265_302
; %bb.301:
	s_waitcnt lgkmcnt(0)
	v_max_f32_e32 v10, v10, v10
	v_max_f32_e32 v9, v9, v9
	;; [unrolled: 1-line block ×3, first 2 shown]
	ds_write_b32 v7, v9 offset:192
.LBB265_302:
	s_or_b64 exec, exec, s[0:1]
	v_cmp_gt_u32_e64 s[0:1], 2, v27
	s_waitcnt lgkmcnt(0)
	v_mov_b32_e32 v10, 0xff7fffff
	v_lshlrev_b32_e32 v9, 2, v27
	s_barrier
	s_and_saveexec_b64 s[2:3], s[0:1]
; %bb.303:
	ds_read_b32 v10, v9 offset:192
; %bb.304:
	s_or_b64 exec, exec, s[2:3]
	v_xor_b32_e32 v13, 1, v11
	v_cmp_lt_i32_e64 s[2:3], v13, v8
	v_lshlrev_b32_e32 v2, 2, v2
	s_nop 0
	v_cndmask_b32_e64 v8, v11, v13, s[2:3]
	v_lshlrev_b32_e32 v29, 2, v8
	s_waitcnt lgkmcnt(0)
	ds_bpermute_b32 v8, v29, v10
	v_max_f32_e32 v10, v10, v10
	s_lshl_b32 s2, s19, 5
	s_min_i32 s30, s2, s33
	v_cmp_gt_i32_e64 s[2:3], s30, v0
	s_waitcnt lgkmcnt(0)
	v_max_f32_e32 v8, v8, v8
	v_max_f32_e32 v8, v10, v8
	ds_bpermute_b32 v8, v2, v8
	v_mov_b32_e32 v2, 0
	s_and_saveexec_b64 s[14:15], s[2:3]
	s_cbranch_execz .LBB265_308
; %bb.305:
	v_mov_b32_e32 v2, 0xd0
	v_lshl_add_u32 v10, v0, 2, v2
	v_mov_b32_e32 v2, 0
	s_mov_b64 s[28:29], 0
	v_mov_b32_e32 v13, v0
.LBB265_306:                            ; =>This Inner Loop Header: Depth=1
	ds_read_b32 v14, v10
	v_add_u32_e32 v13, 0x80, v13
	v_cmp_le_i32_e64 s[8:9], s30, v13
	s_or_b64 s[28:29], s[8:9], s[28:29]
	s_waitcnt lgkmcnt(0)
	v_sub_f32_e32 v14, v14, v8
	v_mul_f32_e32 v14, 0x3fb8aa3b, v14
	v_exp_f32_e32 v14, v14
	ds_write_b32 v10, v14
	v_add_f32_e32 v2, v2, v14
	v_add_u32_e32 v10, 0x200, v10
	s_andn2_b64 exec, exec, s[28:29]
	s_cbranch_execnz .LBB265_306
; %bb.307:
	s_or_b64 exec, exec, s[28:29]
.LBB265_308:
	s_or_b64 exec, exec, s[14:15]
	ds_bpermute_b32 v3, v3, v2
	s_waitcnt lgkmcnt(0)
	v_add_f32_e32 v2, v2, v3
	ds_bpermute_b32 v3, v4, v2
	s_waitcnt lgkmcnt(0)
	v_add_f32_e32 v2, v2, v3
	ds_bpermute_b32 v3, v5, v2
	s_waitcnt lgkmcnt(0)
	v_add_f32_e32 v2, v2, v3
	ds_bpermute_b32 v3, v6, v2
	s_waitcnt lgkmcnt(0)
	v_add_f32_e32 v2, v2, v3
	ds_bpermute_b32 v3, v28, v2
	s_waitcnt lgkmcnt(0)
	v_add_f32_e32 v2, v2, v3
	ds_bpermute_b32 v3, v29, v2
	s_waitcnt lgkmcnt(0)
	v_add_f32_e32 v2, v2, v3
	s_and_saveexec_b64 s[8:9], vcc
; %bb.309:
	ds_write_b32 v7, v2 offset:200
; %bb.310:
	s_or_b64 exec, exec, s[8:9]
	s_waitcnt lgkmcnt(0)
	s_barrier
	s_and_saveexec_b64 s[8:9], s[0:1]
; %bb.311:
	ds_read_b32 v2, v9 offset:200
; %bb.312:
	s_or_b64 exec, exec, s[8:9]
	s_waitcnt lgkmcnt(0)
	ds_bpermute_b32 v3, v29, v2
	v_lshlrev_b32_e32 v4, 2, v11
	s_waitcnt lgkmcnt(0)
	v_add_f32_e32 v2, v2, v3
	v_and_b32_e32 v3, 0xffffff00, v4
	ds_bpermute_b32 v2, v3, v2
	s_and_saveexec_b64 s[0:1], s[2:3]
	s_cbranch_execz .LBB265_325
; %bb.313:
	s_waitcnt lgkmcnt(0)
	v_add_f32_e32 v2, 0x358637bd, v2
	v_div_scale_f32 v3, s[2:3], v2, v2, 1.0
	v_rcp_f32_e32 v4, v3
	v_div_scale_f32 v5, vcc, 1.0, v2, 1.0
	s_movk_i32 s2, 0x7f
	v_fma_f32 v6, -v3, v4, 1.0
	v_fmac_f32_e32 v4, v6, v4
	v_mul_f32_e32 v6, v5, v4
	v_fma_f32 v7, -v3, v6, v5
	v_fmac_f32_e32 v6, v7, v4
	v_fma_f32 v3, -v3, v6, v5
	v_div_fmas_f32 v3, v3, v4, v6
	v_xad_u32 v4, v0, -1, s30
	v_div_fixup_f32 v2, v3, v2, 1.0
	v_cmp_lt_u32_e32 vcc, s2, v4
	s_mov_b64 s[8:9], -1
	v_mov_b32_e32 v3, v0
	s_and_saveexec_b64 s[2:3], vcc
	s_cbranch_execz .LBB265_322
; %bb.314:
	v_lshrrev_b32_e32 v4, 7, v4
	v_add_u32_e32 v6, -1, v4
	v_lshrrev_b32_e32 v5, 1, v6
	v_mov_b32_e32 v3, v2
	v_add_u32_e32 v5, 1, v5
	v_cmp_lt_u32_e32 vcc, 13, v6
	v_mov_b32_e32 v8, 0
	s_and_saveexec_b64 s[8:9], vcc
	s_cbranch_execz .LBB265_318
; %bb.315:
	v_mov_b32_e32 v7, 0xd0
	v_and_b32_e32 v6, -8, v5
	v_lshl_add_u32 v7, v0, 2, v7
	s_mov_b32 s28, 0
	s_mov_b64 s[14:15], 0
.LBB265_316:                            ; =>This Inner Loop Header: Depth=1
	ds_read2st64_b32 v[8:9], v7 offset1:2
	ds_read2st64_b32 v[10:11], v7 offset0:4 offset1:6
	ds_read2st64_b32 v[14:15], v7 offset0:8 offset1:10
	;; [unrolled: 1-line block ×3, first 2 shown]
	v_add_u32_e32 v6, -8, v6
	s_waitcnt lgkmcnt(3)
	v_pk_mul_f32 v[8:9], v[2:3], v[8:9]
	s_waitcnt lgkmcnt(2)
	v_pk_mul_f32 v[10:11], v[2:3], v[10:11]
	ds_write2st64_b32 v7, v8, v9 offset1:2
	ds_write2st64_b32 v7, v10, v11 offset0:4 offset1:6
	ds_read2st64_b32 v[10:11], v7 offset0:16 offset1:18
	s_waitcnt lgkmcnt(4)
	v_pk_mul_f32 v[8:9], v[2:3], v[14:15]
	ds_write2st64_b32 v7, v8, v9 offset0:8 offset1:10
	s_waitcnt lgkmcnt(4)
	v_pk_mul_f32 v[8:9], v[2:3], v[16:17]
	ds_write2st64_b32 v7, v8, v9 offset0:12 offset1:14
	ds_read2st64_b32 v[8:9], v7 offset0:20 offset1:22
	s_waitcnt lgkmcnt(3)
	v_pk_mul_f32 v[10:11], v[2:3], v[10:11]
	ds_read2st64_b32 v[14:15], v7 offset0:24 offset1:26
	ds_write2st64_b32 v7, v10, v11 offset0:16 offset1:18
	ds_read2st64_b32 v[10:11], v7 offset0:28 offset1:30
	s_waitcnt lgkmcnt(3)
	v_pk_mul_f32 v[8:9], v[2:3], v[8:9]
	ds_write2st64_b32 v7, v8, v9 offset0:20 offset1:22
	s_waitcnt lgkmcnt(3)
	v_pk_mul_f32 v[8:9], v[2:3], v[14:15]
	ds_write2st64_b32 v7, v8, v9 offset0:24 offset1:26
	s_waitcnt lgkmcnt(2)
	v_pk_mul_f32 v[8:9], v[2:3], v[10:11]
	s_add_i32 s28, s28, 16
	v_cmp_eq_u32_e32 vcc, 0, v6
	ds_write2st64_b32 v7, v8, v9 offset0:28 offset1:30
	v_add_u32_e32 v7, 0x2000, v7
	s_or_b64 s[14:15], vcc, s[14:15]
	v_mov_b32_e32 v8, s28
	s_andn2_b64 exec, exec, s[14:15]
	s_cbranch_execnz .LBB265_316
; %bb.317:
	s_or_b64 exec, exec, s[14:15]
.LBB265_318:
	s_or_b64 exec, exec, s[8:9]
	v_and_b32_e32 v5, 7, v5
	v_cmp_ne_u32_e32 vcc, 0, v5
	s_and_saveexec_b64 s[8:9], vcc
	s_cbranch_execz .LBB265_321
; %bb.319:
	v_lshlrev_b32_e32 v6, 9, v8
	v_lshlrev_b32_e32 v7, 2, v0
	s_movk_i32 s14, 0xd0
	v_add3_u32 v6, v6, v7, s14
	s_mov_b64 s[14:15], 0
.LBB265_320:                            ; =>This Inner Loop Header: Depth=1
	ds_read2st64_b32 v[8:9], v6 offset1:2
	v_add_u32_e32 v5, -1, v5
	v_cmp_eq_u32_e32 vcc, 0, v5
	s_or_b64 s[14:15], vcc, s[14:15]
	s_waitcnt lgkmcnt(0)
	v_pk_mul_f32 v[8:9], v[2:3], v[8:9]
	ds_write2st64_b32 v6, v8, v9 offset1:2
	v_add_u32_e32 v6, 0x400, v6
	s_andn2_b64 exec, exec, s[14:15]
	s_cbranch_execnz .LBB265_320
.LBB265_321:
	s_or_b64 exec, exec, s[8:9]
	v_add_u32_e32 v4, 1, v4
	v_and_b32_e32 v5, 0x3fffffe, v4
	v_cmp_ne_u32_e32 vcc, v4, v5
	v_lshl_add_u32 v3, v5, 7, v0
	s_orn2_b64 s[8:9], vcc, exec
.LBB265_322:
	s_or_b64 exec, exec, s[2:3]
	s_and_b64 exec, exec, s[8:9]
	s_cbranch_execz .LBB265_325
; %bb.323:
	v_mov_b32_e32 v4, 0xd0
	v_lshl_add_u32 v4, v3, 2, v4
	s_mov_b64 s[2:3], 0
.LBB265_324:                            ; =>This Inner Loop Header: Depth=1
	ds_read_b32 v5, v4
	v_add_u32_e32 v3, 0x80, v3
	v_cmp_le_i32_e32 vcc, s30, v3
	s_or_b64 s[2:3], vcc, s[2:3]
	s_waitcnt lgkmcnt(0)
	v_mul_f32_e32 v5, v2, v5
	ds_write_b32 v4, v5
	v_add_u32_e32 v4, 0x200, v4
	s_andn2_b64 exec, exec, s[2:3]
	s_cbranch_execnz .LBB265_324
.LBB265_325:
	s_or_b64 exec, exec, s[0:1]
	v_mov_b32_e32 v3, 0
	v_and_b32_e32 v30, 3, v0
	s_waitcnt lgkmcnt(0)
	v_mov_b32_e32 v2, 0
	v_mov_b32_e32 v5, 0
	;; [unrolled: 1-line block ×5, first 2 shown]
	s_barrier
	s_and_saveexec_b64 s[2:3], s[6:7]
	s_cbranch_execz .LBB265_629
; %bb.326:
	s_ashr_i32 s1, s12, 31
	s_add_u32 s0, s26, s12
	s_addc_u32 s1, s27, s1
	v_and_b32_e32 v8, 0x1f8, v1
	v_mov_b32_e32 v9, 0
	s_add_i32 s26, s19, -1
	v_lshl_add_u64 v[10:11], s[0:1], 0, v[8:9]
	s_lshl_b64 s[0:1], s[24:25], 2
	v_and_b32_e32 v2, 24, v1
	v_lshlrev_b32_e32 v1, 5, v30
	s_add_u32 s0, s22, s0
	s_mov_b32 s6, -1
	v_lshl_or_b32 v1, v26, 7, v1
	v_and_b32_e32 v8, 60, v12
	s_addc_u32 s1, s23, s1
	s_mov_b32 s28, s13
	s_mov_b32 s7, 0xffffff
	;; [unrolled: 1-line block ×3, first 2 shown]
	v_lshl_or_b32 v31, v26, 5, v2
	v_add_u32_e32 v32, 0xd0, v1
	v_lshl_add_u64 v[12:13], s[0:1], 0, v[8:9]
	s_mov_b64 s[8:9], 0
	s_movk_i32 s24, 0x80
	s_movk_i32 s25, 0x7f
	s_mov_b32 s29, 0x8000
	v_mov_b32_e32 v33, 0x2000
	v_mov_b32_e32 v3, 0
	;; [unrolled: 1-line block ×7, first 2 shown]
	s_branch .LBB265_328
.LBB265_327:                            ;   in Loop: Header=BB265_328 Depth=1
	s_or_b64 exec, exec, s[0:1]
	v_add_f32_e32 v14, v24, v25
	v_add_f32_e32 v2, v2, v14
	;; [unrolled: 1-line block ×9, first 2 shown]
	;;#ASMSTART
	v_pk_mul_f16 v1, v44, v1;

	;;#ASMEND
	v_add_f32_e32 v6, v6, v14
	;;#ASMSTART
	v_pk_mul_f16 v8, v43, v8;

	;;#ASMEND
	;;#ASMSTART
	v_pk_mul_f16 v14, v42, v21;

	;;#ASMEND
	;; [unrolled: 4-line block ×3, first 2 shown]
	v_add_u32_e32 v26, 2, v26
	;;#ASMSTART
	v_pk_add_f16 v1, v1, v8;

	;;#ASMEND
	v_cmp_le_i32_e32 vcc, s19, v26
	;;#ASMSTART
	v_pk_add_f16 v1, v1, v14;

	;;#ASMEND
	v_add_u32_e32 v31, 64, v31
	;;#ASMSTART
	v_pk_add_f16 v1, v1, v15;

	;;#ASMEND
	v_add_u32_e32 v32, 0x100, v32
	v_lshrrev_b32_e32 v8, 16, v1
	v_and_b32_e32 v1, 0xffff, v1
	;;#ASMSTART
	v_cvt_f32_f16 v1, v1;
	;;#ASMEND
	;;#ASMSTART
	v_cvt_f32_f16 v8, v8;
	;;#ASMEND
	s_or_b64 s[8:9], vcc, s[8:9]
	v_add_f32_e32 v1, v1, v8
	v_add_f32_e32 v3, v3, v1
	v_lshl_add_u64 v[12:13], v[12:13], 0, 8
	s_andn2_b64 exec, exec, s[8:9]
	s_cbranch_execz .LBB265_628
.LBB265_328:                            ; =>This Inner Loop Header: Depth=1
	global_load_dword v1, v[12:13], off
	ds_read2_b64 v[14:17], v32 offset1:1
	ds_read2_b64 v[18:21], v32 offset0:2 offset1:3
	s_waitcnt lgkmcnt(1)
	;;#ASMSTART
	v_cvt_f16_f32 v41, v14;

	;;#ASMEND
	;;#ASMSTART
	v_cvt_f16_f32 v42, v15;

	;;#ASMEND
	;; [unrolled: 4-line block ×4, first 2 shown]
	s_waitcnt lgkmcnt(0)
	;;#ASMSTART
	v_cvt_f16_f32 v46, v18;

	;;#ASMEND
	;;#ASMSTART
	v_cvt_f16_f32 v47, v19;

	;;#ASMEND
	;; [unrolled: 4-line block ×4, first 2 shown]
	s_waitcnt vmcnt(0)
	v_mad_i64_i32 v[14:15], s[0:1], v1, s28, v[10:11]
	global_load_dwordx2 v[18:19], v[14:15], off
	global_load_dword v16, v9, s[10:11]
	v_mov_b32_e32 v1, 0
	s_waitcnt vmcnt(1)
	v_cmp_ne_u16_sdwa s[12:13], v18, v9 src0_sel:BYTE_0 src1_sel:DWORD
	s_and_saveexec_b64 s[0:1], s[12:13]
	s_cbranch_execz .LBB265_334
; %bb.329:                              ;   in Loop: Header=BB265_328 Depth=1
	v_cmp_ne_u16_sdwa s[14:15], v18, s24 src0_sel:BYTE_0 src1_sel:DWORD
	v_mov_b32_e32 v1, 0x8000
	s_and_saveexec_b64 s[12:13], s[14:15]
	s_cbranch_execz .LBB265_333
; %bb.330:                              ;   in Loop: Header=BB265_328 Depth=1
	v_and_b32_e32 v8, 0x7f, v18
	v_cmp_ne_u32_e32 vcc, s25, v8
	v_mov_b32_e32 v1, 0x7c01
	s_and_saveexec_b64 s[14:15], vcc
	s_cbranch_execz .LBB265_332
; %bb.331:                              ;   in Loop: Header=BB265_328 Depth=1
	v_and_b32_e32 v1, 7, v18
	v_ffbh_u32_e32 v20, v1
	v_min_u32_e32 v22, 32, v20
	v_subrev_u32_e32 v20, 28, v22
	v_lshlrev_b64 v[20:21], v20, v[18:19]
	v_lshrrev_b32_e32 v17, 3, v8
	v_sub_u32_e32 v21, 29, v22
	v_cmp_gt_u32_e32 vcc, 8, v8
	v_and_b32_e32 v20, 7, v20
	s_nop 0
	v_cndmask_b32_e32 v8, v17, v21, vcc
	v_lshl_add_u32 v8, v8, 10, v33
	v_lshlrev_b32_e32 v17, 8, v18
	v_and_b32_e32 v8, 0xfc00, v8
	v_cndmask_b32_e32 v1, v1, v20, vcc
	v_and_or_b32 v8, v17, s29, v8
	v_lshl_or_b32 v1, v1, 7, v8
.LBB265_332:                            ;   in Loop: Header=BB265_328 Depth=1
	s_or_b64 exec, exec, s[14:15]
.LBB265_333:                            ;   in Loop: Header=BB265_328 Depth=1
	s_or_b64 exec, exec, s[12:13]
.LBB265_334:                            ;   in Loop: Header=BB265_328 Depth=1
	s_or_b64 exec, exec, s[0:1]
	v_lshrrev_b16_e32 v8, 8, v18
	v_cmp_ne_u16_e32 vcc, 0, v8
	v_mov_b32_e32 v17, 0
	v_mov_b32_e32 v20, 0
	s_and_saveexec_b64 s[0:1], vcc
	s_cbranch_execz .LBB265_340
; %bb.335:                              ;   in Loop: Header=BB265_328 Depth=1
	v_cmp_ne_u16_e32 vcc, s24, v8
	v_bfrev_b32_e32 v20, 1
	s_and_saveexec_b64 s[12:13], vcc
	s_cbranch_execz .LBB265_339
; %bb.336:                              ;   in Loop: Header=BB265_328 Depth=1
	v_and_b32_e32 v21, 0x7f, v8
	v_cmp_ne_u32_e32 vcc, s25, v21
	v_mov_b32_e32 v20, 0x7c010000
	s_and_saveexec_b64 s[14:15], vcc
	s_cbranch_execz .LBB265_338
; %bb.337:                              ;   in Loop: Header=BB265_328 Depth=1
	v_and_b32_e32 v20, 7, v8
	v_ffbh_u32_e32 v22, v20
	v_min_u32_e32 v25, 32, v22
	v_subrev_u32_e32 v22, 28, v25
	v_lshlrev_b64 v[22:23], v22, v[8:9]
	v_lshrrev_b32_e32 v24, 3, v21
	v_sub_u32_e32 v23, 29, v25
	v_cmp_gt_u32_e32 vcc, 8, v21
	v_lshlrev_b32_e32 v8, 8, v8
	v_and_b32_e32 v22, 7, v22
	v_cndmask_b32_e32 v21, v24, v23, vcc
	v_lshl_add_u32 v21, v21, 10, v33
	v_and_or_b32 v8, v8, s29, v21
	v_cndmask_b32_e32 v20, v20, v22, vcc
	v_lshlrev_b32_e32 v8, 16, v8
	v_lshl_or_b32 v20, v20, 23, v8
.LBB265_338:                            ;   in Loop: Header=BB265_328 Depth=1
	s_or_b64 exec, exec, s[14:15]
.LBB265_339:                            ;   in Loop: Header=BB265_328 Depth=1
	s_or_b64 exec, exec, s[12:13]
.LBB265_340:                            ;   in Loop: Header=BB265_328 Depth=1
	s_or_b64 exec, exec, s[0:1]
	v_lshrrev_b32_e32 v8, 16, v18
	v_cmp_ne_u16_sdwa s[12:13], v8, v9 src0_sel:BYTE_0 src1_sel:DWORD
	s_and_saveexec_b64 s[0:1], s[12:13]
	s_cbranch_execz .LBB265_346
; %bb.341:                              ;   in Loop: Header=BB265_328 Depth=1
	v_cmp_ne_u16_sdwa s[14:15], v8, s24 src0_sel:BYTE_0 src1_sel:DWORD
	v_mov_b32_e32 v17, 0x8000
	s_and_saveexec_b64 s[12:13], s[14:15]
	s_cbranch_execz .LBB265_345
; %bb.342:                              ;   in Loop: Header=BB265_328 Depth=1
	v_bfe_u32 v21, v18, 16, 7
	v_cmp_ne_u32_e32 vcc, s25, v21
	v_mov_b32_e32 v17, 0x7c01
	s_and_saveexec_b64 s[14:15], vcc
	s_cbranch_execz .LBB265_344
; %bb.343:                              ;   in Loop: Header=BB265_328 Depth=1
	v_and_b32_e32 v17, 7, v8
	v_ffbh_u32_e32 v22, v17
	v_min_u32_e32 v25, 32, v22
	v_subrev_u32_e32 v22, 28, v25
	v_lshlrev_b64 v[22:23], v22, v[8:9]
	v_lshrrev_b32_e32 v24, 3, v21
	v_sub_u32_e32 v23, 29, v25
	v_cmp_gt_u32_e32 vcc, 8, v21
	v_lshlrev_b32_e32 v8, 8, v8
	v_and_b32_e32 v22, 7, v22
	v_cndmask_b32_e32 v21, v24, v23, vcc
	v_lshl_add_u32 v21, v21, 10, v33
	v_and_b32_e32 v21, 0xfc00, v21
	v_cndmask_b32_e32 v17, v17, v22, vcc
	v_and_or_b32 v8, v8, s29, v21
	v_lshl_or_b32 v17, v17, 7, v8
.LBB265_344:                            ;   in Loop: Header=BB265_328 Depth=1
	s_or_b64 exec, exec, s[14:15]
.LBB265_345:                            ;   in Loop: Header=BB265_328 Depth=1
	s_or_b64 exec, exec, s[12:13]
.LBB265_346:                            ;   in Loop: Header=BB265_328 Depth=1
	s_or_b64 exec, exec, s[0:1]
	v_cmp_lt_u32_e32 vcc, s7, v18
	v_mov_b32_e32 v21, 0
	v_mov_b32_e32 v22, 0
	s_and_saveexec_b64 s[0:1], vcc
	s_cbranch_execz .LBB265_352
; %bb.347:                              ;   in Loop: Header=BB265_328 Depth=1
	v_lshrrev_b32_e32 v8, 24, v18
	v_cmp_ne_u32_e32 vcc, s24, v8
	v_bfrev_b32_e32 v22, 1
	s_and_saveexec_b64 s[12:13], vcc
	s_cbranch_execz .LBB265_351
; %bb.348:                              ;   in Loop: Header=BB265_328 Depth=1
	v_and_b32_e32 v23, 0x7f, v8
	v_cmp_ne_u32_e32 vcc, s25, v23
	v_mov_b32_e32 v22, 0x7c010000
	s_and_saveexec_b64 s[14:15], vcc
	s_cbranch_execz .LBB265_350
; %bb.349:                              ;   in Loop: Header=BB265_328 Depth=1
	v_and_b32_e32 v22, 7, v8
	v_ffbh_u32_e32 v24, v22
	v_min_u32_e32 v35, 32, v24
	v_subrev_u32_e32 v24, 28, v35
	v_lshlrev_b64 v[24:25], v24, v[8:9]
	v_lshrrev_b32_e32 v34, 3, v23
	v_sub_u32_e32 v25, 29, v35
	v_cmp_gt_u32_e32 vcc, 8, v23
	v_lshlrev_b32_e32 v8, 8, v8
	v_and_b32_e32 v24, 7, v24
	v_cndmask_b32_e32 v23, v34, v25, vcc
	v_lshl_add_u32 v23, v23, 10, v33
	v_and_or_b32 v8, v8, s29, v23
	v_cndmask_b32_e32 v22, v22, v24, vcc
	v_lshlrev_b32_e32 v8, 16, v8
	v_lshl_or_b32 v22, v22, 23, v8
.LBB265_350:                            ;   in Loop: Header=BB265_328 Depth=1
	s_or_b64 exec, exec, s[14:15]
.LBB265_351:                            ;   in Loop: Header=BB265_328 Depth=1
	s_or_b64 exec, exec, s[12:13]
.LBB265_352:                            ;   in Loop: Header=BB265_328 Depth=1
	s_or_b64 exec, exec, s[0:1]
	v_mov_b32_e32 v8, v19
	v_cmp_ne_u16_sdwa s[12:13], v19, v9 src0_sel:BYTE_0 src1_sel:DWORD
	s_and_saveexec_b64 s[0:1], s[12:13]
	s_cbranch_execz .LBB265_358
; %bb.353:                              ;   in Loop: Header=BB265_328 Depth=1
	v_cmp_ne_u16_sdwa s[14:15], v19, s24 src0_sel:BYTE_0 src1_sel:DWORD
	v_mov_b32_e32 v21, 0x8000
	s_and_saveexec_b64 s[12:13], s[14:15]
	s_cbranch_execz .LBB265_357
; %bb.354:                              ;   in Loop: Header=BB265_328 Depth=1
	v_and_b32_e32 v23, 0x7f, v19
	v_cmp_ne_u32_e32 vcc, s25, v23
	v_mov_b32_e32 v21, 0x7c01
	s_and_saveexec_b64 s[14:15], vcc
	s_cbranch_execz .LBB265_356
; %bb.355:                              ;   in Loop: Header=BB265_328 Depth=1
	v_and_b32_e32 v21, 7, v19
	v_ffbh_u32_e32 v24, v21
	v_min_u32_e32 v35, 32, v24
	v_subrev_u32_e32 v24, 28, v35
	v_lshlrev_b64 v[24:25], v24, v[8:9]
	v_lshrrev_b32_e32 v34, 3, v23
	v_sub_u32_e32 v25, 29, v35
	v_cmp_gt_u32_e32 vcc, 8, v23
	v_and_b32_e32 v24, 7, v24
	s_nop 0
	v_cndmask_b32_e32 v23, v34, v25, vcc
	v_lshl_add_u32 v23, v23, 10, v33
	v_lshlrev_b32_e32 v25, 8, v19
	v_and_b32_e32 v23, 0xfc00, v23
	v_cndmask_b32_e32 v21, v21, v24, vcc
	v_and_or_b32 v23, v25, s29, v23
	v_lshl_or_b32 v21, v21, 7, v23
.LBB265_356:                            ;   in Loop: Header=BB265_328 Depth=1
	s_or_b64 exec, exec, s[14:15]
.LBB265_357:                            ;   in Loop: Header=BB265_328 Depth=1
	s_or_b64 exec, exec, s[12:13]
.LBB265_358:                            ;   in Loop: Header=BB265_328 Depth=1
	s_or_b64 exec, exec, s[0:1]
	v_lshrrev_b16_e32 v8, 8, v8
	v_cmp_ne_u16_e32 vcc, 0, v8
	v_mov_b32_e32 v24, 0
	v_mov_b32_e32 v23, 0
	s_and_saveexec_b64 s[0:1], vcc
	s_cbranch_execz .LBB265_364
; %bb.359:                              ;   in Loop: Header=BB265_328 Depth=1
	v_cmp_ne_u16_e32 vcc, s24, v8
	v_bfrev_b32_e32 v23, 1
	s_and_saveexec_b64 s[12:13], vcc
	s_cbranch_execz .LBB265_363
; %bb.360:                              ;   in Loop: Header=BB265_328 Depth=1
	v_and_b32_e32 v25, 0x7f, v8
	v_cmp_ne_u32_e32 vcc, s25, v25
	v_mov_b32_e32 v23, 0x7c010000
	s_and_saveexec_b64 s[14:15], vcc
	s_cbranch_execz .LBB265_362
; %bb.361:                              ;   in Loop: Header=BB265_328 Depth=1
	v_and_b32_e32 v23, 7, v8
	v_ffbh_u32_e32 v34, v23
	v_min_u32_e32 v37, 32, v34
	v_subrev_u32_e32 v34, 28, v37
	v_lshlrev_b64 v[34:35], v34, v[8:9]
	v_lshrrev_b32_e32 v36, 3, v25
	v_sub_u32_e32 v35, 29, v37
	v_cmp_gt_u32_e32 vcc, 8, v25
	v_lshlrev_b32_e32 v8, 8, v8
	v_and_b32_e32 v34, 7, v34
	v_cndmask_b32_e32 v25, v36, v35, vcc
	v_lshl_add_u32 v25, v25, 10, v33
	v_and_or_b32 v8, v8, s29, v25
	v_cndmask_b32_e32 v23, v23, v34, vcc
	v_lshlrev_b32_e32 v8, 16, v8
	v_lshl_or_b32 v23, v23, 23, v8
.LBB265_362:                            ;   in Loop: Header=BB265_328 Depth=1
	s_or_b64 exec, exec, s[14:15]
.LBB265_363:                            ;   in Loop: Header=BB265_328 Depth=1
	s_or_b64 exec, exec, s[12:13]
.LBB265_364:                            ;   in Loop: Header=BB265_328 Depth=1
	s_or_b64 exec, exec, s[0:1]
	v_lshrrev_b32_e32 v8, 16, v19
	v_cmp_ne_u16_sdwa s[12:13], v8, v9 src0_sel:BYTE_0 src1_sel:DWORD
	s_and_saveexec_b64 s[0:1], s[12:13]
	s_cbranch_execz .LBB265_370
; %bb.365:                              ;   in Loop: Header=BB265_328 Depth=1
	v_cmp_ne_u16_sdwa s[14:15], v8, s24 src0_sel:BYTE_0 src1_sel:DWORD
	v_mov_b32_e32 v24, 0x8000
	s_and_saveexec_b64 s[12:13], s[14:15]
	s_cbranch_execz .LBB265_369
; %bb.366:                              ;   in Loop: Header=BB265_328 Depth=1
	v_bfe_u32 v25, v19, 16, 7
	v_cmp_ne_u32_e32 vcc, s25, v25
	v_mov_b32_e32 v24, 0x7c01
	s_and_saveexec_b64 s[14:15], vcc
	s_cbranch_execz .LBB265_368
; %bb.367:                              ;   in Loop: Header=BB265_328 Depth=1
	v_and_b32_e32 v24, 7, v8
	v_ffbh_u32_e32 v34, v24
	v_min_u32_e32 v37, 32, v34
	v_subrev_u32_e32 v34, 28, v37
	v_lshlrev_b64 v[34:35], v34, v[8:9]
	v_lshrrev_b32_e32 v36, 3, v25
	v_sub_u32_e32 v35, 29, v37
	v_cmp_gt_u32_e32 vcc, 8, v25
	v_lshlrev_b32_e32 v8, 8, v8
	v_and_b32_e32 v34, 7, v34
	v_cndmask_b32_e32 v25, v36, v35, vcc
	v_lshl_add_u32 v25, v25, 10, v33
	v_and_b32_e32 v25, 0xfc00, v25
	v_cndmask_b32_e32 v24, v24, v34, vcc
	v_and_or_b32 v8, v8, s29, v25
	v_lshl_or_b32 v24, v24, 7, v8
.LBB265_368:                            ;   in Loop: Header=BB265_328 Depth=1
	s_or_b64 exec, exec, s[14:15]
.LBB265_369:                            ;   in Loop: Header=BB265_328 Depth=1
	s_or_b64 exec, exec, s[12:13]
.LBB265_370:                            ;   in Loop: Header=BB265_328 Depth=1
	s_or_b64 exec, exec, s[0:1]
	v_cmp_lt_u64_e32 vcc, s[6:7], v[18:19]
	v_mov_b32_e32 v25, 0
	s_and_saveexec_b64 s[0:1], vcc
	s_cbranch_execz .LBB265_376
; %bb.371:                              ;   in Loop: Header=BB265_328 Depth=1
	v_lshrrev_b32_e32 v8, 24, v19
	v_cmp_ne_u32_e32 vcc, s24, v8
	v_bfrev_b32_e32 v25, 1
	s_and_saveexec_b64 s[12:13], vcc
	s_cbranch_execz .LBB265_375
; %bb.372:                              ;   in Loop: Header=BB265_328 Depth=1
	v_and_b32_e32 v18, 0x7f, v8
	v_cmp_ne_u32_e32 vcc, s25, v18
	v_mov_b32_e32 v25, 0x7c010000
	s_and_saveexec_b64 s[14:15], vcc
	s_cbranch_execz .LBB265_374
; %bb.373:                              ;   in Loop: Header=BB265_328 Depth=1
	v_and_b32_e32 v19, 7, v8
	v_ffbh_u32_e32 v34, v19
	v_min_u32_e32 v36, 32, v34
	v_subrev_u32_e32 v34, 28, v36
	v_lshlrev_b64 v[34:35], v34, v[8:9]
	v_lshrrev_b32_e32 v25, 3, v18
	v_sub_u32_e32 v35, 29, v36
	v_cmp_gt_u32_e32 vcc, 8, v18
	v_lshlrev_b32_e32 v8, 8, v8
	s_nop 0
	v_cndmask_b32_e32 v18, v25, v35, vcc
	v_lshl_add_u32 v18, v18, 10, v33
	v_and_b32_e32 v25, 7, v34
	v_and_or_b32 v8, v8, s29, v18
	v_cndmask_b32_e32 v19, v19, v25, vcc
	v_lshlrev_b32_e32 v8, 16, v8
	v_lshl_or_b32 v25, v19, 23, v8
.LBB265_374:                            ;   in Loop: Header=BB265_328 Depth=1
	s_or_b64 exec, exec, s[14:15]
.LBB265_375:                            ;   in Loop: Header=BB265_328 Depth=1
	s_or_b64 exec, exec, s[12:13]
.LBB265_376:                            ;   in Loop: Header=BB265_328 Depth=1
	s_or_b64 exec, exec, s[0:1]
	v_cvt_f32_f16_sdwa v19, v20 dst_sel:DWORD dst_unused:UNUSED_PAD src0_sel:WORD_1
	v_cvt_f32_f16_sdwa v18, v22 dst_sel:DWORD dst_unused:UNUSED_PAD src0_sel:WORD_1
	v_or_b32_e32 v1, v20, v1
	v_or_b32_e32 v8, v22, v17
	v_cvt_f32_f16_e32 v34, v8
	v_cvt_f32_f16_e32 v35, v1
	s_waitcnt vmcnt(0)
	v_pk_mul_f32 v[18:19], v[16:17], v[18:19] op_sel_hi:[0,1]
	v_cvt_pk_f16_f32 v1, v18, v19
	v_and_b32_e32 v17, 0xffff0000, v1
	v_pk_mul_f32 v[34:35], v[16:17], v[34:35] op_sel_hi:[0,1]
	v_or_b32_e32 v8, v23, v21
	v_or_b32_e32 v21, v25, v24
	v_lshlrev_b32_e32 v18, 16, v1
	v_cvt_pk_f16_f32 v1, v34, v35
	v_cvt_f32_f16_e32 v34, v21
	v_cvt_f32_f16_e32 v35, v8
	v_cvt_f32_f16_sdwa v23, v23 dst_sel:DWORD dst_unused:UNUSED_PAD src0_sel:WORD_1
	v_cvt_f32_f16_sdwa v22, v25 dst_sel:DWORD dst_unused:UNUSED_PAD src0_sel:WORD_1
	v_lshrrev_b32_e32 v19, 16, v1
	v_pk_mul_f32 v[24:25], v[16:17], v[34:35] op_sel_hi:[0,1]
	v_cvt_pk_f16_f32 v24, v24, v25
	v_pk_mul_f32 v[22:23], v[16:17], v[22:23] op_sel_hi:[0,1]
	v_cvt_pk_f16_f32 v16, v22, v23
	v_and_b32_e32 v20, 0xffff, v1
	v_and_b32_e32 v21, 0xffff0000, v16
	v_lshlrev_b32_e32 v16, 16, v16
	v_lshrrev_b32_e32 v25, 16, v24
	v_and_b32_e32 v24, 0xffff, v24
	v_cmp_eq_u32_e32 vcc, s26, v26
	v_or_b32_e32 v1, v17, v19
	v_or_b32_e32 v8, v18, v20
	;; [unrolled: 1-line block ×4, first 2 shown]
	v_add_u32_e32 v40, 2, v31
	v_or_b32_e32 v39, 1, v31
	v_or_b32_e32 v38, 3, v31
	;; [unrolled: 1-line block ×6, first 2 shown]
	s_and_saveexec_b64 s[12:13], vcc
	s_cbranch_execz .LBB265_378
; %bb.377:                              ;   in Loop: Header=BB265_328 Depth=1
	v_cmp_gt_i32_e64 s[0:1], s27, v31
	s_nop 1
	v_cndmask_b32_e64 v1, 0, v19, s[0:1]
	v_cmp_gt_i32_e64 s[0:1], s33, v40
	s_nop 1
	v_cndmask_b32_e64 v8, 0, v20, s[0:1]
	;; [unrolled: 3-line block ×3, first 2 shown]
	v_cmp_gt_i32_e64 s[0:1], s33, v38
	v_or_b32_e32 v1, v17, v1
	s_nop 0
	v_cndmask_b32_e64 v18, 0, v18, s[0:1]
	v_cmp_gt_i32_e64 s[0:1], s27, v37
	v_or_b32_e32 v8, v18, v8
	s_nop 0
	v_cndmask_b32_e64 v17, 0, v25, s[0:1]
	v_cmp_gt_i32_e64 s[0:1], s33, v36
	s_nop 1
	v_cndmask_b32_e64 v18, 0, v24, s[0:1]
	v_cmp_gt_i32_e64 s[0:1], s27, v35
	;; [unrolled: 3-line block ×3, first 2 shown]
	v_or_b32_e32 v23, v19, v17
	s_nop 0
	v_cndmask_b32_e64 v16, 0, v16, s[0:1]
	v_or_b32_e32 v22, v16, v18
.LBB265_378:                            ;   in Loop: Header=BB265_328 Depth=1
	s_or_b64 exec, exec, s[12:13]
	v_and_b32_e32 v16, 0xffff, v41
	v_lshl_or_b32 v44, v42, 16, v16
	v_and_b32_e32 v16, 0xffff, v43
	v_lshl_or_b32 v43, v45, 16, v16
	;; [unrolled: 2-line block ×3, first 2 shown]
	v_and_b32_e32 v16, 0xffff, v48
	;;#ASMSTART
	v_pk_mul_f16 v1, v44, v1;

	;;#ASMEND
	v_lshl_or_b32 v41, v49, 16, v16
	;;#ASMSTART
	v_pk_mul_f16 v8, v43, v8;

	;;#ASMEND
	;;#ASMSTART
	v_pk_mul_f16 v16, v42, v23;

	;;#ASMEND
	;; [unrolled: 4-line block ×3, first 2 shown]
	s_nop 0
	;;#ASMSTART
	v_pk_add_f16 v1, v1, v8;

	;;#ASMEND
	s_nop 0
	;;#ASMSTART
	v_pk_add_f16 v1, v1, v16;

	;;#ASMEND
	;; [unrolled: 5-line block ×3, first 2 shown]
	v_mov_b32_e32 v17, 0
	v_lshrrev_b32_e32 v8, 16, v1
	v_and_b32_e32 v1, 0xffff, v1
	;;#ASMSTART
	v_cvt_f32_f16 v45, v1;
	;;#ASMEND
	;;#ASMSTART
	v_cvt_f32_f16 v46, v8;
	;;#ASMEND
	global_load_dwordx2 v[18:19], v[14:15], off offset:512
	v_mov_b32_e32 v1, 0
	global_load_dword v16, v1, s[10:11]
	s_waitcnt vmcnt(1)
	v_cmp_ne_u16_sdwa s[0:1], v18, v9 src0_sel:BYTE_0 src1_sel:DWORD
	s_and_saveexec_b64 s[12:13], s[0:1]
	s_cbranch_execz .LBB265_384
; %bb.379:                              ;   in Loop: Header=BB265_328 Depth=1
	v_cmp_ne_u16_sdwa s[0:1], v18, s24 src0_sel:BYTE_0 src1_sel:DWORD
	v_mov_b32_e32 v17, 0x8000
	s_and_saveexec_b64 s[14:15], s[0:1]
	s_cbranch_execz .LBB265_383
; %bb.380:                              ;   in Loop: Header=BB265_328 Depth=1
	v_and_b32_e32 v8, 0x7f, v18
	v_cmp_ne_u32_e64 s[0:1], s25, v8
	v_mov_b32_e32 v17, 0x7c01
	s_and_saveexec_b64 s[22:23], s[0:1]
	s_cbranch_execz .LBB265_382
; %bb.381:                              ;   in Loop: Header=BB265_328 Depth=1
	v_and_b32_e32 v17, 7, v18
	v_ffbh_u32_e32 v20, v17
	v_min_u32_e32 v23, 32, v20
	v_subrev_u32_e32 v20, 28, v23
	v_lshlrev_b64 v[20:21], v20, v[18:19]
	v_lshrrev_b32_e32 v22, 3, v8
	v_sub_u32_e32 v21, 29, v23
	v_cmp_gt_u32_e64 s[0:1], 8, v8
	v_and_b32_e32 v20, 7, v20
	s_nop 0
	v_cndmask_b32_e64 v8, v22, v21, s[0:1]
	v_lshl_add_u32 v8, v8, 10, v33
	v_lshlrev_b32_e32 v21, 8, v18
	v_and_b32_e32 v8, 0xfc00, v8
	v_cndmask_b32_e64 v17, v17, v20, s[0:1]
	v_and_or_b32 v8, v21, s29, v8
	v_lshl_or_b32 v17, v17, 7, v8
.LBB265_382:                            ;   in Loop: Header=BB265_328 Depth=1
	s_or_b64 exec, exec, s[22:23]
.LBB265_383:                            ;   in Loop: Header=BB265_328 Depth=1
	s_or_b64 exec, exec, s[14:15]
.LBB265_384:                            ;   in Loop: Header=BB265_328 Depth=1
	s_or_b64 exec, exec, s[12:13]
	v_lshrrev_b16_e32 v8, 8, v18
	v_cmp_ne_u16_e64 s[0:1], 0, v8
	s_and_saveexec_b64 s[12:13], s[0:1]
	s_cbranch_execz .LBB265_390
; %bb.385:                              ;   in Loop: Header=BB265_328 Depth=1
	v_cmp_ne_u16_e64 s[0:1], s24, v8
	v_bfrev_b32_e32 v1, 1
	s_and_saveexec_b64 s[14:15], s[0:1]
	s_cbranch_execz .LBB265_389
; %bb.386:                              ;   in Loop: Header=BB265_328 Depth=1
	v_and_b32_e32 v20, 0x7f, v8
	v_cmp_ne_u32_e64 s[0:1], s25, v20
	v_mov_b32_e32 v1, 0x7c010000
	s_and_saveexec_b64 s[22:23], s[0:1]
	s_cbranch_execz .LBB265_388
; %bb.387:                              ;   in Loop: Header=BB265_328 Depth=1
	v_and_b32_e32 v1, 7, v8
	v_ffbh_u32_e32 v22, v1
	v_min_u32_e32 v24, 32, v22
	v_subrev_u32_e32 v22, 28, v24
	v_lshlrev_b64 v[22:23], v22, v[8:9]
	v_lshrrev_b32_e32 v21, 3, v20
	v_sub_u32_e32 v23, 29, v24
	v_cmp_gt_u32_e64 s[0:1], 8, v20
	v_lshlrev_b32_e32 v8, 8, v8
	s_nop 0
	v_cndmask_b32_e64 v20, v21, v23, s[0:1]
	v_lshl_add_u32 v20, v20, 10, v33
	v_and_b32_e32 v21, 7, v22
	v_and_or_b32 v8, v8, s29, v20
	v_cndmask_b32_e64 v1, v1, v21, s[0:1]
	v_lshlrev_b32_e32 v8, 16, v8
	v_lshl_or_b32 v1, v1, 23, v8
.LBB265_388:                            ;   in Loop: Header=BB265_328 Depth=1
	s_or_b64 exec, exec, s[22:23]
.LBB265_389:                            ;   in Loop: Header=BB265_328 Depth=1
	s_or_b64 exec, exec, s[14:15]
.LBB265_390:                            ;   in Loop: Header=BB265_328 Depth=1
	s_or_b64 exec, exec, s[12:13]
	v_lshrrev_b32_e32 v8, 16, v18
	v_cmp_ne_u16_sdwa s[0:1], v8, v9 src0_sel:BYTE_0 src1_sel:DWORD
	v_mov_b32_e32 v21, 0
	v_mov_b32_e32 v20, 0
	s_and_saveexec_b64 s[12:13], s[0:1]
	s_cbranch_execz .LBB265_396
; %bb.391:                              ;   in Loop: Header=BB265_328 Depth=1
	v_cmp_ne_u16_sdwa s[0:1], v8, s24 src0_sel:BYTE_0 src1_sel:DWORD
	v_mov_b32_e32 v20, 0x8000
	s_and_saveexec_b64 s[14:15], s[0:1]
	s_cbranch_execz .LBB265_395
; %bb.392:                              ;   in Loop: Header=BB265_328 Depth=1
	v_bfe_u32 v22, v18, 16, 7
	v_cmp_ne_u32_e64 s[0:1], s25, v22
	v_mov_b32_e32 v20, 0x7c01
	s_and_saveexec_b64 s[22:23], s[0:1]
	s_cbranch_execz .LBB265_394
; %bb.393:                              ;   in Loop: Header=BB265_328 Depth=1
	v_and_b32_e32 v20, 7, v8
	v_ffbh_u32_e32 v24, v20
	v_min_u32_e32 v47, 32, v24
	v_subrev_u32_e32 v24, 28, v47
	v_lshlrev_b64 v[24:25], v24, v[8:9]
	v_lshrrev_b32_e32 v23, 3, v22
	v_sub_u32_e32 v25, 29, v47
	v_cmp_gt_u32_e64 s[0:1], 8, v22
	v_lshlrev_b32_e32 v8, 8, v8
	s_nop 0
	v_cndmask_b32_e64 v22, v23, v25, s[0:1]
	v_lshl_add_u32 v22, v22, 10, v33
	v_and_b32_e32 v23, 7, v24
	v_and_b32_e32 v22, 0xfc00, v22
	v_cndmask_b32_e64 v20, v20, v23, s[0:1]
	v_and_or_b32 v8, v8, s29, v22
	v_lshl_or_b32 v20, v20, 7, v8
.LBB265_394:                            ;   in Loop: Header=BB265_328 Depth=1
	s_or_b64 exec, exec, s[22:23]
.LBB265_395:                            ;   in Loop: Header=BB265_328 Depth=1
	s_or_b64 exec, exec, s[14:15]
.LBB265_396:                            ;   in Loop: Header=BB265_328 Depth=1
	s_or_b64 exec, exec, s[12:13]
	v_cmp_lt_u32_e64 s[0:1], s7, v18
	s_and_saveexec_b64 s[12:13], s[0:1]
	s_cbranch_execz .LBB265_402
; %bb.397:                              ;   in Loop: Header=BB265_328 Depth=1
	v_lshrrev_b32_e32 v8, 24, v18
	v_cmp_ne_u32_e64 s[0:1], s24, v8
	v_bfrev_b32_e32 v21, 1
	s_and_saveexec_b64 s[14:15], s[0:1]
	s_cbranch_execz .LBB265_401
; %bb.398:                              ;   in Loop: Header=BB265_328 Depth=1
	v_and_b32_e32 v22, 0x7f, v8
	v_cmp_ne_u32_e64 s[0:1], s25, v22
	v_mov_b32_e32 v21, 0x7c010000
	s_and_saveexec_b64 s[22:23], s[0:1]
	s_cbranch_execz .LBB265_400
; %bb.399:                              ;   in Loop: Header=BB265_328 Depth=1
	v_and_b32_e32 v21, 7, v8
	v_ffbh_u32_e32 v24, v21
	v_min_u32_e32 v47, 32, v24
	v_subrev_u32_e32 v24, 28, v47
	v_lshlrev_b64 v[24:25], v24, v[8:9]
	v_lshrrev_b32_e32 v23, 3, v22
	v_sub_u32_e32 v25, 29, v47
	v_cmp_gt_u32_e64 s[0:1], 8, v22
	v_lshlrev_b32_e32 v8, 8, v8
	s_nop 0
	v_cndmask_b32_e64 v22, v23, v25, s[0:1]
	v_lshl_add_u32 v22, v22, 10, v33
	v_and_b32_e32 v23, 7, v24
	v_and_or_b32 v8, v8, s29, v22
	v_cndmask_b32_e64 v21, v21, v23, s[0:1]
	v_lshlrev_b32_e32 v8, 16, v8
	v_lshl_or_b32 v21, v21, 23, v8
.LBB265_400:                            ;   in Loop: Header=BB265_328 Depth=1
	s_or_b64 exec, exec, s[22:23]
.LBB265_401:                            ;   in Loop: Header=BB265_328 Depth=1
	s_or_b64 exec, exec, s[14:15]
.LBB265_402:                            ;   in Loop: Header=BB265_328 Depth=1
	s_or_b64 exec, exec, s[12:13]
	v_mov_b32_e32 v8, v19
	v_cmp_ne_u16_sdwa s[0:1], v19, v9 src0_sel:BYTE_0 src1_sel:DWORD
	v_mov_b32_e32 v22, 0
	v_mov_b32_e32 v23, 0
	s_and_saveexec_b64 s[12:13], s[0:1]
	s_cbranch_execz .LBB265_408
; %bb.403:                              ;   in Loop: Header=BB265_328 Depth=1
	v_cmp_ne_u16_sdwa s[0:1], v19, s24 src0_sel:BYTE_0 src1_sel:DWORD
	v_mov_b32_e32 v23, 0x8000
	s_and_saveexec_b64 s[14:15], s[0:1]
	s_cbranch_execz .LBB265_407
; %bb.404:                              ;   in Loop: Header=BB265_328 Depth=1
	v_and_b32_e32 v24, 0x7f, v19
	v_cmp_ne_u32_e64 s[0:1], s25, v24
	v_mov_b32_e32 v23, 0x7c01
	s_and_saveexec_b64 s[22:23], s[0:1]
	s_cbranch_execz .LBB265_406
; %bb.405:                              ;   in Loop: Header=BB265_328 Depth=1
	v_and_b32_e32 v23, 7, v19
	v_ffbh_u32_e32 v47, v23
	v_min_u32_e32 v47, 32, v47
	v_lshrrev_b32_e32 v25, 3, v24
	v_subrev_u32_e32 v48, 28, v47
	v_sub_u32_e32 v47, 29, v47
	v_cmp_gt_u32_e64 s[0:1], 8, v24
	v_lshlrev_b64 v[48:49], v48, v[8:9]
	s_nop 0
	v_cndmask_b32_e64 v24, v25, v47, s[0:1]
	v_lshl_add_u32 v24, v24, 10, v33
	v_lshlrev_b32_e32 v25, 8, v19
	v_and_b32_e32 v47, 7, v48
	v_and_b32_e32 v24, 0xfc00, v24
	v_cndmask_b32_e64 v23, v23, v47, s[0:1]
	v_and_or_b32 v24, v25, s29, v24
	v_lshl_or_b32 v23, v23, 7, v24
.LBB265_406:                            ;   in Loop: Header=BB265_328 Depth=1
	s_or_b64 exec, exec, s[22:23]
.LBB265_407:                            ;   in Loop: Header=BB265_328 Depth=1
	s_or_b64 exec, exec, s[14:15]
.LBB265_408:                            ;   in Loop: Header=BB265_328 Depth=1
	s_or_b64 exec, exec, s[12:13]
	v_lshrrev_b16_e32 v8, 8, v8
	v_cmp_ne_u16_e64 s[0:1], 0, v8
	v_mov_b32_e32 v24, 0
	s_and_saveexec_b64 s[12:13], s[0:1]
	s_cbranch_execz .LBB265_414
; %bb.409:                              ;   in Loop: Header=BB265_328 Depth=1
	v_cmp_ne_u16_e64 s[0:1], s24, v8
	v_bfrev_b32_e32 v24, 1
	s_and_saveexec_b64 s[14:15], s[0:1]
	s_cbranch_execz .LBB265_413
; %bb.410:                              ;   in Loop: Header=BB265_328 Depth=1
	v_and_b32_e32 v25, 0x7f, v8
	v_cmp_ne_u32_e64 s[0:1], s25, v25
	v_mov_b32_e32 v24, 0x7c010000
	s_and_saveexec_b64 s[22:23], s[0:1]
	s_cbranch_execz .LBB265_412
; %bb.411:                              ;   in Loop: Header=BB265_328 Depth=1
	v_and_b32_e32 v24, 7, v8
	v_ffbh_u32_e32 v48, v24
	v_min_u32_e32 v50, 32, v48
	v_subrev_u32_e32 v48, 28, v50
	v_lshlrev_b64 v[48:49], v48, v[8:9]
	v_lshrrev_b32_e32 v47, 3, v25
	v_sub_u32_e32 v49, 29, v50
	v_cmp_gt_u32_e64 s[0:1], 8, v25
	v_lshlrev_b32_e32 v8, 8, v8
	s_nop 0
	v_cndmask_b32_e64 v25, v47, v49, s[0:1]
	v_lshl_add_u32 v25, v25, 10, v33
	v_and_b32_e32 v47, 7, v48
	v_and_or_b32 v8, v8, s29, v25
	v_cndmask_b32_e64 v24, v24, v47, s[0:1]
	v_lshlrev_b32_e32 v8, 16, v8
	v_lshl_or_b32 v24, v24, 23, v8
.LBB265_412:                            ;   in Loop: Header=BB265_328 Depth=1
	s_or_b64 exec, exec, s[22:23]
.LBB265_413:                            ;   in Loop: Header=BB265_328 Depth=1
	s_or_b64 exec, exec, s[14:15]
.LBB265_414:                            ;   in Loop: Header=BB265_328 Depth=1
	s_or_b64 exec, exec, s[12:13]
	v_lshrrev_b32_e32 v8, 16, v19
	v_cmp_ne_u16_sdwa s[0:1], v8, v9 src0_sel:BYTE_0 src1_sel:DWORD
	s_and_saveexec_b64 s[12:13], s[0:1]
	s_cbranch_execz .LBB265_420
; %bb.415:                              ;   in Loop: Header=BB265_328 Depth=1
	v_cmp_ne_u16_sdwa s[0:1], v8, s24 src0_sel:BYTE_0 src1_sel:DWORD
	v_mov_b32_e32 v22, 0x8000
	s_and_saveexec_b64 s[14:15], s[0:1]
	s_cbranch_execz .LBB265_419
; %bb.416:                              ;   in Loop: Header=BB265_328 Depth=1
	v_bfe_u32 v25, v19, 16, 7
	v_cmp_ne_u32_e64 s[0:1], s25, v25
	v_mov_b32_e32 v22, 0x7c01
	s_and_saveexec_b64 s[22:23], s[0:1]
	s_cbranch_execz .LBB265_418
; %bb.417:                              ;   in Loop: Header=BB265_328 Depth=1
	v_and_b32_e32 v22, 7, v8
	v_ffbh_u32_e32 v48, v22
	v_min_u32_e32 v50, 32, v48
	v_subrev_u32_e32 v48, 28, v50
	v_lshlrev_b64 v[48:49], v48, v[8:9]
	v_lshrrev_b32_e32 v47, 3, v25
	v_sub_u32_e32 v49, 29, v50
	v_cmp_gt_u32_e64 s[0:1], 8, v25
	v_lshlrev_b32_e32 v8, 8, v8
	s_nop 0
	v_cndmask_b32_e64 v25, v47, v49, s[0:1]
	v_lshl_add_u32 v25, v25, 10, v33
	v_and_b32_e32 v47, 7, v48
	v_and_b32_e32 v25, 0xfc00, v25
	v_cndmask_b32_e64 v22, v22, v47, s[0:1]
	v_and_or_b32 v8, v8, s29, v25
	v_lshl_or_b32 v22, v22, 7, v8
.LBB265_418:                            ;   in Loop: Header=BB265_328 Depth=1
	s_or_b64 exec, exec, s[22:23]
.LBB265_419:                            ;   in Loop: Header=BB265_328 Depth=1
	s_or_b64 exec, exec, s[14:15]
.LBB265_420:                            ;   in Loop: Header=BB265_328 Depth=1
	s_or_b64 exec, exec, s[12:13]
	v_cmp_lt_u64_e64 s[0:1], s[6:7], v[18:19]
	v_mov_b32_e32 v18, 0
	s_and_saveexec_b64 s[12:13], s[0:1]
	s_cbranch_execz .LBB265_426
; %bb.421:                              ;   in Loop: Header=BB265_328 Depth=1
	v_lshrrev_b32_e32 v8, 24, v19
	v_cmp_ne_u32_e64 s[0:1], s24, v8
	v_bfrev_b32_e32 v18, 1
	s_and_saveexec_b64 s[14:15], s[0:1]
	s_cbranch_execz .LBB265_425
; %bb.422:                              ;   in Loop: Header=BB265_328 Depth=1
	v_and_b32_e32 v19, 0x7f, v8
	v_cmp_ne_u32_e64 s[0:1], s25, v19
	v_mov_b32_e32 v18, 0x7c010000
	s_and_saveexec_b64 s[22:23], s[0:1]
	s_cbranch_execz .LBB265_424
; %bb.423:                              ;   in Loop: Header=BB265_328 Depth=1
	v_and_b32_e32 v18, 7, v8
	v_ffbh_u32_e32 v47, v18
	v_min_u32_e32 v47, 32, v47
	v_lshrrev_b32_e32 v25, 3, v19
	v_subrev_u32_e32 v48, 28, v47
	v_sub_u32_e32 v47, 29, v47
	v_cmp_gt_u32_e64 s[0:1], 8, v19
	v_lshlrev_b64 v[48:49], v48, v[8:9]
	v_lshlrev_b32_e32 v8, 8, v8
	v_cndmask_b32_e64 v19, v25, v47, s[0:1]
	v_lshl_add_u32 v19, v19, 10, v33
	v_and_b32_e32 v25, 7, v48
	v_and_or_b32 v8, v8, s29, v19
	v_cndmask_b32_e64 v18, v18, v25, s[0:1]
	v_lshlrev_b32_e32 v8, 16, v8
	v_lshl_or_b32 v18, v18, 23, v8
.LBB265_424:                            ;   in Loop: Header=BB265_328 Depth=1
	s_or_b64 exec, exec, s[22:23]
.LBB265_425:                            ;   in Loop: Header=BB265_328 Depth=1
	s_or_b64 exec, exec, s[14:15]
.LBB265_426:                            ;   in Loop: Header=BB265_328 Depth=1
	s_or_b64 exec, exec, s[12:13]
	v_cvt_f32_f16_sdwa v49, v1 dst_sel:DWORD dst_unused:UNUSED_PAD src0_sel:WORD_1
	v_cvt_f32_f16_sdwa v48, v21 dst_sel:DWORD dst_unused:UNUSED_PAD src0_sel:WORD_1
	v_or_b32_e32 v1, v1, v17
	v_or_b32_e32 v8, v21, v20
	;; [unrolled: 1-line block ×3, first 2 shown]
	s_waitcnt vmcnt(0)
	v_pk_mul_f32 v[20:21], v[16:17], v[48:49] op_sel_hi:[0,1]
	v_cvt_f32_f16_e32 v48, v8
	v_cvt_f32_f16_e32 v49, v1
	v_cvt_pk_f16_f32 v1, v20, v21
	v_and_b32_e32 v17, 0xffff0000, v1
	v_lshlrev_b32_e32 v8, 16, v1
	v_pk_mul_f32 v[20:21], v[16:17], v[48:49] op_sel_hi:[0,1]
	v_cvt_pk_f16_f32 v1, v20, v21
	v_or_b32_e32 v21, v24, v23
	v_cvt_f32_f16_e32 v22, v22
	v_cvt_f32_f16_e32 v23, v21
	v_cvt_f32_f16_sdwa v25, v24 dst_sel:DWORD dst_unused:UNUSED_PAD src0_sel:WORD_1
	v_cvt_f32_f16_sdwa v24, v18 dst_sel:DWORD dst_unused:UNUSED_PAD src0_sel:WORD_1
	v_lshrrev_b32_e32 v19, 16, v1
	v_pk_mul_f32 v[22:23], v[16:17], v[22:23] op_sel_hi:[0,1]
	v_cvt_pk_f16_f32 v47, v22, v23
	v_pk_mul_f32 v[22:23], v[16:17], v[24:25] op_sel_hi:[0,1]
	v_cvt_pk_f16_f32 v16, v22, v23
	v_and_b32_e32 v20, 0xffff, v1
	v_and_b32_e32 v21, 0xffff0000, v16
	v_lshlrev_b32_e32 v16, 16, v16
	v_lshrrev_b32_e32 v23, 16, v47
	v_and_b32_e32 v22, 0xffff, v47
	v_or_b32_e32 v1, v17, v19
	v_or_b32_e32 v18, v8, v20
	;; [unrolled: 1-line block ×4, first 2 shown]
	s_and_saveexec_b64 s[12:13], vcc
	s_cbranch_execz .LBB265_428
; %bb.427:                              ;   in Loop: Header=BB265_328 Depth=1
	v_cmp_gt_i32_e64 s[0:1], s27, v31
	s_nop 1
	v_cndmask_b32_e64 v1, 0, v19, s[0:1]
	v_cmp_gt_i32_e64 s[0:1], s33, v40
	s_nop 1
	v_cndmask_b32_e64 v18, 0, v20, s[0:1]
	;; [unrolled: 3-line block ×3, first 2 shown]
	v_cmp_gt_i32_e64 s[0:1], s33, v38
	v_or_b32_e32 v1, v17, v1
	s_nop 0
	v_cndmask_b32_e64 v8, 0, v8, s[0:1]
	v_cmp_gt_i32_e64 s[0:1], s27, v37
	v_or_b32_e32 v18, v8, v18
	s_nop 0
	v_cndmask_b32_e64 v8, 0, v23, s[0:1]
	v_cmp_gt_i32_e64 s[0:1], s33, v36
	s_nop 1
	v_cndmask_b32_e64 v17, 0, v22, s[0:1]
	v_cmp_gt_i32_e64 s[0:1], s27, v35
	;; [unrolled: 3-line block ×3, first 2 shown]
	v_or_b32_e32 v25, v19, v8
	s_nop 0
	v_cndmask_b32_e64 v16, 0, v16, s[0:1]
	v_or_b32_e32 v24, v16, v17
.LBB265_428:                            ;   in Loop: Header=BB265_328 Depth=1
	s_or_b64 exec, exec, s[12:13]
	;;#ASMSTART
	v_pk_mul_f16 v1, v44, v1;

	;;#ASMEND
	;;#ASMSTART
	v_pk_mul_f16 v8, v43, v18;

	;;#ASMEND
	;; [unrolled: 4-line block ×4, first 2 shown]
	s_nop 0
	;;#ASMSTART
	v_pk_add_f16 v1, v1, v8;

	;;#ASMEND
	s_nop 0
	;;#ASMSTART
	v_pk_add_f16 v1, v1, v16;

	;;#ASMEND
	;; [unrolled: 5-line block ×3, first 2 shown]
	v_mov_b32_e32 v17, 0
	v_lshrrev_b32_e32 v8, 16, v1
	v_and_b32_e32 v1, 0xffff, v1
	;;#ASMSTART
	v_cvt_f32_f16 v47, v1;
	;;#ASMEND
	;;#ASMSTART
	v_cvt_f32_f16 v48, v8;
	;;#ASMEND
	global_load_dwordx2 v[18:19], v[14:15], off offset:1024
	v_mov_b32_e32 v1, 0
	global_load_dword v16, v1, s[10:11]
	s_waitcnt vmcnt(1)
	v_cmp_ne_u16_sdwa s[0:1], v18, v9 src0_sel:BYTE_0 src1_sel:DWORD
	s_and_saveexec_b64 s[12:13], s[0:1]
	s_cbranch_execz .LBB265_434
; %bb.429:                              ;   in Loop: Header=BB265_328 Depth=1
	v_cmp_ne_u16_sdwa s[0:1], v18, s24 src0_sel:BYTE_0 src1_sel:DWORD
	v_mov_b32_e32 v17, 0x8000
	s_and_saveexec_b64 s[14:15], s[0:1]
	s_cbranch_execz .LBB265_433
; %bb.430:                              ;   in Loop: Header=BB265_328 Depth=1
	v_and_b32_e32 v8, 0x7f, v18
	v_cmp_ne_u32_e64 s[0:1], s25, v8
	v_mov_b32_e32 v17, 0x7c01
	s_and_saveexec_b64 s[22:23], s[0:1]
	s_cbranch_execz .LBB265_432
; %bb.431:                              ;   in Loop: Header=BB265_328 Depth=1
	v_and_b32_e32 v17, 7, v18
	v_ffbh_u32_e32 v20, v17
	v_min_u32_e32 v23, 32, v20
	v_subrev_u32_e32 v20, 28, v23
	v_lshlrev_b64 v[20:21], v20, v[18:19]
	v_lshrrev_b32_e32 v22, 3, v8
	v_sub_u32_e32 v21, 29, v23
	v_cmp_gt_u32_e64 s[0:1], 8, v8
	v_and_b32_e32 v20, 7, v20
	s_nop 0
	v_cndmask_b32_e64 v8, v22, v21, s[0:1]
	v_lshl_add_u32 v8, v8, 10, v33
	v_lshlrev_b32_e32 v21, 8, v18
	v_and_b32_e32 v8, 0xfc00, v8
	v_cndmask_b32_e64 v17, v17, v20, s[0:1]
	v_and_or_b32 v8, v21, s29, v8
	v_lshl_or_b32 v17, v17, 7, v8
.LBB265_432:                            ;   in Loop: Header=BB265_328 Depth=1
	s_or_b64 exec, exec, s[22:23]
.LBB265_433:                            ;   in Loop: Header=BB265_328 Depth=1
	s_or_b64 exec, exec, s[14:15]
.LBB265_434:                            ;   in Loop: Header=BB265_328 Depth=1
	s_or_b64 exec, exec, s[12:13]
	v_lshrrev_b16_e32 v8, 8, v18
	v_cmp_ne_u16_e64 s[0:1], 0, v8
	s_and_saveexec_b64 s[12:13], s[0:1]
	s_cbranch_execz .LBB265_440
; %bb.435:                              ;   in Loop: Header=BB265_328 Depth=1
	v_cmp_ne_u16_e64 s[0:1], s24, v8
	v_bfrev_b32_e32 v1, 1
	s_and_saveexec_b64 s[14:15], s[0:1]
	s_cbranch_execz .LBB265_439
; %bb.436:                              ;   in Loop: Header=BB265_328 Depth=1
	v_and_b32_e32 v20, 0x7f, v8
	v_cmp_ne_u32_e64 s[0:1], s25, v20
	v_mov_b32_e32 v1, 0x7c010000
	s_and_saveexec_b64 s[22:23], s[0:1]
	s_cbranch_execz .LBB265_438
; %bb.437:                              ;   in Loop: Header=BB265_328 Depth=1
	v_and_b32_e32 v1, 7, v8
	v_ffbh_u32_e32 v22, v1
	v_min_u32_e32 v24, 32, v22
	v_subrev_u32_e32 v22, 28, v24
	v_lshlrev_b64 v[22:23], v22, v[8:9]
	v_lshrrev_b32_e32 v21, 3, v20
	v_sub_u32_e32 v23, 29, v24
	v_cmp_gt_u32_e64 s[0:1], 8, v20
	v_lshlrev_b32_e32 v8, 8, v8
	s_nop 0
	v_cndmask_b32_e64 v20, v21, v23, s[0:1]
	v_lshl_add_u32 v20, v20, 10, v33
	v_and_b32_e32 v21, 7, v22
	v_and_or_b32 v8, v8, s29, v20
	v_cndmask_b32_e64 v1, v1, v21, s[0:1]
	v_lshlrev_b32_e32 v8, 16, v8
	v_lshl_or_b32 v1, v1, 23, v8
.LBB265_438:                            ;   in Loop: Header=BB265_328 Depth=1
	s_or_b64 exec, exec, s[22:23]
.LBB265_439:                            ;   in Loop: Header=BB265_328 Depth=1
	s_or_b64 exec, exec, s[14:15]
.LBB265_440:                            ;   in Loop: Header=BB265_328 Depth=1
	s_or_b64 exec, exec, s[12:13]
	v_lshrrev_b32_e32 v8, 16, v18
	v_cmp_ne_u16_sdwa s[0:1], v8, v9 src0_sel:BYTE_0 src1_sel:DWORD
	v_mov_b32_e32 v21, 0
	v_mov_b32_e32 v20, 0
	s_and_saveexec_b64 s[12:13], s[0:1]
	s_cbranch_execz .LBB265_446
; %bb.441:                              ;   in Loop: Header=BB265_328 Depth=1
	v_cmp_ne_u16_sdwa s[0:1], v8, s24 src0_sel:BYTE_0 src1_sel:DWORD
	v_mov_b32_e32 v20, 0x8000
	s_and_saveexec_b64 s[14:15], s[0:1]
	s_cbranch_execz .LBB265_445
; %bb.442:                              ;   in Loop: Header=BB265_328 Depth=1
	v_bfe_u32 v22, v18, 16, 7
	v_cmp_ne_u32_e64 s[0:1], s25, v22
	v_mov_b32_e32 v20, 0x7c01
	s_and_saveexec_b64 s[22:23], s[0:1]
	s_cbranch_execz .LBB265_444
; %bb.443:                              ;   in Loop: Header=BB265_328 Depth=1
	v_and_b32_e32 v20, 7, v8
	v_ffbh_u32_e32 v24, v20
	v_min_u32_e32 v49, 32, v24
	v_subrev_u32_e32 v24, 28, v49
	v_lshlrev_b64 v[24:25], v24, v[8:9]
	v_lshrrev_b32_e32 v23, 3, v22
	v_sub_u32_e32 v25, 29, v49
	v_cmp_gt_u32_e64 s[0:1], 8, v22
	v_lshlrev_b32_e32 v8, 8, v8
	s_nop 0
	v_cndmask_b32_e64 v22, v23, v25, s[0:1]
	v_lshl_add_u32 v22, v22, 10, v33
	v_and_b32_e32 v23, 7, v24
	v_and_b32_e32 v22, 0xfc00, v22
	v_cndmask_b32_e64 v20, v20, v23, s[0:1]
	v_and_or_b32 v8, v8, s29, v22
	v_lshl_or_b32 v20, v20, 7, v8
.LBB265_444:                            ;   in Loop: Header=BB265_328 Depth=1
	s_or_b64 exec, exec, s[22:23]
.LBB265_445:                            ;   in Loop: Header=BB265_328 Depth=1
	s_or_b64 exec, exec, s[14:15]
.LBB265_446:                            ;   in Loop: Header=BB265_328 Depth=1
	s_or_b64 exec, exec, s[12:13]
	v_cmp_lt_u32_e64 s[0:1], s7, v18
	s_and_saveexec_b64 s[12:13], s[0:1]
	s_cbranch_execz .LBB265_452
; %bb.447:                              ;   in Loop: Header=BB265_328 Depth=1
	v_lshrrev_b32_e32 v8, 24, v18
	v_cmp_ne_u32_e64 s[0:1], s24, v8
	v_bfrev_b32_e32 v21, 1
	s_and_saveexec_b64 s[14:15], s[0:1]
	s_cbranch_execz .LBB265_451
; %bb.448:                              ;   in Loop: Header=BB265_328 Depth=1
	v_and_b32_e32 v22, 0x7f, v8
	v_cmp_ne_u32_e64 s[0:1], s25, v22
	v_mov_b32_e32 v21, 0x7c010000
	s_and_saveexec_b64 s[22:23], s[0:1]
	s_cbranch_execz .LBB265_450
; %bb.449:                              ;   in Loop: Header=BB265_328 Depth=1
	v_and_b32_e32 v21, 7, v8
	v_ffbh_u32_e32 v24, v21
	v_min_u32_e32 v49, 32, v24
	v_subrev_u32_e32 v24, 28, v49
	v_lshlrev_b64 v[24:25], v24, v[8:9]
	v_lshrrev_b32_e32 v23, 3, v22
	v_sub_u32_e32 v25, 29, v49
	v_cmp_gt_u32_e64 s[0:1], 8, v22
	v_lshlrev_b32_e32 v8, 8, v8
	s_nop 0
	v_cndmask_b32_e64 v22, v23, v25, s[0:1]
	v_lshl_add_u32 v22, v22, 10, v33
	v_and_b32_e32 v23, 7, v24
	v_and_or_b32 v8, v8, s29, v22
	v_cndmask_b32_e64 v21, v21, v23, s[0:1]
	v_lshlrev_b32_e32 v8, 16, v8
	v_lshl_or_b32 v21, v21, 23, v8
.LBB265_450:                            ;   in Loop: Header=BB265_328 Depth=1
	s_or_b64 exec, exec, s[22:23]
.LBB265_451:                            ;   in Loop: Header=BB265_328 Depth=1
	s_or_b64 exec, exec, s[14:15]
.LBB265_452:                            ;   in Loop: Header=BB265_328 Depth=1
	s_or_b64 exec, exec, s[12:13]
	v_mov_b32_e32 v8, v19
	v_cmp_ne_u16_sdwa s[0:1], v19, v9 src0_sel:BYTE_0 src1_sel:DWORD
	v_mov_b32_e32 v22, 0
	v_mov_b32_e32 v23, 0
	s_and_saveexec_b64 s[12:13], s[0:1]
	s_cbranch_execz .LBB265_458
; %bb.453:                              ;   in Loop: Header=BB265_328 Depth=1
	v_cmp_ne_u16_sdwa s[0:1], v19, s24 src0_sel:BYTE_0 src1_sel:DWORD
	v_mov_b32_e32 v23, 0x8000
	s_and_saveexec_b64 s[14:15], s[0:1]
	s_cbranch_execz .LBB265_457
; %bb.454:                              ;   in Loop: Header=BB265_328 Depth=1
	v_and_b32_e32 v24, 0x7f, v19
	v_cmp_ne_u32_e64 s[0:1], s25, v24
	v_mov_b32_e32 v23, 0x7c01
	s_and_saveexec_b64 s[22:23], s[0:1]
	s_cbranch_execz .LBB265_456
; %bb.455:                              ;   in Loop: Header=BB265_328 Depth=1
	v_and_b32_e32 v23, 7, v19
	v_ffbh_u32_e32 v49, v23
	v_min_u32_e32 v49, 32, v49
	v_lshrrev_b32_e32 v25, 3, v24
	v_subrev_u32_e32 v50, 28, v49
	v_sub_u32_e32 v49, 29, v49
	v_cmp_gt_u32_e64 s[0:1], 8, v24
	v_lshlrev_b64 v[50:51], v50, v[8:9]
	s_nop 0
	v_cndmask_b32_e64 v24, v25, v49, s[0:1]
	v_lshl_add_u32 v24, v24, 10, v33
	v_lshlrev_b32_e32 v25, 8, v19
	v_and_b32_e32 v49, 7, v50
	v_and_b32_e32 v24, 0xfc00, v24
	v_cndmask_b32_e64 v23, v23, v49, s[0:1]
	v_and_or_b32 v24, v25, s29, v24
	v_lshl_or_b32 v23, v23, 7, v24
.LBB265_456:                            ;   in Loop: Header=BB265_328 Depth=1
	s_or_b64 exec, exec, s[22:23]
.LBB265_457:                            ;   in Loop: Header=BB265_328 Depth=1
	s_or_b64 exec, exec, s[14:15]
.LBB265_458:                            ;   in Loop: Header=BB265_328 Depth=1
	s_or_b64 exec, exec, s[12:13]
	v_lshrrev_b16_e32 v8, 8, v8
	v_cmp_ne_u16_e64 s[0:1], 0, v8
	v_mov_b32_e32 v24, 0
	s_and_saveexec_b64 s[12:13], s[0:1]
	s_cbranch_execz .LBB265_464
; %bb.459:                              ;   in Loop: Header=BB265_328 Depth=1
	v_cmp_ne_u16_e64 s[0:1], s24, v8
	v_bfrev_b32_e32 v24, 1
	s_and_saveexec_b64 s[14:15], s[0:1]
	s_cbranch_execz .LBB265_463
; %bb.460:                              ;   in Loop: Header=BB265_328 Depth=1
	v_and_b32_e32 v25, 0x7f, v8
	v_cmp_ne_u32_e64 s[0:1], s25, v25
	v_mov_b32_e32 v24, 0x7c010000
	s_and_saveexec_b64 s[22:23], s[0:1]
	s_cbranch_execz .LBB265_462
; %bb.461:                              ;   in Loop: Header=BB265_328 Depth=1
	v_and_b32_e32 v24, 7, v8
	v_ffbh_u32_e32 v50, v24
	v_min_u32_e32 v52, 32, v50
	v_subrev_u32_e32 v50, 28, v52
	v_lshlrev_b64 v[50:51], v50, v[8:9]
	v_lshrrev_b32_e32 v49, 3, v25
	v_sub_u32_e32 v51, 29, v52
	v_cmp_gt_u32_e64 s[0:1], 8, v25
	v_lshlrev_b32_e32 v8, 8, v8
	s_nop 0
	v_cndmask_b32_e64 v25, v49, v51, s[0:1]
	v_lshl_add_u32 v25, v25, 10, v33
	v_and_b32_e32 v49, 7, v50
	v_and_or_b32 v8, v8, s29, v25
	v_cndmask_b32_e64 v24, v24, v49, s[0:1]
	v_lshlrev_b32_e32 v8, 16, v8
	v_lshl_or_b32 v24, v24, 23, v8
.LBB265_462:                            ;   in Loop: Header=BB265_328 Depth=1
	s_or_b64 exec, exec, s[22:23]
.LBB265_463:                            ;   in Loop: Header=BB265_328 Depth=1
	s_or_b64 exec, exec, s[14:15]
.LBB265_464:                            ;   in Loop: Header=BB265_328 Depth=1
	s_or_b64 exec, exec, s[12:13]
	v_lshrrev_b32_e32 v8, 16, v19
	v_cmp_ne_u16_sdwa s[0:1], v8, v9 src0_sel:BYTE_0 src1_sel:DWORD
	s_and_saveexec_b64 s[12:13], s[0:1]
	s_cbranch_execz .LBB265_470
; %bb.465:                              ;   in Loop: Header=BB265_328 Depth=1
	v_cmp_ne_u16_sdwa s[0:1], v8, s24 src0_sel:BYTE_0 src1_sel:DWORD
	v_mov_b32_e32 v22, 0x8000
	s_and_saveexec_b64 s[14:15], s[0:1]
	s_cbranch_execz .LBB265_469
; %bb.466:                              ;   in Loop: Header=BB265_328 Depth=1
	v_bfe_u32 v25, v19, 16, 7
	v_cmp_ne_u32_e64 s[0:1], s25, v25
	v_mov_b32_e32 v22, 0x7c01
	s_and_saveexec_b64 s[22:23], s[0:1]
	s_cbranch_execz .LBB265_468
; %bb.467:                              ;   in Loop: Header=BB265_328 Depth=1
	v_and_b32_e32 v22, 7, v8
	v_ffbh_u32_e32 v50, v22
	v_min_u32_e32 v52, 32, v50
	v_subrev_u32_e32 v50, 28, v52
	v_lshlrev_b64 v[50:51], v50, v[8:9]
	v_lshrrev_b32_e32 v49, 3, v25
	v_sub_u32_e32 v51, 29, v52
	v_cmp_gt_u32_e64 s[0:1], 8, v25
	v_lshlrev_b32_e32 v8, 8, v8
	s_nop 0
	v_cndmask_b32_e64 v25, v49, v51, s[0:1]
	v_lshl_add_u32 v25, v25, 10, v33
	v_and_b32_e32 v49, 7, v50
	v_and_b32_e32 v25, 0xfc00, v25
	v_cndmask_b32_e64 v22, v22, v49, s[0:1]
	v_and_or_b32 v8, v8, s29, v25
	v_lshl_or_b32 v22, v22, 7, v8
.LBB265_468:                            ;   in Loop: Header=BB265_328 Depth=1
	s_or_b64 exec, exec, s[22:23]
.LBB265_469:                            ;   in Loop: Header=BB265_328 Depth=1
	s_or_b64 exec, exec, s[14:15]
.LBB265_470:                            ;   in Loop: Header=BB265_328 Depth=1
	s_or_b64 exec, exec, s[12:13]
	v_cmp_lt_u64_e64 s[0:1], s[6:7], v[18:19]
	v_mov_b32_e32 v18, 0
	s_and_saveexec_b64 s[12:13], s[0:1]
	s_cbranch_execz .LBB265_476
; %bb.471:                              ;   in Loop: Header=BB265_328 Depth=1
	v_lshrrev_b32_e32 v8, 24, v19
	v_cmp_ne_u32_e64 s[0:1], s24, v8
	v_bfrev_b32_e32 v18, 1
	s_and_saveexec_b64 s[14:15], s[0:1]
	s_cbranch_execz .LBB265_475
; %bb.472:                              ;   in Loop: Header=BB265_328 Depth=1
	v_and_b32_e32 v19, 0x7f, v8
	v_cmp_ne_u32_e64 s[0:1], s25, v19
	v_mov_b32_e32 v18, 0x7c010000
	s_and_saveexec_b64 s[22:23], s[0:1]
	s_cbranch_execz .LBB265_474
; %bb.473:                              ;   in Loop: Header=BB265_328 Depth=1
	v_and_b32_e32 v18, 7, v8
	v_ffbh_u32_e32 v49, v18
	v_min_u32_e32 v49, 32, v49
	v_lshrrev_b32_e32 v25, 3, v19
	v_subrev_u32_e32 v50, 28, v49
	v_sub_u32_e32 v49, 29, v49
	v_cmp_gt_u32_e64 s[0:1], 8, v19
	v_lshlrev_b64 v[50:51], v50, v[8:9]
	v_lshlrev_b32_e32 v8, 8, v8
	v_cndmask_b32_e64 v19, v25, v49, s[0:1]
	v_lshl_add_u32 v19, v19, 10, v33
	v_and_b32_e32 v25, 7, v50
	v_and_or_b32 v8, v8, s29, v19
	v_cndmask_b32_e64 v18, v18, v25, s[0:1]
	v_lshlrev_b32_e32 v8, 16, v8
	v_lshl_or_b32 v18, v18, 23, v8
.LBB265_474:                            ;   in Loop: Header=BB265_328 Depth=1
	s_or_b64 exec, exec, s[22:23]
.LBB265_475:                            ;   in Loop: Header=BB265_328 Depth=1
	s_or_b64 exec, exec, s[14:15]
.LBB265_476:                            ;   in Loop: Header=BB265_328 Depth=1
	s_or_b64 exec, exec, s[12:13]
	v_cvt_f32_f16_sdwa v51, v1 dst_sel:DWORD dst_unused:UNUSED_PAD src0_sel:WORD_1
	v_cvt_f32_f16_sdwa v50, v21 dst_sel:DWORD dst_unused:UNUSED_PAD src0_sel:WORD_1
	v_or_b32_e32 v1, v1, v17
	v_or_b32_e32 v8, v21, v20
	;; [unrolled: 1-line block ×3, first 2 shown]
	s_waitcnt vmcnt(0)
	v_pk_mul_f32 v[20:21], v[16:17], v[50:51] op_sel_hi:[0,1]
	v_cvt_f32_f16_e32 v50, v8
	v_cvt_f32_f16_e32 v51, v1
	v_cvt_pk_f16_f32 v1, v20, v21
	v_and_b32_e32 v17, 0xffff0000, v1
	v_lshlrev_b32_e32 v8, 16, v1
	v_pk_mul_f32 v[20:21], v[16:17], v[50:51] op_sel_hi:[0,1]
	v_cvt_pk_f16_f32 v1, v20, v21
	v_or_b32_e32 v21, v24, v23
	v_cvt_f32_f16_e32 v22, v22
	v_cvt_f32_f16_e32 v23, v21
	v_cvt_f32_f16_sdwa v25, v24 dst_sel:DWORD dst_unused:UNUSED_PAD src0_sel:WORD_1
	v_cvt_f32_f16_sdwa v24, v18 dst_sel:DWORD dst_unused:UNUSED_PAD src0_sel:WORD_1
	v_lshrrev_b32_e32 v19, 16, v1
	v_pk_mul_f32 v[22:23], v[16:17], v[22:23] op_sel_hi:[0,1]
	v_cvt_pk_f16_f32 v49, v22, v23
	v_pk_mul_f32 v[22:23], v[16:17], v[24:25] op_sel_hi:[0,1]
	v_cvt_pk_f16_f32 v16, v22, v23
	v_and_b32_e32 v20, 0xffff, v1
	v_and_b32_e32 v21, 0xffff0000, v16
	v_lshlrev_b32_e32 v16, 16, v16
	v_lshrrev_b32_e32 v23, 16, v49
	v_and_b32_e32 v22, 0xffff, v49
	v_or_b32_e32 v1, v17, v19
	v_or_b32_e32 v18, v8, v20
	;; [unrolled: 1-line block ×4, first 2 shown]
	s_and_saveexec_b64 s[12:13], vcc
	s_cbranch_execz .LBB265_478
; %bb.477:                              ;   in Loop: Header=BB265_328 Depth=1
	v_cmp_gt_i32_e64 s[0:1], s27, v31
	s_nop 1
	v_cndmask_b32_e64 v1, 0, v19, s[0:1]
	v_cmp_gt_i32_e64 s[0:1], s33, v40
	s_nop 1
	v_cndmask_b32_e64 v18, 0, v20, s[0:1]
	;; [unrolled: 3-line block ×3, first 2 shown]
	v_cmp_gt_i32_e64 s[0:1], s33, v38
	v_or_b32_e32 v1, v17, v1
	s_nop 0
	v_cndmask_b32_e64 v8, 0, v8, s[0:1]
	v_cmp_gt_i32_e64 s[0:1], s27, v37
	v_or_b32_e32 v18, v8, v18
	s_nop 0
	v_cndmask_b32_e64 v8, 0, v23, s[0:1]
	v_cmp_gt_i32_e64 s[0:1], s33, v36
	s_nop 1
	v_cndmask_b32_e64 v17, 0, v22, s[0:1]
	v_cmp_gt_i32_e64 s[0:1], s27, v35
	s_nop 1
	v_cndmask_b32_e64 v19, 0, v21, s[0:1]
	v_cmp_gt_i32_e64 s[0:1], s33, v34
	v_or_b32_e32 v25, v19, v8
	s_nop 0
	v_cndmask_b32_e64 v16, 0, v16, s[0:1]
	v_or_b32_e32 v24, v16, v17
.LBB265_478:                            ;   in Loop: Header=BB265_328 Depth=1
	s_or_b64 exec, exec, s[12:13]
	;;#ASMSTART
	v_pk_mul_f16 v1, v44, v1;

	;;#ASMEND
	;;#ASMSTART
	v_pk_mul_f16 v8, v43, v18;

	;;#ASMEND
	;; [unrolled: 4-line block ×4, first 2 shown]
	s_nop 0
	;;#ASMSTART
	v_pk_add_f16 v1, v1, v8;

	;;#ASMEND
	s_nop 0
	;;#ASMSTART
	v_pk_add_f16 v1, v1, v16;

	;;#ASMEND
	s_nop 0
	;;#ASMSTART
	v_pk_add_f16 v1, v1, v17;

	;;#ASMEND
	v_mov_b32_e32 v17, 0
	v_lshrrev_b32_e32 v8, 16, v1
	v_and_b32_e32 v1, 0xffff, v1
	;;#ASMSTART
	v_cvt_f32_f16 v49, v1;
	;;#ASMEND
	;;#ASMSTART
	v_cvt_f32_f16 v50, v8;
	;;#ASMEND
	global_load_dwordx2 v[18:19], v[14:15], off offset:1536
	v_mov_b32_e32 v1, 0
	global_load_dword v16, v1, s[10:11]
	s_waitcnt vmcnt(1)
	v_cmp_ne_u16_sdwa s[0:1], v18, v9 src0_sel:BYTE_0 src1_sel:DWORD
	s_and_saveexec_b64 s[12:13], s[0:1]
	s_cbranch_execz .LBB265_484
; %bb.479:                              ;   in Loop: Header=BB265_328 Depth=1
	v_cmp_ne_u16_sdwa s[0:1], v18, s24 src0_sel:BYTE_0 src1_sel:DWORD
	v_mov_b32_e32 v17, 0x8000
	s_and_saveexec_b64 s[14:15], s[0:1]
	s_cbranch_execz .LBB265_483
; %bb.480:                              ;   in Loop: Header=BB265_328 Depth=1
	v_and_b32_e32 v8, 0x7f, v18
	v_cmp_ne_u32_e64 s[0:1], s25, v8
	v_mov_b32_e32 v17, 0x7c01
	s_and_saveexec_b64 s[22:23], s[0:1]
	s_cbranch_execz .LBB265_482
; %bb.481:                              ;   in Loop: Header=BB265_328 Depth=1
	v_and_b32_e32 v17, 7, v18
	v_ffbh_u32_e32 v20, v17
	v_min_u32_e32 v23, 32, v20
	v_subrev_u32_e32 v20, 28, v23
	v_lshlrev_b64 v[20:21], v20, v[18:19]
	v_lshrrev_b32_e32 v22, 3, v8
	v_sub_u32_e32 v21, 29, v23
	v_cmp_gt_u32_e64 s[0:1], 8, v8
	v_and_b32_e32 v20, 7, v20
	s_nop 0
	v_cndmask_b32_e64 v8, v22, v21, s[0:1]
	v_lshl_add_u32 v8, v8, 10, v33
	v_lshlrev_b32_e32 v21, 8, v18
	v_and_b32_e32 v8, 0xfc00, v8
	v_cndmask_b32_e64 v17, v17, v20, s[0:1]
	v_and_or_b32 v8, v21, s29, v8
	v_lshl_or_b32 v17, v17, 7, v8
.LBB265_482:                            ;   in Loop: Header=BB265_328 Depth=1
	s_or_b64 exec, exec, s[22:23]
.LBB265_483:                            ;   in Loop: Header=BB265_328 Depth=1
	s_or_b64 exec, exec, s[14:15]
.LBB265_484:                            ;   in Loop: Header=BB265_328 Depth=1
	s_or_b64 exec, exec, s[12:13]
	v_lshrrev_b16_e32 v8, 8, v18
	v_cmp_ne_u16_e64 s[0:1], 0, v8
	s_and_saveexec_b64 s[12:13], s[0:1]
	s_cbranch_execz .LBB265_490
; %bb.485:                              ;   in Loop: Header=BB265_328 Depth=1
	v_cmp_ne_u16_e64 s[0:1], s24, v8
	v_bfrev_b32_e32 v1, 1
	s_and_saveexec_b64 s[14:15], s[0:1]
	s_cbranch_execz .LBB265_489
; %bb.486:                              ;   in Loop: Header=BB265_328 Depth=1
	v_and_b32_e32 v20, 0x7f, v8
	v_cmp_ne_u32_e64 s[0:1], s25, v20
	v_mov_b32_e32 v1, 0x7c010000
	s_and_saveexec_b64 s[22:23], s[0:1]
	s_cbranch_execz .LBB265_488
; %bb.487:                              ;   in Loop: Header=BB265_328 Depth=1
	v_and_b32_e32 v1, 7, v8
	v_ffbh_u32_e32 v22, v1
	v_min_u32_e32 v24, 32, v22
	v_subrev_u32_e32 v22, 28, v24
	v_lshlrev_b64 v[22:23], v22, v[8:9]
	v_lshrrev_b32_e32 v21, 3, v20
	v_sub_u32_e32 v23, 29, v24
	v_cmp_gt_u32_e64 s[0:1], 8, v20
	v_lshlrev_b32_e32 v8, 8, v8
	s_nop 0
	v_cndmask_b32_e64 v20, v21, v23, s[0:1]
	v_lshl_add_u32 v20, v20, 10, v33
	v_and_b32_e32 v21, 7, v22
	v_and_or_b32 v8, v8, s29, v20
	v_cndmask_b32_e64 v1, v1, v21, s[0:1]
	v_lshlrev_b32_e32 v8, 16, v8
	v_lshl_or_b32 v1, v1, 23, v8
.LBB265_488:                            ;   in Loop: Header=BB265_328 Depth=1
	s_or_b64 exec, exec, s[22:23]
.LBB265_489:                            ;   in Loop: Header=BB265_328 Depth=1
	s_or_b64 exec, exec, s[14:15]
.LBB265_490:                            ;   in Loop: Header=BB265_328 Depth=1
	s_or_b64 exec, exec, s[12:13]
	v_lshrrev_b32_e32 v8, 16, v18
	v_cmp_ne_u16_sdwa s[0:1], v8, v9 src0_sel:BYTE_0 src1_sel:DWORD
	v_mov_b32_e32 v21, 0
	v_mov_b32_e32 v20, 0
	s_and_saveexec_b64 s[12:13], s[0:1]
	s_cbranch_execz .LBB265_496
; %bb.491:                              ;   in Loop: Header=BB265_328 Depth=1
	v_cmp_ne_u16_sdwa s[0:1], v8, s24 src0_sel:BYTE_0 src1_sel:DWORD
	v_mov_b32_e32 v20, 0x8000
	s_and_saveexec_b64 s[14:15], s[0:1]
	s_cbranch_execz .LBB265_495
; %bb.492:                              ;   in Loop: Header=BB265_328 Depth=1
	v_bfe_u32 v22, v18, 16, 7
	v_cmp_ne_u32_e64 s[0:1], s25, v22
	v_mov_b32_e32 v20, 0x7c01
	s_and_saveexec_b64 s[22:23], s[0:1]
	s_cbranch_execz .LBB265_494
; %bb.493:                              ;   in Loop: Header=BB265_328 Depth=1
	v_and_b32_e32 v20, 7, v8
	v_ffbh_u32_e32 v24, v20
	v_min_u32_e32 v51, 32, v24
	v_subrev_u32_e32 v24, 28, v51
	v_lshlrev_b64 v[24:25], v24, v[8:9]
	v_lshrrev_b32_e32 v23, 3, v22
	v_sub_u32_e32 v25, 29, v51
	v_cmp_gt_u32_e64 s[0:1], 8, v22
	v_lshlrev_b32_e32 v8, 8, v8
	s_nop 0
	v_cndmask_b32_e64 v22, v23, v25, s[0:1]
	v_lshl_add_u32 v22, v22, 10, v33
	v_and_b32_e32 v23, 7, v24
	v_and_b32_e32 v22, 0xfc00, v22
	v_cndmask_b32_e64 v20, v20, v23, s[0:1]
	v_and_or_b32 v8, v8, s29, v22
	v_lshl_or_b32 v20, v20, 7, v8
.LBB265_494:                            ;   in Loop: Header=BB265_328 Depth=1
	s_or_b64 exec, exec, s[22:23]
.LBB265_495:                            ;   in Loop: Header=BB265_328 Depth=1
	s_or_b64 exec, exec, s[14:15]
.LBB265_496:                            ;   in Loop: Header=BB265_328 Depth=1
	s_or_b64 exec, exec, s[12:13]
	v_cmp_lt_u32_e64 s[0:1], s7, v18
	s_and_saveexec_b64 s[12:13], s[0:1]
	s_cbranch_execz .LBB265_502
; %bb.497:                              ;   in Loop: Header=BB265_328 Depth=1
	v_lshrrev_b32_e32 v8, 24, v18
	v_cmp_ne_u32_e64 s[0:1], s24, v8
	v_bfrev_b32_e32 v21, 1
	s_and_saveexec_b64 s[14:15], s[0:1]
	s_cbranch_execz .LBB265_501
; %bb.498:                              ;   in Loop: Header=BB265_328 Depth=1
	v_and_b32_e32 v22, 0x7f, v8
	v_cmp_ne_u32_e64 s[0:1], s25, v22
	v_mov_b32_e32 v21, 0x7c010000
	s_and_saveexec_b64 s[22:23], s[0:1]
	s_cbranch_execz .LBB265_500
; %bb.499:                              ;   in Loop: Header=BB265_328 Depth=1
	v_and_b32_e32 v21, 7, v8
	v_ffbh_u32_e32 v24, v21
	v_min_u32_e32 v51, 32, v24
	v_subrev_u32_e32 v24, 28, v51
	v_lshlrev_b64 v[24:25], v24, v[8:9]
	v_lshrrev_b32_e32 v23, 3, v22
	v_sub_u32_e32 v25, 29, v51
	v_cmp_gt_u32_e64 s[0:1], 8, v22
	v_lshlrev_b32_e32 v8, 8, v8
	s_nop 0
	v_cndmask_b32_e64 v22, v23, v25, s[0:1]
	v_lshl_add_u32 v22, v22, 10, v33
	v_and_b32_e32 v23, 7, v24
	v_and_or_b32 v8, v8, s29, v22
	v_cndmask_b32_e64 v21, v21, v23, s[0:1]
	v_lshlrev_b32_e32 v8, 16, v8
	v_lshl_or_b32 v21, v21, 23, v8
.LBB265_500:                            ;   in Loop: Header=BB265_328 Depth=1
	s_or_b64 exec, exec, s[22:23]
.LBB265_501:                            ;   in Loop: Header=BB265_328 Depth=1
	s_or_b64 exec, exec, s[14:15]
.LBB265_502:                            ;   in Loop: Header=BB265_328 Depth=1
	s_or_b64 exec, exec, s[12:13]
	v_mov_b32_e32 v8, v19
	v_cmp_ne_u16_sdwa s[0:1], v19, v9 src0_sel:BYTE_0 src1_sel:DWORD
	v_mov_b32_e32 v22, 0
	v_mov_b32_e32 v23, 0
	s_and_saveexec_b64 s[12:13], s[0:1]
	s_cbranch_execz .LBB265_508
; %bb.503:                              ;   in Loop: Header=BB265_328 Depth=1
	v_cmp_ne_u16_sdwa s[0:1], v19, s24 src0_sel:BYTE_0 src1_sel:DWORD
	v_mov_b32_e32 v23, 0x8000
	s_and_saveexec_b64 s[14:15], s[0:1]
	s_cbranch_execz .LBB265_507
; %bb.504:                              ;   in Loop: Header=BB265_328 Depth=1
	v_and_b32_e32 v24, 0x7f, v19
	v_cmp_ne_u32_e64 s[0:1], s25, v24
	v_mov_b32_e32 v23, 0x7c01
	s_and_saveexec_b64 s[22:23], s[0:1]
	s_cbranch_execz .LBB265_506
; %bb.505:                              ;   in Loop: Header=BB265_328 Depth=1
	v_and_b32_e32 v23, 7, v19
	v_ffbh_u32_e32 v51, v23
	v_min_u32_e32 v51, 32, v51
	v_lshrrev_b32_e32 v25, 3, v24
	v_subrev_u32_e32 v52, 28, v51
	v_sub_u32_e32 v51, 29, v51
	v_cmp_gt_u32_e64 s[0:1], 8, v24
	v_lshlrev_b64 v[52:53], v52, v[8:9]
	s_nop 0
	v_cndmask_b32_e64 v24, v25, v51, s[0:1]
	v_lshl_add_u32 v24, v24, 10, v33
	v_lshlrev_b32_e32 v25, 8, v19
	v_and_b32_e32 v51, 7, v52
	v_and_b32_e32 v24, 0xfc00, v24
	v_cndmask_b32_e64 v23, v23, v51, s[0:1]
	v_and_or_b32 v24, v25, s29, v24
	v_lshl_or_b32 v23, v23, 7, v24
.LBB265_506:                            ;   in Loop: Header=BB265_328 Depth=1
	s_or_b64 exec, exec, s[22:23]
.LBB265_507:                            ;   in Loop: Header=BB265_328 Depth=1
	s_or_b64 exec, exec, s[14:15]
.LBB265_508:                            ;   in Loop: Header=BB265_328 Depth=1
	s_or_b64 exec, exec, s[12:13]
	v_lshrrev_b16_e32 v8, 8, v8
	v_cmp_ne_u16_e64 s[0:1], 0, v8
	v_mov_b32_e32 v24, 0
	s_and_saveexec_b64 s[12:13], s[0:1]
	s_cbranch_execz .LBB265_514
; %bb.509:                              ;   in Loop: Header=BB265_328 Depth=1
	v_cmp_ne_u16_e64 s[0:1], s24, v8
	v_bfrev_b32_e32 v24, 1
	s_and_saveexec_b64 s[14:15], s[0:1]
	s_cbranch_execz .LBB265_513
; %bb.510:                              ;   in Loop: Header=BB265_328 Depth=1
	v_and_b32_e32 v25, 0x7f, v8
	v_cmp_ne_u32_e64 s[0:1], s25, v25
	v_mov_b32_e32 v24, 0x7c010000
	s_and_saveexec_b64 s[22:23], s[0:1]
	s_cbranch_execz .LBB265_512
; %bb.511:                              ;   in Loop: Header=BB265_328 Depth=1
	v_and_b32_e32 v24, 7, v8
	v_ffbh_u32_e32 v52, v24
	v_min_u32_e32 v54, 32, v52
	v_subrev_u32_e32 v52, 28, v54
	v_lshlrev_b64 v[52:53], v52, v[8:9]
	v_lshrrev_b32_e32 v51, 3, v25
	v_sub_u32_e32 v53, 29, v54
	v_cmp_gt_u32_e64 s[0:1], 8, v25
	v_lshlrev_b32_e32 v8, 8, v8
	s_nop 0
	v_cndmask_b32_e64 v25, v51, v53, s[0:1]
	v_lshl_add_u32 v25, v25, 10, v33
	v_and_b32_e32 v51, 7, v52
	v_and_or_b32 v8, v8, s29, v25
	v_cndmask_b32_e64 v24, v24, v51, s[0:1]
	v_lshlrev_b32_e32 v8, 16, v8
	v_lshl_or_b32 v24, v24, 23, v8
.LBB265_512:                            ;   in Loop: Header=BB265_328 Depth=1
	s_or_b64 exec, exec, s[22:23]
.LBB265_513:                            ;   in Loop: Header=BB265_328 Depth=1
	s_or_b64 exec, exec, s[14:15]
.LBB265_514:                            ;   in Loop: Header=BB265_328 Depth=1
	s_or_b64 exec, exec, s[12:13]
	v_lshrrev_b32_e32 v8, 16, v19
	v_cmp_ne_u16_sdwa s[0:1], v8, v9 src0_sel:BYTE_0 src1_sel:DWORD
	s_and_saveexec_b64 s[12:13], s[0:1]
	s_cbranch_execz .LBB265_520
; %bb.515:                              ;   in Loop: Header=BB265_328 Depth=1
	v_cmp_ne_u16_sdwa s[0:1], v8, s24 src0_sel:BYTE_0 src1_sel:DWORD
	v_mov_b32_e32 v22, 0x8000
	s_and_saveexec_b64 s[14:15], s[0:1]
	s_cbranch_execz .LBB265_519
; %bb.516:                              ;   in Loop: Header=BB265_328 Depth=1
	v_bfe_u32 v25, v19, 16, 7
	v_cmp_ne_u32_e64 s[0:1], s25, v25
	v_mov_b32_e32 v22, 0x7c01
	s_and_saveexec_b64 s[22:23], s[0:1]
	s_cbranch_execz .LBB265_518
; %bb.517:                              ;   in Loop: Header=BB265_328 Depth=1
	v_and_b32_e32 v22, 7, v8
	v_ffbh_u32_e32 v52, v22
	v_min_u32_e32 v54, 32, v52
	v_subrev_u32_e32 v52, 28, v54
	v_lshlrev_b64 v[52:53], v52, v[8:9]
	v_lshrrev_b32_e32 v51, 3, v25
	v_sub_u32_e32 v53, 29, v54
	v_cmp_gt_u32_e64 s[0:1], 8, v25
	v_lshlrev_b32_e32 v8, 8, v8
	s_nop 0
	v_cndmask_b32_e64 v25, v51, v53, s[0:1]
	v_lshl_add_u32 v25, v25, 10, v33
	v_and_b32_e32 v51, 7, v52
	v_and_b32_e32 v25, 0xfc00, v25
	v_cndmask_b32_e64 v22, v22, v51, s[0:1]
	v_and_or_b32 v8, v8, s29, v25
	v_lshl_or_b32 v22, v22, 7, v8
.LBB265_518:                            ;   in Loop: Header=BB265_328 Depth=1
	s_or_b64 exec, exec, s[22:23]
.LBB265_519:                            ;   in Loop: Header=BB265_328 Depth=1
	s_or_b64 exec, exec, s[14:15]
.LBB265_520:                            ;   in Loop: Header=BB265_328 Depth=1
	s_or_b64 exec, exec, s[12:13]
	v_cmp_lt_u64_e64 s[0:1], s[6:7], v[18:19]
	v_mov_b32_e32 v18, 0
	s_and_saveexec_b64 s[12:13], s[0:1]
	s_cbranch_execz .LBB265_526
; %bb.521:                              ;   in Loop: Header=BB265_328 Depth=1
	v_lshrrev_b32_e32 v8, 24, v19
	v_cmp_ne_u32_e64 s[0:1], s24, v8
	v_bfrev_b32_e32 v18, 1
	s_and_saveexec_b64 s[14:15], s[0:1]
	s_cbranch_execz .LBB265_525
; %bb.522:                              ;   in Loop: Header=BB265_328 Depth=1
	v_and_b32_e32 v19, 0x7f, v8
	v_cmp_ne_u32_e64 s[0:1], s25, v19
	v_mov_b32_e32 v18, 0x7c010000
	s_and_saveexec_b64 s[22:23], s[0:1]
	s_cbranch_execz .LBB265_524
; %bb.523:                              ;   in Loop: Header=BB265_328 Depth=1
	v_and_b32_e32 v18, 7, v8
	v_ffbh_u32_e32 v51, v18
	v_min_u32_e32 v51, 32, v51
	v_lshrrev_b32_e32 v25, 3, v19
	v_subrev_u32_e32 v52, 28, v51
	v_sub_u32_e32 v51, 29, v51
	v_cmp_gt_u32_e64 s[0:1], 8, v19
	v_lshlrev_b64 v[52:53], v52, v[8:9]
	v_lshlrev_b32_e32 v8, 8, v8
	v_cndmask_b32_e64 v19, v25, v51, s[0:1]
	v_lshl_add_u32 v19, v19, 10, v33
	v_and_b32_e32 v25, 7, v52
	v_and_or_b32 v8, v8, s29, v19
	v_cndmask_b32_e64 v18, v18, v25, s[0:1]
	v_lshlrev_b32_e32 v8, 16, v8
	v_lshl_or_b32 v18, v18, 23, v8
.LBB265_524:                            ;   in Loop: Header=BB265_328 Depth=1
	s_or_b64 exec, exec, s[22:23]
.LBB265_525:                            ;   in Loop: Header=BB265_328 Depth=1
	s_or_b64 exec, exec, s[14:15]
.LBB265_526:                            ;   in Loop: Header=BB265_328 Depth=1
	s_or_b64 exec, exec, s[12:13]
	v_cvt_f32_f16_sdwa v53, v1 dst_sel:DWORD dst_unused:UNUSED_PAD src0_sel:WORD_1
	v_cvt_f32_f16_sdwa v52, v21 dst_sel:DWORD dst_unused:UNUSED_PAD src0_sel:WORD_1
	v_or_b32_e32 v1, v1, v17
	v_or_b32_e32 v8, v21, v20
	;; [unrolled: 1-line block ×3, first 2 shown]
	s_waitcnt vmcnt(0)
	v_pk_mul_f32 v[20:21], v[16:17], v[52:53] op_sel_hi:[0,1]
	v_cvt_f32_f16_e32 v52, v8
	v_cvt_f32_f16_e32 v53, v1
	v_cvt_pk_f16_f32 v1, v20, v21
	v_and_b32_e32 v17, 0xffff0000, v1
	v_lshlrev_b32_e32 v8, 16, v1
	v_pk_mul_f32 v[20:21], v[16:17], v[52:53] op_sel_hi:[0,1]
	v_cvt_pk_f16_f32 v1, v20, v21
	v_or_b32_e32 v21, v24, v23
	v_cvt_f32_f16_e32 v22, v22
	v_cvt_f32_f16_e32 v23, v21
	v_cvt_f32_f16_sdwa v25, v24 dst_sel:DWORD dst_unused:UNUSED_PAD src0_sel:WORD_1
	v_cvt_f32_f16_sdwa v24, v18 dst_sel:DWORD dst_unused:UNUSED_PAD src0_sel:WORD_1
	v_lshrrev_b32_e32 v19, 16, v1
	v_pk_mul_f32 v[22:23], v[16:17], v[22:23] op_sel_hi:[0,1]
	v_cvt_pk_f16_f32 v51, v22, v23
	v_pk_mul_f32 v[22:23], v[16:17], v[24:25] op_sel_hi:[0,1]
	v_cvt_pk_f16_f32 v16, v22, v23
	v_and_b32_e32 v20, 0xffff, v1
	v_and_b32_e32 v21, 0xffff0000, v16
	v_lshlrev_b32_e32 v16, 16, v16
	v_lshrrev_b32_e32 v23, 16, v51
	v_and_b32_e32 v22, 0xffff, v51
	v_or_b32_e32 v1, v17, v19
	v_or_b32_e32 v18, v8, v20
	;; [unrolled: 1-line block ×4, first 2 shown]
	s_and_saveexec_b64 s[12:13], vcc
	s_cbranch_execz .LBB265_528
; %bb.527:                              ;   in Loop: Header=BB265_328 Depth=1
	v_cmp_gt_i32_e64 s[0:1], s27, v31
	s_nop 1
	v_cndmask_b32_e64 v1, 0, v19, s[0:1]
	v_cmp_gt_i32_e64 s[0:1], s33, v40
	s_nop 1
	v_cndmask_b32_e64 v18, 0, v20, s[0:1]
	;; [unrolled: 3-line block ×3, first 2 shown]
	v_cmp_gt_i32_e64 s[0:1], s33, v38
	v_or_b32_e32 v1, v17, v1
	s_nop 0
	v_cndmask_b32_e64 v8, 0, v8, s[0:1]
	v_cmp_gt_i32_e64 s[0:1], s27, v37
	v_or_b32_e32 v18, v8, v18
	s_nop 0
	v_cndmask_b32_e64 v8, 0, v23, s[0:1]
	v_cmp_gt_i32_e64 s[0:1], s33, v36
	s_nop 1
	v_cndmask_b32_e64 v17, 0, v22, s[0:1]
	v_cmp_gt_i32_e64 s[0:1], s27, v35
	;; [unrolled: 3-line block ×3, first 2 shown]
	v_or_b32_e32 v25, v19, v8
	s_nop 0
	v_cndmask_b32_e64 v16, 0, v16, s[0:1]
	v_or_b32_e32 v24, v16, v17
.LBB265_528:                            ;   in Loop: Header=BB265_328 Depth=1
	s_or_b64 exec, exec, s[12:13]
	;;#ASMSTART
	v_pk_mul_f16 v1, v44, v1;

	;;#ASMEND
	;;#ASMSTART
	v_pk_mul_f16 v8, v43, v18;

	;;#ASMEND
	;; [unrolled: 4-line block ×4, first 2 shown]
	s_nop 0
	;;#ASMSTART
	v_pk_add_f16 v1, v1, v8;

	;;#ASMEND
	s_nop 0
	;;#ASMSTART
	v_pk_add_f16 v1, v1, v16;

	;;#ASMEND
	s_nop 0
	;;#ASMSTART
	v_pk_add_f16 v1, v1, v17;

	;;#ASMEND
	v_mov_b32_e32 v17, 0
	v_lshrrev_b32_e32 v8, 16, v1
	v_and_b32_e32 v1, 0xffff, v1
	;;#ASMSTART
	v_cvt_f32_f16 v51, v1;
	;;#ASMEND
	;;#ASMSTART
	v_cvt_f32_f16 v52, v8;
	;;#ASMEND
	global_load_dwordx2 v[18:19], v[14:15], off offset:2048
	v_mov_b32_e32 v1, 0
	global_load_dword v16, v1, s[10:11]
	s_waitcnt vmcnt(1)
	v_cmp_ne_u16_sdwa s[0:1], v18, v9 src0_sel:BYTE_0 src1_sel:DWORD
	s_and_saveexec_b64 s[12:13], s[0:1]
	s_cbranch_execz .LBB265_534
; %bb.529:                              ;   in Loop: Header=BB265_328 Depth=1
	v_cmp_ne_u16_sdwa s[0:1], v18, s24 src0_sel:BYTE_0 src1_sel:DWORD
	v_mov_b32_e32 v17, 0x8000
	s_and_saveexec_b64 s[14:15], s[0:1]
	s_cbranch_execz .LBB265_533
; %bb.530:                              ;   in Loop: Header=BB265_328 Depth=1
	v_and_b32_e32 v8, 0x7f, v18
	v_cmp_ne_u32_e64 s[0:1], s25, v8
	v_mov_b32_e32 v17, 0x7c01
	s_and_saveexec_b64 s[22:23], s[0:1]
	s_cbranch_execz .LBB265_532
; %bb.531:                              ;   in Loop: Header=BB265_328 Depth=1
	v_and_b32_e32 v17, 7, v18
	v_ffbh_u32_e32 v20, v17
	v_min_u32_e32 v23, 32, v20
	v_subrev_u32_e32 v20, 28, v23
	v_lshlrev_b64 v[20:21], v20, v[18:19]
	v_lshrrev_b32_e32 v22, 3, v8
	v_sub_u32_e32 v21, 29, v23
	v_cmp_gt_u32_e64 s[0:1], 8, v8
	v_and_b32_e32 v20, 7, v20
	s_nop 0
	v_cndmask_b32_e64 v8, v22, v21, s[0:1]
	v_lshl_add_u32 v8, v8, 10, v33
	v_lshlrev_b32_e32 v21, 8, v18
	v_and_b32_e32 v8, 0xfc00, v8
	v_cndmask_b32_e64 v17, v17, v20, s[0:1]
	v_and_or_b32 v8, v21, s29, v8
	v_lshl_or_b32 v17, v17, 7, v8
.LBB265_532:                            ;   in Loop: Header=BB265_328 Depth=1
	s_or_b64 exec, exec, s[22:23]
.LBB265_533:                            ;   in Loop: Header=BB265_328 Depth=1
	s_or_b64 exec, exec, s[14:15]
.LBB265_534:                            ;   in Loop: Header=BB265_328 Depth=1
	s_or_b64 exec, exec, s[12:13]
	v_lshrrev_b16_e32 v8, 8, v18
	v_cmp_ne_u16_e64 s[0:1], 0, v8
	s_and_saveexec_b64 s[12:13], s[0:1]
	s_cbranch_execz .LBB265_540
; %bb.535:                              ;   in Loop: Header=BB265_328 Depth=1
	v_cmp_ne_u16_e64 s[0:1], s24, v8
	v_bfrev_b32_e32 v1, 1
	s_and_saveexec_b64 s[14:15], s[0:1]
	s_cbranch_execz .LBB265_539
; %bb.536:                              ;   in Loop: Header=BB265_328 Depth=1
	v_and_b32_e32 v20, 0x7f, v8
	v_cmp_ne_u32_e64 s[0:1], s25, v20
	v_mov_b32_e32 v1, 0x7c010000
	s_and_saveexec_b64 s[22:23], s[0:1]
	s_cbranch_execz .LBB265_538
; %bb.537:                              ;   in Loop: Header=BB265_328 Depth=1
	v_and_b32_e32 v1, 7, v8
	v_ffbh_u32_e32 v22, v1
	v_min_u32_e32 v24, 32, v22
	v_subrev_u32_e32 v22, 28, v24
	v_lshlrev_b64 v[22:23], v22, v[8:9]
	v_lshrrev_b32_e32 v21, 3, v20
	v_sub_u32_e32 v23, 29, v24
	v_cmp_gt_u32_e64 s[0:1], 8, v20
	v_lshlrev_b32_e32 v8, 8, v8
	s_nop 0
	v_cndmask_b32_e64 v20, v21, v23, s[0:1]
	v_lshl_add_u32 v20, v20, 10, v33
	v_and_b32_e32 v21, 7, v22
	v_and_or_b32 v8, v8, s29, v20
	v_cndmask_b32_e64 v1, v1, v21, s[0:1]
	v_lshlrev_b32_e32 v8, 16, v8
	v_lshl_or_b32 v1, v1, 23, v8
.LBB265_538:                            ;   in Loop: Header=BB265_328 Depth=1
	s_or_b64 exec, exec, s[22:23]
.LBB265_539:                            ;   in Loop: Header=BB265_328 Depth=1
	s_or_b64 exec, exec, s[14:15]
.LBB265_540:                            ;   in Loop: Header=BB265_328 Depth=1
	s_or_b64 exec, exec, s[12:13]
	v_lshrrev_b32_e32 v8, 16, v18
	v_cmp_ne_u16_sdwa s[0:1], v8, v9 src0_sel:BYTE_0 src1_sel:DWORD
	v_mov_b32_e32 v21, 0
	v_mov_b32_e32 v20, 0
	s_and_saveexec_b64 s[12:13], s[0:1]
	s_cbranch_execz .LBB265_546
; %bb.541:                              ;   in Loop: Header=BB265_328 Depth=1
	v_cmp_ne_u16_sdwa s[0:1], v8, s24 src0_sel:BYTE_0 src1_sel:DWORD
	v_mov_b32_e32 v20, 0x8000
	s_and_saveexec_b64 s[14:15], s[0:1]
	s_cbranch_execz .LBB265_545
; %bb.542:                              ;   in Loop: Header=BB265_328 Depth=1
	v_bfe_u32 v22, v18, 16, 7
	v_cmp_ne_u32_e64 s[0:1], s25, v22
	v_mov_b32_e32 v20, 0x7c01
	s_and_saveexec_b64 s[22:23], s[0:1]
	s_cbranch_execz .LBB265_544
; %bb.543:                              ;   in Loop: Header=BB265_328 Depth=1
	v_and_b32_e32 v20, 7, v8
	v_ffbh_u32_e32 v24, v20
	v_min_u32_e32 v53, 32, v24
	v_subrev_u32_e32 v24, 28, v53
	v_lshlrev_b64 v[24:25], v24, v[8:9]
	v_lshrrev_b32_e32 v23, 3, v22
	v_sub_u32_e32 v25, 29, v53
	v_cmp_gt_u32_e64 s[0:1], 8, v22
	v_lshlrev_b32_e32 v8, 8, v8
	s_nop 0
	v_cndmask_b32_e64 v22, v23, v25, s[0:1]
	v_lshl_add_u32 v22, v22, 10, v33
	v_and_b32_e32 v23, 7, v24
	v_and_b32_e32 v22, 0xfc00, v22
	v_cndmask_b32_e64 v20, v20, v23, s[0:1]
	v_and_or_b32 v8, v8, s29, v22
	v_lshl_or_b32 v20, v20, 7, v8
.LBB265_544:                            ;   in Loop: Header=BB265_328 Depth=1
	s_or_b64 exec, exec, s[22:23]
.LBB265_545:                            ;   in Loop: Header=BB265_328 Depth=1
	s_or_b64 exec, exec, s[14:15]
.LBB265_546:                            ;   in Loop: Header=BB265_328 Depth=1
	s_or_b64 exec, exec, s[12:13]
	v_cmp_lt_u32_e64 s[0:1], s7, v18
	s_and_saveexec_b64 s[12:13], s[0:1]
	s_cbranch_execz .LBB265_552
; %bb.547:                              ;   in Loop: Header=BB265_328 Depth=1
	v_lshrrev_b32_e32 v8, 24, v18
	v_cmp_ne_u32_e64 s[0:1], s24, v8
	v_bfrev_b32_e32 v21, 1
	s_and_saveexec_b64 s[14:15], s[0:1]
	s_cbranch_execz .LBB265_551
; %bb.548:                              ;   in Loop: Header=BB265_328 Depth=1
	v_and_b32_e32 v22, 0x7f, v8
	v_cmp_ne_u32_e64 s[0:1], s25, v22
	v_mov_b32_e32 v21, 0x7c010000
	s_and_saveexec_b64 s[22:23], s[0:1]
	s_cbranch_execz .LBB265_550
; %bb.549:                              ;   in Loop: Header=BB265_328 Depth=1
	v_and_b32_e32 v21, 7, v8
	v_ffbh_u32_e32 v24, v21
	v_min_u32_e32 v53, 32, v24
	v_subrev_u32_e32 v24, 28, v53
	v_lshlrev_b64 v[24:25], v24, v[8:9]
	v_lshrrev_b32_e32 v23, 3, v22
	v_sub_u32_e32 v25, 29, v53
	v_cmp_gt_u32_e64 s[0:1], 8, v22
	v_lshlrev_b32_e32 v8, 8, v8
	s_nop 0
	v_cndmask_b32_e64 v22, v23, v25, s[0:1]
	v_lshl_add_u32 v22, v22, 10, v33
	v_and_b32_e32 v23, 7, v24
	v_and_or_b32 v8, v8, s29, v22
	v_cndmask_b32_e64 v21, v21, v23, s[0:1]
	v_lshlrev_b32_e32 v8, 16, v8
	v_lshl_or_b32 v21, v21, 23, v8
.LBB265_550:                            ;   in Loop: Header=BB265_328 Depth=1
	s_or_b64 exec, exec, s[22:23]
.LBB265_551:                            ;   in Loop: Header=BB265_328 Depth=1
	s_or_b64 exec, exec, s[14:15]
.LBB265_552:                            ;   in Loop: Header=BB265_328 Depth=1
	s_or_b64 exec, exec, s[12:13]
	v_mov_b32_e32 v8, v19
	v_cmp_ne_u16_sdwa s[0:1], v19, v9 src0_sel:BYTE_0 src1_sel:DWORD
	v_mov_b32_e32 v22, 0
	v_mov_b32_e32 v23, 0
	s_and_saveexec_b64 s[12:13], s[0:1]
	s_cbranch_execz .LBB265_558
; %bb.553:                              ;   in Loop: Header=BB265_328 Depth=1
	v_cmp_ne_u16_sdwa s[0:1], v19, s24 src0_sel:BYTE_0 src1_sel:DWORD
	v_mov_b32_e32 v23, 0x8000
	s_and_saveexec_b64 s[14:15], s[0:1]
	s_cbranch_execz .LBB265_557
; %bb.554:                              ;   in Loop: Header=BB265_328 Depth=1
	v_and_b32_e32 v24, 0x7f, v19
	v_cmp_ne_u32_e64 s[0:1], s25, v24
	v_mov_b32_e32 v23, 0x7c01
	s_and_saveexec_b64 s[22:23], s[0:1]
	s_cbranch_execz .LBB265_556
; %bb.555:                              ;   in Loop: Header=BB265_328 Depth=1
	v_and_b32_e32 v23, 7, v19
	v_ffbh_u32_e32 v53, v23
	v_min_u32_e32 v53, 32, v53
	v_lshrrev_b32_e32 v25, 3, v24
	v_subrev_u32_e32 v54, 28, v53
	v_sub_u32_e32 v53, 29, v53
	v_cmp_gt_u32_e64 s[0:1], 8, v24
	v_lshlrev_b64 v[54:55], v54, v[8:9]
	s_nop 0
	v_cndmask_b32_e64 v24, v25, v53, s[0:1]
	v_lshl_add_u32 v24, v24, 10, v33
	v_lshlrev_b32_e32 v25, 8, v19
	v_and_b32_e32 v53, 7, v54
	v_and_b32_e32 v24, 0xfc00, v24
	v_cndmask_b32_e64 v23, v23, v53, s[0:1]
	v_and_or_b32 v24, v25, s29, v24
	v_lshl_or_b32 v23, v23, 7, v24
.LBB265_556:                            ;   in Loop: Header=BB265_328 Depth=1
	s_or_b64 exec, exec, s[22:23]
.LBB265_557:                            ;   in Loop: Header=BB265_328 Depth=1
	s_or_b64 exec, exec, s[14:15]
.LBB265_558:                            ;   in Loop: Header=BB265_328 Depth=1
	s_or_b64 exec, exec, s[12:13]
	v_lshrrev_b16_e32 v8, 8, v8
	v_cmp_ne_u16_e64 s[0:1], 0, v8
	v_mov_b32_e32 v24, 0
	s_and_saveexec_b64 s[12:13], s[0:1]
	s_cbranch_execz .LBB265_564
; %bb.559:                              ;   in Loop: Header=BB265_328 Depth=1
	v_cmp_ne_u16_e64 s[0:1], s24, v8
	v_bfrev_b32_e32 v24, 1
	s_and_saveexec_b64 s[14:15], s[0:1]
	s_cbranch_execz .LBB265_563
; %bb.560:                              ;   in Loop: Header=BB265_328 Depth=1
	v_and_b32_e32 v25, 0x7f, v8
	v_cmp_ne_u32_e64 s[0:1], s25, v25
	v_mov_b32_e32 v24, 0x7c010000
	s_and_saveexec_b64 s[22:23], s[0:1]
	s_cbranch_execz .LBB265_562
; %bb.561:                              ;   in Loop: Header=BB265_328 Depth=1
	v_and_b32_e32 v24, 7, v8
	v_ffbh_u32_e32 v54, v24
	v_min_u32_e32 v56, 32, v54
	v_subrev_u32_e32 v54, 28, v56
	v_lshlrev_b64 v[54:55], v54, v[8:9]
	v_lshrrev_b32_e32 v53, 3, v25
	v_sub_u32_e32 v55, 29, v56
	v_cmp_gt_u32_e64 s[0:1], 8, v25
	v_lshlrev_b32_e32 v8, 8, v8
	s_nop 0
	v_cndmask_b32_e64 v25, v53, v55, s[0:1]
	v_lshl_add_u32 v25, v25, 10, v33
	v_and_b32_e32 v53, 7, v54
	v_and_or_b32 v8, v8, s29, v25
	v_cndmask_b32_e64 v24, v24, v53, s[0:1]
	v_lshlrev_b32_e32 v8, 16, v8
	v_lshl_or_b32 v24, v24, 23, v8
.LBB265_562:                            ;   in Loop: Header=BB265_328 Depth=1
	s_or_b64 exec, exec, s[22:23]
.LBB265_563:                            ;   in Loop: Header=BB265_328 Depth=1
	s_or_b64 exec, exec, s[14:15]
.LBB265_564:                            ;   in Loop: Header=BB265_328 Depth=1
	s_or_b64 exec, exec, s[12:13]
	v_lshrrev_b32_e32 v8, 16, v19
	v_cmp_ne_u16_sdwa s[0:1], v8, v9 src0_sel:BYTE_0 src1_sel:DWORD
	s_and_saveexec_b64 s[12:13], s[0:1]
	s_cbranch_execz .LBB265_570
; %bb.565:                              ;   in Loop: Header=BB265_328 Depth=1
	v_cmp_ne_u16_sdwa s[0:1], v8, s24 src0_sel:BYTE_0 src1_sel:DWORD
	v_mov_b32_e32 v22, 0x8000
	s_and_saveexec_b64 s[14:15], s[0:1]
	s_cbranch_execz .LBB265_569
; %bb.566:                              ;   in Loop: Header=BB265_328 Depth=1
	v_bfe_u32 v25, v19, 16, 7
	v_cmp_ne_u32_e64 s[0:1], s25, v25
	v_mov_b32_e32 v22, 0x7c01
	s_and_saveexec_b64 s[22:23], s[0:1]
	s_cbranch_execz .LBB265_568
; %bb.567:                              ;   in Loop: Header=BB265_328 Depth=1
	v_and_b32_e32 v22, 7, v8
	v_ffbh_u32_e32 v54, v22
	v_min_u32_e32 v56, 32, v54
	v_subrev_u32_e32 v54, 28, v56
	v_lshlrev_b64 v[54:55], v54, v[8:9]
	v_lshrrev_b32_e32 v53, 3, v25
	v_sub_u32_e32 v55, 29, v56
	v_cmp_gt_u32_e64 s[0:1], 8, v25
	v_lshlrev_b32_e32 v8, 8, v8
	s_nop 0
	v_cndmask_b32_e64 v25, v53, v55, s[0:1]
	v_lshl_add_u32 v25, v25, 10, v33
	v_and_b32_e32 v53, 7, v54
	v_and_b32_e32 v25, 0xfc00, v25
	v_cndmask_b32_e64 v22, v22, v53, s[0:1]
	v_and_or_b32 v8, v8, s29, v25
	v_lshl_or_b32 v22, v22, 7, v8
.LBB265_568:                            ;   in Loop: Header=BB265_328 Depth=1
	s_or_b64 exec, exec, s[22:23]
.LBB265_569:                            ;   in Loop: Header=BB265_328 Depth=1
	s_or_b64 exec, exec, s[14:15]
.LBB265_570:                            ;   in Loop: Header=BB265_328 Depth=1
	s_or_b64 exec, exec, s[12:13]
	v_cmp_lt_u64_e64 s[0:1], s[6:7], v[18:19]
	v_mov_b32_e32 v18, 0
	s_and_saveexec_b64 s[12:13], s[0:1]
	s_cbranch_execz .LBB265_576
; %bb.571:                              ;   in Loop: Header=BB265_328 Depth=1
	v_lshrrev_b32_e32 v8, 24, v19
	v_cmp_ne_u32_e64 s[0:1], s24, v8
	v_bfrev_b32_e32 v18, 1
	s_and_saveexec_b64 s[14:15], s[0:1]
	s_cbranch_execz .LBB265_575
; %bb.572:                              ;   in Loop: Header=BB265_328 Depth=1
	v_and_b32_e32 v19, 0x7f, v8
	v_cmp_ne_u32_e64 s[0:1], s25, v19
	v_mov_b32_e32 v18, 0x7c010000
	s_and_saveexec_b64 s[22:23], s[0:1]
	s_cbranch_execz .LBB265_574
; %bb.573:                              ;   in Loop: Header=BB265_328 Depth=1
	v_and_b32_e32 v18, 7, v8
	v_ffbh_u32_e32 v53, v18
	v_min_u32_e32 v53, 32, v53
	v_lshrrev_b32_e32 v25, 3, v19
	v_subrev_u32_e32 v54, 28, v53
	v_sub_u32_e32 v53, 29, v53
	v_cmp_gt_u32_e64 s[0:1], 8, v19
	v_lshlrev_b64 v[54:55], v54, v[8:9]
	v_lshlrev_b32_e32 v8, 8, v8
	v_cndmask_b32_e64 v19, v25, v53, s[0:1]
	v_lshl_add_u32 v19, v19, 10, v33
	v_and_b32_e32 v25, 7, v54
	v_and_or_b32 v8, v8, s29, v19
	v_cndmask_b32_e64 v18, v18, v25, s[0:1]
	v_lshlrev_b32_e32 v8, 16, v8
	v_lshl_or_b32 v18, v18, 23, v8
.LBB265_574:                            ;   in Loop: Header=BB265_328 Depth=1
	s_or_b64 exec, exec, s[22:23]
.LBB265_575:                            ;   in Loop: Header=BB265_328 Depth=1
	s_or_b64 exec, exec, s[14:15]
.LBB265_576:                            ;   in Loop: Header=BB265_328 Depth=1
	s_or_b64 exec, exec, s[12:13]
	v_cvt_f32_f16_sdwa v55, v1 dst_sel:DWORD dst_unused:UNUSED_PAD src0_sel:WORD_1
	v_cvt_f32_f16_sdwa v54, v21 dst_sel:DWORD dst_unused:UNUSED_PAD src0_sel:WORD_1
	v_or_b32_e32 v1, v1, v17
	v_or_b32_e32 v8, v21, v20
	;; [unrolled: 1-line block ×3, first 2 shown]
	s_waitcnt vmcnt(0)
	v_pk_mul_f32 v[20:21], v[16:17], v[54:55] op_sel_hi:[0,1]
	v_cvt_f32_f16_e32 v54, v8
	v_cvt_f32_f16_e32 v55, v1
	v_cvt_pk_f16_f32 v1, v20, v21
	v_and_b32_e32 v17, 0xffff0000, v1
	v_lshlrev_b32_e32 v8, 16, v1
	v_pk_mul_f32 v[20:21], v[16:17], v[54:55] op_sel_hi:[0,1]
	v_cvt_pk_f16_f32 v1, v20, v21
	v_or_b32_e32 v21, v24, v23
	v_cvt_f32_f16_e32 v22, v22
	v_cvt_f32_f16_e32 v23, v21
	v_cvt_f32_f16_sdwa v25, v24 dst_sel:DWORD dst_unused:UNUSED_PAD src0_sel:WORD_1
	v_cvt_f32_f16_sdwa v24, v18 dst_sel:DWORD dst_unused:UNUSED_PAD src0_sel:WORD_1
	v_lshrrev_b32_e32 v19, 16, v1
	v_pk_mul_f32 v[22:23], v[16:17], v[22:23] op_sel_hi:[0,1]
	v_cvt_pk_f16_f32 v53, v22, v23
	v_pk_mul_f32 v[22:23], v[16:17], v[24:25] op_sel_hi:[0,1]
	v_cvt_pk_f16_f32 v16, v22, v23
	v_and_b32_e32 v20, 0xffff, v1
	v_and_b32_e32 v21, 0xffff0000, v16
	v_lshlrev_b32_e32 v16, 16, v16
	v_lshrrev_b32_e32 v23, 16, v53
	v_and_b32_e32 v22, 0xffff, v53
	v_or_b32_e32 v1, v17, v19
	v_or_b32_e32 v18, v8, v20
	;; [unrolled: 1-line block ×4, first 2 shown]
	s_and_saveexec_b64 s[12:13], vcc
	s_cbranch_execz .LBB265_578
; %bb.577:                              ;   in Loop: Header=BB265_328 Depth=1
	v_cmp_gt_i32_e64 s[0:1], s27, v31
	s_nop 1
	v_cndmask_b32_e64 v1, 0, v19, s[0:1]
	v_cmp_gt_i32_e64 s[0:1], s33, v40
	s_nop 1
	v_cndmask_b32_e64 v18, 0, v20, s[0:1]
	;; [unrolled: 3-line block ×3, first 2 shown]
	v_cmp_gt_i32_e64 s[0:1], s33, v38
	v_or_b32_e32 v1, v17, v1
	s_nop 0
	v_cndmask_b32_e64 v8, 0, v8, s[0:1]
	v_cmp_gt_i32_e64 s[0:1], s27, v37
	v_or_b32_e32 v18, v8, v18
	s_nop 0
	v_cndmask_b32_e64 v8, 0, v23, s[0:1]
	v_cmp_gt_i32_e64 s[0:1], s33, v36
	s_nop 1
	v_cndmask_b32_e64 v17, 0, v22, s[0:1]
	v_cmp_gt_i32_e64 s[0:1], s27, v35
	;; [unrolled: 3-line block ×3, first 2 shown]
	v_or_b32_e32 v25, v19, v8
	s_nop 0
	v_cndmask_b32_e64 v16, 0, v16, s[0:1]
	v_or_b32_e32 v24, v16, v17
.LBB265_578:                            ;   in Loop: Header=BB265_328 Depth=1
	s_or_b64 exec, exec, s[12:13]
	;;#ASMSTART
	v_pk_mul_f16 v1, v44, v1;

	;;#ASMEND
	;;#ASMSTART
	v_pk_mul_f16 v8, v43, v18;

	;;#ASMEND
	;; [unrolled: 4-line block ×4, first 2 shown]
	s_nop 0
	;;#ASMSTART
	v_pk_add_f16 v1, v1, v8;

	;;#ASMEND
	s_nop 0
	;;#ASMSTART
	v_pk_add_f16 v1, v1, v16;

	;;#ASMEND
	;; [unrolled: 5-line block ×3, first 2 shown]
	s_nop 0
	v_lshrrev_b32_e32 v8, 16, v1
	v_and_b32_e32 v1, 0xffff, v1
	;;#ASMSTART
	v_cvt_f32_f16 v24, v1;
	;;#ASMEND
	;;#ASMSTART
	v_cvt_f32_f16 v25, v8;
	;;#ASMEND
	global_load_dwordx2 v[16:17], v[14:15], off offset:2560
	v_mov_b32_e32 v1, 0
	global_load_dword v14, v1, s[10:11]
	v_mov_b32_e32 v15, 0
	s_waitcnt vmcnt(1)
	v_cmp_ne_u16_sdwa s[0:1], v16, v9 src0_sel:BYTE_0 src1_sel:DWORD
	s_and_saveexec_b64 s[12:13], s[0:1]
	s_cbranch_execz .LBB265_584
; %bb.579:                              ;   in Loop: Header=BB265_328 Depth=1
	v_cmp_ne_u16_sdwa s[0:1], v16, s24 src0_sel:BYTE_0 src1_sel:DWORD
	v_mov_b32_e32 v15, 0x8000
	s_and_saveexec_b64 s[14:15], s[0:1]
	s_cbranch_execz .LBB265_583
; %bb.580:                              ;   in Loop: Header=BB265_328 Depth=1
	v_and_b32_e32 v8, 0x7f, v16
	v_cmp_ne_u32_e64 s[0:1], s25, v8
	v_mov_b32_e32 v15, 0x7c01
	s_and_saveexec_b64 s[22:23], s[0:1]
	s_cbranch_execz .LBB265_582
; %bb.581:                              ;   in Loop: Header=BB265_328 Depth=1
	v_and_b32_e32 v15, 7, v16
	v_ffbh_u32_e32 v18, v15
	v_min_u32_e32 v21, 32, v18
	v_subrev_u32_e32 v18, 28, v21
	v_lshlrev_b64 v[18:19], v18, v[16:17]
	v_lshrrev_b32_e32 v20, 3, v8
	v_sub_u32_e32 v19, 29, v21
	v_cmp_gt_u32_e64 s[0:1], 8, v8
	v_and_b32_e32 v18, 7, v18
	s_nop 0
	v_cndmask_b32_e64 v8, v20, v19, s[0:1]
	v_lshl_add_u32 v8, v8, 10, v33
	v_lshlrev_b32_e32 v19, 8, v16
	v_and_b32_e32 v8, 0xfc00, v8
	v_cndmask_b32_e64 v15, v15, v18, s[0:1]
	v_and_or_b32 v8, v19, s29, v8
	v_lshl_or_b32 v15, v15, 7, v8
.LBB265_582:                            ;   in Loop: Header=BB265_328 Depth=1
	s_or_b64 exec, exec, s[22:23]
.LBB265_583:                            ;   in Loop: Header=BB265_328 Depth=1
	s_or_b64 exec, exec, s[14:15]
.LBB265_584:                            ;   in Loop: Header=BB265_328 Depth=1
	s_or_b64 exec, exec, s[12:13]
	v_lshrrev_b16_e32 v8, 8, v16
	v_cmp_ne_u16_e64 s[0:1], 0, v8
	s_and_saveexec_b64 s[12:13], s[0:1]
	s_cbranch_execz .LBB265_590
; %bb.585:                              ;   in Loop: Header=BB265_328 Depth=1
	v_cmp_ne_u16_e64 s[0:1], s24, v8
	v_bfrev_b32_e32 v1, 1
	s_and_saveexec_b64 s[14:15], s[0:1]
	s_cbranch_execz .LBB265_589
; %bb.586:                              ;   in Loop: Header=BB265_328 Depth=1
	v_and_b32_e32 v18, 0x7f, v8
	v_cmp_ne_u32_e64 s[0:1], s25, v18
	v_mov_b32_e32 v1, 0x7c010000
	s_and_saveexec_b64 s[22:23], s[0:1]
	s_cbranch_execz .LBB265_588
; %bb.587:                              ;   in Loop: Header=BB265_328 Depth=1
	v_and_b32_e32 v1, 7, v8
	v_ffbh_u32_e32 v20, v1
	v_min_u32_e32 v22, 32, v20
	v_subrev_u32_e32 v20, 28, v22
	v_lshlrev_b64 v[20:21], v20, v[8:9]
	v_lshrrev_b32_e32 v19, 3, v18
	v_sub_u32_e32 v21, 29, v22
	v_cmp_gt_u32_e64 s[0:1], 8, v18
	v_lshlrev_b32_e32 v8, 8, v8
	s_nop 0
	v_cndmask_b32_e64 v18, v19, v21, s[0:1]
	v_lshl_add_u32 v18, v18, 10, v33
	v_and_b32_e32 v19, 7, v20
	v_and_or_b32 v8, v8, s29, v18
	v_cndmask_b32_e64 v1, v1, v19, s[0:1]
	v_lshlrev_b32_e32 v8, 16, v8
	v_lshl_or_b32 v1, v1, 23, v8
.LBB265_588:                            ;   in Loop: Header=BB265_328 Depth=1
	s_or_b64 exec, exec, s[22:23]
.LBB265_589:                            ;   in Loop: Header=BB265_328 Depth=1
	s_or_b64 exec, exec, s[14:15]
.LBB265_590:                            ;   in Loop: Header=BB265_328 Depth=1
	s_or_b64 exec, exec, s[12:13]
	v_lshrrev_b32_e32 v8, 16, v16
	v_cmp_ne_u16_sdwa s[0:1], v8, v9 src0_sel:BYTE_0 src1_sel:DWORD
	v_mov_b32_e32 v19, 0
	v_mov_b32_e32 v18, 0
	s_and_saveexec_b64 s[12:13], s[0:1]
	s_cbranch_execz .LBB265_596
; %bb.591:                              ;   in Loop: Header=BB265_328 Depth=1
	v_cmp_ne_u16_sdwa s[0:1], v8, s24 src0_sel:BYTE_0 src1_sel:DWORD
	v_mov_b32_e32 v18, 0x8000
	s_and_saveexec_b64 s[14:15], s[0:1]
	s_cbranch_execz .LBB265_595
; %bb.592:                              ;   in Loop: Header=BB265_328 Depth=1
	v_bfe_u32 v20, v16, 16, 7
	v_cmp_ne_u32_e64 s[0:1], s25, v20
	v_mov_b32_e32 v18, 0x7c01
	s_and_saveexec_b64 s[22:23], s[0:1]
	s_cbranch_execz .LBB265_594
; %bb.593:                              ;   in Loop: Header=BB265_328 Depth=1
	v_and_b32_e32 v18, 7, v8
	v_ffbh_u32_e32 v22, v18
	v_min_u32_e32 v53, 32, v22
	v_subrev_u32_e32 v22, 28, v53
	v_lshlrev_b64 v[22:23], v22, v[8:9]
	v_lshrrev_b32_e32 v21, 3, v20
	v_sub_u32_e32 v23, 29, v53
	v_cmp_gt_u32_e64 s[0:1], 8, v20
	v_lshlrev_b32_e32 v8, 8, v8
	s_nop 0
	v_cndmask_b32_e64 v20, v21, v23, s[0:1]
	v_lshl_add_u32 v20, v20, 10, v33
	v_and_b32_e32 v21, 7, v22
	v_and_b32_e32 v20, 0xfc00, v20
	v_cndmask_b32_e64 v18, v18, v21, s[0:1]
	v_and_or_b32 v8, v8, s29, v20
	v_lshl_or_b32 v18, v18, 7, v8
.LBB265_594:                            ;   in Loop: Header=BB265_328 Depth=1
	s_or_b64 exec, exec, s[22:23]
.LBB265_595:                            ;   in Loop: Header=BB265_328 Depth=1
	s_or_b64 exec, exec, s[14:15]
.LBB265_596:                            ;   in Loop: Header=BB265_328 Depth=1
	s_or_b64 exec, exec, s[12:13]
	v_cmp_lt_u32_e64 s[0:1], s7, v16
	s_and_saveexec_b64 s[12:13], s[0:1]
	s_cbranch_execz .LBB265_602
; %bb.597:                              ;   in Loop: Header=BB265_328 Depth=1
	v_lshrrev_b32_e32 v8, 24, v16
	v_cmp_ne_u32_e64 s[0:1], s24, v8
	v_bfrev_b32_e32 v19, 1
	s_and_saveexec_b64 s[14:15], s[0:1]
	s_cbranch_execz .LBB265_601
; %bb.598:                              ;   in Loop: Header=BB265_328 Depth=1
	v_and_b32_e32 v20, 0x7f, v8
	v_cmp_ne_u32_e64 s[0:1], s25, v20
	v_mov_b32_e32 v19, 0x7c010000
	s_and_saveexec_b64 s[22:23], s[0:1]
	s_cbranch_execz .LBB265_600
; %bb.599:                              ;   in Loop: Header=BB265_328 Depth=1
	v_and_b32_e32 v19, 7, v8
	v_ffbh_u32_e32 v22, v19
	v_min_u32_e32 v53, 32, v22
	v_subrev_u32_e32 v22, 28, v53
	v_lshlrev_b64 v[22:23], v22, v[8:9]
	v_lshrrev_b32_e32 v21, 3, v20
	v_sub_u32_e32 v23, 29, v53
	v_cmp_gt_u32_e64 s[0:1], 8, v20
	v_lshlrev_b32_e32 v8, 8, v8
	s_nop 0
	v_cndmask_b32_e64 v20, v21, v23, s[0:1]
	v_lshl_add_u32 v20, v20, 10, v33
	v_and_b32_e32 v21, 7, v22
	v_and_or_b32 v8, v8, s29, v20
	v_cndmask_b32_e64 v19, v19, v21, s[0:1]
	v_lshlrev_b32_e32 v8, 16, v8
	v_lshl_or_b32 v19, v19, 23, v8
.LBB265_600:                            ;   in Loop: Header=BB265_328 Depth=1
	s_or_b64 exec, exec, s[22:23]
.LBB265_601:                            ;   in Loop: Header=BB265_328 Depth=1
	s_or_b64 exec, exec, s[14:15]
.LBB265_602:                            ;   in Loop: Header=BB265_328 Depth=1
	s_or_b64 exec, exec, s[12:13]
	v_mov_b32_e32 v8, v17
	v_cmp_ne_u16_sdwa s[0:1], v17, v9 src0_sel:BYTE_0 src1_sel:DWORD
	v_mov_b32_e32 v20, 0
	v_mov_b32_e32 v21, 0
	s_and_saveexec_b64 s[12:13], s[0:1]
	s_cbranch_execz .LBB265_608
; %bb.603:                              ;   in Loop: Header=BB265_328 Depth=1
	v_cmp_ne_u16_sdwa s[0:1], v17, s24 src0_sel:BYTE_0 src1_sel:DWORD
	v_mov_b32_e32 v21, 0x8000
	s_and_saveexec_b64 s[14:15], s[0:1]
	s_cbranch_execz .LBB265_607
; %bb.604:                              ;   in Loop: Header=BB265_328 Depth=1
	v_and_b32_e32 v22, 0x7f, v17
	v_cmp_ne_u32_e64 s[0:1], s25, v22
	v_mov_b32_e32 v21, 0x7c01
	s_and_saveexec_b64 s[22:23], s[0:1]
	s_cbranch_execz .LBB265_606
; %bb.605:                              ;   in Loop: Header=BB265_328 Depth=1
	v_and_b32_e32 v21, 7, v17
	v_ffbh_u32_e32 v53, v21
	v_min_u32_e32 v53, 32, v53
	v_lshrrev_b32_e32 v23, 3, v22
	v_subrev_u32_e32 v54, 28, v53
	v_sub_u32_e32 v53, 29, v53
	v_cmp_gt_u32_e64 s[0:1], 8, v22
	v_lshlrev_b64 v[54:55], v54, v[8:9]
	s_nop 0
	v_cndmask_b32_e64 v22, v23, v53, s[0:1]
	v_lshl_add_u32 v22, v22, 10, v33
	v_lshlrev_b32_e32 v23, 8, v17
	v_and_b32_e32 v53, 7, v54
	v_and_b32_e32 v22, 0xfc00, v22
	v_cndmask_b32_e64 v21, v21, v53, s[0:1]
	v_and_or_b32 v22, v23, s29, v22
	v_lshl_or_b32 v21, v21, 7, v22
.LBB265_606:                            ;   in Loop: Header=BB265_328 Depth=1
	s_or_b64 exec, exec, s[22:23]
.LBB265_607:                            ;   in Loop: Header=BB265_328 Depth=1
	s_or_b64 exec, exec, s[14:15]
.LBB265_608:                            ;   in Loop: Header=BB265_328 Depth=1
	s_or_b64 exec, exec, s[12:13]
	v_lshrrev_b16_e32 v8, 8, v8
	v_cmp_ne_u16_e64 s[0:1], 0, v8
	v_mov_b32_e32 v22, 0
	s_and_saveexec_b64 s[12:13], s[0:1]
	s_cbranch_execz .LBB265_614
; %bb.609:                              ;   in Loop: Header=BB265_328 Depth=1
	v_cmp_ne_u16_e64 s[0:1], s24, v8
	v_bfrev_b32_e32 v22, 1
	s_and_saveexec_b64 s[14:15], s[0:1]
	s_cbranch_execz .LBB265_613
; %bb.610:                              ;   in Loop: Header=BB265_328 Depth=1
	v_and_b32_e32 v23, 0x7f, v8
	v_cmp_ne_u32_e64 s[0:1], s25, v23
	v_mov_b32_e32 v22, 0x7c010000
	s_and_saveexec_b64 s[22:23], s[0:1]
	s_cbranch_execz .LBB265_612
; %bb.611:                              ;   in Loop: Header=BB265_328 Depth=1
	v_and_b32_e32 v22, 7, v8
	v_ffbh_u32_e32 v54, v22
	v_min_u32_e32 v56, 32, v54
	v_subrev_u32_e32 v54, 28, v56
	v_lshlrev_b64 v[54:55], v54, v[8:9]
	v_lshrrev_b32_e32 v53, 3, v23
	v_sub_u32_e32 v55, 29, v56
	v_cmp_gt_u32_e64 s[0:1], 8, v23
	v_lshlrev_b32_e32 v8, 8, v8
	s_nop 0
	v_cndmask_b32_e64 v23, v53, v55, s[0:1]
	v_lshl_add_u32 v23, v23, 10, v33
	v_and_b32_e32 v53, 7, v54
	v_and_or_b32 v8, v8, s29, v23
	v_cndmask_b32_e64 v22, v22, v53, s[0:1]
	v_lshlrev_b32_e32 v8, 16, v8
	v_lshl_or_b32 v22, v22, 23, v8
.LBB265_612:                            ;   in Loop: Header=BB265_328 Depth=1
	s_or_b64 exec, exec, s[22:23]
.LBB265_613:                            ;   in Loop: Header=BB265_328 Depth=1
	s_or_b64 exec, exec, s[14:15]
.LBB265_614:                            ;   in Loop: Header=BB265_328 Depth=1
	s_or_b64 exec, exec, s[12:13]
	v_lshrrev_b32_e32 v8, 16, v17
	v_cmp_ne_u16_sdwa s[0:1], v8, v9 src0_sel:BYTE_0 src1_sel:DWORD
	s_and_saveexec_b64 s[12:13], s[0:1]
	s_cbranch_execz .LBB265_620
; %bb.615:                              ;   in Loop: Header=BB265_328 Depth=1
	v_cmp_ne_u16_sdwa s[0:1], v8, s24 src0_sel:BYTE_0 src1_sel:DWORD
	v_mov_b32_e32 v20, 0x8000
	s_and_saveexec_b64 s[14:15], s[0:1]
	s_cbranch_execz .LBB265_619
; %bb.616:                              ;   in Loop: Header=BB265_328 Depth=1
	v_bfe_u32 v23, v17, 16, 7
	v_cmp_ne_u32_e64 s[0:1], s25, v23
	v_mov_b32_e32 v20, 0x7c01
	s_and_saveexec_b64 s[22:23], s[0:1]
	s_cbranch_execz .LBB265_618
; %bb.617:                              ;   in Loop: Header=BB265_328 Depth=1
	v_and_b32_e32 v20, 7, v8
	v_ffbh_u32_e32 v54, v20
	v_min_u32_e32 v56, 32, v54
	v_subrev_u32_e32 v54, 28, v56
	v_lshlrev_b64 v[54:55], v54, v[8:9]
	v_lshrrev_b32_e32 v53, 3, v23
	v_sub_u32_e32 v55, 29, v56
	v_cmp_gt_u32_e64 s[0:1], 8, v23
	v_lshlrev_b32_e32 v8, 8, v8
	s_nop 0
	v_cndmask_b32_e64 v23, v53, v55, s[0:1]
	v_lshl_add_u32 v23, v23, 10, v33
	v_and_b32_e32 v53, 7, v54
	v_and_b32_e32 v23, 0xfc00, v23
	v_cndmask_b32_e64 v20, v20, v53, s[0:1]
	v_and_or_b32 v8, v8, s29, v23
	v_lshl_or_b32 v20, v20, 7, v8
.LBB265_618:                            ;   in Loop: Header=BB265_328 Depth=1
	s_or_b64 exec, exec, s[22:23]
.LBB265_619:                            ;   in Loop: Header=BB265_328 Depth=1
	s_or_b64 exec, exec, s[14:15]
.LBB265_620:                            ;   in Loop: Header=BB265_328 Depth=1
	s_or_b64 exec, exec, s[12:13]
	v_cmp_lt_u64_e64 s[0:1], s[6:7], v[16:17]
	v_mov_b32_e32 v23, 0
	s_and_saveexec_b64 s[12:13], s[0:1]
	s_cbranch_execz .LBB265_626
; %bb.621:                              ;   in Loop: Header=BB265_328 Depth=1
	v_lshrrev_b32_e32 v8, 24, v17
	v_cmp_ne_u32_e64 s[0:1], s24, v8
	v_bfrev_b32_e32 v23, 1
	s_and_saveexec_b64 s[14:15], s[0:1]
	s_cbranch_execz .LBB265_625
; %bb.622:                              ;   in Loop: Header=BB265_328 Depth=1
	v_and_b32_e32 v16, 0x7f, v8
	v_cmp_ne_u32_e64 s[0:1], s25, v16
	v_mov_b32_e32 v23, 0x7c010000
	s_and_saveexec_b64 s[22:23], s[0:1]
	s_cbranch_execz .LBB265_624
; %bb.623:                              ;   in Loop: Header=BB265_328 Depth=1
	v_and_b32_e32 v17, 7, v8
	v_ffbh_u32_e32 v53, v17
	v_min_u32_e32 v53, 32, v53
	v_lshrrev_b32_e32 v23, 3, v16
	v_subrev_u32_e32 v54, 28, v53
	v_sub_u32_e32 v53, 29, v53
	v_cmp_gt_u32_e64 s[0:1], 8, v16
	v_lshlrev_b64 v[54:55], v54, v[8:9]
	v_lshlrev_b32_e32 v8, 8, v8
	v_cndmask_b32_e64 v16, v23, v53, s[0:1]
	v_lshl_add_u32 v16, v16, 10, v33
	v_and_b32_e32 v23, 7, v54
	v_and_or_b32 v8, v8, s29, v16
	v_cndmask_b32_e64 v17, v17, v23, s[0:1]
	v_lshlrev_b32_e32 v8, 16, v8
	v_lshl_or_b32 v23, v17, 23, v8
.LBB265_624:                            ;   in Loop: Header=BB265_328 Depth=1
	s_or_b64 exec, exec, s[22:23]
.LBB265_625:                            ;   in Loop: Header=BB265_328 Depth=1
	s_or_b64 exec, exec, s[14:15]
.LBB265_626:                            ;   in Loop: Header=BB265_328 Depth=1
	s_or_b64 exec, exec, s[12:13]
	v_cvt_f32_f16_sdwa v17, v1 dst_sel:DWORD dst_unused:UNUSED_PAD src0_sel:WORD_1
	v_cvt_f32_f16_sdwa v16, v19 dst_sel:DWORD dst_unused:UNUSED_PAD src0_sel:WORD_1
	v_or_b32_e32 v1, v1, v15
	v_or_b32_e32 v8, v19, v18
	v_cvt_f32_f16_e32 v18, v8
	v_cvt_f32_f16_e32 v19, v1
	s_waitcnt vmcnt(0)
	v_pk_mul_f32 v[16:17], v[14:15], v[16:17] op_sel_hi:[0,1]
	v_cvt_pk_f16_f32 v1, v16, v17
	v_and_b32_e32 v15, 0xffff0000, v1
	v_pk_mul_f32 v[18:19], v[14:15], v[18:19] op_sel_hi:[0,1]
	v_lshlrev_b32_e32 v16, 16, v1
	v_cvt_pk_f16_f32 v1, v18, v19
	v_or_b32_e32 v8, v22, v21
	v_or_b32_e32 v19, v23, v20
	v_cvt_f32_f16_e32 v20, v19
	v_cvt_f32_f16_e32 v21, v8
	v_cvt_f32_f16_sdwa v55, v22 dst_sel:DWORD dst_unused:UNUSED_PAD src0_sel:WORD_1
	v_cvt_f32_f16_sdwa v54, v23 dst_sel:DWORD dst_unused:UNUSED_PAD src0_sel:WORD_1
	v_lshrrev_b32_e32 v17, 16, v1
	v_pk_mul_f32 v[20:21], v[14:15], v[20:21] op_sel_hi:[0,1]
	v_cvt_pk_f16_f32 v22, v20, v21
	v_pk_mul_f32 v[20:21], v[14:15], v[54:55] op_sel_hi:[0,1]
	v_cvt_pk_f16_f32 v14, v20, v21
	v_and_b32_e32 v18, 0xffff, v1
	v_and_b32_e32 v19, 0xffff0000, v14
	v_lshlrev_b32_e32 v14, 16, v14
	v_lshrrev_b32_e32 v23, 16, v22
	v_and_b32_e32 v22, 0xffff, v22
	v_or_b32_e32 v1, v15, v17
	v_or_b32_e32 v8, v16, v18
	;; [unrolled: 1-line block ×4, first 2 shown]
	s_and_saveexec_b64 s[0:1], vcc
	s_cbranch_execz .LBB265_327
; %bb.627:                              ;   in Loop: Header=BB265_328 Depth=1
	v_cmp_gt_i32_e32 vcc, s27, v31
	s_nop 1
	v_cndmask_b32_e32 v1, 0, v17, vcc
	v_cmp_gt_i32_e32 vcc, s33, v40
	s_nop 1
	v_cndmask_b32_e32 v8, 0, v18, vcc
	;; [unrolled: 3-line block ×3, first 2 shown]
	v_cmp_gt_i32_e32 vcc, s33, v38
	v_or_b32_e32 v1, v15, v1
	s_nop 0
	v_cndmask_b32_e32 v16, 0, v16, vcc
	v_cmp_gt_i32_e32 vcc, s27, v37
	v_or_b32_e32 v8, v16, v8
	s_nop 0
	v_cndmask_b32_e32 v15, 0, v23, vcc
	v_cmp_gt_i32_e32 vcc, s33, v36
	s_nop 1
	v_cndmask_b32_e32 v16, 0, v22, vcc
	v_cmp_gt_i32_e32 vcc, s27, v35
	;; [unrolled: 3-line block ×3, first 2 shown]
	v_or_b32_e32 v21, v17, v15
	s_nop 0
	v_cndmask_b32_e32 v14, 0, v14, vcc
	v_or_b32_e32 v20, v14, v16
	s_branch .LBB265_327
.LBB265_628:
	s_or_b64 exec, exec, s[8:9]
.LBB265_629:
	s_or_b64 exec, exec, s[2:3]
	ds_bpermute_b32 v8, v28, v6
	ds_bpermute_b32 v9, v28, v7
	;; [unrolled: 1-line block ×6, first 2 shown]
	s_waitcnt lgkmcnt(4)
	v_pk_add_f32 v[6:7], v[6:7], v[8:9]
	ds_bpermute_b32 v8, v29, v6
	ds_bpermute_b32 v9, v29, v7
	s_waitcnt lgkmcnt(4)
	v_pk_add_f32 v[4:5], v[4:5], v[10:11]
	ds_bpermute_b32 v10, v29, v4
	ds_bpermute_b32 v11, v29, v5
	s_waitcnt lgkmcnt(4)
	v_pk_add_f32 v[2:3], v[2:3], v[12:13]
	s_waitcnt lgkmcnt(2)
	v_pk_add_f32 v[6:7], v[6:7], v[8:9]
	ds_bpermute_b32 v8, v29, v2
	ds_bpermute_b32 v9, v29, v3
	v_and_b32_e32 v1, 0x3c3, v0
	s_waitcnt lgkmcnt(2)
	v_pk_add_f32 v[4:5], v[4:5], v[10:11]
	v_cmp_ne_u32_e32 vcc, 64, v1
	s_waitcnt lgkmcnt(0)
	s_barrier
	s_and_saveexec_b64 s[0:1], vcc
	s_xor_b64 s[0:1], exec, s[0:1]
; %bb.630:
                                        ; implicit-def: $vgpr27
; %bb.631:
	s_or_saveexec_b64 s[0:1], s[0:1]
	v_pk_add_f32 v[2:3], v[2:3], v[8:9]
	s_xor_b64 exec, exec, s[0:1]
	s_cbranch_execz .LBB265_633
; %bb.632:
	v_add_u32_e32 v8, 0xd0, v27
	ds_write2_b32 v8, v6, v7 offset1:16
	ds_write2_b32 v8, v4, v5 offset0:32 offset1:48
	ds_write2_b32 v8, v2, v3 offset0:64 offset1:80
.LBB265_633:
	s_or_b64 exec, exec, s[0:1]
	v_cmp_gt_u32_e32 vcc, 64, v0
	v_lshrrev_b32_e32 v0, 2, v0
	s_waitcnt lgkmcnt(0)
	s_barrier
	s_and_saveexec_b64 s[0:1], vcc
	s_cbranch_execz .LBB265_642
; %bb.634:
	v_mov_b32_e32 v8, 0xd0
	v_cmp_eq_u32_e32 vcc, 0, v30
	v_lshl_add_u32 v8, v0, 2, v8
	s_and_saveexec_b64 s[2:3], vcc
	s_cbranch_execnz .LBB265_645
; %bb.635:
	s_or_b64 exec, exec, s[2:3]
	s_and_saveexec_b64 s[2:3], vcc
	s_cbranch_execnz .LBB265_646
.LBB265_636:
	s_or_b64 exec, exec, s[2:3]
	s_and_saveexec_b64 s[2:3], vcc
	s_cbranch_execnz .LBB265_647
.LBB265_637:
	s_or_b64 exec, exec, s[2:3]
	s_and_saveexec_b64 s[2:3], vcc
	s_cbranch_execnz .LBB265_648
.LBB265_638:
	s_or_b64 exec, exec, s[2:3]
	s_and_saveexec_b64 s[2:3], vcc
	s_cbranch_execnz .LBB265_649
.LBB265_639:
	s_or_b64 exec, exec, s[2:3]
	s_and_saveexec_b64 s[2:3], vcc
	s_cbranch_execz .LBB265_641
.LBB265_640:
	ds_read_b32 v8, v8 offset:320
	s_waitcnt lgkmcnt(0)
	v_add_f32_e32 v3, v3, v8
.LBB265_641:
	s_or_b64 exec, exec, s[2:3]
.LBB265_642:
	s_or_b64 exec, exec, s[0:1]
	v_cmp_eq_u32_e32 vcc, 0, v1
	s_barrier
	s_and_saveexec_b64 s[0:1], vcc
	s_cbranch_execz .LBB265_644
; %bb.643:
	s_mul_i32 s0, s16, s17
	s_mul_i32 s0, s0, s5
	s_mulk_i32 s0, 0x60
	s_ashr_i32 s1, s0, 31
	s_lshl_b64 s[0:1], s[0:1], 1
	s_add_u32 s2, s20, s0
	s_mul_i32 s0, s17, s18
	s_addc_u32 s3, s21, s1
	s_ashr_i32 s1, s0, 31
	s_lshl_b64 s[0:1], s[0:1], 1
	s_add_u32 s2, s2, s0
	s_mul_i32 s0, s4, 0x60
	s_addc_u32 s3, s3, s1
	s_ashr_i32 s1, s0, 31
	s_lshl_b64 s[0:1], s[0:1], 1
	s_add_u32 s0, s2, s0
	s_addc_u32 s1, s3, s1
	v_lshlrev_b32_e32 v0, 1, v0
	;;#ASMSTART
	v_cvt_f16_f32 v1, v6;

	;;#ASMEND
	global_store_short v0, v1, s[0:1]
	;;#ASMSTART
	v_cvt_f16_f32 v1, v7;

	;;#ASMEND
	global_store_short v0, v1, s[0:1] offset:32
	;;#ASMSTART
	v_cvt_f16_f32 v1, v4;

	;;#ASMEND
	global_store_short v0, v1, s[0:1] offset:64
	;; [unrolled: 5-line block ×5, first 2 shown]
.LBB265_644:
	s_endpgm
.LBB265_645:
	ds_read_b32 v9, v8
	s_waitcnt lgkmcnt(0)
	v_add_f32_e32 v6, v6, v9
	s_or_b64 exec, exec, s[2:3]
	s_and_saveexec_b64 s[2:3], vcc
	s_cbranch_execz .LBB265_636
.LBB265_646:
	ds_read_b32 v9, v8 offset:64
	s_waitcnt lgkmcnt(0)
	v_add_f32_e32 v7, v7, v9
	s_or_b64 exec, exec, s[2:3]
	s_and_saveexec_b64 s[2:3], vcc
	s_cbranch_execz .LBB265_637
.LBB265_647:
	ds_read_b32 v9, v8 offset:128
	s_waitcnt lgkmcnt(0)
	v_add_f32_e32 v4, v4, v9
	s_or_b64 exec, exec, s[2:3]
	s_and_saveexec_b64 s[2:3], vcc
	s_cbranch_execz .LBB265_638
.LBB265_648:
	ds_read_b32 v9, v8 offset:192
	s_waitcnt lgkmcnt(0)
	v_add_f32_e32 v5, v5, v9
	s_or_b64 exec, exec, s[2:3]
	s_and_saveexec_b64 s[2:3], vcc
	s_cbranch_execz .LBB265_639
.LBB265_649:
	ds_read_b32 v9, v8 offset:256
	s_waitcnt lgkmcnt(0)
	v_add_f32_e32 v2, v2, v9
	s_or_b64 exec, exec, s[2:3]
	s_and_saveexec_b64 s[2:3], vcc
	s_cbranch_execnz .LBB265_640
	s_branch .LBB265_641
	.section	.rodata,"a",@progbits
	.p2align	6, 0x0
	.amdhsa_kernel _ZN4vllm25paged_attention_v1_kernelIthLi96ELi32ELi128ELNS_18Fp8KVCacheDataTypeE1ELb0EEEvPT_PKS2_PKT0_S8_ifPKiSA_iPKfiiiSC_SC_iiiii
		.amdhsa_group_segment_fixed_size 208
		.amdhsa_private_segment_fixed_size 0
		.amdhsa_kernarg_size 384
		.amdhsa_user_sgpr_count 2
		.amdhsa_user_sgpr_dispatch_ptr 0
		.amdhsa_user_sgpr_queue_ptr 0
		.amdhsa_user_sgpr_kernarg_segment_ptr 1
		.amdhsa_user_sgpr_dispatch_id 0
		.amdhsa_user_sgpr_kernarg_preload_length 0
		.amdhsa_user_sgpr_kernarg_preload_offset 0
		.amdhsa_user_sgpr_private_segment_size 0
		.amdhsa_uses_dynamic_stack 0
		.amdhsa_enable_private_segment 0
		.amdhsa_system_sgpr_workgroup_id_x 1
		.amdhsa_system_sgpr_workgroup_id_y 1
		.amdhsa_system_sgpr_workgroup_id_z 1
		.amdhsa_system_sgpr_workgroup_info 0
		.amdhsa_system_vgpr_workitem_id 0
		.amdhsa_next_free_vgpr 76
		.amdhsa_next_free_sgpr 46
		.amdhsa_accum_offset 76
		.amdhsa_reserve_vcc 1
		.amdhsa_float_round_mode_32 0
		.amdhsa_float_round_mode_16_64 0
		.amdhsa_float_denorm_mode_32 3
		.amdhsa_float_denorm_mode_16_64 3
		.amdhsa_dx10_clamp 1
		.amdhsa_ieee_mode 1
		.amdhsa_fp16_overflow 0
		.amdhsa_tg_split 0
		.amdhsa_exception_fp_ieee_invalid_op 0
		.amdhsa_exception_fp_denorm_src 0
		.amdhsa_exception_fp_ieee_div_zero 0
		.amdhsa_exception_fp_ieee_overflow 0
		.amdhsa_exception_fp_ieee_underflow 0
		.amdhsa_exception_fp_ieee_inexact 0
		.amdhsa_exception_int_div_zero 0
	.end_amdhsa_kernel
	.section	.text._ZN4vllm25paged_attention_v1_kernelIthLi96ELi32ELi128ELNS_18Fp8KVCacheDataTypeE1ELb0EEEvPT_PKS2_PKT0_S8_ifPKiSA_iPKfiiiSC_SC_iiiii,"axG",@progbits,_ZN4vllm25paged_attention_v1_kernelIthLi96ELi32ELi128ELNS_18Fp8KVCacheDataTypeE1ELb0EEEvPT_PKS2_PKT0_S8_ifPKiSA_iPKfiiiSC_SC_iiiii,comdat
.Lfunc_end265:
	.size	_ZN4vllm25paged_attention_v1_kernelIthLi96ELi32ELi128ELNS_18Fp8KVCacheDataTypeE1ELb0EEEvPT_PKS2_PKT0_S8_ifPKiSA_iPKfiiiSC_SC_iiiii, .Lfunc_end265-_ZN4vllm25paged_attention_v1_kernelIthLi96ELi32ELi128ELNS_18Fp8KVCacheDataTypeE1ELb0EEEvPT_PKS2_PKT0_S8_ifPKiSA_iPKfiiiSC_SC_iiiii
                                        ; -- End function
	.set _ZN4vllm25paged_attention_v1_kernelIthLi96ELi32ELi128ELNS_18Fp8KVCacheDataTypeE1ELb0EEEvPT_PKS2_PKT0_S8_ifPKiSA_iPKfiiiSC_SC_iiiii.num_vgpr, 76
	.set _ZN4vllm25paged_attention_v1_kernelIthLi96ELi32ELi128ELNS_18Fp8KVCacheDataTypeE1ELb0EEEvPT_PKS2_PKT0_S8_ifPKiSA_iPKfiiiSC_SC_iiiii.num_agpr, 0
	.set _ZN4vllm25paged_attention_v1_kernelIthLi96ELi32ELi128ELNS_18Fp8KVCacheDataTypeE1ELb0EEEvPT_PKS2_PKT0_S8_ifPKiSA_iPKfiiiSC_SC_iiiii.numbered_sgpr, 46
	.set _ZN4vllm25paged_attention_v1_kernelIthLi96ELi32ELi128ELNS_18Fp8KVCacheDataTypeE1ELb0EEEvPT_PKS2_PKT0_S8_ifPKiSA_iPKfiiiSC_SC_iiiii.num_named_barrier, 0
	.set _ZN4vllm25paged_attention_v1_kernelIthLi96ELi32ELi128ELNS_18Fp8KVCacheDataTypeE1ELb0EEEvPT_PKS2_PKT0_S8_ifPKiSA_iPKfiiiSC_SC_iiiii.private_seg_size, 0
	.set _ZN4vllm25paged_attention_v1_kernelIthLi96ELi32ELi128ELNS_18Fp8KVCacheDataTypeE1ELb0EEEvPT_PKS2_PKT0_S8_ifPKiSA_iPKfiiiSC_SC_iiiii.uses_vcc, 1
	.set _ZN4vllm25paged_attention_v1_kernelIthLi96ELi32ELi128ELNS_18Fp8KVCacheDataTypeE1ELb0EEEvPT_PKS2_PKT0_S8_ifPKiSA_iPKfiiiSC_SC_iiiii.uses_flat_scratch, 0
	.set _ZN4vllm25paged_attention_v1_kernelIthLi96ELi32ELi128ELNS_18Fp8KVCacheDataTypeE1ELb0EEEvPT_PKS2_PKT0_S8_ifPKiSA_iPKfiiiSC_SC_iiiii.has_dyn_sized_stack, 0
	.set _ZN4vllm25paged_attention_v1_kernelIthLi96ELi32ELi128ELNS_18Fp8KVCacheDataTypeE1ELb0EEEvPT_PKS2_PKT0_S8_ifPKiSA_iPKfiiiSC_SC_iiiii.has_recursion, 0
	.set _ZN4vllm25paged_attention_v1_kernelIthLi96ELi32ELi128ELNS_18Fp8KVCacheDataTypeE1ELb0EEEvPT_PKS2_PKT0_S8_ifPKiSA_iPKfiiiSC_SC_iiiii.has_indirect_call, 0
	.section	.AMDGPU.csdata,"",@progbits
; Kernel info:
; codeLenInByte = 27980
; TotalNumSgprs: 52
; NumVgprs: 76
; NumAgprs: 0
; TotalNumVgprs: 76
; ScratchSize: 0
; MemoryBound: 0
; FloatMode: 240
; IeeeMode: 1
; LDSByteSize: 208 bytes/workgroup (compile time only)
; SGPRBlocks: 6
; VGPRBlocks: 9
; NumSGPRsForWavesPerEU: 52
; NumVGPRsForWavesPerEU: 76
; AccumOffset: 76
; Occupancy: 6
; WaveLimiterHint : 1
; COMPUTE_PGM_RSRC2:SCRATCH_EN: 0
; COMPUTE_PGM_RSRC2:USER_SGPR: 2
; COMPUTE_PGM_RSRC2:TRAP_HANDLER: 0
; COMPUTE_PGM_RSRC2:TGID_X_EN: 1
; COMPUTE_PGM_RSRC2:TGID_Y_EN: 1
; COMPUTE_PGM_RSRC2:TGID_Z_EN: 1
; COMPUTE_PGM_RSRC2:TIDIG_COMP_CNT: 0
; COMPUTE_PGM_RSRC3_GFX90A:ACCUM_OFFSET: 18
; COMPUTE_PGM_RSRC3_GFX90A:TG_SPLIT: 0
	.section	.text._ZN4vllm25paged_attention_v1_kernelIthLi112ELi32ELi128ELNS_18Fp8KVCacheDataTypeE1ELb0EEEvPT_PKS2_PKT0_S8_ifPKiSA_iPKfiiiSC_SC_iiiii,"axG",@progbits,_ZN4vllm25paged_attention_v1_kernelIthLi112ELi32ELi128ELNS_18Fp8KVCacheDataTypeE1ELb0EEEvPT_PKS2_PKT0_S8_ifPKiSA_iPKfiiiSC_SC_iiiii,comdat
	.protected	_ZN4vllm25paged_attention_v1_kernelIthLi112ELi32ELi128ELNS_18Fp8KVCacheDataTypeE1ELb0EEEvPT_PKS2_PKT0_S8_ifPKiSA_iPKfiiiSC_SC_iiiii ; -- Begin function _ZN4vllm25paged_attention_v1_kernelIthLi112ELi32ELi128ELNS_18Fp8KVCacheDataTypeE1ELb0EEEvPT_PKS2_PKT0_S8_ifPKiSA_iPKfiiiSC_SC_iiiii
	.globl	_ZN4vllm25paged_attention_v1_kernelIthLi112ELi32ELi128ELNS_18Fp8KVCacheDataTypeE1ELb0EEEvPT_PKS2_PKT0_S8_ifPKiSA_iPKfiiiSC_SC_iiiii
	.p2align	8
	.type	_ZN4vllm25paged_attention_v1_kernelIthLi112ELi32ELi128ELNS_18Fp8KVCacheDataTypeE1ELb0EEEvPT_PKS2_PKT0_S8_ifPKiSA_iPKfiiiSC_SC_iiiii,@function
_ZN4vllm25paged_attention_v1_kernelIthLi112ELi32ELi128ELNS_18Fp8KVCacheDataTypeE1ELb0EEEvPT_PKS2_PKT0_S8_ifPKiSA_iPKfiiiSC_SC_iiiii: ; @_ZN4vllm25paged_attention_v1_kernelIthLi112ELi32ELi128ELNS_18Fp8KVCacheDataTypeE1ELb0EEEvPT_PKS2_PKT0_S8_ifPKiSA_iPKfiiiSC_SC_iiiii
; %bb.0:
	s_load_dword s5, s[0:1], 0x80
	s_load_dwordx2 s[6:7], s[0:1], 0x30
	s_load_dwordx2 s[28:29], s[0:1], 0x20
	s_mov_b32 s16, s3
	s_ashr_i32 s17, s3, 31
	s_lshl_b64 s[8:9], s[16:17], 2
	s_waitcnt lgkmcnt(0)
	s_add_u32 s6, s6, s8
	s_addc_u32 s7, s7, s9
	s_abs_i32 s3, s28
	v_cvt_f32_u32_e32 v1, s3
	s_sub_i32 s10, 0, s3
	s_abs_i32 s9, s5
	s_xor_b32 s8, s5, s28
	v_rcp_iflag_f32_e32 v1, v1
	s_ashr_i32 s8, s8, 31
	s_mov_b32 s28, 0
	v_mul_f32_e32 v1, 0x4f7ffffe, v1
	v_cvt_u32_f32_e32 v1, v1
	s_nop 0
	v_readfirstlane_b32 s11, v1
	s_mul_i32 s10, s10, s11
	s_mul_hi_u32 s10, s11, s10
	s_add_i32 s11, s11, s10
	s_mul_hi_u32 s10, s9, s11
	s_mul_i32 s11, s10, s3
	s_sub_i32 s9, s9, s11
	s_add_i32 s11, s10, 1
	s_sub_i32 s12, s9, s3
	s_cmp_ge_u32 s9, s3
	s_cselect_b32 s10, s11, s10
	s_cselect_b32 s9, s12, s9
	s_add_i32 s11, s10, 1
	s_cmp_ge_u32 s9, s3
	s_cselect_b32 s3, s11, s10
	s_xor_b32 s3, s3, s8
	s_sub_i32 s12, s3, s8
	s_abs_i32 s10, s12
	v_cvt_f32_u32_e32 v1, s10
	s_load_dwordx2 s[8:9], s[0:1], 0x40
	s_sub_i32 s3, 0, s10
	s_abs_i32 s11, s2
	v_rcp_iflag_f32_e32 v1, v1
	s_nop 0
	v_mul_f32_e32 v1, 0x4f7ffffe, v1
	v_cvt_u32_f32_e32 v1, v1
	s_nop 0
	v_readfirstlane_b32 s13, v1
	s_mul_i32 s3, s3, s13
	s_mul_hi_u32 s3, s13, s3
	s_add_i32 s13, s13, s3
	s_waitcnt lgkmcnt(0)
	s_cmp_eq_u64 s[8:9], 0
	s_mul_hi_u32 s17, s11, s13
	s_cbranch_scc1 .LBB266_2
; %bb.1:
	s_ashr_i32 s3, s2, 31
	s_lshl_b64 s[14:15], s[2:3], 2
	s_add_u32 s8, s8, s14
	s_addc_u32 s9, s9, s15
	s_load_dword s28, s[8:9], 0x0
.LBB266_2:
	s_load_dword s33, s[6:7], 0x0
	s_ashr_i32 s7, s12, 31
	s_load_dwordx4 s[12:15], s[0:1], 0x48
	s_ashr_i32 s6, s2, 31
	v_and_b32_e32 v4, 1, v0
	s_movk_i32 s8, 0x70
	s_mul_i32 s18, s2, 0x70
	v_cmp_gt_u32_e32 vcc, 28, v0
	v_lshlrev_b32_e32 v1, 3, v0
	s_and_saveexec_b64 s[2:3], vcc
	s_cbranch_execz .LBB266_4
; %bb.3:
	s_load_dwordx2 s[20:21], s[0:1], 0x8
	s_waitcnt lgkmcnt(0)
	s_mul_i32 s22, s12, s16
	s_ashr_i32 s23, s22, 31
	s_lshl_b64 s[22:23], s[22:23], 1
	v_lshlrev_b32_e32 v5, 2, v0
	s_add_u32 s9, s20, s22
	s_addc_u32 s12, s21, s23
	s_ashr_i32 s19, s18, 31
	s_lshl_b64 s[20:21], s[18:19], 1
	s_add_u32 s20, s9, s20
	s_addc_u32 s21, s12, s21
	global_load_dwordx2 v[2:3], v1, s[20:21]
	v_and_b32_e32 v5, 0xff8, v5
	v_mad_u32_u24 v5, v4, s8, v5
	s_waitcnt vmcnt(0)
	ds_write_b64 v5, v[2:3]
.LBB266_4:
	s_or_b64 exec, exec, s[2:3]
	s_waitcnt lgkmcnt(0)
	s_add_i32 s3, s33, 31
	s_ashr_i32 s8, s3, 31
	s_lshr_b32 s8, s8, 27
	s_add_i32 s3, s3, s8
	s_ashr_i32 s19, s3, 5
	s_xor_b32 s3, s6, s7
	s_mul_i32 s6, s17, s10
	s_sub_i32 s6, s11, s6
	s_add_i32 s7, s17, 1
	s_sub_i32 s8, s6, s10
	s_load_dwordx2 s[22:23], s[0:1], 0x28
	s_load_dword s2, s[0:1], 0x38
	s_cmp_ge_u32 s6, s10
	s_cselect_b32 s7, s7, s17
	s_cselect_b32 s6, s8, s6
	s_add_i32 s8, s7, 1
	s_cmp_ge_u32 s6, s10
	s_cselect_b32 s6, s8, s7
	v_lshrrev_b32_e32 v26, 6, v0
	s_xor_b32 s6, s6, s3
	s_waitcnt lgkmcnt(0)
	s_mul_i32 s24, s2, s16
	s_sub_i32 s12, s6, s3
	s_ashr_i32 s25, s24, 31
	v_cmp_gt_i32_e64 s[6:7], s19, v26
	v_cmp_le_i32_e32 vcc, s19, v26
	v_mbcnt_lo_u32_b32 v9, -1, 0
	s_barrier
                                        ; implicit-def: $vgpr11
                                        ; implicit-def: $vgpr2
                                        ; implicit-def: $vgpr8
	s_and_saveexec_b64 s[2:3], vcc
	s_xor_b64 s[2:3], exec, s[2:3]
; %bb.5:
	v_mbcnt_hi_u32_b32 v11, -1, v9
	v_and_b32_e32 v2, 64, v11
	v_add_u32_e32 v8, 64, v2
                                        ; implicit-def: $vgpr4
                                        ; implicit-def: $vgpr9
; %bb.6:
	s_or_saveexec_b64 s[30:31], s[2:3]
	s_load_dwordx2 s[20:21], s[0:1], 0x0
	s_load_dwordx2 s[26:27], s[0:1], 0x18
	s_load_dword s17, s[0:1], 0x88
	s_load_dwordx4 s[8:11], s[0:1], 0x58
	v_mov_b32_e32 v13, 0xff7fffff
	s_mul_i32 s12, s12, s14
	v_lshrrev_b32_e32 v12, 4, v0
	s_xor_b64 exec, exec, s[30:31]
	s_cbranch_execz .LBB266_348
; %bb.7:
	s_load_dwordx2 s[0:1], s[0:1], 0x10
	s_ashr_i32 s2, s12, 31
	v_bfe_u32 v8, v0, 1, 5
	v_lshlrev_b32_e32 v2, 4, v8
	v_mov_b32_e32 v3, 0
	s_waitcnt lgkmcnt(0)
	s_add_u32 s0, s0, s12
	s_addc_u32 s1, s1, s2
	v_lshl_add_u64 v[6:7], s[0:1], 0, v[2:3]
	v_lshlrev_b32_e32 v2, 2, v4
	v_mul_u32_u24_e32 v14, 0x70, v4
	v_cmp_eq_u32_e32 vcc, 0, v4
	v_lshl_add_u64 v[4:5], v[6:7], 0, v[2:3]
	s_sub_i32 s41, 1, s33
	v_lshlrev_b32_e32 v2, 2, v8
	s_lshl_b64 s[0:1], s[24:25], 2
	v_lshl_or_b32 v2, v26, 7, v2
	s_add_u32 s0, s22, s0
	v_add_u32_e32 v16, 0xf0, v2
	v_and_b32_e32 v2, 60, v12
	s_addc_u32 s1, s23, s1
	s_mov_b32 s40, s13
	v_cmp_neq_f32_e64 s[2:3], s28, 0
	v_lshl_or_b32 v15, v26, 5, v8
	v_lshl_add_u64 v[6:7], s[0:1], 0, v[2:3]
	v_mov_b32_e32 v13, 0xff7fffff
	s_mov_b64 s[14:15], 0
	s_movk_i32 s42, 0x80
	s_movk_i32 s43, 0x7f
	s_mov_b32 s44, 0x8000
	s_mov_b32 s45, 0xffffff
	v_mbcnt_hi_u32_b32 v11, -1, v9
	v_mov_b32_e32 v17, 0x2000
	v_mov_b32_e32 v18, v26
	s_branch .LBB266_9
.LBB266_8:                              ;   in Loop: Header=BB266_9 Depth=1
	s_or_b64 exec, exec, s[34:35]
	v_add_u32_e32 v18, 2, v18
	v_cmp_le_i32_e64 s[0:1], s19, v18
	v_add_u32_e32 v15, 64, v15
	v_add_u32_e32 v16, 0x100, v16
	s_or_b64 s[14:15], s[0:1], s[14:15]
	v_lshl_add_u64 v[6:7], v[6:7], 0, 8
	s_andn2_b64 exec, exec, s[14:15]
	s_cbranch_execz .LBB266_347
.LBB266_9:                              ; =>This Inner Loop Header: Depth=1
	global_load_dword v2, v[6:7], off
	v_mov_b32_e32 v20, 0
	s_waitcnt vmcnt(0)
	v_mad_i64_i32 v[8:9], s[0:1], v2, s40, v[4:5]
	s_waitcnt lgkmcnt(0)
	global_load_dword v10, v[8:9], off
	global_load_dword v19, v3, s[8:9]
	s_waitcnt vmcnt(1)
	v_cmp_ne_u16_sdwa s[0:1], v10, v3 src0_sel:BYTE_0 src1_sel:DWORD
	s_and_saveexec_b64 s[34:35], s[0:1]
	s_cbranch_execz .LBB266_15
; %bb.10:                               ;   in Loop: Header=BB266_9 Depth=1
	v_cmp_ne_u16_sdwa s[0:1], v10, s42 src0_sel:BYTE_0 src1_sel:DWORD
	v_mov_b32_e32 v20, 0x8000
	s_and_saveexec_b64 s[36:37], s[0:1]
	s_cbranch_execz .LBB266_14
; %bb.11:                               ;   in Loop: Header=BB266_9 Depth=1
	v_and_b32_e32 v2, 0x7f, v10
	v_cmp_ne_u32_e64 s[0:1], s43, v2
	v_mov_b32_e32 v20, 0x7c01
	s_and_saveexec_b64 s[38:39], s[0:1]
	s_cbranch_execz .LBB266_13
; %bb.12:                               ;   in Loop: Header=BB266_9 Depth=1
	v_and_b32_e32 v22, 7, v10
	v_ffbh_u32_e32 v20, v22
	v_min_u32_e32 v24, 32, v20
	v_subrev_u32_e32 v20, 28, v24
	v_lshlrev_b64 v[20:21], v20, v[10:11]
	v_lshrrev_b32_e32 v23, 3, v2
	v_sub_u32_e32 v21, 29, v24
	v_cmp_gt_u32_e64 s[0:1], 8, v2
	v_and_b32_e32 v20, 7, v20
	s_nop 0
	v_cndmask_b32_e64 v2, v23, v21, s[0:1]
	v_lshl_add_u32 v2, v2, 10, v17
	v_lshlrev_b32_e32 v21, 8, v10
	v_and_b32_e32 v2, 0xfc00, v2
	v_cndmask_b32_e64 v20, v22, v20, s[0:1]
	v_and_or_b32 v2, v21, s44, v2
	v_lshl_or_b32 v20, v20, 7, v2
.LBB266_13:                             ;   in Loop: Header=BB266_9 Depth=1
	s_or_b64 exec, exec, s[38:39]
.LBB266_14:                             ;   in Loop: Header=BB266_9 Depth=1
	s_or_b64 exec, exec, s[36:37]
.LBB266_15:                             ;   in Loop: Header=BB266_9 Depth=1
	s_or_b64 exec, exec, s[34:35]
	v_lshrrev_b16_e32 v2, 8, v10
	v_cmp_ne_u16_e64 s[0:1], 0, v2
	v_mov_b32_e32 v21, 0
	v_mov_b32_e32 v22, 0
	s_and_saveexec_b64 s[34:35], s[0:1]
	s_cbranch_execz .LBB266_21
; %bb.16:                               ;   in Loop: Header=BB266_9 Depth=1
	v_cmp_ne_u16_e64 s[0:1], s42, v2
	v_bfrev_b32_e32 v22, 1
	s_and_saveexec_b64 s[36:37], s[0:1]
	s_cbranch_execz .LBB266_20
; %bb.17:                               ;   in Loop: Header=BB266_9 Depth=1
	v_and_b32_e32 v23, 0x7f, v2
	v_cmp_ne_u32_e64 s[0:1], s43, v23
	v_mov_b32_e32 v22, 0x7c010000
	s_and_saveexec_b64 s[38:39], s[0:1]
	s_cbranch_execz .LBB266_19
; %bb.18:                               ;   in Loop: Header=BB266_9 Depth=1
	v_and_b32_e32 v22, 7, v2
	v_ffbh_u32_e32 v24, v22
	v_min_u32_e32 v28, 32, v24
	v_subrev_u32_e32 v24, 28, v28
	v_lshlrev_b64 v[24:25], v24, v[2:3]
	v_lshrrev_b32_e32 v27, 3, v23
	v_sub_u32_e32 v25, 29, v28
	v_cmp_gt_u32_e64 s[0:1], 8, v23
	v_lshlrev_b32_e32 v2, 8, v2
	v_and_b32_e32 v24, 7, v24
	v_cndmask_b32_e64 v23, v27, v25, s[0:1]
	v_lshl_add_u32 v23, v23, 10, v17
	v_and_or_b32 v2, v2, s44, v23
	v_cndmask_b32_e64 v22, v22, v24, s[0:1]
	v_lshlrev_b32_e32 v2, 16, v2
	v_lshl_or_b32 v22, v22, 23, v2
.LBB266_19:                             ;   in Loop: Header=BB266_9 Depth=1
	s_or_b64 exec, exec, s[38:39]
.LBB266_20:                             ;   in Loop: Header=BB266_9 Depth=1
	s_or_b64 exec, exec, s[36:37]
.LBB266_21:                             ;   in Loop: Header=BB266_9 Depth=1
	s_or_b64 exec, exec, s[34:35]
	v_lshrrev_b32_e32 v2, 16, v10
	v_cmp_ne_u16_sdwa s[0:1], v2, v3 src0_sel:BYTE_0 src1_sel:DWORD
	s_and_saveexec_b64 s[34:35], s[0:1]
	s_cbranch_execz .LBB266_27
; %bb.22:                               ;   in Loop: Header=BB266_9 Depth=1
	v_cmp_ne_u16_sdwa s[0:1], v2, s42 src0_sel:BYTE_0 src1_sel:DWORD
	v_mov_b32_e32 v21, 0x8000
	s_and_saveexec_b64 s[36:37], s[0:1]
	s_cbranch_execz .LBB266_26
; %bb.23:                               ;   in Loop: Header=BB266_9 Depth=1
	v_bfe_u32 v23, v10, 16, 7
	v_cmp_ne_u32_e64 s[0:1], s43, v23
	v_mov_b32_e32 v21, 0x7c01
	s_and_saveexec_b64 s[38:39], s[0:1]
	s_cbranch_execz .LBB266_25
; %bb.24:                               ;   in Loop: Header=BB266_9 Depth=1
	v_and_b32_e32 v21, 7, v2
	v_ffbh_u32_e32 v24, v21
	v_min_u32_e32 v28, 32, v24
	v_subrev_u32_e32 v24, 28, v28
	v_lshlrev_b64 v[24:25], v24, v[2:3]
	v_lshrrev_b32_e32 v27, 3, v23
	v_sub_u32_e32 v25, 29, v28
	v_cmp_gt_u32_e64 s[0:1], 8, v23
	v_lshlrev_b32_e32 v2, 8, v2
	v_and_b32_e32 v24, 7, v24
	v_cndmask_b32_e64 v23, v27, v25, s[0:1]
	v_lshl_add_u32 v23, v23, 10, v17
	v_and_b32_e32 v23, 0xfc00, v23
	v_cndmask_b32_e64 v21, v21, v24, s[0:1]
	v_and_or_b32 v2, v2, s44, v23
	v_lshl_or_b32 v21, v21, 7, v2
.LBB266_25:                             ;   in Loop: Header=BB266_9 Depth=1
	s_or_b64 exec, exec, s[38:39]
.LBB266_26:                             ;   in Loop: Header=BB266_9 Depth=1
	s_or_b64 exec, exec, s[36:37]
.LBB266_27:                             ;   in Loop: Header=BB266_9 Depth=1
	s_or_b64 exec, exec, s[34:35]
	v_cmp_lt_u32_e64 s[0:1], s45, v10
	v_mov_b32_e32 v24, 0
	v_mov_b32_e32 v23, 0
	s_and_saveexec_b64 s[34:35], s[0:1]
	s_cbranch_execz .LBB266_33
; %bb.28:                               ;   in Loop: Header=BB266_9 Depth=1
	v_lshrrev_b32_e32 v2, 24, v10
	v_cmp_ne_u32_e64 s[0:1], s42, v2
	v_bfrev_b32_e32 v23, 1
	s_and_saveexec_b64 s[36:37], s[0:1]
	s_cbranch_execz .LBB266_32
; %bb.29:                               ;   in Loop: Header=BB266_9 Depth=1
	v_and_b32_e32 v10, 0x7f, v2
	v_cmp_ne_u32_e64 s[0:1], s43, v10
	v_mov_b32_e32 v23, 0x7c010000
	s_and_saveexec_b64 s[38:39], s[0:1]
	s_cbranch_execz .LBB266_31
; %bb.30:                               ;   in Loop: Header=BB266_9 Depth=1
	v_and_b32_e32 v23, 7, v2
	v_ffbh_u32_e32 v27, v23
	v_min_u32_e32 v27, 32, v27
	v_lshrrev_b32_e32 v25, 3, v10
	v_subrev_u32_e32 v28, 28, v27
	v_sub_u32_e32 v27, 29, v27
	v_cmp_gt_u32_e64 s[0:1], 8, v10
	v_lshlrev_b64 v[28:29], v28, v[2:3]
	v_lshlrev_b32_e32 v2, 8, v2
	v_cndmask_b32_e64 v10, v25, v27, s[0:1]
	v_lshl_add_u32 v10, v10, 10, v17
	v_and_b32_e32 v25, 7, v28
	v_and_or_b32 v2, v2, s44, v10
	v_cndmask_b32_e64 v23, v23, v25, s[0:1]
	v_lshlrev_b32_e32 v2, 16, v2
	v_lshl_or_b32 v23, v23, 23, v2
.LBB266_31:                             ;   in Loop: Header=BB266_9 Depth=1
	s_or_b64 exec, exec, s[38:39]
.LBB266_32:                             ;   in Loop: Header=BB266_9 Depth=1
	s_or_b64 exec, exec, s[36:37]
.LBB266_33:                             ;   in Loop: Header=BB266_9 Depth=1
	s_or_b64 exec, exec, s[34:35]
	global_load_dword v10, v[8:9], off offset:8
	s_waitcnt vmcnt(0)
	v_cmp_ne_u16_sdwa s[0:1], v10, v3 src0_sel:BYTE_0 src1_sel:DWORD
	s_and_saveexec_b64 s[34:35], s[0:1]
	s_cbranch_execz .LBB266_39
; %bb.34:                               ;   in Loop: Header=BB266_9 Depth=1
	v_cmp_ne_u16_sdwa s[0:1], v10, s42 src0_sel:BYTE_0 src1_sel:DWORD
	v_mov_b32_e32 v24, 0x8000
	s_and_saveexec_b64 s[36:37], s[0:1]
	s_cbranch_execz .LBB266_38
; %bb.35:                               ;   in Loop: Header=BB266_9 Depth=1
	v_and_b32_e32 v2, 0x7f, v10
	v_cmp_ne_u32_e64 s[0:1], s43, v2
	v_mov_b32_e32 v24, 0x7c01
	s_and_saveexec_b64 s[38:39], s[0:1]
	s_cbranch_execz .LBB266_37
; %bb.36:                               ;   in Loop: Header=BB266_9 Depth=1
	v_and_b32_e32 v27, 7, v10
	v_ffbh_u32_e32 v24, v27
	v_min_u32_e32 v29, 32, v24
	v_subrev_u32_e32 v24, 28, v29
	v_lshlrev_b64 v[24:25], v24, v[10:11]
	v_lshrrev_b32_e32 v28, 3, v2
	v_sub_u32_e32 v25, 29, v29
	v_cmp_gt_u32_e64 s[0:1], 8, v2
	v_and_b32_e32 v24, 7, v24
	s_nop 0
	v_cndmask_b32_e64 v2, v28, v25, s[0:1]
	v_lshl_add_u32 v2, v2, 10, v17
	v_lshlrev_b32_e32 v25, 8, v10
	v_and_b32_e32 v2, 0xfc00, v2
	v_cndmask_b32_e64 v24, v27, v24, s[0:1]
	v_and_or_b32 v2, v25, s44, v2
	v_lshl_or_b32 v24, v24, 7, v2
.LBB266_37:                             ;   in Loop: Header=BB266_9 Depth=1
	s_or_b64 exec, exec, s[38:39]
.LBB266_38:                             ;   in Loop: Header=BB266_9 Depth=1
	s_or_b64 exec, exec, s[36:37]
.LBB266_39:                             ;   in Loop: Header=BB266_9 Depth=1
	s_or_b64 exec, exec, s[34:35]
	v_lshrrev_b16_e32 v2, 8, v10
	v_cmp_ne_u16_e64 s[0:1], 0, v2
	v_mov_b32_e32 v25, 0
	v_mov_b32_e32 v27, 0
	s_and_saveexec_b64 s[34:35], s[0:1]
	s_cbranch_execz .LBB266_45
; %bb.40:                               ;   in Loop: Header=BB266_9 Depth=1
	v_cmp_ne_u16_e64 s[0:1], s42, v2
	v_bfrev_b32_e32 v27, 1
	s_and_saveexec_b64 s[36:37], s[0:1]
	s_cbranch_execz .LBB266_44
; %bb.41:                               ;   in Loop: Header=BB266_9 Depth=1
	v_and_b32_e32 v28, 0x7f, v2
	v_cmp_ne_u32_e64 s[0:1], s43, v28
	v_mov_b32_e32 v27, 0x7c010000
	s_and_saveexec_b64 s[38:39], s[0:1]
	s_cbranch_execz .LBB266_43
; %bb.42:                               ;   in Loop: Header=BB266_9 Depth=1
	v_and_b32_e32 v27, 7, v2
	v_ffbh_u32_e32 v30, v27
	v_min_u32_e32 v32, 32, v30
	v_subrev_u32_e32 v30, 28, v32
	v_lshlrev_b64 v[30:31], v30, v[2:3]
	v_lshrrev_b32_e32 v29, 3, v28
	v_sub_u32_e32 v31, 29, v32
	v_cmp_gt_u32_e64 s[0:1], 8, v28
	v_lshlrev_b32_e32 v2, 8, v2
	s_nop 0
	v_cndmask_b32_e64 v28, v29, v31, s[0:1]
	v_lshl_add_u32 v28, v28, 10, v17
	v_and_b32_e32 v29, 7, v30
	v_and_or_b32 v2, v2, s44, v28
	v_cndmask_b32_e64 v27, v27, v29, s[0:1]
	v_lshlrev_b32_e32 v2, 16, v2
	v_lshl_or_b32 v27, v27, 23, v2
.LBB266_43:                             ;   in Loop: Header=BB266_9 Depth=1
	s_or_b64 exec, exec, s[38:39]
.LBB266_44:                             ;   in Loop: Header=BB266_9 Depth=1
	s_or_b64 exec, exec, s[36:37]
.LBB266_45:                             ;   in Loop: Header=BB266_9 Depth=1
	s_or_b64 exec, exec, s[34:35]
	v_lshrrev_b32_e32 v2, 16, v10
	v_cmp_ne_u16_sdwa s[0:1], v2, v3 src0_sel:BYTE_0 src1_sel:DWORD
	s_and_saveexec_b64 s[34:35], s[0:1]
	s_cbranch_execz .LBB266_51
; %bb.46:                               ;   in Loop: Header=BB266_9 Depth=1
	v_cmp_ne_u16_sdwa s[0:1], v2, s42 src0_sel:BYTE_0 src1_sel:DWORD
	v_mov_b32_e32 v25, 0x8000
	s_and_saveexec_b64 s[36:37], s[0:1]
	s_cbranch_execz .LBB266_50
; %bb.47:                               ;   in Loop: Header=BB266_9 Depth=1
	v_bfe_u32 v28, v10, 16, 7
	v_cmp_ne_u32_e64 s[0:1], s43, v28
	v_mov_b32_e32 v25, 0x7c01
	s_and_saveexec_b64 s[38:39], s[0:1]
	s_cbranch_execz .LBB266_49
; %bb.48:                               ;   in Loop: Header=BB266_9 Depth=1
	v_and_b32_e32 v25, 7, v2
	v_ffbh_u32_e32 v30, v25
	v_min_u32_e32 v32, 32, v30
	v_subrev_u32_e32 v30, 28, v32
	v_lshlrev_b64 v[30:31], v30, v[2:3]
	v_lshrrev_b32_e32 v29, 3, v28
	v_sub_u32_e32 v31, 29, v32
	v_cmp_gt_u32_e64 s[0:1], 8, v28
	v_lshlrev_b32_e32 v2, 8, v2
	s_nop 0
	v_cndmask_b32_e64 v28, v29, v31, s[0:1]
	v_lshl_add_u32 v28, v28, 10, v17
	v_and_b32_e32 v29, 7, v30
	v_and_b32_e32 v28, 0xfc00, v28
	v_cndmask_b32_e64 v25, v25, v29, s[0:1]
	v_and_or_b32 v2, v2, s44, v28
	v_lshl_or_b32 v25, v25, 7, v2
.LBB266_49:                             ;   in Loop: Header=BB266_9 Depth=1
	s_or_b64 exec, exec, s[38:39]
.LBB266_50:                             ;   in Loop: Header=BB266_9 Depth=1
	s_or_b64 exec, exec, s[36:37]
.LBB266_51:                             ;   in Loop: Header=BB266_9 Depth=1
	s_or_b64 exec, exec, s[34:35]
	v_cmp_lt_u32_e64 s[0:1], s45, v10
	v_mov_b32_e32 v29, 0
	v_mov_b32_e32 v28, 0
	s_and_saveexec_b64 s[34:35], s[0:1]
	s_cbranch_execz .LBB266_57
; %bb.52:                               ;   in Loop: Header=BB266_9 Depth=1
	v_lshrrev_b32_e32 v2, 24, v10
	v_cmp_ne_u32_e64 s[0:1], s42, v2
	v_bfrev_b32_e32 v28, 1
	s_and_saveexec_b64 s[36:37], s[0:1]
	s_cbranch_execz .LBB266_56
; %bb.53:                               ;   in Loop: Header=BB266_9 Depth=1
	v_and_b32_e32 v10, 0x7f, v2
	v_cmp_ne_u32_e64 s[0:1], s43, v10
	v_mov_b32_e32 v28, 0x7c010000
	s_and_saveexec_b64 s[38:39], s[0:1]
	s_cbranch_execz .LBB266_55
; %bb.54:                               ;   in Loop: Header=BB266_9 Depth=1
	v_and_b32_e32 v28, 7, v2
	v_ffbh_u32_e32 v30, v28
	v_min_u32_e32 v33, 32, v30
	v_subrev_u32_e32 v30, 28, v33
	v_lshlrev_b64 v[30:31], v30, v[2:3]
	v_lshrrev_b32_e32 v32, 3, v10
	v_sub_u32_e32 v31, 29, v33
	v_cmp_gt_u32_e64 s[0:1], 8, v10
	v_lshlrev_b32_e32 v2, 8, v2
	v_and_b32_e32 v30, 7, v30
	v_cndmask_b32_e64 v10, v32, v31, s[0:1]
	v_lshl_add_u32 v10, v10, 10, v17
	v_and_or_b32 v2, v2, s44, v10
	v_cndmask_b32_e64 v28, v28, v30, s[0:1]
	v_lshlrev_b32_e32 v2, 16, v2
	v_lshl_or_b32 v28, v28, 23, v2
.LBB266_55:                             ;   in Loop: Header=BB266_9 Depth=1
	s_or_b64 exec, exec, s[38:39]
.LBB266_56:                             ;   in Loop: Header=BB266_9 Depth=1
	s_or_b64 exec, exec, s[36:37]
.LBB266_57:                             ;   in Loop: Header=BB266_9 Depth=1
	s_or_b64 exec, exec, s[34:35]
	global_load_dword v10, v[8:9], off offset:512
	s_waitcnt vmcnt(0)
	v_cmp_ne_u16_sdwa s[0:1], v10, v3 src0_sel:BYTE_0 src1_sel:DWORD
	s_and_saveexec_b64 s[34:35], s[0:1]
	s_cbranch_execz .LBB266_63
; %bb.58:                               ;   in Loop: Header=BB266_9 Depth=1
	v_cmp_ne_u16_sdwa s[0:1], v10, s42 src0_sel:BYTE_0 src1_sel:DWORD
	v_mov_b32_e32 v29, 0x8000
	s_and_saveexec_b64 s[36:37], s[0:1]
	s_cbranch_execz .LBB266_62
; %bb.59:                               ;   in Loop: Header=BB266_9 Depth=1
	v_and_b32_e32 v2, 0x7f, v10
	v_cmp_ne_u32_e64 s[0:1], s43, v2
	v_mov_b32_e32 v29, 0x7c01
	s_and_saveexec_b64 s[38:39], s[0:1]
	s_cbranch_execz .LBB266_61
; %bb.60:                               ;   in Loop: Header=BB266_9 Depth=1
	v_and_b32_e32 v29, 7, v10
	v_ffbh_u32_e32 v30, v29
	v_min_u32_e32 v33, 32, v30
	v_subrev_u32_e32 v30, 28, v33
	v_lshlrev_b64 v[30:31], v30, v[10:11]
	v_lshrrev_b32_e32 v32, 3, v2
	v_sub_u32_e32 v31, 29, v33
	v_cmp_gt_u32_e64 s[0:1], 8, v2
	v_and_b32_e32 v30, 7, v30
	s_nop 0
	v_cndmask_b32_e64 v2, v32, v31, s[0:1]
	v_lshl_add_u32 v2, v2, 10, v17
	v_lshlrev_b32_e32 v31, 8, v10
	v_and_b32_e32 v2, 0xfc00, v2
	v_cndmask_b32_e64 v29, v29, v30, s[0:1]
	v_and_or_b32 v2, v31, s44, v2
	v_lshl_or_b32 v29, v29, 7, v2
.LBB266_61:                             ;   in Loop: Header=BB266_9 Depth=1
	s_or_b64 exec, exec, s[38:39]
.LBB266_62:                             ;   in Loop: Header=BB266_9 Depth=1
	s_or_b64 exec, exec, s[36:37]
.LBB266_63:                             ;   in Loop: Header=BB266_9 Depth=1
	s_or_b64 exec, exec, s[34:35]
	v_lshrrev_b16_e32 v2, 8, v10
	v_cmp_ne_u16_e64 s[0:1], 0, v2
	v_mov_b32_e32 v30, 0
	v_mov_b32_e32 v31, 0
	s_and_saveexec_b64 s[34:35], s[0:1]
	s_cbranch_execz .LBB266_69
; %bb.64:                               ;   in Loop: Header=BB266_9 Depth=1
	v_cmp_ne_u16_e64 s[0:1], s42, v2
	v_bfrev_b32_e32 v31, 1
	s_and_saveexec_b64 s[36:37], s[0:1]
	s_cbranch_execz .LBB266_68
; %bb.65:                               ;   in Loop: Header=BB266_9 Depth=1
	v_and_b32_e32 v32, 0x7f, v2
	v_cmp_ne_u32_e64 s[0:1], s43, v32
	v_mov_b32_e32 v31, 0x7c010000
	s_and_saveexec_b64 s[38:39], s[0:1]
	s_cbranch_execz .LBB266_67
; %bb.66:                               ;   in Loop: Header=BB266_9 Depth=1
	v_and_b32_e32 v31, 7, v2
	v_ffbh_u32_e32 v34, v31
	v_min_u32_e32 v36, 32, v34
	v_subrev_u32_e32 v34, 28, v36
	v_lshlrev_b64 v[34:35], v34, v[2:3]
	v_lshrrev_b32_e32 v33, 3, v32
	v_sub_u32_e32 v35, 29, v36
	v_cmp_gt_u32_e64 s[0:1], 8, v32
	v_lshlrev_b32_e32 v2, 8, v2
	s_nop 0
	v_cndmask_b32_e64 v32, v33, v35, s[0:1]
	v_lshl_add_u32 v32, v32, 10, v17
	v_and_b32_e32 v33, 7, v34
	v_and_or_b32 v2, v2, s44, v32
	v_cndmask_b32_e64 v31, v31, v33, s[0:1]
	v_lshlrev_b32_e32 v2, 16, v2
	v_lshl_or_b32 v31, v31, 23, v2
.LBB266_67:                             ;   in Loop: Header=BB266_9 Depth=1
	s_or_b64 exec, exec, s[38:39]
.LBB266_68:                             ;   in Loop: Header=BB266_9 Depth=1
	s_or_b64 exec, exec, s[36:37]
.LBB266_69:                             ;   in Loop: Header=BB266_9 Depth=1
	s_or_b64 exec, exec, s[34:35]
	v_lshrrev_b32_e32 v2, 16, v10
	v_cmp_ne_u16_sdwa s[0:1], v2, v3 src0_sel:BYTE_0 src1_sel:DWORD
	s_and_saveexec_b64 s[34:35], s[0:1]
	s_cbranch_execz .LBB266_75
; %bb.70:                               ;   in Loop: Header=BB266_9 Depth=1
	v_cmp_ne_u16_sdwa s[0:1], v2, s42 src0_sel:BYTE_0 src1_sel:DWORD
	v_mov_b32_e32 v30, 0x8000
	s_and_saveexec_b64 s[36:37], s[0:1]
	s_cbranch_execz .LBB266_74
; %bb.71:                               ;   in Loop: Header=BB266_9 Depth=1
	v_bfe_u32 v32, v10, 16, 7
	v_cmp_ne_u32_e64 s[0:1], s43, v32
	v_mov_b32_e32 v30, 0x7c01
	s_and_saveexec_b64 s[38:39], s[0:1]
	s_cbranch_execz .LBB266_73
; %bb.72:                               ;   in Loop: Header=BB266_9 Depth=1
	v_and_b32_e32 v30, 7, v2
	v_ffbh_u32_e32 v34, v30
	v_min_u32_e32 v36, 32, v34
	v_subrev_u32_e32 v34, 28, v36
	v_lshlrev_b64 v[34:35], v34, v[2:3]
	v_lshrrev_b32_e32 v33, 3, v32
	v_sub_u32_e32 v35, 29, v36
	v_cmp_gt_u32_e64 s[0:1], 8, v32
	v_lshlrev_b32_e32 v2, 8, v2
	s_nop 0
	v_cndmask_b32_e64 v32, v33, v35, s[0:1]
	v_lshl_add_u32 v32, v32, 10, v17
	v_and_b32_e32 v33, 7, v34
	v_and_b32_e32 v32, 0xfc00, v32
	v_cndmask_b32_e64 v30, v30, v33, s[0:1]
	v_and_or_b32 v2, v2, s44, v32
	v_lshl_or_b32 v30, v30, 7, v2
.LBB266_73:                             ;   in Loop: Header=BB266_9 Depth=1
	s_or_b64 exec, exec, s[38:39]
.LBB266_74:                             ;   in Loop: Header=BB266_9 Depth=1
	s_or_b64 exec, exec, s[36:37]
.LBB266_75:                             ;   in Loop: Header=BB266_9 Depth=1
	s_or_b64 exec, exec, s[34:35]
	v_cmp_lt_u32_e64 s[0:1], s45, v10
	v_mov_b32_e32 v33, 0
	v_mov_b32_e32 v32, 0
	s_and_saveexec_b64 s[34:35], s[0:1]
	s_cbranch_execz .LBB266_81
; %bb.76:                               ;   in Loop: Header=BB266_9 Depth=1
	v_lshrrev_b32_e32 v2, 24, v10
	v_cmp_ne_u32_e64 s[0:1], s42, v2
	v_bfrev_b32_e32 v32, 1
	s_and_saveexec_b64 s[36:37], s[0:1]
	s_cbranch_execz .LBB266_80
; %bb.77:                               ;   in Loop: Header=BB266_9 Depth=1
	v_and_b32_e32 v10, 0x7f, v2
	v_cmp_ne_u32_e64 s[0:1], s43, v10
	v_mov_b32_e32 v32, 0x7c010000
	s_and_saveexec_b64 s[38:39], s[0:1]
	s_cbranch_execz .LBB266_79
; %bb.78:                               ;   in Loop: Header=BB266_9 Depth=1
	v_and_b32_e32 v32, 7, v2
	v_ffbh_u32_e32 v34, v32
	v_min_u32_e32 v37, 32, v34
	v_subrev_u32_e32 v34, 28, v37
	v_lshlrev_b64 v[34:35], v34, v[2:3]
	v_lshrrev_b32_e32 v36, 3, v10
	v_sub_u32_e32 v35, 29, v37
	v_cmp_gt_u32_e64 s[0:1], 8, v10
	v_lshlrev_b32_e32 v2, 8, v2
	v_and_b32_e32 v34, 7, v34
	v_cndmask_b32_e64 v10, v36, v35, s[0:1]
	v_lshl_add_u32 v10, v10, 10, v17
	v_and_or_b32 v2, v2, s44, v10
	v_cndmask_b32_e64 v32, v32, v34, s[0:1]
	v_lshlrev_b32_e32 v2, 16, v2
	v_lshl_or_b32 v32, v32, 23, v2
.LBB266_79:                             ;   in Loop: Header=BB266_9 Depth=1
	s_or_b64 exec, exec, s[38:39]
.LBB266_80:                             ;   in Loop: Header=BB266_9 Depth=1
	s_or_b64 exec, exec, s[36:37]
.LBB266_81:                             ;   in Loop: Header=BB266_9 Depth=1
	s_or_b64 exec, exec, s[34:35]
	global_load_dword v10, v[8:9], off offset:520
	s_waitcnt vmcnt(0)
	v_cmp_ne_u16_sdwa s[0:1], v10, v3 src0_sel:BYTE_0 src1_sel:DWORD
	s_and_saveexec_b64 s[34:35], s[0:1]
	s_cbranch_execz .LBB266_87
; %bb.82:                               ;   in Loop: Header=BB266_9 Depth=1
	v_cmp_ne_u16_sdwa s[0:1], v10, s42 src0_sel:BYTE_0 src1_sel:DWORD
	v_mov_b32_e32 v33, 0x8000
	s_and_saveexec_b64 s[36:37], s[0:1]
	s_cbranch_execz .LBB266_86
; %bb.83:                               ;   in Loop: Header=BB266_9 Depth=1
	v_and_b32_e32 v2, 0x7f, v10
	v_cmp_ne_u32_e64 s[0:1], s43, v2
	v_mov_b32_e32 v33, 0x7c01
	s_and_saveexec_b64 s[38:39], s[0:1]
	s_cbranch_execz .LBB266_85
; %bb.84:                               ;   in Loop: Header=BB266_9 Depth=1
	v_and_b32_e32 v33, 7, v10
	v_ffbh_u32_e32 v34, v33
	v_min_u32_e32 v37, 32, v34
	v_subrev_u32_e32 v34, 28, v37
	v_lshlrev_b64 v[34:35], v34, v[10:11]
	v_lshrrev_b32_e32 v36, 3, v2
	v_sub_u32_e32 v35, 29, v37
	v_cmp_gt_u32_e64 s[0:1], 8, v2
	v_and_b32_e32 v34, 7, v34
	s_nop 0
	v_cndmask_b32_e64 v2, v36, v35, s[0:1]
	v_lshl_add_u32 v2, v2, 10, v17
	v_lshlrev_b32_e32 v35, 8, v10
	v_and_b32_e32 v2, 0xfc00, v2
	v_cndmask_b32_e64 v33, v33, v34, s[0:1]
	v_and_or_b32 v2, v35, s44, v2
	v_lshl_or_b32 v33, v33, 7, v2
.LBB266_85:                             ;   in Loop: Header=BB266_9 Depth=1
	s_or_b64 exec, exec, s[38:39]
.LBB266_86:                             ;   in Loop: Header=BB266_9 Depth=1
	s_or_b64 exec, exec, s[36:37]
.LBB266_87:                             ;   in Loop: Header=BB266_9 Depth=1
	s_or_b64 exec, exec, s[34:35]
	v_lshrrev_b16_e32 v2, 8, v10
	v_cmp_ne_u16_e64 s[0:1], 0, v2
	v_mov_b32_e32 v34, 0
	v_mov_b32_e32 v35, 0
	s_and_saveexec_b64 s[34:35], s[0:1]
	s_cbranch_execz .LBB266_93
; %bb.88:                               ;   in Loop: Header=BB266_9 Depth=1
	v_cmp_ne_u16_e64 s[0:1], s42, v2
	v_bfrev_b32_e32 v35, 1
	s_and_saveexec_b64 s[36:37], s[0:1]
	s_cbranch_execz .LBB266_92
; %bb.89:                               ;   in Loop: Header=BB266_9 Depth=1
	v_and_b32_e32 v36, 0x7f, v2
	v_cmp_ne_u32_e64 s[0:1], s43, v36
	v_mov_b32_e32 v35, 0x7c010000
	s_and_saveexec_b64 s[38:39], s[0:1]
	s_cbranch_execz .LBB266_91
; %bb.90:                               ;   in Loop: Header=BB266_9 Depth=1
	v_and_b32_e32 v35, 7, v2
	v_ffbh_u32_e32 v38, v35
	v_min_u32_e32 v40, 32, v38
	v_subrev_u32_e32 v38, 28, v40
	v_lshlrev_b64 v[38:39], v38, v[2:3]
	v_lshrrev_b32_e32 v37, 3, v36
	v_sub_u32_e32 v39, 29, v40
	v_cmp_gt_u32_e64 s[0:1], 8, v36
	v_lshlrev_b32_e32 v2, 8, v2
	s_nop 0
	v_cndmask_b32_e64 v36, v37, v39, s[0:1]
	v_lshl_add_u32 v36, v36, 10, v17
	v_and_b32_e32 v37, 7, v38
	v_and_or_b32 v2, v2, s44, v36
	v_cndmask_b32_e64 v35, v35, v37, s[0:1]
	v_lshlrev_b32_e32 v2, 16, v2
	v_lshl_or_b32 v35, v35, 23, v2
.LBB266_91:                             ;   in Loop: Header=BB266_9 Depth=1
	s_or_b64 exec, exec, s[38:39]
.LBB266_92:                             ;   in Loop: Header=BB266_9 Depth=1
	s_or_b64 exec, exec, s[36:37]
.LBB266_93:                             ;   in Loop: Header=BB266_9 Depth=1
	s_or_b64 exec, exec, s[34:35]
	v_lshrrev_b32_e32 v2, 16, v10
	v_cmp_ne_u16_sdwa s[0:1], v2, v3 src0_sel:BYTE_0 src1_sel:DWORD
	s_and_saveexec_b64 s[34:35], s[0:1]
	s_cbranch_execz .LBB266_99
; %bb.94:                               ;   in Loop: Header=BB266_9 Depth=1
	v_cmp_ne_u16_sdwa s[0:1], v2, s42 src0_sel:BYTE_0 src1_sel:DWORD
	v_mov_b32_e32 v34, 0x8000
	s_and_saveexec_b64 s[36:37], s[0:1]
	s_cbranch_execz .LBB266_98
; %bb.95:                               ;   in Loop: Header=BB266_9 Depth=1
	v_bfe_u32 v36, v10, 16, 7
	v_cmp_ne_u32_e64 s[0:1], s43, v36
	v_mov_b32_e32 v34, 0x7c01
	s_and_saveexec_b64 s[38:39], s[0:1]
	s_cbranch_execz .LBB266_97
; %bb.96:                               ;   in Loop: Header=BB266_9 Depth=1
	v_and_b32_e32 v34, 7, v2
	v_ffbh_u32_e32 v38, v34
	v_min_u32_e32 v40, 32, v38
	v_subrev_u32_e32 v38, 28, v40
	v_lshlrev_b64 v[38:39], v38, v[2:3]
	v_lshrrev_b32_e32 v37, 3, v36
	v_sub_u32_e32 v39, 29, v40
	v_cmp_gt_u32_e64 s[0:1], 8, v36
	v_lshlrev_b32_e32 v2, 8, v2
	s_nop 0
	v_cndmask_b32_e64 v36, v37, v39, s[0:1]
	v_lshl_add_u32 v36, v36, 10, v17
	v_and_b32_e32 v37, 7, v38
	v_and_b32_e32 v36, 0xfc00, v36
	v_cndmask_b32_e64 v34, v34, v37, s[0:1]
	v_and_or_b32 v2, v2, s44, v36
	v_lshl_or_b32 v34, v34, 7, v2
.LBB266_97:                             ;   in Loop: Header=BB266_9 Depth=1
	s_or_b64 exec, exec, s[38:39]
.LBB266_98:                             ;   in Loop: Header=BB266_9 Depth=1
	s_or_b64 exec, exec, s[36:37]
.LBB266_99:                             ;   in Loop: Header=BB266_9 Depth=1
	s_or_b64 exec, exec, s[34:35]
	v_cmp_lt_u32_e64 s[0:1], s45, v10
	v_mov_b32_e32 v37, 0
	v_mov_b32_e32 v36, 0
	s_and_saveexec_b64 s[34:35], s[0:1]
	s_cbranch_execz .LBB266_105
; %bb.100:                              ;   in Loop: Header=BB266_9 Depth=1
	v_lshrrev_b32_e32 v2, 24, v10
	v_cmp_ne_u32_e64 s[0:1], s42, v2
	v_bfrev_b32_e32 v36, 1
	s_and_saveexec_b64 s[36:37], s[0:1]
	s_cbranch_execz .LBB266_104
; %bb.101:                              ;   in Loop: Header=BB266_9 Depth=1
	v_and_b32_e32 v10, 0x7f, v2
	v_cmp_ne_u32_e64 s[0:1], s43, v10
	v_mov_b32_e32 v36, 0x7c010000
	s_and_saveexec_b64 s[38:39], s[0:1]
	s_cbranch_execz .LBB266_103
; %bb.102:                              ;   in Loop: Header=BB266_9 Depth=1
	v_and_b32_e32 v36, 7, v2
	v_ffbh_u32_e32 v38, v36
	v_min_u32_e32 v41, 32, v38
	v_subrev_u32_e32 v38, 28, v41
	v_lshlrev_b64 v[38:39], v38, v[2:3]
	v_lshrrev_b32_e32 v40, 3, v10
	v_sub_u32_e32 v39, 29, v41
	v_cmp_gt_u32_e64 s[0:1], 8, v10
	v_lshlrev_b32_e32 v2, 8, v2
	v_and_b32_e32 v38, 7, v38
	v_cndmask_b32_e64 v10, v40, v39, s[0:1]
	v_lshl_add_u32 v10, v10, 10, v17
	v_and_or_b32 v2, v2, s44, v10
	v_cndmask_b32_e64 v36, v36, v38, s[0:1]
	v_lshlrev_b32_e32 v2, 16, v2
	v_lshl_or_b32 v36, v36, 23, v2
.LBB266_103:                            ;   in Loop: Header=BB266_9 Depth=1
	s_or_b64 exec, exec, s[38:39]
.LBB266_104:                            ;   in Loop: Header=BB266_9 Depth=1
	s_or_b64 exec, exec, s[36:37]
.LBB266_105:                            ;   in Loop: Header=BB266_9 Depth=1
	s_or_b64 exec, exec, s[34:35]
	global_load_dword v10, v[8:9], off offset:1024
	s_waitcnt vmcnt(0)
	v_cmp_ne_u16_sdwa s[0:1], v10, v3 src0_sel:BYTE_0 src1_sel:DWORD
	s_and_saveexec_b64 s[34:35], s[0:1]
	s_cbranch_execz .LBB266_111
; %bb.106:                              ;   in Loop: Header=BB266_9 Depth=1
	v_cmp_ne_u16_sdwa s[0:1], v10, s42 src0_sel:BYTE_0 src1_sel:DWORD
	v_mov_b32_e32 v37, 0x8000
	s_and_saveexec_b64 s[36:37], s[0:1]
	s_cbranch_execz .LBB266_110
; %bb.107:                              ;   in Loop: Header=BB266_9 Depth=1
	v_and_b32_e32 v2, 0x7f, v10
	v_cmp_ne_u32_e64 s[0:1], s43, v2
	v_mov_b32_e32 v37, 0x7c01
	s_and_saveexec_b64 s[38:39], s[0:1]
	s_cbranch_execz .LBB266_109
; %bb.108:                              ;   in Loop: Header=BB266_9 Depth=1
	v_and_b32_e32 v37, 7, v10
	v_ffbh_u32_e32 v38, v37
	v_min_u32_e32 v41, 32, v38
	v_subrev_u32_e32 v38, 28, v41
	v_lshlrev_b64 v[38:39], v38, v[10:11]
	v_lshrrev_b32_e32 v40, 3, v2
	v_sub_u32_e32 v39, 29, v41
	v_cmp_gt_u32_e64 s[0:1], 8, v2
	v_and_b32_e32 v38, 7, v38
	s_nop 0
	v_cndmask_b32_e64 v2, v40, v39, s[0:1]
	v_lshl_add_u32 v2, v2, 10, v17
	v_lshlrev_b32_e32 v39, 8, v10
	v_and_b32_e32 v2, 0xfc00, v2
	v_cndmask_b32_e64 v37, v37, v38, s[0:1]
	v_and_or_b32 v2, v39, s44, v2
	v_lshl_or_b32 v37, v37, 7, v2
.LBB266_109:                            ;   in Loop: Header=BB266_9 Depth=1
	s_or_b64 exec, exec, s[38:39]
.LBB266_110:                            ;   in Loop: Header=BB266_9 Depth=1
	s_or_b64 exec, exec, s[36:37]
.LBB266_111:                            ;   in Loop: Header=BB266_9 Depth=1
	s_or_b64 exec, exec, s[34:35]
	v_lshrrev_b16_e32 v2, 8, v10
	v_cmp_ne_u16_e64 s[0:1], 0, v2
	v_mov_b32_e32 v38, 0
	v_mov_b32_e32 v39, 0
	s_and_saveexec_b64 s[34:35], s[0:1]
	s_cbranch_execz .LBB266_117
; %bb.112:                              ;   in Loop: Header=BB266_9 Depth=1
	v_cmp_ne_u16_e64 s[0:1], s42, v2
	v_bfrev_b32_e32 v39, 1
	s_and_saveexec_b64 s[36:37], s[0:1]
	s_cbranch_execz .LBB266_116
; %bb.113:                              ;   in Loop: Header=BB266_9 Depth=1
	v_and_b32_e32 v40, 0x7f, v2
	v_cmp_ne_u32_e64 s[0:1], s43, v40
	v_mov_b32_e32 v39, 0x7c010000
	s_and_saveexec_b64 s[38:39], s[0:1]
	s_cbranch_execz .LBB266_115
; %bb.114:                              ;   in Loop: Header=BB266_9 Depth=1
	v_and_b32_e32 v39, 7, v2
	v_ffbh_u32_e32 v42, v39
	v_min_u32_e32 v44, 32, v42
	v_subrev_u32_e32 v42, 28, v44
	v_lshlrev_b64 v[42:43], v42, v[2:3]
	v_lshrrev_b32_e32 v41, 3, v40
	v_sub_u32_e32 v43, 29, v44
	v_cmp_gt_u32_e64 s[0:1], 8, v40
	v_lshlrev_b32_e32 v2, 8, v2
	s_nop 0
	v_cndmask_b32_e64 v40, v41, v43, s[0:1]
	v_lshl_add_u32 v40, v40, 10, v17
	v_and_b32_e32 v41, 7, v42
	v_and_or_b32 v2, v2, s44, v40
	v_cndmask_b32_e64 v39, v39, v41, s[0:1]
	v_lshlrev_b32_e32 v2, 16, v2
	v_lshl_or_b32 v39, v39, 23, v2
.LBB266_115:                            ;   in Loop: Header=BB266_9 Depth=1
	s_or_b64 exec, exec, s[38:39]
.LBB266_116:                            ;   in Loop: Header=BB266_9 Depth=1
	s_or_b64 exec, exec, s[36:37]
.LBB266_117:                            ;   in Loop: Header=BB266_9 Depth=1
	s_or_b64 exec, exec, s[34:35]
	v_lshrrev_b32_e32 v2, 16, v10
	v_cmp_ne_u16_sdwa s[0:1], v2, v3 src0_sel:BYTE_0 src1_sel:DWORD
	s_and_saveexec_b64 s[34:35], s[0:1]
	s_cbranch_execz .LBB266_123
; %bb.118:                              ;   in Loop: Header=BB266_9 Depth=1
	v_cmp_ne_u16_sdwa s[0:1], v2, s42 src0_sel:BYTE_0 src1_sel:DWORD
	v_mov_b32_e32 v38, 0x8000
	s_and_saveexec_b64 s[36:37], s[0:1]
	s_cbranch_execz .LBB266_122
; %bb.119:                              ;   in Loop: Header=BB266_9 Depth=1
	v_bfe_u32 v40, v10, 16, 7
	v_cmp_ne_u32_e64 s[0:1], s43, v40
	v_mov_b32_e32 v38, 0x7c01
	s_and_saveexec_b64 s[38:39], s[0:1]
	s_cbranch_execz .LBB266_121
; %bb.120:                              ;   in Loop: Header=BB266_9 Depth=1
	v_and_b32_e32 v38, 7, v2
	v_ffbh_u32_e32 v42, v38
	v_min_u32_e32 v44, 32, v42
	v_subrev_u32_e32 v42, 28, v44
	v_lshlrev_b64 v[42:43], v42, v[2:3]
	v_lshrrev_b32_e32 v41, 3, v40
	v_sub_u32_e32 v43, 29, v44
	v_cmp_gt_u32_e64 s[0:1], 8, v40
	v_lshlrev_b32_e32 v2, 8, v2
	s_nop 0
	v_cndmask_b32_e64 v40, v41, v43, s[0:1]
	v_lshl_add_u32 v40, v40, 10, v17
	v_and_b32_e32 v41, 7, v42
	v_and_b32_e32 v40, 0xfc00, v40
	v_cndmask_b32_e64 v38, v38, v41, s[0:1]
	v_and_or_b32 v2, v2, s44, v40
	v_lshl_or_b32 v38, v38, 7, v2
.LBB266_121:                            ;   in Loop: Header=BB266_9 Depth=1
	s_or_b64 exec, exec, s[38:39]
.LBB266_122:                            ;   in Loop: Header=BB266_9 Depth=1
	s_or_b64 exec, exec, s[36:37]
.LBB266_123:                            ;   in Loop: Header=BB266_9 Depth=1
	s_or_b64 exec, exec, s[34:35]
	v_cmp_lt_u32_e64 s[0:1], s45, v10
	v_mov_b32_e32 v41, 0
	v_mov_b32_e32 v40, 0
	s_and_saveexec_b64 s[34:35], s[0:1]
	s_cbranch_execz .LBB266_129
; %bb.124:                              ;   in Loop: Header=BB266_9 Depth=1
	v_lshrrev_b32_e32 v2, 24, v10
	v_cmp_ne_u32_e64 s[0:1], s42, v2
	v_bfrev_b32_e32 v40, 1
	s_and_saveexec_b64 s[36:37], s[0:1]
	s_cbranch_execz .LBB266_128
; %bb.125:                              ;   in Loop: Header=BB266_9 Depth=1
	v_and_b32_e32 v10, 0x7f, v2
	v_cmp_ne_u32_e64 s[0:1], s43, v10
	v_mov_b32_e32 v40, 0x7c010000
	s_and_saveexec_b64 s[38:39], s[0:1]
	s_cbranch_execz .LBB266_127
; %bb.126:                              ;   in Loop: Header=BB266_9 Depth=1
	v_and_b32_e32 v40, 7, v2
	v_ffbh_u32_e32 v42, v40
	v_min_u32_e32 v45, 32, v42
	v_subrev_u32_e32 v42, 28, v45
	v_lshlrev_b64 v[42:43], v42, v[2:3]
	v_lshrrev_b32_e32 v44, 3, v10
	v_sub_u32_e32 v43, 29, v45
	v_cmp_gt_u32_e64 s[0:1], 8, v10
	v_lshlrev_b32_e32 v2, 8, v2
	v_and_b32_e32 v42, 7, v42
	v_cndmask_b32_e64 v10, v44, v43, s[0:1]
	v_lshl_add_u32 v10, v10, 10, v17
	v_and_or_b32 v2, v2, s44, v10
	v_cndmask_b32_e64 v40, v40, v42, s[0:1]
	v_lshlrev_b32_e32 v2, 16, v2
	v_lshl_or_b32 v40, v40, 23, v2
.LBB266_127:                            ;   in Loop: Header=BB266_9 Depth=1
	s_or_b64 exec, exec, s[38:39]
.LBB266_128:                            ;   in Loop: Header=BB266_9 Depth=1
	s_or_b64 exec, exec, s[36:37]
.LBB266_129:                            ;   in Loop: Header=BB266_9 Depth=1
	s_or_b64 exec, exec, s[34:35]
	global_load_dword v10, v[8:9], off offset:1032
	s_waitcnt vmcnt(0)
	v_cmp_ne_u16_sdwa s[0:1], v10, v3 src0_sel:BYTE_0 src1_sel:DWORD
	s_and_saveexec_b64 s[34:35], s[0:1]
	s_cbranch_execz .LBB266_135
; %bb.130:                              ;   in Loop: Header=BB266_9 Depth=1
	v_cmp_ne_u16_sdwa s[0:1], v10, s42 src0_sel:BYTE_0 src1_sel:DWORD
	v_mov_b32_e32 v41, 0x8000
	s_and_saveexec_b64 s[36:37], s[0:1]
	s_cbranch_execz .LBB266_134
; %bb.131:                              ;   in Loop: Header=BB266_9 Depth=1
	v_and_b32_e32 v2, 0x7f, v10
	v_cmp_ne_u32_e64 s[0:1], s43, v2
	v_mov_b32_e32 v41, 0x7c01
	s_and_saveexec_b64 s[38:39], s[0:1]
	s_cbranch_execz .LBB266_133
; %bb.132:                              ;   in Loop: Header=BB266_9 Depth=1
	v_and_b32_e32 v41, 7, v10
	v_ffbh_u32_e32 v42, v41
	v_min_u32_e32 v45, 32, v42
	v_subrev_u32_e32 v42, 28, v45
	v_lshlrev_b64 v[42:43], v42, v[10:11]
	v_lshrrev_b32_e32 v44, 3, v2
	v_sub_u32_e32 v43, 29, v45
	v_cmp_gt_u32_e64 s[0:1], 8, v2
	v_and_b32_e32 v42, 7, v42
	s_nop 0
	v_cndmask_b32_e64 v2, v44, v43, s[0:1]
	v_lshl_add_u32 v2, v2, 10, v17
	v_lshlrev_b32_e32 v43, 8, v10
	v_and_b32_e32 v2, 0xfc00, v2
	v_cndmask_b32_e64 v41, v41, v42, s[0:1]
	v_and_or_b32 v2, v43, s44, v2
	v_lshl_or_b32 v41, v41, 7, v2
.LBB266_133:                            ;   in Loop: Header=BB266_9 Depth=1
	s_or_b64 exec, exec, s[38:39]
.LBB266_134:                            ;   in Loop: Header=BB266_9 Depth=1
	s_or_b64 exec, exec, s[36:37]
.LBB266_135:                            ;   in Loop: Header=BB266_9 Depth=1
	s_or_b64 exec, exec, s[34:35]
	v_lshrrev_b16_e32 v2, 8, v10
	v_cmp_ne_u16_e64 s[0:1], 0, v2
	v_mov_b32_e32 v42, 0
	v_mov_b32_e32 v43, 0
	s_and_saveexec_b64 s[34:35], s[0:1]
	s_cbranch_execz .LBB266_141
; %bb.136:                              ;   in Loop: Header=BB266_9 Depth=1
	v_cmp_ne_u16_e64 s[0:1], s42, v2
	v_bfrev_b32_e32 v43, 1
	s_and_saveexec_b64 s[36:37], s[0:1]
	s_cbranch_execz .LBB266_140
; %bb.137:                              ;   in Loop: Header=BB266_9 Depth=1
	v_and_b32_e32 v44, 0x7f, v2
	v_cmp_ne_u32_e64 s[0:1], s43, v44
	v_mov_b32_e32 v43, 0x7c010000
	s_and_saveexec_b64 s[38:39], s[0:1]
	s_cbranch_execz .LBB266_139
; %bb.138:                              ;   in Loop: Header=BB266_9 Depth=1
	v_and_b32_e32 v43, 7, v2
	v_ffbh_u32_e32 v46, v43
	v_min_u32_e32 v48, 32, v46
	v_subrev_u32_e32 v46, 28, v48
	v_lshlrev_b64 v[46:47], v46, v[2:3]
	v_lshrrev_b32_e32 v45, 3, v44
	v_sub_u32_e32 v47, 29, v48
	v_cmp_gt_u32_e64 s[0:1], 8, v44
	v_lshlrev_b32_e32 v2, 8, v2
	s_nop 0
	v_cndmask_b32_e64 v44, v45, v47, s[0:1]
	v_lshl_add_u32 v44, v44, 10, v17
	v_and_b32_e32 v45, 7, v46
	v_and_or_b32 v2, v2, s44, v44
	v_cndmask_b32_e64 v43, v43, v45, s[0:1]
	v_lshlrev_b32_e32 v2, 16, v2
	v_lshl_or_b32 v43, v43, 23, v2
.LBB266_139:                            ;   in Loop: Header=BB266_9 Depth=1
	s_or_b64 exec, exec, s[38:39]
.LBB266_140:                            ;   in Loop: Header=BB266_9 Depth=1
	s_or_b64 exec, exec, s[36:37]
.LBB266_141:                            ;   in Loop: Header=BB266_9 Depth=1
	s_or_b64 exec, exec, s[34:35]
	v_lshrrev_b32_e32 v2, 16, v10
	v_cmp_ne_u16_sdwa s[0:1], v2, v3 src0_sel:BYTE_0 src1_sel:DWORD
	s_and_saveexec_b64 s[34:35], s[0:1]
	s_cbranch_execz .LBB266_147
; %bb.142:                              ;   in Loop: Header=BB266_9 Depth=1
	v_cmp_ne_u16_sdwa s[0:1], v2, s42 src0_sel:BYTE_0 src1_sel:DWORD
	v_mov_b32_e32 v42, 0x8000
	s_and_saveexec_b64 s[36:37], s[0:1]
	s_cbranch_execz .LBB266_146
; %bb.143:                              ;   in Loop: Header=BB266_9 Depth=1
	v_bfe_u32 v44, v10, 16, 7
	v_cmp_ne_u32_e64 s[0:1], s43, v44
	v_mov_b32_e32 v42, 0x7c01
	s_and_saveexec_b64 s[38:39], s[0:1]
	s_cbranch_execz .LBB266_145
; %bb.144:                              ;   in Loop: Header=BB266_9 Depth=1
	v_and_b32_e32 v42, 7, v2
	v_ffbh_u32_e32 v46, v42
	v_min_u32_e32 v48, 32, v46
	v_subrev_u32_e32 v46, 28, v48
	v_lshlrev_b64 v[46:47], v46, v[2:3]
	v_lshrrev_b32_e32 v45, 3, v44
	v_sub_u32_e32 v47, 29, v48
	v_cmp_gt_u32_e64 s[0:1], 8, v44
	v_lshlrev_b32_e32 v2, 8, v2
	s_nop 0
	v_cndmask_b32_e64 v44, v45, v47, s[0:1]
	v_lshl_add_u32 v44, v44, 10, v17
	v_and_b32_e32 v45, 7, v46
	v_and_b32_e32 v44, 0xfc00, v44
	v_cndmask_b32_e64 v42, v42, v45, s[0:1]
	v_and_or_b32 v2, v2, s44, v44
	v_lshl_or_b32 v42, v42, 7, v2
.LBB266_145:                            ;   in Loop: Header=BB266_9 Depth=1
	s_or_b64 exec, exec, s[38:39]
.LBB266_146:                            ;   in Loop: Header=BB266_9 Depth=1
	s_or_b64 exec, exec, s[36:37]
.LBB266_147:                            ;   in Loop: Header=BB266_9 Depth=1
	s_or_b64 exec, exec, s[34:35]
	v_cmp_lt_u32_e64 s[0:1], s45, v10
	v_mov_b32_e32 v45, 0
	v_mov_b32_e32 v44, 0
	s_and_saveexec_b64 s[34:35], s[0:1]
	s_cbranch_execz .LBB266_153
; %bb.148:                              ;   in Loop: Header=BB266_9 Depth=1
	v_lshrrev_b32_e32 v2, 24, v10
	v_cmp_ne_u32_e64 s[0:1], s42, v2
	v_bfrev_b32_e32 v44, 1
	s_and_saveexec_b64 s[36:37], s[0:1]
	s_cbranch_execz .LBB266_152
; %bb.149:                              ;   in Loop: Header=BB266_9 Depth=1
	v_and_b32_e32 v10, 0x7f, v2
	v_cmp_ne_u32_e64 s[0:1], s43, v10
	v_mov_b32_e32 v44, 0x7c010000
	s_and_saveexec_b64 s[38:39], s[0:1]
	s_cbranch_execz .LBB266_151
; %bb.150:                              ;   in Loop: Header=BB266_9 Depth=1
	v_and_b32_e32 v44, 7, v2
	v_ffbh_u32_e32 v46, v44
	v_min_u32_e32 v49, 32, v46
	v_subrev_u32_e32 v46, 28, v49
	v_lshlrev_b64 v[46:47], v46, v[2:3]
	v_lshrrev_b32_e32 v48, 3, v10
	v_sub_u32_e32 v47, 29, v49
	v_cmp_gt_u32_e64 s[0:1], 8, v10
	v_lshlrev_b32_e32 v2, 8, v2
	v_and_b32_e32 v46, 7, v46
	v_cndmask_b32_e64 v10, v48, v47, s[0:1]
	v_lshl_add_u32 v10, v10, 10, v17
	v_and_or_b32 v2, v2, s44, v10
	v_cndmask_b32_e64 v44, v44, v46, s[0:1]
	v_lshlrev_b32_e32 v2, 16, v2
	v_lshl_or_b32 v44, v44, 23, v2
.LBB266_151:                            ;   in Loop: Header=BB266_9 Depth=1
	s_or_b64 exec, exec, s[38:39]
.LBB266_152:                            ;   in Loop: Header=BB266_9 Depth=1
	s_or_b64 exec, exec, s[36:37]
.LBB266_153:                            ;   in Loop: Header=BB266_9 Depth=1
	s_or_b64 exec, exec, s[34:35]
	global_load_dword v10, v[8:9], off offset:1536
	s_waitcnt vmcnt(0)
	v_cmp_ne_u16_sdwa s[0:1], v10, v3 src0_sel:BYTE_0 src1_sel:DWORD
	s_and_saveexec_b64 s[34:35], s[0:1]
	s_cbranch_execz .LBB266_159
; %bb.154:                              ;   in Loop: Header=BB266_9 Depth=1
	v_cmp_ne_u16_sdwa s[0:1], v10, s42 src0_sel:BYTE_0 src1_sel:DWORD
	v_mov_b32_e32 v45, 0x8000
	s_and_saveexec_b64 s[36:37], s[0:1]
	s_cbranch_execz .LBB266_158
; %bb.155:                              ;   in Loop: Header=BB266_9 Depth=1
	v_and_b32_e32 v2, 0x7f, v10
	v_cmp_ne_u32_e64 s[0:1], s43, v2
	v_mov_b32_e32 v45, 0x7c01
	s_and_saveexec_b64 s[38:39], s[0:1]
	s_cbranch_execz .LBB266_157
; %bb.156:                              ;   in Loop: Header=BB266_9 Depth=1
	v_and_b32_e32 v45, 7, v10
	v_ffbh_u32_e32 v46, v45
	v_min_u32_e32 v49, 32, v46
	v_subrev_u32_e32 v46, 28, v49
	v_lshlrev_b64 v[46:47], v46, v[10:11]
	v_lshrrev_b32_e32 v48, 3, v2
	v_sub_u32_e32 v47, 29, v49
	v_cmp_gt_u32_e64 s[0:1], 8, v2
	v_and_b32_e32 v46, 7, v46
	s_nop 0
	v_cndmask_b32_e64 v2, v48, v47, s[0:1]
	v_lshl_add_u32 v2, v2, 10, v17
	v_lshlrev_b32_e32 v47, 8, v10
	v_and_b32_e32 v2, 0xfc00, v2
	v_cndmask_b32_e64 v45, v45, v46, s[0:1]
	v_and_or_b32 v2, v47, s44, v2
	v_lshl_or_b32 v45, v45, 7, v2
.LBB266_157:                            ;   in Loop: Header=BB266_9 Depth=1
	s_or_b64 exec, exec, s[38:39]
.LBB266_158:                            ;   in Loop: Header=BB266_9 Depth=1
	s_or_b64 exec, exec, s[36:37]
.LBB266_159:                            ;   in Loop: Header=BB266_9 Depth=1
	s_or_b64 exec, exec, s[34:35]
	v_lshrrev_b16_e32 v2, 8, v10
	v_cmp_ne_u16_e64 s[0:1], 0, v2
	v_mov_b32_e32 v46, 0
	v_mov_b32_e32 v47, 0
	s_and_saveexec_b64 s[34:35], s[0:1]
	s_cbranch_execz .LBB266_165
; %bb.160:                              ;   in Loop: Header=BB266_9 Depth=1
	v_cmp_ne_u16_e64 s[0:1], s42, v2
	v_bfrev_b32_e32 v47, 1
	s_and_saveexec_b64 s[36:37], s[0:1]
	s_cbranch_execz .LBB266_164
; %bb.161:                              ;   in Loop: Header=BB266_9 Depth=1
	v_and_b32_e32 v48, 0x7f, v2
	v_cmp_ne_u32_e64 s[0:1], s43, v48
	v_mov_b32_e32 v47, 0x7c010000
	s_and_saveexec_b64 s[38:39], s[0:1]
	s_cbranch_execz .LBB266_163
; %bb.162:                              ;   in Loop: Header=BB266_9 Depth=1
	v_and_b32_e32 v47, 7, v2
	v_ffbh_u32_e32 v50, v47
	v_min_u32_e32 v52, 32, v50
	v_subrev_u32_e32 v50, 28, v52
	v_lshlrev_b64 v[50:51], v50, v[2:3]
	v_lshrrev_b32_e32 v49, 3, v48
	v_sub_u32_e32 v51, 29, v52
	v_cmp_gt_u32_e64 s[0:1], 8, v48
	v_lshlrev_b32_e32 v2, 8, v2
	s_nop 0
	v_cndmask_b32_e64 v48, v49, v51, s[0:1]
	v_lshl_add_u32 v48, v48, 10, v17
	v_and_b32_e32 v49, 7, v50
	v_and_or_b32 v2, v2, s44, v48
	v_cndmask_b32_e64 v47, v47, v49, s[0:1]
	v_lshlrev_b32_e32 v2, 16, v2
	v_lshl_or_b32 v47, v47, 23, v2
.LBB266_163:                            ;   in Loop: Header=BB266_9 Depth=1
	s_or_b64 exec, exec, s[38:39]
.LBB266_164:                            ;   in Loop: Header=BB266_9 Depth=1
	s_or_b64 exec, exec, s[36:37]
.LBB266_165:                            ;   in Loop: Header=BB266_9 Depth=1
	s_or_b64 exec, exec, s[34:35]
	v_lshrrev_b32_e32 v2, 16, v10
	v_cmp_ne_u16_sdwa s[0:1], v2, v3 src0_sel:BYTE_0 src1_sel:DWORD
	s_and_saveexec_b64 s[34:35], s[0:1]
	s_cbranch_execz .LBB266_171
; %bb.166:                              ;   in Loop: Header=BB266_9 Depth=1
	v_cmp_ne_u16_sdwa s[0:1], v2, s42 src0_sel:BYTE_0 src1_sel:DWORD
	v_mov_b32_e32 v46, 0x8000
	s_and_saveexec_b64 s[36:37], s[0:1]
	s_cbranch_execz .LBB266_170
; %bb.167:                              ;   in Loop: Header=BB266_9 Depth=1
	v_bfe_u32 v48, v10, 16, 7
	v_cmp_ne_u32_e64 s[0:1], s43, v48
	v_mov_b32_e32 v46, 0x7c01
	s_and_saveexec_b64 s[38:39], s[0:1]
	s_cbranch_execz .LBB266_169
; %bb.168:                              ;   in Loop: Header=BB266_9 Depth=1
	v_and_b32_e32 v46, 7, v2
	v_ffbh_u32_e32 v50, v46
	v_min_u32_e32 v52, 32, v50
	v_subrev_u32_e32 v50, 28, v52
	v_lshlrev_b64 v[50:51], v50, v[2:3]
	v_lshrrev_b32_e32 v49, 3, v48
	v_sub_u32_e32 v51, 29, v52
	v_cmp_gt_u32_e64 s[0:1], 8, v48
	v_lshlrev_b32_e32 v2, 8, v2
	s_nop 0
	v_cndmask_b32_e64 v48, v49, v51, s[0:1]
	v_lshl_add_u32 v48, v48, 10, v17
	v_and_b32_e32 v49, 7, v50
	v_and_b32_e32 v48, 0xfc00, v48
	v_cndmask_b32_e64 v46, v46, v49, s[0:1]
	v_and_or_b32 v2, v2, s44, v48
	v_lshl_or_b32 v46, v46, 7, v2
.LBB266_169:                            ;   in Loop: Header=BB266_9 Depth=1
	s_or_b64 exec, exec, s[38:39]
.LBB266_170:                            ;   in Loop: Header=BB266_9 Depth=1
	s_or_b64 exec, exec, s[36:37]
.LBB266_171:                            ;   in Loop: Header=BB266_9 Depth=1
	s_or_b64 exec, exec, s[34:35]
	v_cmp_lt_u32_e64 s[0:1], s45, v10
	v_mov_b32_e32 v49, 0
	v_mov_b32_e32 v48, 0
	s_and_saveexec_b64 s[34:35], s[0:1]
	s_cbranch_execz .LBB266_177
; %bb.172:                              ;   in Loop: Header=BB266_9 Depth=1
	v_lshrrev_b32_e32 v2, 24, v10
	v_cmp_ne_u32_e64 s[0:1], s42, v2
	v_bfrev_b32_e32 v48, 1
	s_and_saveexec_b64 s[36:37], s[0:1]
	s_cbranch_execz .LBB266_176
; %bb.173:                              ;   in Loop: Header=BB266_9 Depth=1
	v_and_b32_e32 v10, 0x7f, v2
	v_cmp_ne_u32_e64 s[0:1], s43, v10
	v_mov_b32_e32 v48, 0x7c010000
	s_and_saveexec_b64 s[38:39], s[0:1]
	s_cbranch_execz .LBB266_175
; %bb.174:                              ;   in Loop: Header=BB266_9 Depth=1
	v_and_b32_e32 v48, 7, v2
	v_ffbh_u32_e32 v50, v48
	v_min_u32_e32 v53, 32, v50
	v_subrev_u32_e32 v50, 28, v53
	v_lshlrev_b64 v[50:51], v50, v[2:3]
	v_lshrrev_b32_e32 v52, 3, v10
	v_sub_u32_e32 v51, 29, v53
	v_cmp_gt_u32_e64 s[0:1], 8, v10
	v_lshlrev_b32_e32 v2, 8, v2
	v_and_b32_e32 v50, 7, v50
	v_cndmask_b32_e64 v10, v52, v51, s[0:1]
	v_lshl_add_u32 v10, v10, 10, v17
	v_and_or_b32 v2, v2, s44, v10
	v_cndmask_b32_e64 v48, v48, v50, s[0:1]
	v_lshlrev_b32_e32 v2, 16, v2
	v_lshl_or_b32 v48, v48, 23, v2
.LBB266_175:                            ;   in Loop: Header=BB266_9 Depth=1
	s_or_b64 exec, exec, s[38:39]
.LBB266_176:                            ;   in Loop: Header=BB266_9 Depth=1
	s_or_b64 exec, exec, s[36:37]
.LBB266_177:                            ;   in Loop: Header=BB266_9 Depth=1
	s_or_b64 exec, exec, s[34:35]
	global_load_dword v10, v[8:9], off offset:1544
	s_waitcnt vmcnt(0)
	v_cmp_ne_u16_sdwa s[0:1], v10, v3 src0_sel:BYTE_0 src1_sel:DWORD
	s_and_saveexec_b64 s[34:35], s[0:1]
	s_cbranch_execz .LBB266_183
; %bb.178:                              ;   in Loop: Header=BB266_9 Depth=1
	v_cmp_ne_u16_sdwa s[0:1], v10, s42 src0_sel:BYTE_0 src1_sel:DWORD
	v_mov_b32_e32 v49, 0x8000
	s_and_saveexec_b64 s[36:37], s[0:1]
	s_cbranch_execz .LBB266_182
; %bb.179:                              ;   in Loop: Header=BB266_9 Depth=1
	v_and_b32_e32 v2, 0x7f, v10
	v_cmp_ne_u32_e64 s[0:1], s43, v2
	v_mov_b32_e32 v49, 0x7c01
	s_and_saveexec_b64 s[38:39], s[0:1]
	s_cbranch_execz .LBB266_181
; %bb.180:                              ;   in Loop: Header=BB266_9 Depth=1
	v_and_b32_e32 v49, 7, v10
	v_ffbh_u32_e32 v50, v49
	v_min_u32_e32 v53, 32, v50
	v_subrev_u32_e32 v50, 28, v53
	v_lshlrev_b64 v[50:51], v50, v[10:11]
	v_lshrrev_b32_e32 v52, 3, v2
	v_sub_u32_e32 v51, 29, v53
	v_cmp_gt_u32_e64 s[0:1], 8, v2
	v_and_b32_e32 v50, 7, v50
	s_nop 0
	v_cndmask_b32_e64 v2, v52, v51, s[0:1]
	v_lshl_add_u32 v2, v2, 10, v17
	v_lshlrev_b32_e32 v51, 8, v10
	v_and_b32_e32 v2, 0xfc00, v2
	v_cndmask_b32_e64 v49, v49, v50, s[0:1]
	v_and_or_b32 v2, v51, s44, v2
	v_lshl_or_b32 v49, v49, 7, v2
.LBB266_181:                            ;   in Loop: Header=BB266_9 Depth=1
	s_or_b64 exec, exec, s[38:39]
.LBB266_182:                            ;   in Loop: Header=BB266_9 Depth=1
	s_or_b64 exec, exec, s[36:37]
.LBB266_183:                            ;   in Loop: Header=BB266_9 Depth=1
	s_or_b64 exec, exec, s[34:35]
	v_lshrrev_b16_e32 v2, 8, v10
	v_cmp_ne_u16_e64 s[0:1], 0, v2
	v_mov_b32_e32 v50, 0
	v_mov_b32_e32 v51, 0
	s_and_saveexec_b64 s[34:35], s[0:1]
	s_cbranch_execz .LBB266_189
; %bb.184:                              ;   in Loop: Header=BB266_9 Depth=1
	v_cmp_ne_u16_e64 s[0:1], s42, v2
	v_bfrev_b32_e32 v51, 1
	s_and_saveexec_b64 s[36:37], s[0:1]
	s_cbranch_execz .LBB266_188
; %bb.185:                              ;   in Loop: Header=BB266_9 Depth=1
	v_and_b32_e32 v52, 0x7f, v2
	v_cmp_ne_u32_e64 s[0:1], s43, v52
	v_mov_b32_e32 v51, 0x7c010000
	s_and_saveexec_b64 s[38:39], s[0:1]
	s_cbranch_execz .LBB266_187
; %bb.186:                              ;   in Loop: Header=BB266_9 Depth=1
	v_and_b32_e32 v51, 7, v2
	v_ffbh_u32_e32 v54, v51
	v_min_u32_e32 v56, 32, v54
	v_subrev_u32_e32 v54, 28, v56
	v_lshlrev_b64 v[54:55], v54, v[2:3]
	v_lshrrev_b32_e32 v53, 3, v52
	v_sub_u32_e32 v55, 29, v56
	v_cmp_gt_u32_e64 s[0:1], 8, v52
	v_lshlrev_b32_e32 v2, 8, v2
	s_nop 0
	v_cndmask_b32_e64 v52, v53, v55, s[0:1]
	v_lshl_add_u32 v52, v52, 10, v17
	v_and_b32_e32 v53, 7, v54
	v_and_or_b32 v2, v2, s44, v52
	v_cndmask_b32_e64 v51, v51, v53, s[0:1]
	v_lshlrev_b32_e32 v2, 16, v2
	v_lshl_or_b32 v51, v51, 23, v2
.LBB266_187:                            ;   in Loop: Header=BB266_9 Depth=1
	s_or_b64 exec, exec, s[38:39]
.LBB266_188:                            ;   in Loop: Header=BB266_9 Depth=1
	s_or_b64 exec, exec, s[36:37]
.LBB266_189:                            ;   in Loop: Header=BB266_9 Depth=1
	s_or_b64 exec, exec, s[34:35]
	v_lshrrev_b32_e32 v2, 16, v10
	v_cmp_ne_u16_sdwa s[0:1], v2, v3 src0_sel:BYTE_0 src1_sel:DWORD
	s_and_saveexec_b64 s[34:35], s[0:1]
	s_cbranch_execz .LBB266_195
; %bb.190:                              ;   in Loop: Header=BB266_9 Depth=1
	v_cmp_ne_u16_sdwa s[0:1], v2, s42 src0_sel:BYTE_0 src1_sel:DWORD
	v_mov_b32_e32 v50, 0x8000
	s_and_saveexec_b64 s[36:37], s[0:1]
	s_cbranch_execz .LBB266_194
; %bb.191:                              ;   in Loop: Header=BB266_9 Depth=1
	v_bfe_u32 v52, v10, 16, 7
	v_cmp_ne_u32_e64 s[0:1], s43, v52
	v_mov_b32_e32 v50, 0x7c01
	s_and_saveexec_b64 s[38:39], s[0:1]
	s_cbranch_execz .LBB266_193
; %bb.192:                              ;   in Loop: Header=BB266_9 Depth=1
	v_and_b32_e32 v50, 7, v2
	v_ffbh_u32_e32 v54, v50
	v_min_u32_e32 v56, 32, v54
	v_subrev_u32_e32 v54, 28, v56
	v_lshlrev_b64 v[54:55], v54, v[2:3]
	v_lshrrev_b32_e32 v53, 3, v52
	v_sub_u32_e32 v55, 29, v56
	v_cmp_gt_u32_e64 s[0:1], 8, v52
	v_lshlrev_b32_e32 v2, 8, v2
	s_nop 0
	v_cndmask_b32_e64 v52, v53, v55, s[0:1]
	v_lshl_add_u32 v52, v52, 10, v17
	v_and_b32_e32 v53, 7, v54
	v_and_b32_e32 v52, 0xfc00, v52
	v_cndmask_b32_e64 v50, v50, v53, s[0:1]
	v_and_or_b32 v2, v2, s44, v52
	v_lshl_or_b32 v50, v50, 7, v2
.LBB266_193:                            ;   in Loop: Header=BB266_9 Depth=1
	s_or_b64 exec, exec, s[38:39]
.LBB266_194:                            ;   in Loop: Header=BB266_9 Depth=1
	s_or_b64 exec, exec, s[36:37]
.LBB266_195:                            ;   in Loop: Header=BB266_9 Depth=1
	s_or_b64 exec, exec, s[34:35]
	v_cmp_lt_u32_e64 s[0:1], s45, v10
	v_mov_b32_e32 v53, 0
	v_mov_b32_e32 v52, 0
	s_and_saveexec_b64 s[34:35], s[0:1]
	s_cbranch_execz .LBB266_201
; %bb.196:                              ;   in Loop: Header=BB266_9 Depth=1
	v_lshrrev_b32_e32 v2, 24, v10
	v_cmp_ne_u32_e64 s[0:1], s42, v2
	v_bfrev_b32_e32 v52, 1
	s_and_saveexec_b64 s[36:37], s[0:1]
	s_cbranch_execz .LBB266_200
; %bb.197:                              ;   in Loop: Header=BB266_9 Depth=1
	v_and_b32_e32 v10, 0x7f, v2
	v_cmp_ne_u32_e64 s[0:1], s43, v10
	v_mov_b32_e32 v52, 0x7c010000
	s_and_saveexec_b64 s[38:39], s[0:1]
	s_cbranch_execz .LBB266_199
; %bb.198:                              ;   in Loop: Header=BB266_9 Depth=1
	v_and_b32_e32 v52, 7, v2
	v_ffbh_u32_e32 v54, v52
	v_min_u32_e32 v57, 32, v54
	v_subrev_u32_e32 v54, 28, v57
	v_lshlrev_b64 v[54:55], v54, v[2:3]
	v_lshrrev_b32_e32 v56, 3, v10
	v_sub_u32_e32 v55, 29, v57
	v_cmp_gt_u32_e64 s[0:1], 8, v10
	v_lshlrev_b32_e32 v2, 8, v2
	v_and_b32_e32 v54, 7, v54
	v_cndmask_b32_e64 v10, v56, v55, s[0:1]
	v_lshl_add_u32 v10, v10, 10, v17
	v_and_or_b32 v2, v2, s44, v10
	v_cndmask_b32_e64 v52, v52, v54, s[0:1]
	v_lshlrev_b32_e32 v2, 16, v2
	v_lshl_or_b32 v52, v52, 23, v2
.LBB266_199:                            ;   in Loop: Header=BB266_9 Depth=1
	s_or_b64 exec, exec, s[38:39]
.LBB266_200:                            ;   in Loop: Header=BB266_9 Depth=1
	s_or_b64 exec, exec, s[36:37]
.LBB266_201:                            ;   in Loop: Header=BB266_9 Depth=1
	s_or_b64 exec, exec, s[34:35]
	global_load_dword v10, v[8:9], off offset:2048
	s_waitcnt vmcnt(0)
	v_cmp_ne_u16_sdwa s[0:1], v10, v3 src0_sel:BYTE_0 src1_sel:DWORD
	s_and_saveexec_b64 s[34:35], s[0:1]
	s_cbranch_execz .LBB266_207
; %bb.202:                              ;   in Loop: Header=BB266_9 Depth=1
	v_cmp_ne_u16_sdwa s[0:1], v10, s42 src0_sel:BYTE_0 src1_sel:DWORD
	v_mov_b32_e32 v53, 0x8000
	s_and_saveexec_b64 s[36:37], s[0:1]
	s_cbranch_execz .LBB266_206
; %bb.203:                              ;   in Loop: Header=BB266_9 Depth=1
	v_and_b32_e32 v2, 0x7f, v10
	v_cmp_ne_u32_e64 s[0:1], s43, v2
	v_mov_b32_e32 v53, 0x7c01
	s_and_saveexec_b64 s[38:39], s[0:1]
	s_cbranch_execz .LBB266_205
; %bb.204:                              ;   in Loop: Header=BB266_9 Depth=1
	v_and_b32_e32 v53, 7, v10
	v_ffbh_u32_e32 v54, v53
	v_min_u32_e32 v57, 32, v54
	v_subrev_u32_e32 v54, 28, v57
	v_lshlrev_b64 v[54:55], v54, v[10:11]
	v_lshrrev_b32_e32 v56, 3, v2
	v_sub_u32_e32 v55, 29, v57
	v_cmp_gt_u32_e64 s[0:1], 8, v2
	v_and_b32_e32 v54, 7, v54
	s_nop 0
	v_cndmask_b32_e64 v2, v56, v55, s[0:1]
	v_lshl_add_u32 v2, v2, 10, v17
	v_lshlrev_b32_e32 v55, 8, v10
	v_and_b32_e32 v2, 0xfc00, v2
	v_cndmask_b32_e64 v53, v53, v54, s[0:1]
	v_and_or_b32 v2, v55, s44, v2
	v_lshl_or_b32 v53, v53, 7, v2
.LBB266_205:                            ;   in Loop: Header=BB266_9 Depth=1
	s_or_b64 exec, exec, s[38:39]
.LBB266_206:                            ;   in Loop: Header=BB266_9 Depth=1
	s_or_b64 exec, exec, s[36:37]
.LBB266_207:                            ;   in Loop: Header=BB266_9 Depth=1
	s_or_b64 exec, exec, s[34:35]
	v_lshrrev_b16_e32 v2, 8, v10
	v_cmp_ne_u16_e64 s[0:1], 0, v2
	v_mov_b32_e32 v54, 0
	v_mov_b32_e32 v55, 0
	s_and_saveexec_b64 s[34:35], s[0:1]
	s_cbranch_execz .LBB266_213
; %bb.208:                              ;   in Loop: Header=BB266_9 Depth=1
	v_cmp_ne_u16_e64 s[0:1], s42, v2
	v_bfrev_b32_e32 v55, 1
	s_and_saveexec_b64 s[36:37], s[0:1]
	s_cbranch_execz .LBB266_212
; %bb.209:                              ;   in Loop: Header=BB266_9 Depth=1
	v_and_b32_e32 v56, 0x7f, v2
	v_cmp_ne_u32_e64 s[0:1], s43, v56
	v_mov_b32_e32 v55, 0x7c010000
	s_and_saveexec_b64 s[38:39], s[0:1]
	s_cbranch_execz .LBB266_211
; %bb.210:                              ;   in Loop: Header=BB266_9 Depth=1
	v_and_b32_e32 v55, 7, v2
	v_ffbh_u32_e32 v58, v55
	v_min_u32_e32 v60, 32, v58
	v_subrev_u32_e32 v58, 28, v60
	v_lshlrev_b64 v[58:59], v58, v[2:3]
	v_lshrrev_b32_e32 v57, 3, v56
	v_sub_u32_e32 v59, 29, v60
	v_cmp_gt_u32_e64 s[0:1], 8, v56
	v_lshlrev_b32_e32 v2, 8, v2
	s_nop 0
	v_cndmask_b32_e64 v56, v57, v59, s[0:1]
	v_lshl_add_u32 v56, v56, 10, v17
	v_and_b32_e32 v57, 7, v58
	v_and_or_b32 v2, v2, s44, v56
	v_cndmask_b32_e64 v55, v55, v57, s[0:1]
	v_lshlrev_b32_e32 v2, 16, v2
	v_lshl_or_b32 v55, v55, 23, v2
.LBB266_211:                            ;   in Loop: Header=BB266_9 Depth=1
	s_or_b64 exec, exec, s[38:39]
.LBB266_212:                            ;   in Loop: Header=BB266_9 Depth=1
	s_or_b64 exec, exec, s[36:37]
.LBB266_213:                            ;   in Loop: Header=BB266_9 Depth=1
	s_or_b64 exec, exec, s[34:35]
	v_lshrrev_b32_e32 v2, 16, v10
	v_cmp_ne_u16_sdwa s[0:1], v2, v3 src0_sel:BYTE_0 src1_sel:DWORD
	s_and_saveexec_b64 s[34:35], s[0:1]
	s_cbranch_execz .LBB266_219
; %bb.214:                              ;   in Loop: Header=BB266_9 Depth=1
	v_cmp_ne_u16_sdwa s[0:1], v2, s42 src0_sel:BYTE_0 src1_sel:DWORD
	v_mov_b32_e32 v54, 0x8000
	s_and_saveexec_b64 s[36:37], s[0:1]
	s_cbranch_execz .LBB266_218
; %bb.215:                              ;   in Loop: Header=BB266_9 Depth=1
	v_bfe_u32 v56, v10, 16, 7
	v_cmp_ne_u32_e64 s[0:1], s43, v56
	v_mov_b32_e32 v54, 0x7c01
	s_and_saveexec_b64 s[38:39], s[0:1]
	s_cbranch_execz .LBB266_217
; %bb.216:                              ;   in Loop: Header=BB266_9 Depth=1
	v_and_b32_e32 v54, 7, v2
	v_ffbh_u32_e32 v58, v54
	v_min_u32_e32 v60, 32, v58
	v_subrev_u32_e32 v58, 28, v60
	v_lshlrev_b64 v[58:59], v58, v[2:3]
	v_lshrrev_b32_e32 v57, 3, v56
	v_sub_u32_e32 v59, 29, v60
	v_cmp_gt_u32_e64 s[0:1], 8, v56
	v_lshlrev_b32_e32 v2, 8, v2
	s_nop 0
	v_cndmask_b32_e64 v56, v57, v59, s[0:1]
	v_lshl_add_u32 v56, v56, 10, v17
	v_and_b32_e32 v57, 7, v58
	v_and_b32_e32 v56, 0xfc00, v56
	v_cndmask_b32_e64 v54, v54, v57, s[0:1]
	v_and_or_b32 v2, v2, s44, v56
	v_lshl_or_b32 v54, v54, 7, v2
.LBB266_217:                            ;   in Loop: Header=BB266_9 Depth=1
	s_or_b64 exec, exec, s[38:39]
.LBB266_218:                            ;   in Loop: Header=BB266_9 Depth=1
	s_or_b64 exec, exec, s[36:37]
.LBB266_219:                            ;   in Loop: Header=BB266_9 Depth=1
	s_or_b64 exec, exec, s[34:35]
	v_cmp_lt_u32_e64 s[0:1], s45, v10
	v_mov_b32_e32 v57, 0
	v_mov_b32_e32 v56, 0
	s_and_saveexec_b64 s[34:35], s[0:1]
	s_cbranch_execz .LBB266_225
; %bb.220:                              ;   in Loop: Header=BB266_9 Depth=1
	v_lshrrev_b32_e32 v2, 24, v10
	v_cmp_ne_u32_e64 s[0:1], s42, v2
	v_bfrev_b32_e32 v56, 1
	s_and_saveexec_b64 s[36:37], s[0:1]
	s_cbranch_execz .LBB266_224
; %bb.221:                              ;   in Loop: Header=BB266_9 Depth=1
	v_and_b32_e32 v10, 0x7f, v2
	v_cmp_ne_u32_e64 s[0:1], s43, v10
	v_mov_b32_e32 v56, 0x7c010000
	s_and_saveexec_b64 s[38:39], s[0:1]
	s_cbranch_execz .LBB266_223
; %bb.222:                              ;   in Loop: Header=BB266_9 Depth=1
	v_and_b32_e32 v56, 7, v2
	v_ffbh_u32_e32 v58, v56
	v_min_u32_e32 v61, 32, v58
	v_subrev_u32_e32 v58, 28, v61
	v_lshlrev_b64 v[58:59], v58, v[2:3]
	v_lshrrev_b32_e32 v60, 3, v10
	v_sub_u32_e32 v59, 29, v61
	v_cmp_gt_u32_e64 s[0:1], 8, v10
	v_lshlrev_b32_e32 v2, 8, v2
	v_and_b32_e32 v58, 7, v58
	v_cndmask_b32_e64 v10, v60, v59, s[0:1]
	v_lshl_add_u32 v10, v10, 10, v17
	v_and_or_b32 v2, v2, s44, v10
	v_cndmask_b32_e64 v56, v56, v58, s[0:1]
	v_lshlrev_b32_e32 v2, 16, v2
	v_lshl_or_b32 v56, v56, 23, v2
.LBB266_223:                            ;   in Loop: Header=BB266_9 Depth=1
	s_or_b64 exec, exec, s[38:39]
.LBB266_224:                            ;   in Loop: Header=BB266_9 Depth=1
	s_or_b64 exec, exec, s[36:37]
.LBB266_225:                            ;   in Loop: Header=BB266_9 Depth=1
	s_or_b64 exec, exec, s[34:35]
	global_load_dword v10, v[8:9], off offset:2056
	s_waitcnt vmcnt(0)
	v_cmp_ne_u16_sdwa s[0:1], v10, v3 src0_sel:BYTE_0 src1_sel:DWORD
	s_and_saveexec_b64 s[34:35], s[0:1]
	s_cbranch_execz .LBB266_231
; %bb.226:                              ;   in Loop: Header=BB266_9 Depth=1
	v_cmp_ne_u16_sdwa s[0:1], v10, s42 src0_sel:BYTE_0 src1_sel:DWORD
	v_mov_b32_e32 v57, 0x8000
	s_and_saveexec_b64 s[36:37], s[0:1]
	s_cbranch_execz .LBB266_230
; %bb.227:                              ;   in Loop: Header=BB266_9 Depth=1
	v_and_b32_e32 v2, 0x7f, v10
	v_cmp_ne_u32_e64 s[0:1], s43, v2
	v_mov_b32_e32 v57, 0x7c01
	s_and_saveexec_b64 s[38:39], s[0:1]
	s_cbranch_execz .LBB266_229
; %bb.228:                              ;   in Loop: Header=BB266_9 Depth=1
	v_and_b32_e32 v57, 7, v10
	v_ffbh_u32_e32 v58, v57
	v_min_u32_e32 v61, 32, v58
	v_subrev_u32_e32 v58, 28, v61
	v_lshlrev_b64 v[58:59], v58, v[10:11]
	v_lshrrev_b32_e32 v60, 3, v2
	v_sub_u32_e32 v59, 29, v61
	v_cmp_gt_u32_e64 s[0:1], 8, v2
	v_and_b32_e32 v58, 7, v58
	s_nop 0
	v_cndmask_b32_e64 v2, v60, v59, s[0:1]
	v_lshl_add_u32 v2, v2, 10, v17
	v_lshlrev_b32_e32 v59, 8, v10
	v_and_b32_e32 v2, 0xfc00, v2
	v_cndmask_b32_e64 v57, v57, v58, s[0:1]
	v_and_or_b32 v2, v59, s44, v2
	v_lshl_or_b32 v57, v57, 7, v2
.LBB266_229:                            ;   in Loop: Header=BB266_9 Depth=1
	s_or_b64 exec, exec, s[38:39]
.LBB266_230:                            ;   in Loop: Header=BB266_9 Depth=1
	s_or_b64 exec, exec, s[36:37]
.LBB266_231:                            ;   in Loop: Header=BB266_9 Depth=1
	s_or_b64 exec, exec, s[34:35]
	v_lshrrev_b16_e32 v2, 8, v10
	v_cmp_ne_u16_e64 s[0:1], 0, v2
	v_mov_b32_e32 v58, 0
	v_mov_b32_e32 v59, 0
	s_and_saveexec_b64 s[34:35], s[0:1]
	s_cbranch_execz .LBB266_237
; %bb.232:                              ;   in Loop: Header=BB266_9 Depth=1
	v_cmp_ne_u16_e64 s[0:1], s42, v2
	v_bfrev_b32_e32 v59, 1
	s_and_saveexec_b64 s[36:37], s[0:1]
	s_cbranch_execz .LBB266_236
; %bb.233:                              ;   in Loop: Header=BB266_9 Depth=1
	v_and_b32_e32 v60, 0x7f, v2
	v_cmp_ne_u32_e64 s[0:1], s43, v60
	v_mov_b32_e32 v59, 0x7c010000
	s_and_saveexec_b64 s[38:39], s[0:1]
	s_cbranch_execz .LBB266_235
; %bb.234:                              ;   in Loop: Header=BB266_9 Depth=1
	v_and_b32_e32 v59, 7, v2
	v_ffbh_u32_e32 v62, v59
	v_min_u32_e32 v64, 32, v62
	v_subrev_u32_e32 v62, 28, v64
	v_lshlrev_b64 v[62:63], v62, v[2:3]
	v_lshrrev_b32_e32 v61, 3, v60
	v_sub_u32_e32 v63, 29, v64
	v_cmp_gt_u32_e64 s[0:1], 8, v60
	v_lshlrev_b32_e32 v2, 8, v2
	s_nop 0
	v_cndmask_b32_e64 v60, v61, v63, s[0:1]
	v_lshl_add_u32 v60, v60, 10, v17
	v_and_b32_e32 v61, 7, v62
	v_and_or_b32 v2, v2, s44, v60
	v_cndmask_b32_e64 v59, v59, v61, s[0:1]
	v_lshlrev_b32_e32 v2, 16, v2
	v_lshl_or_b32 v59, v59, 23, v2
.LBB266_235:                            ;   in Loop: Header=BB266_9 Depth=1
	s_or_b64 exec, exec, s[38:39]
.LBB266_236:                            ;   in Loop: Header=BB266_9 Depth=1
	s_or_b64 exec, exec, s[36:37]
.LBB266_237:                            ;   in Loop: Header=BB266_9 Depth=1
	s_or_b64 exec, exec, s[34:35]
	v_lshrrev_b32_e32 v2, 16, v10
	v_cmp_ne_u16_sdwa s[0:1], v2, v3 src0_sel:BYTE_0 src1_sel:DWORD
	s_and_saveexec_b64 s[34:35], s[0:1]
	s_cbranch_execz .LBB266_243
; %bb.238:                              ;   in Loop: Header=BB266_9 Depth=1
	v_cmp_ne_u16_sdwa s[0:1], v2, s42 src0_sel:BYTE_0 src1_sel:DWORD
	v_mov_b32_e32 v58, 0x8000
	s_and_saveexec_b64 s[36:37], s[0:1]
	s_cbranch_execz .LBB266_242
; %bb.239:                              ;   in Loop: Header=BB266_9 Depth=1
	v_bfe_u32 v60, v10, 16, 7
	v_cmp_ne_u32_e64 s[0:1], s43, v60
	v_mov_b32_e32 v58, 0x7c01
	s_and_saveexec_b64 s[38:39], s[0:1]
	s_cbranch_execz .LBB266_241
; %bb.240:                              ;   in Loop: Header=BB266_9 Depth=1
	v_and_b32_e32 v58, 7, v2
	v_ffbh_u32_e32 v62, v58
	v_min_u32_e32 v64, 32, v62
	v_subrev_u32_e32 v62, 28, v64
	v_lshlrev_b64 v[62:63], v62, v[2:3]
	v_lshrrev_b32_e32 v61, 3, v60
	v_sub_u32_e32 v63, 29, v64
	v_cmp_gt_u32_e64 s[0:1], 8, v60
	v_lshlrev_b32_e32 v2, 8, v2
	s_nop 0
	v_cndmask_b32_e64 v60, v61, v63, s[0:1]
	v_lshl_add_u32 v60, v60, 10, v17
	v_and_b32_e32 v61, 7, v62
	v_and_b32_e32 v60, 0xfc00, v60
	v_cndmask_b32_e64 v58, v58, v61, s[0:1]
	v_and_or_b32 v2, v2, s44, v60
	v_lshl_or_b32 v58, v58, 7, v2
.LBB266_241:                            ;   in Loop: Header=BB266_9 Depth=1
	s_or_b64 exec, exec, s[38:39]
.LBB266_242:                            ;   in Loop: Header=BB266_9 Depth=1
	s_or_b64 exec, exec, s[36:37]
.LBB266_243:                            ;   in Loop: Header=BB266_9 Depth=1
	s_or_b64 exec, exec, s[34:35]
	v_cmp_lt_u32_e64 s[0:1], s45, v10
	v_mov_b32_e32 v61, 0
	v_mov_b32_e32 v60, 0
	s_and_saveexec_b64 s[34:35], s[0:1]
	s_cbranch_execz .LBB266_249
; %bb.244:                              ;   in Loop: Header=BB266_9 Depth=1
	v_lshrrev_b32_e32 v2, 24, v10
	v_cmp_ne_u32_e64 s[0:1], s42, v2
	v_bfrev_b32_e32 v60, 1
	s_and_saveexec_b64 s[36:37], s[0:1]
	s_cbranch_execz .LBB266_248
; %bb.245:                              ;   in Loop: Header=BB266_9 Depth=1
	v_and_b32_e32 v10, 0x7f, v2
	v_cmp_ne_u32_e64 s[0:1], s43, v10
	v_mov_b32_e32 v60, 0x7c010000
	s_and_saveexec_b64 s[38:39], s[0:1]
	s_cbranch_execz .LBB266_247
; %bb.246:                              ;   in Loop: Header=BB266_9 Depth=1
	v_and_b32_e32 v60, 7, v2
	v_ffbh_u32_e32 v62, v60
	v_min_u32_e32 v65, 32, v62
	v_subrev_u32_e32 v62, 28, v65
	v_lshlrev_b64 v[62:63], v62, v[2:3]
	v_lshrrev_b32_e32 v64, 3, v10
	v_sub_u32_e32 v63, 29, v65
	v_cmp_gt_u32_e64 s[0:1], 8, v10
	v_lshlrev_b32_e32 v2, 8, v2
	v_and_b32_e32 v62, 7, v62
	v_cndmask_b32_e64 v10, v64, v63, s[0:1]
	v_lshl_add_u32 v10, v10, 10, v17
	v_and_or_b32 v2, v2, s44, v10
	v_cndmask_b32_e64 v60, v60, v62, s[0:1]
	v_lshlrev_b32_e32 v2, 16, v2
	v_lshl_or_b32 v60, v60, 23, v2
.LBB266_247:                            ;   in Loop: Header=BB266_9 Depth=1
	s_or_b64 exec, exec, s[38:39]
.LBB266_248:                            ;   in Loop: Header=BB266_9 Depth=1
	s_or_b64 exec, exec, s[36:37]
.LBB266_249:                            ;   in Loop: Header=BB266_9 Depth=1
	s_or_b64 exec, exec, s[34:35]
	global_load_dword v10, v[8:9], off offset:2560
	s_waitcnt vmcnt(0)
	v_cmp_ne_u16_sdwa s[0:1], v10, v3 src0_sel:BYTE_0 src1_sel:DWORD
	s_and_saveexec_b64 s[34:35], s[0:1]
	s_cbranch_execz .LBB266_255
; %bb.250:                              ;   in Loop: Header=BB266_9 Depth=1
	v_cmp_ne_u16_sdwa s[0:1], v10, s42 src0_sel:BYTE_0 src1_sel:DWORD
	v_mov_b32_e32 v61, 0x8000
	s_and_saveexec_b64 s[36:37], s[0:1]
	s_cbranch_execz .LBB266_254
; %bb.251:                              ;   in Loop: Header=BB266_9 Depth=1
	v_and_b32_e32 v2, 0x7f, v10
	v_cmp_ne_u32_e64 s[0:1], s43, v2
	v_mov_b32_e32 v61, 0x7c01
	s_and_saveexec_b64 s[38:39], s[0:1]
	s_cbranch_execz .LBB266_253
; %bb.252:                              ;   in Loop: Header=BB266_9 Depth=1
	v_and_b32_e32 v61, 7, v10
	v_ffbh_u32_e32 v62, v61
	v_min_u32_e32 v65, 32, v62
	v_subrev_u32_e32 v62, 28, v65
	v_lshlrev_b64 v[62:63], v62, v[10:11]
	v_lshrrev_b32_e32 v64, 3, v2
	v_sub_u32_e32 v63, 29, v65
	v_cmp_gt_u32_e64 s[0:1], 8, v2
	v_and_b32_e32 v62, 7, v62
	s_nop 0
	v_cndmask_b32_e64 v2, v64, v63, s[0:1]
	v_lshl_add_u32 v2, v2, 10, v17
	v_lshlrev_b32_e32 v63, 8, v10
	v_and_b32_e32 v2, 0xfc00, v2
	v_cndmask_b32_e64 v61, v61, v62, s[0:1]
	v_and_or_b32 v2, v63, s44, v2
	v_lshl_or_b32 v61, v61, 7, v2
.LBB266_253:                            ;   in Loop: Header=BB266_9 Depth=1
	s_or_b64 exec, exec, s[38:39]
.LBB266_254:                            ;   in Loop: Header=BB266_9 Depth=1
	s_or_b64 exec, exec, s[36:37]
.LBB266_255:                            ;   in Loop: Header=BB266_9 Depth=1
	s_or_b64 exec, exec, s[34:35]
	v_lshrrev_b16_e32 v2, 8, v10
	v_cmp_ne_u16_e64 s[0:1], 0, v2
	v_mov_b32_e32 v62, 0
	v_mov_b32_e32 v63, 0
	s_and_saveexec_b64 s[34:35], s[0:1]
	s_cbranch_execz .LBB266_261
; %bb.256:                              ;   in Loop: Header=BB266_9 Depth=1
	v_cmp_ne_u16_e64 s[0:1], s42, v2
	v_bfrev_b32_e32 v63, 1
	s_and_saveexec_b64 s[36:37], s[0:1]
	s_cbranch_execz .LBB266_260
; %bb.257:                              ;   in Loop: Header=BB266_9 Depth=1
	v_and_b32_e32 v64, 0x7f, v2
	v_cmp_ne_u32_e64 s[0:1], s43, v64
	v_mov_b32_e32 v63, 0x7c010000
	s_and_saveexec_b64 s[38:39], s[0:1]
	s_cbranch_execz .LBB266_259
; %bb.258:                              ;   in Loop: Header=BB266_9 Depth=1
	v_and_b32_e32 v63, 7, v2
	v_ffbh_u32_e32 v66, v63
	v_min_u32_e32 v68, 32, v66
	v_subrev_u32_e32 v66, 28, v68
	v_lshlrev_b64 v[66:67], v66, v[2:3]
	v_lshrrev_b32_e32 v65, 3, v64
	v_sub_u32_e32 v67, 29, v68
	v_cmp_gt_u32_e64 s[0:1], 8, v64
	v_lshlrev_b32_e32 v2, 8, v2
	s_nop 0
	v_cndmask_b32_e64 v64, v65, v67, s[0:1]
	v_lshl_add_u32 v64, v64, 10, v17
	v_and_b32_e32 v65, 7, v66
	v_and_or_b32 v2, v2, s44, v64
	v_cndmask_b32_e64 v63, v63, v65, s[0:1]
	v_lshlrev_b32_e32 v2, 16, v2
	v_lshl_or_b32 v63, v63, 23, v2
.LBB266_259:                            ;   in Loop: Header=BB266_9 Depth=1
	s_or_b64 exec, exec, s[38:39]
.LBB266_260:                            ;   in Loop: Header=BB266_9 Depth=1
	s_or_b64 exec, exec, s[36:37]
.LBB266_261:                            ;   in Loop: Header=BB266_9 Depth=1
	s_or_b64 exec, exec, s[34:35]
	v_lshrrev_b32_e32 v2, 16, v10
	v_cmp_ne_u16_sdwa s[0:1], v2, v3 src0_sel:BYTE_0 src1_sel:DWORD
	s_and_saveexec_b64 s[34:35], s[0:1]
	s_cbranch_execz .LBB266_267
; %bb.262:                              ;   in Loop: Header=BB266_9 Depth=1
	v_cmp_ne_u16_sdwa s[0:1], v2, s42 src0_sel:BYTE_0 src1_sel:DWORD
	v_mov_b32_e32 v62, 0x8000
	s_and_saveexec_b64 s[36:37], s[0:1]
	s_cbranch_execz .LBB266_266
; %bb.263:                              ;   in Loop: Header=BB266_9 Depth=1
	v_bfe_u32 v64, v10, 16, 7
	v_cmp_ne_u32_e64 s[0:1], s43, v64
	v_mov_b32_e32 v62, 0x7c01
	s_and_saveexec_b64 s[38:39], s[0:1]
	s_cbranch_execz .LBB266_265
; %bb.264:                              ;   in Loop: Header=BB266_9 Depth=1
	v_and_b32_e32 v62, 7, v2
	v_ffbh_u32_e32 v66, v62
	v_min_u32_e32 v68, 32, v66
	v_subrev_u32_e32 v66, 28, v68
	v_lshlrev_b64 v[66:67], v66, v[2:3]
	v_lshrrev_b32_e32 v65, 3, v64
	v_sub_u32_e32 v67, 29, v68
	v_cmp_gt_u32_e64 s[0:1], 8, v64
	v_lshlrev_b32_e32 v2, 8, v2
	s_nop 0
	v_cndmask_b32_e64 v64, v65, v67, s[0:1]
	v_lshl_add_u32 v64, v64, 10, v17
	v_and_b32_e32 v65, 7, v66
	v_and_b32_e32 v64, 0xfc00, v64
	v_cndmask_b32_e64 v62, v62, v65, s[0:1]
	v_and_or_b32 v2, v2, s44, v64
	v_lshl_or_b32 v62, v62, 7, v2
.LBB266_265:                            ;   in Loop: Header=BB266_9 Depth=1
	s_or_b64 exec, exec, s[38:39]
.LBB266_266:                            ;   in Loop: Header=BB266_9 Depth=1
	s_or_b64 exec, exec, s[36:37]
.LBB266_267:                            ;   in Loop: Header=BB266_9 Depth=1
	s_or_b64 exec, exec, s[34:35]
	v_cmp_lt_u32_e64 s[0:1], s45, v10
	v_mov_b32_e32 v65, 0
	v_mov_b32_e32 v64, 0
	s_and_saveexec_b64 s[34:35], s[0:1]
	s_cbranch_execz .LBB266_273
; %bb.268:                              ;   in Loop: Header=BB266_9 Depth=1
	v_lshrrev_b32_e32 v2, 24, v10
	v_cmp_ne_u32_e64 s[0:1], s42, v2
	v_bfrev_b32_e32 v64, 1
	s_and_saveexec_b64 s[36:37], s[0:1]
	s_cbranch_execz .LBB266_272
; %bb.269:                              ;   in Loop: Header=BB266_9 Depth=1
	v_and_b32_e32 v10, 0x7f, v2
	v_cmp_ne_u32_e64 s[0:1], s43, v10
	v_mov_b32_e32 v64, 0x7c010000
	s_and_saveexec_b64 s[38:39], s[0:1]
	s_cbranch_execz .LBB266_271
; %bb.270:                              ;   in Loop: Header=BB266_9 Depth=1
	v_and_b32_e32 v64, 7, v2
	v_ffbh_u32_e32 v66, v64
	v_min_u32_e32 v69, 32, v66
	v_subrev_u32_e32 v66, 28, v69
	v_lshlrev_b64 v[66:67], v66, v[2:3]
	v_lshrrev_b32_e32 v68, 3, v10
	v_sub_u32_e32 v67, 29, v69
	v_cmp_gt_u32_e64 s[0:1], 8, v10
	v_lshlrev_b32_e32 v2, 8, v2
	v_and_b32_e32 v66, 7, v66
	v_cndmask_b32_e64 v10, v68, v67, s[0:1]
	v_lshl_add_u32 v10, v10, 10, v17
	v_and_or_b32 v2, v2, s44, v10
	v_cndmask_b32_e64 v64, v64, v66, s[0:1]
	v_lshlrev_b32_e32 v2, 16, v2
	v_lshl_or_b32 v64, v64, 23, v2
.LBB266_271:                            ;   in Loop: Header=BB266_9 Depth=1
	s_or_b64 exec, exec, s[38:39]
.LBB266_272:                            ;   in Loop: Header=BB266_9 Depth=1
	s_or_b64 exec, exec, s[36:37]
.LBB266_273:                            ;   in Loop: Header=BB266_9 Depth=1
	s_or_b64 exec, exec, s[34:35]
	global_load_dword v10, v[8:9], off offset:2568
	s_waitcnt vmcnt(0)
	v_cmp_ne_u16_sdwa s[0:1], v10, v3 src0_sel:BYTE_0 src1_sel:DWORD
	s_and_saveexec_b64 s[34:35], s[0:1]
	s_cbranch_execz .LBB266_279
; %bb.274:                              ;   in Loop: Header=BB266_9 Depth=1
	v_cmp_ne_u16_sdwa s[0:1], v10, s42 src0_sel:BYTE_0 src1_sel:DWORD
	v_mov_b32_e32 v65, 0x8000
	s_and_saveexec_b64 s[36:37], s[0:1]
	s_cbranch_execz .LBB266_278
; %bb.275:                              ;   in Loop: Header=BB266_9 Depth=1
	v_and_b32_e32 v2, 0x7f, v10
	v_cmp_ne_u32_e64 s[0:1], s43, v2
	v_mov_b32_e32 v65, 0x7c01
	s_and_saveexec_b64 s[38:39], s[0:1]
	s_cbranch_execz .LBB266_277
; %bb.276:                              ;   in Loop: Header=BB266_9 Depth=1
	v_and_b32_e32 v65, 7, v10
	v_ffbh_u32_e32 v66, v65
	v_min_u32_e32 v69, 32, v66
	v_subrev_u32_e32 v66, 28, v69
	v_lshlrev_b64 v[66:67], v66, v[10:11]
	v_lshrrev_b32_e32 v68, 3, v2
	v_sub_u32_e32 v67, 29, v69
	v_cmp_gt_u32_e64 s[0:1], 8, v2
	v_and_b32_e32 v66, 7, v66
	s_nop 0
	v_cndmask_b32_e64 v2, v68, v67, s[0:1]
	v_lshl_add_u32 v2, v2, 10, v17
	v_lshlrev_b32_e32 v67, 8, v10
	v_and_b32_e32 v2, 0xfc00, v2
	v_cndmask_b32_e64 v65, v65, v66, s[0:1]
	v_and_or_b32 v2, v67, s44, v2
	v_lshl_or_b32 v65, v65, 7, v2
.LBB266_277:                            ;   in Loop: Header=BB266_9 Depth=1
	s_or_b64 exec, exec, s[38:39]
.LBB266_278:                            ;   in Loop: Header=BB266_9 Depth=1
	s_or_b64 exec, exec, s[36:37]
.LBB266_279:                            ;   in Loop: Header=BB266_9 Depth=1
	s_or_b64 exec, exec, s[34:35]
	v_lshrrev_b16_e32 v2, 8, v10
	v_cmp_ne_u16_e64 s[0:1], 0, v2
	v_mov_b32_e32 v66, 0
	v_mov_b32_e32 v67, 0
	s_and_saveexec_b64 s[34:35], s[0:1]
	s_cbranch_execz .LBB266_285
; %bb.280:                              ;   in Loop: Header=BB266_9 Depth=1
	v_cmp_ne_u16_e64 s[0:1], s42, v2
	v_bfrev_b32_e32 v67, 1
	s_and_saveexec_b64 s[36:37], s[0:1]
	s_cbranch_execz .LBB266_284
; %bb.281:                              ;   in Loop: Header=BB266_9 Depth=1
	v_and_b32_e32 v68, 0x7f, v2
	v_cmp_ne_u32_e64 s[0:1], s43, v68
	v_mov_b32_e32 v67, 0x7c010000
	s_and_saveexec_b64 s[38:39], s[0:1]
	s_cbranch_execz .LBB266_283
; %bb.282:                              ;   in Loop: Header=BB266_9 Depth=1
	v_and_b32_e32 v67, 7, v2
	v_ffbh_u32_e32 v70, v67
	v_min_u32_e32 v72, 32, v70
	v_subrev_u32_e32 v70, 28, v72
	v_lshlrev_b64 v[70:71], v70, v[2:3]
	v_lshrrev_b32_e32 v69, 3, v68
	v_sub_u32_e32 v71, 29, v72
	v_cmp_gt_u32_e64 s[0:1], 8, v68
	v_lshlrev_b32_e32 v2, 8, v2
	s_nop 0
	v_cndmask_b32_e64 v68, v69, v71, s[0:1]
	v_lshl_add_u32 v68, v68, 10, v17
	v_and_b32_e32 v69, 7, v70
	v_and_or_b32 v2, v2, s44, v68
	v_cndmask_b32_e64 v67, v67, v69, s[0:1]
	v_lshlrev_b32_e32 v2, 16, v2
	v_lshl_or_b32 v67, v67, 23, v2
.LBB266_283:                            ;   in Loop: Header=BB266_9 Depth=1
	s_or_b64 exec, exec, s[38:39]
.LBB266_284:                            ;   in Loop: Header=BB266_9 Depth=1
	s_or_b64 exec, exec, s[36:37]
.LBB266_285:                            ;   in Loop: Header=BB266_9 Depth=1
	s_or_b64 exec, exec, s[34:35]
	v_lshrrev_b32_e32 v2, 16, v10
	v_cmp_ne_u16_sdwa s[0:1], v2, v3 src0_sel:BYTE_0 src1_sel:DWORD
	s_and_saveexec_b64 s[34:35], s[0:1]
	s_cbranch_execz .LBB266_291
; %bb.286:                              ;   in Loop: Header=BB266_9 Depth=1
	v_cmp_ne_u16_sdwa s[0:1], v2, s42 src0_sel:BYTE_0 src1_sel:DWORD
	v_mov_b32_e32 v66, 0x8000
	s_and_saveexec_b64 s[36:37], s[0:1]
	s_cbranch_execz .LBB266_290
; %bb.287:                              ;   in Loop: Header=BB266_9 Depth=1
	v_bfe_u32 v68, v10, 16, 7
	v_cmp_ne_u32_e64 s[0:1], s43, v68
	v_mov_b32_e32 v66, 0x7c01
	s_and_saveexec_b64 s[38:39], s[0:1]
	s_cbranch_execz .LBB266_289
; %bb.288:                              ;   in Loop: Header=BB266_9 Depth=1
	v_and_b32_e32 v66, 7, v2
	v_ffbh_u32_e32 v70, v66
	v_min_u32_e32 v72, 32, v70
	v_subrev_u32_e32 v70, 28, v72
	v_lshlrev_b64 v[70:71], v70, v[2:3]
	v_lshrrev_b32_e32 v69, 3, v68
	v_sub_u32_e32 v71, 29, v72
	v_cmp_gt_u32_e64 s[0:1], 8, v68
	v_lshlrev_b32_e32 v2, 8, v2
	s_nop 0
	v_cndmask_b32_e64 v68, v69, v71, s[0:1]
	v_lshl_add_u32 v68, v68, 10, v17
	v_and_b32_e32 v69, 7, v70
	v_and_b32_e32 v68, 0xfc00, v68
	v_cndmask_b32_e64 v66, v66, v69, s[0:1]
	v_and_or_b32 v2, v2, s44, v68
	v_lshl_or_b32 v66, v66, 7, v2
.LBB266_289:                            ;   in Loop: Header=BB266_9 Depth=1
	s_or_b64 exec, exec, s[38:39]
.LBB266_290:                            ;   in Loop: Header=BB266_9 Depth=1
	s_or_b64 exec, exec, s[36:37]
.LBB266_291:                            ;   in Loop: Header=BB266_9 Depth=1
	s_or_b64 exec, exec, s[34:35]
	v_cmp_lt_u32_e64 s[0:1], s45, v10
	v_mov_b32_e32 v69, 0
	v_mov_b32_e32 v68, 0
	s_and_saveexec_b64 s[34:35], s[0:1]
	s_cbranch_execz .LBB266_297
; %bb.292:                              ;   in Loop: Header=BB266_9 Depth=1
	v_lshrrev_b32_e32 v2, 24, v10
	v_cmp_ne_u32_e64 s[0:1], s42, v2
	v_bfrev_b32_e32 v68, 1
	s_and_saveexec_b64 s[36:37], s[0:1]
	s_cbranch_execz .LBB266_296
; %bb.293:                              ;   in Loop: Header=BB266_9 Depth=1
	v_and_b32_e32 v10, 0x7f, v2
	v_cmp_ne_u32_e64 s[0:1], s43, v10
	v_mov_b32_e32 v68, 0x7c010000
	s_and_saveexec_b64 s[38:39], s[0:1]
	s_cbranch_execz .LBB266_295
; %bb.294:                              ;   in Loop: Header=BB266_9 Depth=1
	v_and_b32_e32 v68, 7, v2
	v_ffbh_u32_e32 v70, v68
	v_min_u32_e32 v73, 32, v70
	v_subrev_u32_e32 v70, 28, v73
	v_lshlrev_b64 v[70:71], v70, v[2:3]
	v_lshrrev_b32_e32 v72, 3, v10
	v_sub_u32_e32 v71, 29, v73
	v_cmp_gt_u32_e64 s[0:1], 8, v10
	v_lshlrev_b32_e32 v2, 8, v2
	v_and_b32_e32 v70, 7, v70
	v_cndmask_b32_e64 v10, v72, v71, s[0:1]
	v_lshl_add_u32 v10, v10, 10, v17
	v_and_or_b32 v2, v2, s44, v10
	v_cndmask_b32_e64 v68, v68, v70, s[0:1]
	v_lshlrev_b32_e32 v2, 16, v2
	v_lshl_or_b32 v68, v68, 23, v2
.LBB266_295:                            ;   in Loop: Header=BB266_9 Depth=1
	s_or_b64 exec, exec, s[38:39]
.LBB266_296:                            ;   in Loop: Header=BB266_9 Depth=1
	s_or_b64 exec, exec, s[36:37]
.LBB266_297:                            ;   in Loop: Header=BB266_9 Depth=1
	s_or_b64 exec, exec, s[34:35]
	global_load_dword v10, v[8:9], off offset:3072
	s_waitcnt vmcnt(0)
	v_cmp_ne_u16_sdwa s[0:1], v10, v3 src0_sel:BYTE_0 src1_sel:DWORD
	s_and_saveexec_b64 s[34:35], s[0:1]
	s_cbranch_execz .LBB266_303
; %bb.298:                              ;   in Loop: Header=BB266_9 Depth=1
	v_cmp_ne_u16_sdwa s[0:1], v10, s42 src0_sel:BYTE_0 src1_sel:DWORD
	v_mov_b32_e32 v69, 0x8000
	s_and_saveexec_b64 s[36:37], s[0:1]
	s_cbranch_execz .LBB266_302
; %bb.299:                              ;   in Loop: Header=BB266_9 Depth=1
	v_and_b32_e32 v2, 0x7f, v10
	v_cmp_ne_u32_e64 s[0:1], s43, v2
	v_mov_b32_e32 v69, 0x7c01
	s_and_saveexec_b64 s[38:39], s[0:1]
	s_cbranch_execz .LBB266_301
; %bb.300:                              ;   in Loop: Header=BB266_9 Depth=1
	v_and_b32_e32 v69, 7, v10
	v_ffbh_u32_e32 v70, v69
	v_min_u32_e32 v73, 32, v70
	v_subrev_u32_e32 v70, 28, v73
	v_lshlrev_b64 v[70:71], v70, v[10:11]
	v_lshrrev_b32_e32 v72, 3, v2
	v_sub_u32_e32 v71, 29, v73
	v_cmp_gt_u32_e64 s[0:1], 8, v2
	v_and_b32_e32 v70, 7, v70
	s_nop 0
	v_cndmask_b32_e64 v2, v72, v71, s[0:1]
	v_lshl_add_u32 v2, v2, 10, v17
	v_lshlrev_b32_e32 v71, 8, v10
	v_and_b32_e32 v2, 0xfc00, v2
	v_cndmask_b32_e64 v69, v69, v70, s[0:1]
	v_and_or_b32 v2, v71, s44, v2
	v_lshl_or_b32 v69, v69, 7, v2
.LBB266_301:                            ;   in Loop: Header=BB266_9 Depth=1
	s_or_b64 exec, exec, s[38:39]
.LBB266_302:                            ;   in Loop: Header=BB266_9 Depth=1
	s_or_b64 exec, exec, s[36:37]
.LBB266_303:                            ;   in Loop: Header=BB266_9 Depth=1
	s_or_b64 exec, exec, s[34:35]
	v_lshrrev_b16_e32 v2, 8, v10
	v_cmp_ne_u16_e64 s[0:1], 0, v2
	v_mov_b32_e32 v70, 0
	v_mov_b32_e32 v71, 0
	s_and_saveexec_b64 s[34:35], s[0:1]
	s_cbranch_execz .LBB266_309
; %bb.304:                              ;   in Loop: Header=BB266_9 Depth=1
	v_cmp_ne_u16_e64 s[0:1], s42, v2
	v_bfrev_b32_e32 v71, 1
	s_and_saveexec_b64 s[36:37], s[0:1]
	s_cbranch_execz .LBB266_308
; %bb.305:                              ;   in Loop: Header=BB266_9 Depth=1
	v_and_b32_e32 v72, 0x7f, v2
	v_cmp_ne_u32_e64 s[0:1], s43, v72
	v_mov_b32_e32 v71, 0x7c010000
	s_and_saveexec_b64 s[38:39], s[0:1]
	s_cbranch_execz .LBB266_307
; %bb.306:                              ;   in Loop: Header=BB266_9 Depth=1
	v_and_b32_e32 v71, 7, v2
	v_ffbh_u32_e32 v74, v71
	v_min_u32_e32 v76, 32, v74
	v_subrev_u32_e32 v74, 28, v76
	v_lshlrev_b64 v[74:75], v74, v[2:3]
	v_lshrrev_b32_e32 v73, 3, v72
	v_sub_u32_e32 v75, 29, v76
	v_cmp_gt_u32_e64 s[0:1], 8, v72
	v_lshlrev_b32_e32 v2, 8, v2
	s_nop 0
	v_cndmask_b32_e64 v72, v73, v75, s[0:1]
	v_lshl_add_u32 v72, v72, 10, v17
	v_and_b32_e32 v73, 7, v74
	v_and_or_b32 v2, v2, s44, v72
	v_cndmask_b32_e64 v71, v71, v73, s[0:1]
	v_lshlrev_b32_e32 v2, 16, v2
	v_lshl_or_b32 v71, v71, 23, v2
.LBB266_307:                            ;   in Loop: Header=BB266_9 Depth=1
	s_or_b64 exec, exec, s[38:39]
.LBB266_308:                            ;   in Loop: Header=BB266_9 Depth=1
	s_or_b64 exec, exec, s[36:37]
.LBB266_309:                            ;   in Loop: Header=BB266_9 Depth=1
	s_or_b64 exec, exec, s[34:35]
	v_lshrrev_b32_e32 v2, 16, v10
	v_cmp_ne_u16_sdwa s[0:1], v2, v3 src0_sel:BYTE_0 src1_sel:DWORD
	s_and_saveexec_b64 s[34:35], s[0:1]
	s_cbranch_execz .LBB266_315
; %bb.310:                              ;   in Loop: Header=BB266_9 Depth=1
	v_cmp_ne_u16_sdwa s[0:1], v2, s42 src0_sel:BYTE_0 src1_sel:DWORD
	v_mov_b32_e32 v70, 0x8000
	s_and_saveexec_b64 s[36:37], s[0:1]
	s_cbranch_execz .LBB266_314
; %bb.311:                              ;   in Loop: Header=BB266_9 Depth=1
	v_bfe_u32 v72, v10, 16, 7
	v_cmp_ne_u32_e64 s[0:1], s43, v72
	v_mov_b32_e32 v70, 0x7c01
	s_and_saveexec_b64 s[38:39], s[0:1]
	s_cbranch_execz .LBB266_313
; %bb.312:                              ;   in Loop: Header=BB266_9 Depth=1
	v_and_b32_e32 v70, 7, v2
	v_ffbh_u32_e32 v74, v70
	v_min_u32_e32 v76, 32, v74
	v_subrev_u32_e32 v74, 28, v76
	v_lshlrev_b64 v[74:75], v74, v[2:3]
	v_lshrrev_b32_e32 v73, 3, v72
	v_sub_u32_e32 v75, 29, v76
	v_cmp_gt_u32_e64 s[0:1], 8, v72
	v_lshlrev_b32_e32 v2, 8, v2
	s_nop 0
	v_cndmask_b32_e64 v72, v73, v75, s[0:1]
	v_lshl_add_u32 v72, v72, 10, v17
	v_and_b32_e32 v73, 7, v74
	v_and_b32_e32 v72, 0xfc00, v72
	v_cndmask_b32_e64 v70, v70, v73, s[0:1]
	v_and_or_b32 v2, v2, s44, v72
	v_lshl_or_b32 v70, v70, 7, v2
.LBB266_313:                            ;   in Loop: Header=BB266_9 Depth=1
	s_or_b64 exec, exec, s[38:39]
.LBB266_314:                            ;   in Loop: Header=BB266_9 Depth=1
	s_or_b64 exec, exec, s[36:37]
.LBB266_315:                            ;   in Loop: Header=BB266_9 Depth=1
	s_or_b64 exec, exec, s[34:35]
	v_cmp_lt_u32_e64 s[0:1], s45, v10
	v_mov_b32_e32 v72, 0
	v_mov_b32_e32 v73, 0
	s_and_saveexec_b64 s[34:35], s[0:1]
	s_cbranch_execz .LBB266_321
; %bb.316:                              ;   in Loop: Header=BB266_9 Depth=1
	v_lshrrev_b32_e32 v2, 24, v10
	v_cmp_ne_u32_e64 s[0:1], s42, v2
	v_bfrev_b32_e32 v73, 1
	s_and_saveexec_b64 s[36:37], s[0:1]
	s_cbranch_execz .LBB266_320
; %bb.317:                              ;   in Loop: Header=BB266_9 Depth=1
	v_and_b32_e32 v10, 0x7f, v2
	v_cmp_ne_u32_e64 s[0:1], s43, v10
	v_mov_b32_e32 v73, 0x7c010000
	s_and_saveexec_b64 s[38:39], s[0:1]
	s_cbranch_execz .LBB266_319
; %bb.318:                              ;   in Loop: Header=BB266_9 Depth=1
	v_and_b32_e32 v73, 7, v2
	v_ffbh_u32_e32 v74, v73
	v_min_u32_e32 v77, 32, v74
	v_subrev_u32_e32 v74, 28, v77
	v_lshlrev_b64 v[74:75], v74, v[2:3]
	v_lshrrev_b32_e32 v76, 3, v10
	v_sub_u32_e32 v75, 29, v77
	v_cmp_gt_u32_e64 s[0:1], 8, v10
	v_lshlrev_b32_e32 v2, 8, v2
	v_and_b32_e32 v74, 7, v74
	v_cndmask_b32_e64 v10, v76, v75, s[0:1]
	v_lshl_add_u32 v10, v10, 10, v17
	v_and_or_b32 v2, v2, s44, v10
	v_cndmask_b32_e64 v73, v73, v74, s[0:1]
	v_lshlrev_b32_e32 v2, 16, v2
	v_lshl_or_b32 v73, v73, 23, v2
.LBB266_319:                            ;   in Loop: Header=BB266_9 Depth=1
	s_or_b64 exec, exec, s[38:39]
.LBB266_320:                            ;   in Loop: Header=BB266_9 Depth=1
	s_or_b64 exec, exec, s[36:37]
.LBB266_321:                            ;   in Loop: Header=BB266_9 Depth=1
	s_or_b64 exec, exec, s[34:35]
	global_load_dword v8, v[8:9], off offset:3080
	s_waitcnt vmcnt(0)
	v_cmp_ne_u16_sdwa s[0:1], v8, v3 src0_sel:BYTE_0 src1_sel:DWORD
	s_and_saveexec_b64 s[34:35], s[0:1]
	s_cbranch_execz .LBB266_327
; %bb.322:                              ;   in Loop: Header=BB266_9 Depth=1
	v_cmp_ne_u16_sdwa s[0:1], v8, s42 src0_sel:BYTE_0 src1_sel:DWORD
	v_mov_b32_e32 v72, 0x8000
	s_and_saveexec_b64 s[36:37], s[0:1]
	s_cbranch_execz .LBB266_326
; %bb.323:                              ;   in Loop: Header=BB266_9 Depth=1
	v_and_b32_e32 v2, 0x7f, v8
	v_cmp_ne_u32_e64 s[0:1], s43, v2
	v_mov_b32_e32 v72, 0x7c01
	s_and_saveexec_b64 s[38:39], s[0:1]
	s_cbranch_execz .LBB266_325
; %bb.324:                              ;   in Loop: Header=BB266_9 Depth=1
	v_and_b32_e32 v9, 7, v8
	v_ffbh_u32_e32 v72, v9
	v_min_u32_e32 v72, 32, v72
	v_lshrrev_b32_e32 v10, 3, v2
	v_subrev_u32_e32 v74, 28, v72
	v_sub_u32_e32 v72, 29, v72
	v_cmp_gt_u32_e64 s[0:1], 8, v2
	v_lshlrev_b64 v[74:75], v74, v[8:9]
	s_nop 0
	v_cndmask_b32_e64 v2, v10, v72, s[0:1]
	v_lshl_add_u32 v2, v2, 10, v17
	v_lshlrev_b32_e32 v10, 8, v8
	v_and_b32_e32 v72, 7, v74
	v_and_b32_e32 v2, 0xfc00, v2
	v_cndmask_b32_e64 v9, v9, v72, s[0:1]
	v_and_or_b32 v2, v10, s44, v2
	v_lshl_or_b32 v72, v9, 7, v2
.LBB266_325:                            ;   in Loop: Header=BB266_9 Depth=1
	s_or_b64 exec, exec, s[38:39]
.LBB266_326:                            ;   in Loop: Header=BB266_9 Depth=1
	s_or_b64 exec, exec, s[36:37]
.LBB266_327:                            ;   in Loop: Header=BB266_9 Depth=1
	s_or_b64 exec, exec, s[34:35]
	v_lshrrev_b16_e32 v2, 8, v8
	v_cmp_ne_u16_e64 s[0:1], 0, v2
	v_mov_b32_e32 v74, 0
	v_mov_b32_e32 v75, 0
	s_and_saveexec_b64 s[34:35], s[0:1]
	s_cbranch_execz .LBB266_333
; %bb.328:                              ;   in Loop: Header=BB266_9 Depth=1
	v_cmp_ne_u16_e64 s[0:1], s42, v2
	v_bfrev_b32_e32 v75, 1
	s_and_saveexec_b64 s[36:37], s[0:1]
	s_cbranch_execz .LBB266_332
; %bb.329:                              ;   in Loop: Header=BB266_9 Depth=1
	v_and_b32_e32 v9, 0x7f, v2
	v_cmp_ne_u32_e64 s[0:1], s43, v9
	v_mov_b32_e32 v75, 0x7c010000
	s_and_saveexec_b64 s[38:39], s[0:1]
	s_cbranch_execz .LBB266_331
; %bb.330:                              ;   in Loop: Header=BB266_9 Depth=1
	v_and_b32_e32 v10, 7, v2
	v_ffbh_u32_e32 v76, v10
	v_min_u32_e32 v78, 32, v76
	v_subrev_u32_e32 v76, 28, v78
	v_lshlrev_b64 v[76:77], v76, v[2:3]
	v_lshrrev_b32_e32 v75, 3, v9
	v_sub_u32_e32 v77, 29, v78
	v_cmp_gt_u32_e64 s[0:1], 8, v9
	v_lshlrev_b32_e32 v2, 8, v2
	s_nop 0
	v_cndmask_b32_e64 v9, v75, v77, s[0:1]
	v_lshl_add_u32 v9, v9, 10, v17
	v_and_b32_e32 v75, 7, v76
	v_and_or_b32 v2, v2, s44, v9
	v_cndmask_b32_e64 v10, v10, v75, s[0:1]
	v_lshlrev_b32_e32 v2, 16, v2
	v_lshl_or_b32 v75, v10, 23, v2
.LBB266_331:                            ;   in Loop: Header=BB266_9 Depth=1
	s_or_b64 exec, exec, s[38:39]
.LBB266_332:                            ;   in Loop: Header=BB266_9 Depth=1
	s_or_b64 exec, exec, s[36:37]
.LBB266_333:                            ;   in Loop: Header=BB266_9 Depth=1
	s_or_b64 exec, exec, s[34:35]
	v_lshrrev_b32_e32 v2, 16, v8
	v_cmp_ne_u16_sdwa s[0:1], v2, v3 src0_sel:BYTE_0 src1_sel:DWORD
	s_and_saveexec_b64 s[34:35], s[0:1]
	s_cbranch_execz .LBB266_339
; %bb.334:                              ;   in Loop: Header=BB266_9 Depth=1
	v_cmp_ne_u16_sdwa s[0:1], v2, s42 src0_sel:BYTE_0 src1_sel:DWORD
	v_mov_b32_e32 v74, 0x8000
	s_and_saveexec_b64 s[36:37], s[0:1]
	s_cbranch_execz .LBB266_338
; %bb.335:                              ;   in Loop: Header=BB266_9 Depth=1
	v_bfe_u32 v9, v8, 16, 7
	v_cmp_ne_u32_e64 s[0:1], s43, v9
	v_mov_b32_e32 v74, 0x7c01
	s_and_saveexec_b64 s[38:39], s[0:1]
	s_cbranch_execz .LBB266_337
; %bb.336:                              ;   in Loop: Header=BB266_9 Depth=1
	v_and_b32_e32 v10, 7, v2
	v_ffbh_u32_e32 v76, v10
	v_min_u32_e32 v78, 32, v76
	v_subrev_u32_e32 v76, 28, v78
	v_lshlrev_b64 v[76:77], v76, v[2:3]
	v_lshrrev_b32_e32 v74, 3, v9
	v_sub_u32_e32 v77, 29, v78
	v_cmp_gt_u32_e64 s[0:1], 8, v9
	v_lshlrev_b32_e32 v2, 8, v2
	s_nop 0
	v_cndmask_b32_e64 v9, v74, v77, s[0:1]
	v_lshl_add_u32 v9, v9, 10, v17
	v_and_b32_e32 v74, 7, v76
	v_and_b32_e32 v9, 0xfc00, v9
	v_cndmask_b32_e64 v10, v10, v74, s[0:1]
	v_and_or_b32 v2, v2, s44, v9
	v_lshl_or_b32 v74, v10, 7, v2
.LBB266_337:                            ;   in Loop: Header=BB266_9 Depth=1
	s_or_b64 exec, exec, s[38:39]
.LBB266_338:                            ;   in Loop: Header=BB266_9 Depth=1
	s_or_b64 exec, exec, s[36:37]
.LBB266_339:                            ;   in Loop: Header=BB266_9 Depth=1
	s_or_b64 exec, exec, s[34:35]
	v_cmp_lt_u32_e64 s[0:1], s45, v8
	v_mov_b32_e32 v76, 0
	s_and_saveexec_b64 s[34:35], s[0:1]
	s_cbranch_execz .LBB266_345
; %bb.340:                              ;   in Loop: Header=BB266_9 Depth=1
	v_lshrrev_b32_e32 v2, 24, v8
	v_cmp_ne_u32_e64 s[0:1], s42, v2
	v_bfrev_b32_e32 v76, 1
	s_and_saveexec_b64 s[36:37], s[0:1]
	s_cbranch_execz .LBB266_344
; %bb.341:                              ;   in Loop: Header=BB266_9 Depth=1
	v_and_b32_e32 v8, 0x7f, v2
	v_cmp_ne_u32_e64 s[0:1], s43, v8
	v_mov_b32_e32 v76, 0x7c010000
	s_and_saveexec_b64 s[38:39], s[0:1]
	s_cbranch_execz .LBB266_343
; %bb.342:                              ;   in Loop: Header=BB266_9 Depth=1
	v_and_b32_e32 v9, 7, v2
	v_ffbh_u32_e32 v76, v9
	v_min_u32_e32 v78, 32, v76
	v_subrev_u32_e32 v76, 28, v78
	v_lshlrev_b64 v[76:77], v76, v[2:3]
	v_lshrrev_b32_e32 v10, 3, v8
	v_sub_u32_e32 v77, 29, v78
	v_cmp_gt_u32_e64 s[0:1], 8, v8
	v_lshlrev_b32_e32 v2, 8, v2
	s_nop 0
	v_cndmask_b32_e64 v8, v10, v77, s[0:1]
	v_lshl_add_u32 v8, v8, 10, v17
	v_and_b32_e32 v10, 7, v76
	v_and_or_b32 v2, v2, s44, v8
	v_cndmask_b32_e64 v9, v9, v10, s[0:1]
	v_lshlrev_b32_e32 v2, 16, v2
	v_lshl_or_b32 v76, v9, 23, v2
.LBB266_343:                            ;   in Loop: Header=BB266_9 Depth=1
	s_or_b64 exec, exec, s[38:39]
.LBB266_344:                            ;   in Loop: Header=BB266_9 Depth=1
	s_or_b64 exec, exec, s[36:37]
.LBB266_345:                            ;   in Loop: Header=BB266_9 Depth=1
	s_or_b64 exec, exec, s[34:35]
	v_or_b32_e32 v65, v67, v65
	v_or_b32_e32 v2, v71, v69
	v_fma_mixlo_f16 v69, v19, v65, 0 op_sel_hi:[0,1,0]
	v_or_b32_e32 v65, v68, v66
	v_or_b32_e32 v61, v63, v61
	;; [unrolled: 1-line block ×3, first 2 shown]
	v_fma_mixlo_f16 v10, v19, v2, 0 op_sel_hi:[0,1,0]
	v_or_b32_e32 v2, v73, v70
	v_fma_mixlo_f16 v66, v19, v65, 0 op_sel_hi:[0,1,0]
	v_fma_mixlo_f16 v65, v19, v68, 0 op_sel:[0,1,0] op_sel_hi:[0,1,0]
	v_fma_mixlo_f16 v68, v19, v61, 0 op_sel_hi:[0,1,0]
	v_or_b32_e32 v61, v64, v62
	v_or_b32_e32 v57, v59, v57
	v_fma_mixlo_f16 v70, v19, v24, 0 op_sel_hi:[0,1,0]
	v_or_b32_e32 v24, v28, v25
	v_fma_mixlo_f16 v9, v19, v71, 0 op_sel:[0,1,0] op_sel_hi:[0,1,0]
	v_fma_mixlo_f16 v62, v19, v61, 0 op_sel_hi:[0,1,0]
	v_fma_mixlo_f16 v61, v19, v64, 0 op_sel:[0,1,0] op_sel_hi:[0,1,0]
	v_fma_mixlo_f16 v64, v19, v57, 0 op_sel_hi:[0,1,0]
	v_or_b32_e32 v57, v60, v58
	v_or_b32_e32 v53, v55, v53
	v_fma_mixlo_f16 v71, v19, v24, 0 op_sel_hi:[0,1,0]
	ds_read_b64 v[24:25], v14
	v_fma_mixlo_f16 v58, v19, v57, 0 op_sel_hi:[0,1,0]
	v_fma_mixlo_f16 v57, v19, v60, 0 op_sel:[0,1,0] op_sel_hi:[0,1,0]
	v_fma_mixlo_f16 v60, v19, v53, 0 op_sel_hi:[0,1,0]
	v_or_b32_e32 v53, v56, v54
	v_or_b32_e32 v49, v51, v49
	v_fma_mixlo_f16 v54, v19, v53, 0 op_sel_hi:[0,1,0]
	v_fma_mixlo_f16 v53, v19, v56, 0 op_sel:[0,1,0] op_sel_hi:[0,1,0]
	v_fma_mixlo_f16 v56, v19, v49, 0 op_sel_hi:[0,1,0]
	v_or_b32_e32 v49, v52, v50
	v_or_b32_e32 v45, v47, v45
	;; [unrolled: 5-line block ×3, first 2 shown]
	v_or_b32_e32 v20, v22, v20
	v_fma_mixlo_f16 v8, v19, v2, 0 op_sel_hi:[0,1,0]
	v_fma_mixlo_f16 v2, v19, v73, 0 op_sel:[0,1,0] op_sel_hi:[0,1,0]
	v_fma_mixlo_f16 v46, v19, v45, 0 op_sel_hi:[0,1,0]
	v_fma_mixlo_f16 v45, v19, v48, 0 op_sel:[0,1,0] op_sel_hi:[0,1,0]
	v_fma_mixlo_f16 v48, v19, v29, 0 op_sel_hi:[0,1,0]
	v_or_b32_e32 v29, v32, v30
	v_fma_mixlo_f16 v73, v19, v28, 0 op_sel:[0,1,0] op_sel_hi:[0,1,0]
	v_fma_mixlo_f16 v28, v19, v20, 0 op_sel_hi:[0,1,0]
	v_or_b32_e32 v20, v23, v21
	v_fma_mixlo_f16 v30, v19, v29, 0 op_sel_hi:[0,1,0]
	v_fma_mixlo_f16 v22, v19, v22, 0 op_sel:[0,1,0] op_sel_hi:[0,1,0]
	v_fma_mixlo_f16 v21, v19, v20, 0 op_sel_hi:[0,1,0]
	s_waitcnt lgkmcnt(0)
	v_lshrrev_b32_e32 v29, 16, v24
	v_and_b32_e32 v24, 0xffff, v24
	v_fma_mixlo_f16 v23, v19, v23, 0 op_sel:[0,1,0] op_sel_hi:[0,1,0]
	v_or_b32_e32 v72, v75, v72
	v_fma_mixlo_f16 v20, v19, v75, 0 op_sel:[0,1,0] op_sel_hi:[0,1,0]
	;;#ASMSTART
	v_cvt_f32_f16 v75, v24;
	;;#ASMEND
	v_and_b32_e32 v24, 0xffff, v28
	v_and_b32_e32 v22, 0xffff, v22
	;; [unrolled: 1-line block ×3, first 2 shown]
	;;#ASMSTART
	v_cvt_f32_f16 v77, v29;
	;;#ASMEND
	;;#ASMSTART
	v_cvt_f32_f16 v78, v24;
	;;#ASMEND
	;; [unrolled: 3-line block ×3, first 2 shown]
	v_lshrrev_b32_e32 v22, 16, v25
	v_and_b32_e32 v24, 0xffff, v25
	;;#ASMSTART
	v_cvt_f32_f16 v80, v24;
	;;#ASMEND
	;;#ASMSTART
	v_cvt_f32_f16 v81, v22;
	;;#ASMEND
	;;#ASMSTART
	v_cvt_f32_f16 v82, v21;
	;;#ASMEND
	v_and_b32_e32 v21, 0xffff, v23
	;;#ASMSTART
	v_cvt_f32_f16 v83, v21;
	;;#ASMEND
	ds_read_b64 v[28:29], v14 offset:8
	v_fma_mixlo_f16 v27, v19, v27, 0 op_sel:[0,1,0] op_sel_hi:[0,1,0]
	v_and_b32_e32 v25, 0xffff, v70
	v_and_b32_e32 v27, 0xffff, v27
	v_fma_mixlo_f16 v31, v19, v31, 0 op_sel:[0,1,0] op_sel_hi:[0,1,0]
	s_waitcnt lgkmcnt(0)
	v_lshrrev_b32_e32 v23, 16, v28
	v_and_b32_e32 v22, 0xffff, v28
	;;#ASMSTART
	v_cvt_f32_f16 v22, v22;
	;;#ASMEND
	;;#ASMSTART
	v_cvt_f32_f16 v23, v23;
	;;#ASMEND
	;; [unrolled: 3-line block ×4, first 2 shown]
	v_and_b32_e32 v28, 0xffff, v71
	v_mul_f32_e32 v22, v22, v25
	v_mul_f32_e32 v23, v23, v27
	v_lshrrev_b32_e32 v27, 16, v29
	v_and_b32_e32 v25, 0xffff, v29
	;;#ASMSTART
	v_cvt_f32_f16 v25, v25;
	;;#ASMEND
	;;#ASMSTART
	v_cvt_f32_f16 v27, v27;
	;;#ASMEND
	;; [unrolled: 3-line block ×3, first 2 shown]
	v_and_b32_e32 v28, 0xffff, v73
	;;#ASMSTART
	v_cvt_f32_f16 v71, v28;
	;;#ASMEND
	ds_read_b64 v[28:29], v14 offset:16
	v_mul_f32_e32 v27, v27, v71
	v_mul_f32_e32 v25, v25, v70
	v_fma_mixlo_f16 v32, v19, v32, 0 op_sel:[0,1,0] op_sel_hi:[0,1,0]
	v_fma_mixlo_f16 v24, v19, v72, 0 op_sel_hi:[0,1,0]
	s_waitcnt lgkmcnt(0)
	v_lshrrev_b32_e32 v71, 16, v28
	v_and_b32_e32 v28, 0xffff, v28
	;;#ASMSTART
	v_cvt_f32_f16 v70, v28;
	;;#ASMEND
	v_and_b32_e32 v28, 0xffff, v48
	;;#ASMSTART
	v_cvt_f32_f16 v71, v71;
	;;#ASMEND
	;;#ASMSTART
	v_cvt_f32_f16 v48, v28;
	;;#ASMEND
	v_and_b32_e32 v28, 0xffff, v31
	;;#ASMSTART
	v_cvt_f32_f16 v31, v28;
	;;#ASMEND
	v_lshrrev_b32_e32 v28, 16, v29
	v_and_b32_e32 v29, 0xffff, v29
	;;#ASMSTART
	v_cvt_f32_f16 v72, v29;
	;;#ASMEND
	;;#ASMSTART
	v_cvt_f32_f16 v73, v28;
	;;#ASMEND
	v_and_b32_e32 v28, 0xffff, v30
	;;#ASMSTART
	v_cvt_f32_f16 v30, v28;
	;;#ASMEND
	v_and_b32_e32 v28, 0xffff, v32
	;;#ASMSTART
	v_cvt_f32_f16 v32, v28;
	;;#ASMEND
	ds_read_b64 v[28:29], v14 offset:24
	v_or_b32_e32 v33, v35, v33
	v_fmac_f32_e32 v23, v77, v79
	v_fma_mixlo_f16 v33, v19, v33, 0 op_sel_hi:[0,1,0]
	v_fmac_f32_e32 v25, v80, v82
	v_fmac_f32_e32 v23, v71, v31
	s_waitcnt lgkmcnt(0)
	v_lshrrev_b32_e32 v31, 16, v28
	v_and_b32_e32 v28, 0xffff, v28
	v_fma_mixlo_f16 v35, v19, v35, 0 op_sel:[0,1,0] op_sel_hi:[0,1,0]
	v_fmac_f32_e32 v27, v81, v83
	v_fmac_f32_e32 v25, v72, v30
	;;#ASMSTART
	v_cvt_f32_f16 v30, v28;
	;;#ASMEND
	v_and_b32_e32 v28, 0xffff, v33
	v_or_b32_e32 v34, v36, v34
	v_fmac_f32_e32 v27, v73, v32
	;;#ASMSTART
	v_cvt_f32_f16 v31, v31;
	;;#ASMEND
	;;#ASMSTART
	v_cvt_f32_f16 v32, v28;
	;;#ASMEND
	v_and_b32_e32 v28, 0xffff, v35
	v_fma_mixlo_f16 v34, v19, v34, 0 op_sel_hi:[0,1,0]
	v_fmac_f32_e32 v22, v75, v78
	;;#ASMSTART
	v_cvt_f32_f16 v33, v28;
	;;#ASMEND
	v_lshrrev_b32_e32 v28, 16, v29
	v_fma_mixlo_f16 v36, v19, v36, 0 op_sel:[0,1,0] op_sel_hi:[0,1,0]
	v_fmac_f32_e32 v22, v70, v48
	v_and_b32_e32 v29, 0xffff, v29
	;;#ASMSTART
	v_cvt_f32_f16 v35, v29;
	;;#ASMEND
	;;#ASMSTART
	v_cvt_f32_f16 v48, v28;
	;;#ASMEND
	v_and_b32_e32 v28, 0xffff, v34
	;;#ASMSTART
	v_cvt_f32_f16 v34, v28;
	;;#ASMEND
	v_and_b32_e32 v28, 0xffff, v36
	;;#ASMSTART
	v_cvt_f32_f16 v36, v28;
	;;#ASMEND
	ds_read_b64 v[28:29], v14 offset:32
	v_or_b32_e32 v37, v39, v37
	v_fma_mixlo_f16 v37, v19, v37, 0 op_sel_hi:[0,1,0]
	v_fmac_f32_e32 v23, v31, v33
	v_fma_mixlo_f16 v39, v19, v39, 0 op_sel:[0,1,0] op_sel_hi:[0,1,0]
	s_waitcnt lgkmcnt(0)
	v_lshrrev_b32_e32 v31, 16, v28
	v_and_b32_e32 v28, 0xffff, v28
	v_fmac_f32_e32 v22, v30, v32
	;;#ASMSTART
	v_cvt_f32_f16 v30, v28;
	;;#ASMEND
	v_and_b32_e32 v28, 0xffff, v37
	v_or_b32_e32 v38, v40, v38
	;;#ASMSTART
	v_cvt_f32_f16 v31, v31;
	;;#ASMEND
	;;#ASMSTART
	v_cvt_f32_f16 v32, v28;
	;;#ASMEND
	v_and_b32_e32 v28, 0xffff, v39
	v_fma_mixlo_f16 v38, v19, v38, 0 op_sel_hi:[0,1,0]
	;;#ASMSTART
	v_cvt_f32_f16 v33, v28;
	;;#ASMEND
	v_lshrrev_b32_e32 v28, 16, v29
	v_fma_mixlo_f16 v40, v19, v40, 0 op_sel:[0,1,0] op_sel_hi:[0,1,0]
	v_fmac_f32_e32 v25, v35, v34
	v_and_b32_e32 v29, 0xffff, v29
	;;#ASMSTART
	v_cvt_f32_f16 v34, v29;
	;;#ASMEND
	;;#ASMSTART
	v_cvt_f32_f16 v35, v28;
	;;#ASMEND
	v_and_b32_e32 v28, 0xffff, v38
	v_fmac_f32_e32 v27, v48, v36
	;;#ASMSTART
	v_cvt_f32_f16 v36, v28;
	;;#ASMEND
	v_and_b32_e32 v28, 0xffff, v40
	;;#ASMSTART
	v_cvt_f32_f16 v37, v28;
	;;#ASMEND
	ds_read_b64 v[28:29], v14 offset:40
	v_or_b32_e32 v41, v43, v41
	v_fma_mixlo_f16 v41, v19, v41, 0 op_sel_hi:[0,1,0]
	v_fmac_f32_e32 v23, v31, v33
	v_fma_mixlo_f16 v43, v19, v43, 0 op_sel:[0,1,0] op_sel_hi:[0,1,0]
	s_waitcnt lgkmcnt(0)
	v_lshrrev_b32_e32 v31, 16, v28
	v_and_b32_e32 v28, 0xffff, v28
	v_fmac_f32_e32 v22, v30, v32
	;;#ASMSTART
	v_cvt_f32_f16 v30, v28;
	;;#ASMEND
	v_and_b32_e32 v28, 0xffff, v41
	v_or_b32_e32 v42, v44, v42
	;;#ASMSTART
	v_cvt_f32_f16 v31, v31;
	;;#ASMEND
	;;#ASMSTART
	v_cvt_f32_f16 v32, v28;
	;;#ASMEND
	v_and_b32_e32 v28, 0xffff, v43
	v_fma_mixlo_f16 v42, v19, v42, 0 op_sel_hi:[0,1,0]
	;;#ASMSTART
	v_cvt_f32_f16 v33, v28;
	;;#ASMEND
	v_lshrrev_b32_e32 v28, 16, v29
	v_fma_mixlo_f16 v44, v19, v44, 0 op_sel:[0,1,0] op_sel_hi:[0,1,0]
	v_fmac_f32_e32 v25, v34, v36
	v_fmac_f32_e32 v27, v35, v37
	v_and_b32_e32 v29, 0xffff, v29
	;;#ASMSTART
	v_cvt_f32_f16 v34, v29;
	;;#ASMEND
	;;#ASMSTART
	v_cvt_f32_f16 v35, v28;
	;;#ASMEND
	v_and_b32_e32 v28, 0xffff, v42
	;;#ASMSTART
	v_cvt_f32_f16 v36, v28;
	;;#ASMEND
	v_and_b32_e32 v28, 0xffff, v44
	;;#ASMSTART
	v_cvt_f32_f16 v37, v28;
	;;#ASMEND
	ds_read_b64 v[28:29], v14 offset:48
	v_fmac_f32_e32 v23, v31, v33
	v_fma_mixlo_f16 v47, v19, v47, 0 op_sel:[0,1,0] op_sel_hi:[0,1,0]
	v_fmac_f32_e32 v22, v30, v32
	v_fmac_f32_e32 v25, v34, v36
	s_waitcnt lgkmcnt(0)
	v_lshrrev_b32_e32 v31, 16, v28
	v_and_b32_e32 v28, 0xffff, v28
	;;#ASMSTART
	v_cvt_f32_f16 v30, v28;
	;;#ASMEND
	v_and_b32_e32 v28, 0xffff, v52
	;;#ASMSTART
	v_cvt_f32_f16 v31, v31;
	;;#ASMEND
	;;#ASMSTART
	v_cvt_f32_f16 v32, v28;
	;;#ASMEND
	v_and_b32_e32 v28, 0xffff, v47
	;;#ASMSTART
	v_cvt_f32_f16 v33, v28;
	;;#ASMEND
	v_lshrrev_b32_e32 v28, 16, v29
	v_fmac_f32_e32 v27, v35, v37
	v_and_b32_e32 v29, 0xffff, v29
	;;#ASMSTART
	v_cvt_f32_f16 v34, v29;
	;;#ASMEND
	;;#ASMSTART
	v_cvt_f32_f16 v35, v28;
	;;#ASMEND
	v_and_b32_e32 v28, 0xffff, v46
	;;#ASMSTART
	v_cvt_f32_f16 v36, v28;
	;;#ASMEND
	v_and_b32_e32 v28, 0xffff, v45
	;;#ASMSTART
	v_cvt_f32_f16 v37, v28;
	;;#ASMEND
	ds_read_b64 v[28:29], v14 offset:56
	v_fmac_f32_e32 v23, v31, v33
	v_fma_mixlo_f16 v51, v19, v51, 0 op_sel:[0,1,0] op_sel_hi:[0,1,0]
	v_fmac_f32_e32 v22, v30, v32
	v_fmac_f32_e32 v25, v34, v36
	s_waitcnt lgkmcnt(0)
	v_lshrrev_b32_e32 v31, 16, v28
	v_and_b32_e32 v28, 0xffff, v28
	;;#ASMSTART
	v_cvt_f32_f16 v30, v28;
	;;#ASMEND
	v_and_b32_e32 v28, 0xffff, v56
	;;#ASMSTART
	v_cvt_f32_f16 v31, v31;
	;;#ASMEND
	;;#ASMSTART
	v_cvt_f32_f16 v32, v28;
	;;#ASMEND
	v_and_b32_e32 v28, 0xffff, v51
	;;#ASMSTART
	v_cvt_f32_f16 v33, v28;
	;;#ASMEND
	v_lshrrev_b32_e32 v28, 16, v29
	;; [unrolled: 39-line block ×6, first 2 shown]
	v_fmac_f32_e32 v27, v35, v37
	v_and_b32_e32 v29, 0xffff, v29
	;;#ASMSTART
	v_cvt_f32_f16 v34, v29;
	;;#ASMEND
	;;#ASMSTART
	v_cvt_f32_f16 v35, v28;
	;;#ASMEND
	v_and_b32_e32 v28, 0xffff, v66
	;;#ASMSTART
	v_cvt_f32_f16 v36, v28;
	;;#ASMEND
	v_and_b32_e32 v28, 0xffff, v65
	;;#ASMSTART
	v_cvt_f32_f16 v37, v28;
	;;#ASMEND
	ds_read_b64 v[28:29], v14 offset:96
	v_fmac_f32_e32 v22, v30, v32
	v_and_b32_e32 v10, 0xffff, v10
	v_and_b32_e32 v9, 0xffff, v9
	v_fmac_f32_e32 v23, v31, v33
	s_waitcnt lgkmcnt(0)
	v_lshrrev_b32_e32 v30, 16, v28
	v_and_b32_e32 v28, 0xffff, v28
	;;#ASMSTART
	v_cvt_f32_f16 v28, v28;
	;;#ASMEND
	;;#ASMSTART
	v_cvt_f32_f16 v30, v30;
	;;#ASMEND
	;; [unrolled: 3-line block ×4, first 2 shown]
	v_lshrrev_b32_e32 v9, 16, v29
	v_and_b32_e32 v29, 0xffff, v29
	v_and_b32_e32 v8, 0xffff, v8
	;; [unrolled: 1-line block ×3, first 2 shown]
	;;#ASMSTART
	v_cvt_f32_f16 v29, v29;
	;;#ASMEND
	;;#ASMSTART
	v_cvt_f32_f16 v32, v9;
	;;#ASMEND
	;; [unrolled: 3-line block ×4, first 2 shown]
	ds_read_b64 v[8:9], v14 offset:104
	v_fmac_f32_e32 v27, v35, v37
	v_fmac_f32_e32 v22, v28, v10
	;; [unrolled: 1-line block ×3, first 2 shown]
	v_or_b32_e32 v21, v76, v74
	s_waitcnt lgkmcnt(0)
	v_lshrrev_b32_e32 v10, 16, v8
	v_and_b32_e32 v2, 0xffff, v8
	;;#ASMSTART
	v_cvt_f32_f16 v2, v2;
	;;#ASMEND
	;;#ASMSTART
	v_cvt_f32_f16 v8, v10;
	;;#ASMEND
	v_and_b32_e32 v10, 0xffff, v24
	v_fma_mixlo_f16 v21, v19, v21, 0 op_sel_hi:[0,1,0]
	v_fmac_f32_e32 v25, v34, v36
	v_fmac_f32_e32 v23, v30, v31
	;;#ASMSTART
	v_cvt_f32_f16 v10, v10;
	;;#ASMEND
	v_and_b32_e32 v20, 0xffff, v20
	v_fmac_f32_e32 v22, v2, v10
	v_and_b32_e32 v2, 0xffff, v9
	v_fma_mixlo_f16 v19, v19, v76, 0 op_sel:[0,1,0] op_sel_hi:[0,1,0]
	v_fmac_f32_e32 v25, v29, v33
	;;#ASMSTART
	v_cvt_f32_f16 v20, v20;
	;;#ASMEND
	;;#ASMSTART
	v_cvt_f32_f16 v2, v2;
	;;#ASMEND
	v_and_b32_e32 v10, 0xffff, v19
	v_fmac_f32_e32 v23, v8, v20
	v_lshrrev_b32_e32 v8, 16, v9
	v_and_b32_e32 v9, 0xffff, v21
	;;#ASMSTART
	v_cvt_f32_f16 v8, v8;
	;;#ASMEND
	;;#ASMSTART
	v_cvt_f32_f16 v9, v9;
	;;#ASMEND
	;; [unrolled: 3-line block ×3, first 2 shown]
	s_nop 0
	v_fmac_f32_e32 v25, v2, v9
	v_add_f32_e32 v2, v22, v23
	v_fmac_f32_e32 v27, v8, v10
	v_add_f32_e32 v2, v2, v25
	v_add_f32_e32 v9, v27, v2
	v_and_b32_e32 v2, 64, v11
	v_xor_b32_e32 v10, 1, v11
	v_add_u32_e32 v8, 64, v2
	v_cmp_lt_i32_e64 s[0:1], v10, v8
	s_nop 1
	v_cndmask_b32_e64 v10, v11, v10, s[0:1]
	v_lshlrev_b32_e32 v10, 2, v10
	ds_bpermute_b32 v10, v10, v9
	s_and_saveexec_b64 s[34:35], vcc
	s_cbranch_execz .LBB266_8
; %bb.346:                              ;   in Loop: Header=BB266_9 Depth=1
	v_add_u32_e32 v19, s41, v15
	v_cvt_f32_i32_e32 v19, v19
	s_waitcnt lgkmcnt(0)
	v_add_f32_e32 v9, v9, v10
	v_cmp_gt_i32_e64 s[0:1], s33, v15
	v_max_f32_e32 v10, v13, v13
	v_mul_f32_e32 v19, s28, v19
	v_cndmask_b32_e64 v19, 0, v19, s[2:3]
	v_fmac_f32_e32 v19, s29, v9
	v_cndmask_b32_e64 v9, 0, v19, s[0:1]
	ds_write_b32 v16, v9
	v_max_f32_e32 v9, v10, v19
	v_cndmask_b32_e64 v13, v13, v9, s[0:1]
	s_branch .LBB266_8
.LBB266_347:
	s_or_b64 exec, exec, s[14:15]
.LBB266_348:
	s_or_b64 exec, exec, s[30:31]
	v_xor_b32_e32 v3, 32, v11
	v_cmp_lt_i32_e32 vcc, v3, v8
	v_xor_b32_e32 v6, 16, v11
	v_max_f32_e32 v5, v13, v13
	v_cndmask_b32_e32 v3, v11, v3, vcc
	v_lshlrev_b32_e32 v3, 2, v3
	ds_bpermute_b32 v4, v3, v13
	v_cmp_lt_i32_e32 vcc, v6, v8
	v_xor_b32_e32 v7, 8, v11
	v_xor_b32_e32 v9, 4, v11
	s_waitcnt lgkmcnt(0)
	v_xor_b32_e32 v10, 2, v11
	v_max_f32_e32 v4, v4, v4
	v_max_f32_e32 v5, v5, v4
	v_cndmask_b32_e32 v4, v11, v6, vcc
	v_lshlrev_b32_e32 v4, 2, v4
	ds_bpermute_b32 v6, v4, v5
	v_cmp_lt_i32_e32 vcc, v7, v8
	v_and_b32_e32 v27, 63, v0
	s_waitcnt lgkmcnt(0)
	v_max_f32_e32 v6, v6, v6
	v_max_f32_e32 v6, v5, v6
	v_cndmask_b32_e32 v5, v11, v7, vcc
	v_lshlrev_b32_e32 v5, 2, v5
	ds_bpermute_b32 v7, v5, v6
	v_cmp_lt_i32_e32 vcc, v9, v8
	s_waitcnt lgkmcnt(0)
	v_max_f32_e32 v7, v7, v7
	v_max_f32_e32 v7, v6, v7
	v_cndmask_b32_e32 v6, v11, v9, vcc
	v_lshlrev_b32_e32 v6, 2, v6
	ds_bpermute_b32 v9, v6, v7
	v_cmp_lt_i32_e32 vcc, v10, v8
	s_waitcnt lgkmcnt(0)
	v_max_f32_e32 v9, v9, v9
	v_max_f32_e32 v9, v7, v9
	v_cndmask_b32_e32 v7, v11, v10, vcc
	v_lshlrev_b32_e32 v28, 2, v7
	ds_bpermute_b32 v10, v28, v9
	v_cmp_eq_u32_e32 vcc, 0, v27
	v_lshlrev_b32_e32 v7, 2, v26
	s_and_saveexec_b64 s[0:1], vcc
	s_cbranch_execz .LBB266_350
; %bb.349:
	s_waitcnt lgkmcnt(0)
	v_max_f32_e32 v10, v10, v10
	v_max_f32_e32 v9, v9, v9
	;; [unrolled: 1-line block ×3, first 2 shown]
	ds_write_b32 v7, v9 offset:224
.LBB266_350:
	s_or_b64 exec, exec, s[0:1]
	v_cmp_gt_u32_e64 s[0:1], 2, v27
	s_waitcnt lgkmcnt(0)
	v_mov_b32_e32 v10, 0xff7fffff
	v_lshlrev_b32_e32 v9, 2, v27
	s_barrier
	s_and_saveexec_b64 s[2:3], s[0:1]
; %bb.351:
	ds_read_b32 v10, v9 offset:224
; %bb.352:
	s_or_b64 exec, exec, s[2:3]
	v_xor_b32_e32 v13, 1, v11
	v_cmp_lt_i32_e64 s[2:3], v13, v8
	v_lshlrev_b32_e32 v2, 2, v2
	s_nop 0
	v_cndmask_b32_e64 v8, v11, v13, s[2:3]
	v_lshlrev_b32_e32 v29, 2, v8
	s_waitcnt lgkmcnt(0)
	ds_bpermute_b32 v8, v29, v10
	v_max_f32_e32 v10, v10, v10
	s_lshl_b32 s2, s19, 5
	s_min_i32 s30, s2, s33
	v_cmp_gt_i32_e64 s[2:3], s30, v0
	s_waitcnt lgkmcnt(0)
	v_max_f32_e32 v8, v8, v8
	v_max_f32_e32 v8, v10, v8
	ds_bpermute_b32 v8, v2, v8
	v_mov_b32_e32 v2, 0
	s_and_saveexec_b64 s[14:15], s[2:3]
	s_cbranch_execz .LBB266_356
; %bb.353:
	v_mov_b32_e32 v2, 0xf0
	v_lshl_add_u32 v10, v0, 2, v2
	v_mov_b32_e32 v2, 0
	s_mov_b64 s[28:29], 0
	v_mov_b32_e32 v13, v0
.LBB266_354:                            ; =>This Inner Loop Header: Depth=1
	ds_read_b32 v14, v10
	v_add_u32_e32 v13, 0x80, v13
	v_cmp_le_i32_e64 s[8:9], s30, v13
	s_or_b64 s[28:29], s[8:9], s[28:29]
	s_waitcnt lgkmcnt(0)
	v_sub_f32_e32 v14, v14, v8
	v_mul_f32_e32 v14, 0x3fb8aa3b, v14
	v_exp_f32_e32 v14, v14
	ds_write_b32 v10, v14
	v_add_f32_e32 v2, v2, v14
	v_add_u32_e32 v10, 0x200, v10
	s_andn2_b64 exec, exec, s[28:29]
	s_cbranch_execnz .LBB266_354
; %bb.355:
	s_or_b64 exec, exec, s[28:29]
.LBB266_356:
	s_or_b64 exec, exec, s[14:15]
	ds_bpermute_b32 v3, v3, v2
	s_waitcnt lgkmcnt(0)
	v_add_f32_e32 v2, v2, v3
	ds_bpermute_b32 v3, v4, v2
	s_waitcnt lgkmcnt(0)
	v_add_f32_e32 v2, v2, v3
	;; [unrolled: 3-line block ×6, first 2 shown]
	s_and_saveexec_b64 s[8:9], vcc
; %bb.357:
	ds_write_b32 v7, v2 offset:232
; %bb.358:
	s_or_b64 exec, exec, s[8:9]
	s_waitcnt lgkmcnt(0)
	s_barrier
	s_and_saveexec_b64 s[8:9], s[0:1]
; %bb.359:
	ds_read_b32 v2, v9 offset:232
; %bb.360:
	s_or_b64 exec, exec, s[8:9]
	s_waitcnt lgkmcnt(0)
	ds_bpermute_b32 v3, v29, v2
	v_lshlrev_b32_e32 v4, 2, v11
	s_waitcnt lgkmcnt(0)
	v_add_f32_e32 v2, v2, v3
	v_and_b32_e32 v3, 0xffffff00, v4
	ds_bpermute_b32 v2, v3, v2
	s_and_saveexec_b64 s[0:1], s[2:3]
	s_cbranch_execz .LBB266_373
; %bb.361:
	s_waitcnt lgkmcnt(0)
	v_add_f32_e32 v2, 0x358637bd, v2
	v_div_scale_f32 v3, s[2:3], v2, v2, 1.0
	v_rcp_f32_e32 v4, v3
	v_div_scale_f32 v5, vcc, 1.0, v2, 1.0
	s_movk_i32 s2, 0x7f
	v_fma_f32 v6, -v3, v4, 1.0
	v_fmac_f32_e32 v4, v6, v4
	v_mul_f32_e32 v6, v5, v4
	v_fma_f32 v7, -v3, v6, v5
	v_fmac_f32_e32 v6, v7, v4
	v_fma_f32 v3, -v3, v6, v5
	v_div_fmas_f32 v3, v3, v4, v6
	v_xad_u32 v4, v0, -1, s30
	v_div_fixup_f32 v2, v3, v2, 1.0
	v_cmp_lt_u32_e32 vcc, s2, v4
	s_mov_b64 s[8:9], -1
	v_mov_b32_e32 v3, v0
	s_and_saveexec_b64 s[2:3], vcc
	s_cbranch_execz .LBB266_370
; %bb.362:
	v_lshrrev_b32_e32 v4, 7, v4
	v_add_u32_e32 v6, -1, v4
	v_lshrrev_b32_e32 v5, 1, v6
	v_mov_b32_e32 v3, v2
	v_add_u32_e32 v5, 1, v5
	v_cmp_lt_u32_e32 vcc, 13, v6
	v_mov_b32_e32 v8, 0
	s_and_saveexec_b64 s[8:9], vcc
	s_cbranch_execz .LBB266_366
; %bb.363:
	v_mov_b32_e32 v7, 0xf0
	v_and_b32_e32 v6, -8, v5
	v_lshl_add_u32 v7, v0, 2, v7
	s_mov_b32 s28, 0
	s_mov_b64 s[14:15], 0
.LBB266_364:                            ; =>This Inner Loop Header: Depth=1
	ds_read2st64_b32 v[8:9], v7 offset1:2
	ds_read2st64_b32 v[10:11], v7 offset0:4 offset1:6
	ds_read2st64_b32 v[14:15], v7 offset0:8 offset1:10
	;; [unrolled: 1-line block ×3, first 2 shown]
	v_add_u32_e32 v6, -8, v6
	s_waitcnt lgkmcnt(3)
	v_pk_mul_f32 v[8:9], v[2:3], v[8:9]
	s_waitcnt lgkmcnt(2)
	v_pk_mul_f32 v[10:11], v[2:3], v[10:11]
	ds_write2st64_b32 v7, v8, v9 offset1:2
	ds_write2st64_b32 v7, v10, v11 offset0:4 offset1:6
	ds_read2st64_b32 v[10:11], v7 offset0:16 offset1:18
	s_waitcnt lgkmcnt(4)
	v_pk_mul_f32 v[8:9], v[2:3], v[14:15]
	ds_write2st64_b32 v7, v8, v9 offset0:8 offset1:10
	s_waitcnt lgkmcnt(4)
	v_pk_mul_f32 v[8:9], v[2:3], v[16:17]
	ds_write2st64_b32 v7, v8, v9 offset0:12 offset1:14
	ds_read2st64_b32 v[8:9], v7 offset0:20 offset1:22
	s_waitcnt lgkmcnt(3)
	v_pk_mul_f32 v[10:11], v[2:3], v[10:11]
	ds_read2st64_b32 v[14:15], v7 offset0:24 offset1:26
	ds_write2st64_b32 v7, v10, v11 offset0:16 offset1:18
	ds_read2st64_b32 v[10:11], v7 offset0:28 offset1:30
	s_waitcnt lgkmcnt(3)
	v_pk_mul_f32 v[8:9], v[2:3], v[8:9]
	ds_write2st64_b32 v7, v8, v9 offset0:20 offset1:22
	s_waitcnt lgkmcnt(3)
	v_pk_mul_f32 v[8:9], v[2:3], v[14:15]
	ds_write2st64_b32 v7, v8, v9 offset0:24 offset1:26
	s_waitcnt lgkmcnt(2)
	v_pk_mul_f32 v[8:9], v[2:3], v[10:11]
	s_add_i32 s28, s28, 16
	v_cmp_eq_u32_e32 vcc, 0, v6
	ds_write2st64_b32 v7, v8, v9 offset0:28 offset1:30
	v_add_u32_e32 v7, 0x2000, v7
	s_or_b64 s[14:15], vcc, s[14:15]
	v_mov_b32_e32 v8, s28
	s_andn2_b64 exec, exec, s[14:15]
	s_cbranch_execnz .LBB266_364
; %bb.365:
	s_or_b64 exec, exec, s[14:15]
.LBB266_366:
	s_or_b64 exec, exec, s[8:9]
	v_and_b32_e32 v5, 7, v5
	v_cmp_ne_u32_e32 vcc, 0, v5
	s_and_saveexec_b64 s[8:9], vcc
	s_cbranch_execz .LBB266_369
; %bb.367:
	v_lshlrev_b32_e32 v6, 9, v8
	v_lshlrev_b32_e32 v7, 2, v0
	s_movk_i32 s14, 0xf0
	v_add3_u32 v6, v6, v7, s14
	s_mov_b64 s[14:15], 0
.LBB266_368:                            ; =>This Inner Loop Header: Depth=1
	ds_read2st64_b32 v[8:9], v6 offset1:2
	v_add_u32_e32 v5, -1, v5
	v_cmp_eq_u32_e32 vcc, 0, v5
	s_or_b64 s[14:15], vcc, s[14:15]
	s_waitcnt lgkmcnt(0)
	v_pk_mul_f32 v[8:9], v[2:3], v[8:9]
	ds_write2st64_b32 v6, v8, v9 offset1:2
	v_add_u32_e32 v6, 0x400, v6
	s_andn2_b64 exec, exec, s[14:15]
	s_cbranch_execnz .LBB266_368
.LBB266_369:
	s_or_b64 exec, exec, s[8:9]
	v_add_u32_e32 v4, 1, v4
	v_and_b32_e32 v5, 0x3fffffe, v4
	v_cmp_ne_u32_e32 vcc, v4, v5
	v_lshl_add_u32 v3, v5, 7, v0
	s_orn2_b64 s[8:9], vcc, exec
.LBB266_370:
	s_or_b64 exec, exec, s[2:3]
	s_and_b64 exec, exec, s[8:9]
	s_cbranch_execz .LBB266_373
; %bb.371:
	v_mov_b32_e32 v4, 0xf0
	v_lshl_add_u32 v4, v3, 2, v4
	s_mov_b64 s[2:3], 0
.LBB266_372:                            ; =>This Inner Loop Header: Depth=1
	ds_read_b32 v5, v4
	v_add_u32_e32 v3, 0x80, v3
	v_cmp_le_i32_e32 vcc, s30, v3
	s_or_b64 s[2:3], vcc, s[2:3]
	s_waitcnt lgkmcnt(0)
	v_mul_f32_e32 v5, v2, v5
	ds_write_b32 v4, v5
	v_add_u32_e32 v4, 0x200, v4
	s_andn2_b64 exec, exec, s[2:3]
	s_cbranch_execnz .LBB266_372
.LBB266_373:
	s_or_b64 exec, exec, s[0:1]
	v_mov_b32_e32 v3, 0
	v_and_b32_e32 v30, 3, v0
	s_waitcnt lgkmcnt(0)
	v_mov_b32_e32 v2, 0
	v_mov_b32_e32 v5, 0
	;; [unrolled: 1-line block ×6, first 2 shown]
	s_barrier
	s_and_saveexec_b64 s[2:3], s[6:7]
	s_cbranch_execz .LBB266_727
; %bb.374:
	s_ashr_i32 s1, s12, 31
	s_add_u32 s0, s26, s12
	s_addc_u32 s1, s27, s1
	v_and_b32_e32 v8, 0x1f8, v1
	v_mov_b32_e32 v9, 0
	s_add_i32 s26, s19, -1
	v_lshl_add_u64 v[10:11], s[0:1], 0, v[8:9]
	s_lshl_b64 s[0:1], s[24:25], 2
	v_and_b32_e32 v2, 24, v1
	v_lshlrev_b32_e32 v1, 5, v30
	s_add_u32 s0, s22, s0
	s_mov_b32 s6, -1
	v_lshl_or_b32 v1, v26, 7, v1
	v_and_b32_e32 v8, 60, v12
	s_addc_u32 s1, s23, s1
	s_mov_b32 s28, s13
	s_mov_b32 s7, 0xffffff
	;; [unrolled: 1-line block ×3, first 2 shown]
	v_lshl_or_b32 v32, v26, 5, v2
	v_add_u32_e32 v33, 0xf0, v1
	v_lshl_add_u64 v[12:13], s[0:1], 0, v[8:9]
	s_mov_b64 s[8:9], 0
	s_movk_i32 s24, 0x80
	s_movk_i32 s25, 0x7f
	s_mov_b32 s29, 0x8000
	v_mov_b32_e32 v34, 0x2000
	v_mov_b32_e32 v31, 0
	;; [unrolled: 1-line block ×8, first 2 shown]
	s_branch .LBB266_376
.LBB266_375:                            ;   in Loop: Header=BB266_376 Depth=1
	s_or_b64 exec, exec, s[0:1]
	v_add_f32_e32 v14, v24, v25
	v_add_f32_e32 v3, v3, v14
	;; [unrolled: 1-line block ×11, first 2 shown]
	;;#ASMSTART
	v_pk_mul_f16 v1, v45, v1;

	;;#ASMEND
	v_add_f32_e32 v6, v6, v14
	;;#ASMSTART
	v_pk_mul_f16 v8, v44, v8;

	;;#ASMEND
	;;#ASMSTART
	v_pk_mul_f16 v14, v43, v21;

	;;#ASMEND
	;; [unrolled: 4-line block ×3, first 2 shown]
	v_add_u32_e32 v26, 2, v26
	;;#ASMSTART
	v_pk_add_f16 v1, v1, v8;

	;;#ASMEND
	v_cmp_le_i32_e32 vcc, s19, v26
	;;#ASMSTART
	v_pk_add_f16 v1, v1, v14;

	;;#ASMEND
	v_add_u32_e32 v32, 64, v32
	;;#ASMSTART
	v_pk_add_f16 v1, v1, v15;

	;;#ASMEND
	v_add_u32_e32 v33, 0x100, v33
	v_lshrrev_b32_e32 v8, 16, v1
	v_and_b32_e32 v1, 0xffff, v1
	;;#ASMSTART
	v_cvt_f32_f16 v1, v1;
	;;#ASMEND
	;;#ASMSTART
	v_cvt_f32_f16 v8, v8;
	;;#ASMEND
	s_or_b64 s[8:9], vcc, s[8:9]
	v_add_f32_e32 v1, v1, v8
	v_add_f32_e32 v31, v31, v1
	v_lshl_add_u64 v[12:13], v[12:13], 0, 8
	s_andn2_b64 exec, exec, s[8:9]
	s_cbranch_execz .LBB266_726
.LBB266_376:                            ; =>This Inner Loop Header: Depth=1
	global_load_dword v1, v[12:13], off
	ds_read2_b64 v[14:17], v33 offset1:1
	ds_read2_b64 v[18:21], v33 offset0:2 offset1:3
	s_waitcnt lgkmcnt(1)
	;;#ASMSTART
	v_cvt_f16_f32 v42, v14;

	;;#ASMEND
	;;#ASMSTART
	v_cvt_f16_f32 v43, v15;

	;;#ASMEND
	;;#ASMSTART
	v_cvt_f16_f32 v44, v16;

	;;#ASMEND
	;;#ASMSTART
	v_cvt_f16_f32 v46, v17;

	;;#ASMEND
	s_waitcnt lgkmcnt(0)
	;;#ASMSTART
	v_cvt_f16_f32 v47, v18;

	;;#ASMEND
	;;#ASMSTART
	v_cvt_f16_f32 v48, v19;

	;;#ASMEND
	;; [unrolled: 4-line block ×4, first 2 shown]
	s_waitcnt vmcnt(0)
	v_mad_i64_i32 v[14:15], s[0:1], v1, s28, v[10:11]
	global_load_dwordx2 v[18:19], v[14:15], off
	global_load_dword v16, v9, s[10:11]
	v_mov_b32_e32 v1, 0
	s_waitcnt vmcnt(1)
	v_cmp_ne_u16_sdwa s[12:13], v18, v9 src0_sel:BYTE_0 src1_sel:DWORD
	s_and_saveexec_b64 s[0:1], s[12:13]
	s_cbranch_execz .LBB266_382
; %bb.377:                              ;   in Loop: Header=BB266_376 Depth=1
	v_cmp_ne_u16_sdwa s[14:15], v18, s24 src0_sel:BYTE_0 src1_sel:DWORD
	v_mov_b32_e32 v1, 0x8000
	s_and_saveexec_b64 s[12:13], s[14:15]
	s_cbranch_execz .LBB266_381
; %bb.378:                              ;   in Loop: Header=BB266_376 Depth=1
	v_and_b32_e32 v8, 0x7f, v18
	v_cmp_ne_u32_e32 vcc, s25, v8
	v_mov_b32_e32 v1, 0x7c01
	s_and_saveexec_b64 s[14:15], vcc
	s_cbranch_execz .LBB266_380
; %bb.379:                              ;   in Loop: Header=BB266_376 Depth=1
	v_and_b32_e32 v1, 7, v18
	v_ffbh_u32_e32 v20, v1
	v_min_u32_e32 v22, 32, v20
	v_subrev_u32_e32 v20, 28, v22
	v_lshlrev_b64 v[20:21], v20, v[18:19]
	v_lshrrev_b32_e32 v17, 3, v8
	v_sub_u32_e32 v21, 29, v22
	v_cmp_gt_u32_e32 vcc, 8, v8
	v_and_b32_e32 v20, 7, v20
	s_nop 0
	v_cndmask_b32_e32 v8, v17, v21, vcc
	v_lshl_add_u32 v8, v8, 10, v34
	v_lshlrev_b32_e32 v17, 8, v18
	v_and_b32_e32 v8, 0xfc00, v8
	v_cndmask_b32_e32 v1, v1, v20, vcc
	v_and_or_b32 v8, v17, s29, v8
	v_lshl_or_b32 v1, v1, 7, v8
.LBB266_380:                            ;   in Loop: Header=BB266_376 Depth=1
	s_or_b64 exec, exec, s[14:15]
.LBB266_381:                            ;   in Loop: Header=BB266_376 Depth=1
	s_or_b64 exec, exec, s[12:13]
.LBB266_382:                            ;   in Loop: Header=BB266_376 Depth=1
	s_or_b64 exec, exec, s[0:1]
	v_lshrrev_b16_e32 v8, 8, v18
	v_cmp_ne_u16_e32 vcc, 0, v8
	v_mov_b32_e32 v17, 0
	v_mov_b32_e32 v20, 0
	s_and_saveexec_b64 s[0:1], vcc
	s_cbranch_execz .LBB266_388
; %bb.383:                              ;   in Loop: Header=BB266_376 Depth=1
	v_cmp_ne_u16_e32 vcc, s24, v8
	v_bfrev_b32_e32 v20, 1
	s_and_saveexec_b64 s[12:13], vcc
	s_cbranch_execz .LBB266_387
; %bb.384:                              ;   in Loop: Header=BB266_376 Depth=1
	v_and_b32_e32 v21, 0x7f, v8
	v_cmp_ne_u32_e32 vcc, s25, v21
	v_mov_b32_e32 v20, 0x7c010000
	s_and_saveexec_b64 s[14:15], vcc
	s_cbranch_execz .LBB266_386
; %bb.385:                              ;   in Loop: Header=BB266_376 Depth=1
	v_and_b32_e32 v20, 7, v8
	v_ffbh_u32_e32 v22, v20
	v_min_u32_e32 v25, 32, v22
	v_subrev_u32_e32 v22, 28, v25
	v_lshlrev_b64 v[22:23], v22, v[8:9]
	v_lshrrev_b32_e32 v24, 3, v21
	v_sub_u32_e32 v23, 29, v25
	v_cmp_gt_u32_e32 vcc, 8, v21
	v_lshlrev_b32_e32 v8, 8, v8
	v_and_b32_e32 v22, 7, v22
	v_cndmask_b32_e32 v21, v24, v23, vcc
	v_lshl_add_u32 v21, v21, 10, v34
	v_and_or_b32 v8, v8, s29, v21
	v_cndmask_b32_e32 v20, v20, v22, vcc
	v_lshlrev_b32_e32 v8, 16, v8
	v_lshl_or_b32 v20, v20, 23, v8
.LBB266_386:                            ;   in Loop: Header=BB266_376 Depth=1
	s_or_b64 exec, exec, s[14:15]
.LBB266_387:                            ;   in Loop: Header=BB266_376 Depth=1
	s_or_b64 exec, exec, s[12:13]
.LBB266_388:                            ;   in Loop: Header=BB266_376 Depth=1
	s_or_b64 exec, exec, s[0:1]
	v_lshrrev_b32_e32 v8, 16, v18
	v_cmp_ne_u16_sdwa s[12:13], v8, v9 src0_sel:BYTE_0 src1_sel:DWORD
	s_and_saveexec_b64 s[0:1], s[12:13]
	s_cbranch_execz .LBB266_394
; %bb.389:                              ;   in Loop: Header=BB266_376 Depth=1
	v_cmp_ne_u16_sdwa s[14:15], v8, s24 src0_sel:BYTE_0 src1_sel:DWORD
	v_mov_b32_e32 v17, 0x8000
	s_and_saveexec_b64 s[12:13], s[14:15]
	s_cbranch_execz .LBB266_393
; %bb.390:                              ;   in Loop: Header=BB266_376 Depth=1
	v_bfe_u32 v21, v18, 16, 7
	v_cmp_ne_u32_e32 vcc, s25, v21
	v_mov_b32_e32 v17, 0x7c01
	s_and_saveexec_b64 s[14:15], vcc
	s_cbranch_execz .LBB266_392
; %bb.391:                              ;   in Loop: Header=BB266_376 Depth=1
	v_and_b32_e32 v17, 7, v8
	v_ffbh_u32_e32 v22, v17
	v_min_u32_e32 v25, 32, v22
	v_subrev_u32_e32 v22, 28, v25
	v_lshlrev_b64 v[22:23], v22, v[8:9]
	v_lshrrev_b32_e32 v24, 3, v21
	v_sub_u32_e32 v23, 29, v25
	v_cmp_gt_u32_e32 vcc, 8, v21
	v_lshlrev_b32_e32 v8, 8, v8
	v_and_b32_e32 v22, 7, v22
	v_cndmask_b32_e32 v21, v24, v23, vcc
	v_lshl_add_u32 v21, v21, 10, v34
	v_and_b32_e32 v21, 0xfc00, v21
	v_cndmask_b32_e32 v17, v17, v22, vcc
	v_and_or_b32 v8, v8, s29, v21
	v_lshl_or_b32 v17, v17, 7, v8
.LBB266_392:                            ;   in Loop: Header=BB266_376 Depth=1
	s_or_b64 exec, exec, s[14:15]
.LBB266_393:                            ;   in Loop: Header=BB266_376 Depth=1
	s_or_b64 exec, exec, s[12:13]
.LBB266_394:                            ;   in Loop: Header=BB266_376 Depth=1
	s_or_b64 exec, exec, s[0:1]
	v_cmp_lt_u32_e32 vcc, s7, v18
	v_mov_b32_e32 v21, 0
	v_mov_b32_e32 v22, 0
	s_and_saveexec_b64 s[0:1], vcc
	s_cbranch_execz .LBB266_400
; %bb.395:                              ;   in Loop: Header=BB266_376 Depth=1
	v_lshrrev_b32_e32 v8, 24, v18
	v_cmp_ne_u32_e32 vcc, s24, v8
	v_bfrev_b32_e32 v22, 1
	s_and_saveexec_b64 s[12:13], vcc
	s_cbranch_execz .LBB266_399
; %bb.396:                              ;   in Loop: Header=BB266_376 Depth=1
	v_and_b32_e32 v23, 0x7f, v8
	v_cmp_ne_u32_e32 vcc, s25, v23
	v_mov_b32_e32 v22, 0x7c010000
	s_and_saveexec_b64 s[14:15], vcc
	s_cbranch_execz .LBB266_398
; %bb.397:                              ;   in Loop: Header=BB266_376 Depth=1
	v_and_b32_e32 v22, 7, v8
	v_ffbh_u32_e32 v24, v22
	v_min_u32_e32 v36, 32, v24
	v_subrev_u32_e32 v24, 28, v36
	v_lshlrev_b64 v[24:25], v24, v[8:9]
	v_lshrrev_b32_e32 v35, 3, v23
	v_sub_u32_e32 v25, 29, v36
	v_cmp_gt_u32_e32 vcc, 8, v23
	v_lshlrev_b32_e32 v8, 8, v8
	v_and_b32_e32 v24, 7, v24
	v_cndmask_b32_e32 v23, v35, v25, vcc
	v_lshl_add_u32 v23, v23, 10, v34
	v_and_or_b32 v8, v8, s29, v23
	v_cndmask_b32_e32 v22, v22, v24, vcc
	v_lshlrev_b32_e32 v8, 16, v8
	v_lshl_or_b32 v22, v22, 23, v8
.LBB266_398:                            ;   in Loop: Header=BB266_376 Depth=1
	s_or_b64 exec, exec, s[14:15]
.LBB266_399:                            ;   in Loop: Header=BB266_376 Depth=1
	s_or_b64 exec, exec, s[12:13]
.LBB266_400:                            ;   in Loop: Header=BB266_376 Depth=1
	s_or_b64 exec, exec, s[0:1]
	v_mov_b32_e32 v8, v19
	v_cmp_ne_u16_sdwa s[12:13], v19, v9 src0_sel:BYTE_0 src1_sel:DWORD
	s_and_saveexec_b64 s[0:1], s[12:13]
	s_cbranch_execz .LBB266_406
; %bb.401:                              ;   in Loop: Header=BB266_376 Depth=1
	v_cmp_ne_u16_sdwa s[14:15], v19, s24 src0_sel:BYTE_0 src1_sel:DWORD
	v_mov_b32_e32 v21, 0x8000
	s_and_saveexec_b64 s[12:13], s[14:15]
	s_cbranch_execz .LBB266_405
; %bb.402:                              ;   in Loop: Header=BB266_376 Depth=1
	v_and_b32_e32 v23, 0x7f, v19
	v_cmp_ne_u32_e32 vcc, s25, v23
	v_mov_b32_e32 v21, 0x7c01
	s_and_saveexec_b64 s[14:15], vcc
	s_cbranch_execz .LBB266_404
; %bb.403:                              ;   in Loop: Header=BB266_376 Depth=1
	v_and_b32_e32 v21, 7, v19
	v_ffbh_u32_e32 v24, v21
	v_min_u32_e32 v36, 32, v24
	v_subrev_u32_e32 v24, 28, v36
	v_lshlrev_b64 v[24:25], v24, v[8:9]
	v_lshrrev_b32_e32 v35, 3, v23
	v_sub_u32_e32 v25, 29, v36
	v_cmp_gt_u32_e32 vcc, 8, v23
	v_and_b32_e32 v24, 7, v24
	s_nop 0
	v_cndmask_b32_e32 v23, v35, v25, vcc
	v_lshl_add_u32 v23, v23, 10, v34
	v_lshlrev_b32_e32 v25, 8, v19
	v_and_b32_e32 v23, 0xfc00, v23
	v_cndmask_b32_e32 v21, v21, v24, vcc
	v_and_or_b32 v23, v25, s29, v23
	v_lshl_or_b32 v21, v21, 7, v23
.LBB266_404:                            ;   in Loop: Header=BB266_376 Depth=1
	s_or_b64 exec, exec, s[14:15]
.LBB266_405:                            ;   in Loop: Header=BB266_376 Depth=1
	s_or_b64 exec, exec, s[12:13]
.LBB266_406:                            ;   in Loop: Header=BB266_376 Depth=1
	s_or_b64 exec, exec, s[0:1]
	v_lshrrev_b16_e32 v8, 8, v8
	v_cmp_ne_u16_e32 vcc, 0, v8
	v_mov_b32_e32 v24, 0
	v_mov_b32_e32 v23, 0
	s_and_saveexec_b64 s[0:1], vcc
	s_cbranch_execz .LBB266_412
; %bb.407:                              ;   in Loop: Header=BB266_376 Depth=1
	v_cmp_ne_u16_e32 vcc, s24, v8
	v_bfrev_b32_e32 v23, 1
	s_and_saveexec_b64 s[12:13], vcc
	s_cbranch_execz .LBB266_411
; %bb.408:                              ;   in Loop: Header=BB266_376 Depth=1
	v_and_b32_e32 v25, 0x7f, v8
	v_cmp_ne_u32_e32 vcc, s25, v25
	v_mov_b32_e32 v23, 0x7c010000
	s_and_saveexec_b64 s[14:15], vcc
	s_cbranch_execz .LBB266_410
; %bb.409:                              ;   in Loop: Header=BB266_376 Depth=1
	v_and_b32_e32 v23, 7, v8
	v_ffbh_u32_e32 v36, v23
	v_min_u32_e32 v38, 32, v36
	v_subrev_u32_e32 v36, 28, v38
	v_lshlrev_b64 v[36:37], v36, v[8:9]
	v_lshrrev_b32_e32 v35, 3, v25
	v_sub_u32_e32 v37, 29, v38
	v_cmp_gt_u32_e32 vcc, 8, v25
	v_lshlrev_b32_e32 v8, 8, v8
	s_nop 0
	v_cndmask_b32_e32 v25, v35, v37, vcc
	v_lshl_add_u32 v25, v25, 10, v34
	v_and_b32_e32 v35, 7, v36
	v_and_or_b32 v8, v8, s29, v25
	v_cndmask_b32_e32 v23, v23, v35, vcc
	v_lshlrev_b32_e32 v8, 16, v8
	v_lshl_or_b32 v23, v23, 23, v8
.LBB266_410:                            ;   in Loop: Header=BB266_376 Depth=1
	s_or_b64 exec, exec, s[14:15]
.LBB266_411:                            ;   in Loop: Header=BB266_376 Depth=1
	s_or_b64 exec, exec, s[12:13]
.LBB266_412:                            ;   in Loop: Header=BB266_376 Depth=1
	s_or_b64 exec, exec, s[0:1]
	v_lshrrev_b32_e32 v8, 16, v19
	v_cmp_ne_u16_sdwa s[12:13], v8, v9 src0_sel:BYTE_0 src1_sel:DWORD
	s_and_saveexec_b64 s[0:1], s[12:13]
	s_cbranch_execz .LBB266_418
; %bb.413:                              ;   in Loop: Header=BB266_376 Depth=1
	v_cmp_ne_u16_sdwa s[14:15], v8, s24 src0_sel:BYTE_0 src1_sel:DWORD
	v_mov_b32_e32 v24, 0x8000
	s_and_saveexec_b64 s[12:13], s[14:15]
	s_cbranch_execz .LBB266_417
; %bb.414:                              ;   in Loop: Header=BB266_376 Depth=1
	v_bfe_u32 v25, v19, 16, 7
	v_cmp_ne_u32_e32 vcc, s25, v25
	v_mov_b32_e32 v24, 0x7c01
	s_and_saveexec_b64 s[14:15], vcc
	s_cbranch_execz .LBB266_416
; %bb.415:                              ;   in Loop: Header=BB266_376 Depth=1
	v_and_b32_e32 v24, 7, v8
	v_ffbh_u32_e32 v36, v24
	v_min_u32_e32 v38, 32, v36
	v_subrev_u32_e32 v36, 28, v38
	v_lshlrev_b64 v[36:37], v36, v[8:9]
	v_lshrrev_b32_e32 v35, 3, v25
	v_sub_u32_e32 v37, 29, v38
	v_cmp_gt_u32_e32 vcc, 8, v25
	v_lshlrev_b32_e32 v8, 8, v8
	s_nop 0
	v_cndmask_b32_e32 v25, v35, v37, vcc
	v_lshl_add_u32 v25, v25, 10, v34
	v_and_b32_e32 v35, 7, v36
	v_and_b32_e32 v25, 0xfc00, v25
	v_cndmask_b32_e32 v24, v24, v35, vcc
	v_and_or_b32 v8, v8, s29, v25
	v_lshl_or_b32 v24, v24, 7, v8
.LBB266_416:                            ;   in Loop: Header=BB266_376 Depth=1
	s_or_b64 exec, exec, s[14:15]
.LBB266_417:                            ;   in Loop: Header=BB266_376 Depth=1
	s_or_b64 exec, exec, s[12:13]
.LBB266_418:                            ;   in Loop: Header=BB266_376 Depth=1
	s_or_b64 exec, exec, s[0:1]
	v_cmp_lt_u64_e32 vcc, s[6:7], v[18:19]
	v_mov_b32_e32 v25, 0
	s_and_saveexec_b64 s[0:1], vcc
	s_cbranch_execz .LBB266_424
; %bb.419:                              ;   in Loop: Header=BB266_376 Depth=1
	v_lshrrev_b32_e32 v8, 24, v19
	v_cmp_ne_u32_e32 vcc, s24, v8
	v_bfrev_b32_e32 v25, 1
	s_and_saveexec_b64 s[12:13], vcc
	s_cbranch_execz .LBB266_423
; %bb.420:                              ;   in Loop: Header=BB266_376 Depth=1
	v_and_b32_e32 v18, 0x7f, v8
	v_cmp_ne_u32_e32 vcc, s25, v18
	v_mov_b32_e32 v25, 0x7c010000
	s_and_saveexec_b64 s[14:15], vcc
	s_cbranch_execz .LBB266_422
; %bb.421:                              ;   in Loop: Header=BB266_376 Depth=1
	v_and_b32_e32 v19, 7, v8
	v_ffbh_u32_e32 v35, v19
	v_min_u32_e32 v35, 32, v35
	v_lshrrev_b32_e32 v25, 3, v18
	v_subrev_u32_e32 v36, 28, v35
	v_sub_u32_e32 v35, 29, v35
	v_cmp_gt_u32_e32 vcc, 8, v18
	v_lshlrev_b64 v[36:37], v36, v[8:9]
	v_lshlrev_b32_e32 v8, 8, v8
	v_cndmask_b32_e32 v18, v25, v35, vcc
	v_lshl_add_u32 v18, v18, 10, v34
	v_and_b32_e32 v25, 7, v36
	v_and_or_b32 v8, v8, s29, v18
	v_cndmask_b32_e32 v19, v19, v25, vcc
	v_lshlrev_b32_e32 v8, 16, v8
	v_lshl_or_b32 v25, v19, 23, v8
.LBB266_422:                            ;   in Loop: Header=BB266_376 Depth=1
	s_or_b64 exec, exec, s[14:15]
.LBB266_423:                            ;   in Loop: Header=BB266_376 Depth=1
	s_or_b64 exec, exec, s[12:13]
.LBB266_424:                            ;   in Loop: Header=BB266_376 Depth=1
	s_or_b64 exec, exec, s[0:1]
	v_cvt_f32_f16_sdwa v19, v20 dst_sel:DWORD dst_unused:UNUSED_PAD src0_sel:WORD_1
	v_cvt_f32_f16_sdwa v18, v22 dst_sel:DWORD dst_unused:UNUSED_PAD src0_sel:WORD_1
	v_or_b32_e32 v1, v20, v1
	v_or_b32_e32 v8, v22, v17
	v_cvt_f32_f16_e32 v36, v8
	v_cvt_f32_f16_e32 v37, v1
	s_waitcnt vmcnt(0)
	v_pk_mul_f32 v[18:19], v[16:17], v[18:19] op_sel_hi:[0,1]
	v_cvt_pk_f16_f32 v1, v18, v19
	v_and_b32_e32 v17, 0xffff0000, v1
	v_pk_mul_f32 v[36:37], v[16:17], v[36:37] op_sel_hi:[0,1]
	v_or_b32_e32 v8, v23, v21
	v_or_b32_e32 v21, v25, v24
	v_lshlrev_b32_e32 v18, 16, v1
	v_cvt_pk_f16_f32 v1, v36, v37
	v_cvt_f32_f16_e32 v36, v21
	v_cvt_f32_f16_e32 v37, v8
	v_cvt_f32_f16_sdwa v23, v23 dst_sel:DWORD dst_unused:UNUSED_PAD src0_sel:WORD_1
	v_cvt_f32_f16_sdwa v22, v25 dst_sel:DWORD dst_unused:UNUSED_PAD src0_sel:WORD_1
	v_lshrrev_b32_e32 v19, 16, v1
	v_pk_mul_f32 v[24:25], v[16:17], v[36:37] op_sel_hi:[0,1]
	v_cvt_pk_f16_f32 v24, v24, v25
	v_pk_mul_f32 v[22:23], v[16:17], v[22:23] op_sel_hi:[0,1]
	v_cvt_pk_f16_f32 v16, v22, v23
	v_and_b32_e32 v20, 0xffff, v1
	v_and_b32_e32 v21, 0xffff0000, v16
	v_lshlrev_b32_e32 v16, 16, v16
	v_lshrrev_b32_e32 v25, 16, v24
	v_and_b32_e32 v24, 0xffff, v24
	v_cmp_eq_u32_e32 vcc, s26, v26
	v_or_b32_e32 v1, v17, v19
	v_or_b32_e32 v8, v18, v20
	;; [unrolled: 1-line block ×4, first 2 shown]
	v_add_u32_e32 v41, 2, v32
	v_or_b32_e32 v40, 1, v32
	v_or_b32_e32 v39, 3, v32
	;; [unrolled: 1-line block ×6, first 2 shown]
	s_and_saveexec_b64 s[12:13], vcc
	s_cbranch_execz .LBB266_426
; %bb.425:                              ;   in Loop: Header=BB266_376 Depth=1
	v_cmp_gt_i32_e64 s[0:1], s27, v32
	s_nop 1
	v_cndmask_b32_e64 v1, 0, v19, s[0:1]
	v_cmp_gt_i32_e64 s[0:1], s33, v41
	s_nop 1
	v_cndmask_b32_e64 v8, 0, v20, s[0:1]
	;; [unrolled: 3-line block ×3, first 2 shown]
	v_cmp_gt_i32_e64 s[0:1], s33, v39
	v_or_b32_e32 v1, v17, v1
	s_nop 0
	v_cndmask_b32_e64 v18, 0, v18, s[0:1]
	v_cmp_gt_i32_e64 s[0:1], s27, v38
	v_or_b32_e32 v8, v18, v8
	s_nop 0
	v_cndmask_b32_e64 v17, 0, v25, s[0:1]
	v_cmp_gt_i32_e64 s[0:1], s33, v37
	s_nop 1
	v_cndmask_b32_e64 v18, 0, v24, s[0:1]
	v_cmp_gt_i32_e64 s[0:1], s27, v36
	;; [unrolled: 3-line block ×3, first 2 shown]
	v_or_b32_e32 v23, v19, v17
	s_nop 0
	v_cndmask_b32_e64 v16, 0, v16, s[0:1]
	v_or_b32_e32 v22, v16, v18
.LBB266_426:                            ;   in Loop: Header=BB266_376 Depth=1
	s_or_b64 exec, exec, s[12:13]
	v_and_b32_e32 v16, 0xffff, v42
	v_lshl_or_b32 v45, v43, 16, v16
	v_and_b32_e32 v16, 0xffff, v44
	v_lshl_or_b32 v44, v46, 16, v16
	;; [unrolled: 2-line block ×3, first 2 shown]
	v_and_b32_e32 v16, 0xffff, v49
	;;#ASMSTART
	v_pk_mul_f16 v1, v45, v1;

	;;#ASMEND
	v_lshl_or_b32 v42, v50, 16, v16
	;;#ASMSTART
	v_pk_mul_f16 v8, v44, v8;

	;;#ASMEND
	;;#ASMSTART
	v_pk_mul_f16 v16, v43, v23;

	;;#ASMEND
	;;#ASMSTART
	v_pk_mul_f16 v17, v42, v22;

	;;#ASMEND
	s_nop 0
	;;#ASMSTART
	v_pk_add_f16 v1, v1, v8;

	;;#ASMEND
	s_nop 0
	;;#ASMSTART
	v_pk_add_f16 v1, v1, v16;

	;;#ASMEND
	;; [unrolled: 5-line block ×3, first 2 shown]
	v_mov_b32_e32 v17, 0
	v_lshrrev_b32_e32 v8, 16, v1
	v_and_b32_e32 v1, 0xffff, v1
	;;#ASMSTART
	v_cvt_f32_f16 v46, v1;
	;;#ASMEND
	;;#ASMSTART
	v_cvt_f32_f16 v47, v8;
	;;#ASMEND
	global_load_dwordx2 v[18:19], v[14:15], off offset:512
	v_mov_b32_e32 v1, 0
	global_load_dword v16, v1, s[10:11]
	s_waitcnt vmcnt(1)
	v_cmp_ne_u16_sdwa s[0:1], v18, v9 src0_sel:BYTE_0 src1_sel:DWORD
	s_and_saveexec_b64 s[12:13], s[0:1]
	s_cbranch_execz .LBB266_432
; %bb.427:                              ;   in Loop: Header=BB266_376 Depth=1
	v_cmp_ne_u16_sdwa s[0:1], v18, s24 src0_sel:BYTE_0 src1_sel:DWORD
	v_mov_b32_e32 v17, 0x8000
	s_and_saveexec_b64 s[14:15], s[0:1]
	s_cbranch_execz .LBB266_431
; %bb.428:                              ;   in Loop: Header=BB266_376 Depth=1
	v_and_b32_e32 v8, 0x7f, v18
	v_cmp_ne_u32_e64 s[0:1], s25, v8
	v_mov_b32_e32 v17, 0x7c01
	s_and_saveexec_b64 s[22:23], s[0:1]
	s_cbranch_execz .LBB266_430
; %bb.429:                              ;   in Loop: Header=BB266_376 Depth=1
	v_and_b32_e32 v17, 7, v18
	v_ffbh_u32_e32 v20, v17
	v_min_u32_e32 v23, 32, v20
	v_subrev_u32_e32 v20, 28, v23
	v_lshlrev_b64 v[20:21], v20, v[18:19]
	v_lshrrev_b32_e32 v22, 3, v8
	v_sub_u32_e32 v21, 29, v23
	v_cmp_gt_u32_e64 s[0:1], 8, v8
	v_and_b32_e32 v20, 7, v20
	s_nop 0
	v_cndmask_b32_e64 v8, v22, v21, s[0:1]
	v_lshl_add_u32 v8, v8, 10, v34
	v_lshlrev_b32_e32 v21, 8, v18
	v_and_b32_e32 v8, 0xfc00, v8
	v_cndmask_b32_e64 v17, v17, v20, s[0:1]
	v_and_or_b32 v8, v21, s29, v8
	v_lshl_or_b32 v17, v17, 7, v8
.LBB266_430:                            ;   in Loop: Header=BB266_376 Depth=1
	s_or_b64 exec, exec, s[22:23]
.LBB266_431:                            ;   in Loop: Header=BB266_376 Depth=1
	s_or_b64 exec, exec, s[14:15]
.LBB266_432:                            ;   in Loop: Header=BB266_376 Depth=1
	s_or_b64 exec, exec, s[12:13]
	v_lshrrev_b16_e32 v8, 8, v18
	v_cmp_ne_u16_e64 s[0:1], 0, v8
	s_and_saveexec_b64 s[12:13], s[0:1]
	s_cbranch_execz .LBB266_438
; %bb.433:                              ;   in Loop: Header=BB266_376 Depth=1
	v_cmp_ne_u16_e64 s[0:1], s24, v8
	v_bfrev_b32_e32 v1, 1
	s_and_saveexec_b64 s[14:15], s[0:1]
	s_cbranch_execz .LBB266_437
; %bb.434:                              ;   in Loop: Header=BB266_376 Depth=1
	v_and_b32_e32 v20, 0x7f, v8
	v_cmp_ne_u32_e64 s[0:1], s25, v20
	v_mov_b32_e32 v1, 0x7c010000
	s_and_saveexec_b64 s[22:23], s[0:1]
	s_cbranch_execz .LBB266_436
; %bb.435:                              ;   in Loop: Header=BB266_376 Depth=1
	v_and_b32_e32 v1, 7, v8
	v_ffbh_u32_e32 v22, v1
	v_min_u32_e32 v24, 32, v22
	v_subrev_u32_e32 v22, 28, v24
	v_lshlrev_b64 v[22:23], v22, v[8:9]
	v_lshrrev_b32_e32 v21, 3, v20
	v_sub_u32_e32 v23, 29, v24
	v_cmp_gt_u32_e64 s[0:1], 8, v20
	v_lshlrev_b32_e32 v8, 8, v8
	s_nop 0
	v_cndmask_b32_e64 v20, v21, v23, s[0:1]
	v_lshl_add_u32 v20, v20, 10, v34
	v_and_b32_e32 v21, 7, v22
	v_and_or_b32 v8, v8, s29, v20
	v_cndmask_b32_e64 v1, v1, v21, s[0:1]
	v_lshlrev_b32_e32 v8, 16, v8
	v_lshl_or_b32 v1, v1, 23, v8
.LBB266_436:                            ;   in Loop: Header=BB266_376 Depth=1
	s_or_b64 exec, exec, s[22:23]
.LBB266_437:                            ;   in Loop: Header=BB266_376 Depth=1
	s_or_b64 exec, exec, s[14:15]
.LBB266_438:                            ;   in Loop: Header=BB266_376 Depth=1
	s_or_b64 exec, exec, s[12:13]
	v_lshrrev_b32_e32 v8, 16, v18
	v_cmp_ne_u16_sdwa s[0:1], v8, v9 src0_sel:BYTE_0 src1_sel:DWORD
	v_mov_b32_e32 v21, 0
	v_mov_b32_e32 v20, 0
	s_and_saveexec_b64 s[12:13], s[0:1]
	s_cbranch_execz .LBB266_444
; %bb.439:                              ;   in Loop: Header=BB266_376 Depth=1
	v_cmp_ne_u16_sdwa s[0:1], v8, s24 src0_sel:BYTE_0 src1_sel:DWORD
	v_mov_b32_e32 v20, 0x8000
	s_and_saveexec_b64 s[14:15], s[0:1]
	s_cbranch_execz .LBB266_443
; %bb.440:                              ;   in Loop: Header=BB266_376 Depth=1
	v_bfe_u32 v22, v18, 16, 7
	v_cmp_ne_u32_e64 s[0:1], s25, v22
	v_mov_b32_e32 v20, 0x7c01
	s_and_saveexec_b64 s[22:23], s[0:1]
	s_cbranch_execz .LBB266_442
; %bb.441:                              ;   in Loop: Header=BB266_376 Depth=1
	v_and_b32_e32 v20, 7, v8
	v_ffbh_u32_e32 v24, v20
	v_min_u32_e32 v48, 32, v24
	v_subrev_u32_e32 v24, 28, v48
	v_lshlrev_b64 v[24:25], v24, v[8:9]
	v_lshrrev_b32_e32 v23, 3, v22
	v_sub_u32_e32 v25, 29, v48
	v_cmp_gt_u32_e64 s[0:1], 8, v22
	v_lshlrev_b32_e32 v8, 8, v8
	s_nop 0
	v_cndmask_b32_e64 v22, v23, v25, s[0:1]
	v_lshl_add_u32 v22, v22, 10, v34
	v_and_b32_e32 v23, 7, v24
	v_and_b32_e32 v22, 0xfc00, v22
	v_cndmask_b32_e64 v20, v20, v23, s[0:1]
	v_and_or_b32 v8, v8, s29, v22
	v_lshl_or_b32 v20, v20, 7, v8
.LBB266_442:                            ;   in Loop: Header=BB266_376 Depth=1
	s_or_b64 exec, exec, s[22:23]
.LBB266_443:                            ;   in Loop: Header=BB266_376 Depth=1
	s_or_b64 exec, exec, s[14:15]
.LBB266_444:                            ;   in Loop: Header=BB266_376 Depth=1
	s_or_b64 exec, exec, s[12:13]
	v_cmp_lt_u32_e64 s[0:1], s7, v18
	s_and_saveexec_b64 s[12:13], s[0:1]
	s_cbranch_execz .LBB266_450
; %bb.445:                              ;   in Loop: Header=BB266_376 Depth=1
	v_lshrrev_b32_e32 v8, 24, v18
	v_cmp_ne_u32_e64 s[0:1], s24, v8
	v_bfrev_b32_e32 v21, 1
	s_and_saveexec_b64 s[14:15], s[0:1]
	s_cbranch_execz .LBB266_449
; %bb.446:                              ;   in Loop: Header=BB266_376 Depth=1
	v_and_b32_e32 v22, 0x7f, v8
	v_cmp_ne_u32_e64 s[0:1], s25, v22
	v_mov_b32_e32 v21, 0x7c010000
	s_and_saveexec_b64 s[22:23], s[0:1]
	s_cbranch_execz .LBB266_448
; %bb.447:                              ;   in Loop: Header=BB266_376 Depth=1
	v_and_b32_e32 v21, 7, v8
	v_ffbh_u32_e32 v24, v21
	v_min_u32_e32 v48, 32, v24
	v_subrev_u32_e32 v24, 28, v48
	v_lshlrev_b64 v[24:25], v24, v[8:9]
	v_lshrrev_b32_e32 v23, 3, v22
	v_sub_u32_e32 v25, 29, v48
	v_cmp_gt_u32_e64 s[0:1], 8, v22
	v_lshlrev_b32_e32 v8, 8, v8
	s_nop 0
	v_cndmask_b32_e64 v22, v23, v25, s[0:1]
	v_lshl_add_u32 v22, v22, 10, v34
	v_and_b32_e32 v23, 7, v24
	v_and_or_b32 v8, v8, s29, v22
	v_cndmask_b32_e64 v21, v21, v23, s[0:1]
	v_lshlrev_b32_e32 v8, 16, v8
	v_lshl_or_b32 v21, v21, 23, v8
.LBB266_448:                            ;   in Loop: Header=BB266_376 Depth=1
	s_or_b64 exec, exec, s[22:23]
.LBB266_449:                            ;   in Loop: Header=BB266_376 Depth=1
	s_or_b64 exec, exec, s[14:15]
.LBB266_450:                            ;   in Loop: Header=BB266_376 Depth=1
	s_or_b64 exec, exec, s[12:13]
	v_mov_b32_e32 v8, v19
	v_cmp_ne_u16_sdwa s[0:1], v19, v9 src0_sel:BYTE_0 src1_sel:DWORD
	v_mov_b32_e32 v22, 0
	v_mov_b32_e32 v23, 0
	s_and_saveexec_b64 s[12:13], s[0:1]
	s_cbranch_execz .LBB266_456
; %bb.451:                              ;   in Loop: Header=BB266_376 Depth=1
	v_cmp_ne_u16_sdwa s[0:1], v19, s24 src0_sel:BYTE_0 src1_sel:DWORD
	v_mov_b32_e32 v23, 0x8000
	s_and_saveexec_b64 s[14:15], s[0:1]
	s_cbranch_execz .LBB266_455
; %bb.452:                              ;   in Loop: Header=BB266_376 Depth=1
	v_and_b32_e32 v24, 0x7f, v19
	v_cmp_ne_u32_e64 s[0:1], s25, v24
	v_mov_b32_e32 v23, 0x7c01
	s_and_saveexec_b64 s[22:23], s[0:1]
	s_cbranch_execz .LBB266_454
; %bb.453:                              ;   in Loop: Header=BB266_376 Depth=1
	v_and_b32_e32 v23, 7, v19
	v_ffbh_u32_e32 v48, v23
	v_min_u32_e32 v50, 32, v48
	v_subrev_u32_e32 v48, 28, v50
	v_lshlrev_b64 v[48:49], v48, v[8:9]
	v_lshrrev_b32_e32 v25, 3, v24
	v_sub_u32_e32 v49, 29, v50
	v_cmp_gt_u32_e64 s[0:1], 8, v24
	v_and_b32_e32 v48, 7, v48
	s_nop 0
	v_cndmask_b32_e64 v24, v25, v49, s[0:1]
	v_lshl_add_u32 v24, v24, 10, v34
	v_lshlrev_b32_e32 v25, 8, v19
	v_and_b32_e32 v24, 0xfc00, v24
	v_cndmask_b32_e64 v23, v23, v48, s[0:1]
	v_and_or_b32 v24, v25, s29, v24
	v_lshl_or_b32 v23, v23, 7, v24
.LBB266_454:                            ;   in Loop: Header=BB266_376 Depth=1
	s_or_b64 exec, exec, s[22:23]
.LBB266_455:                            ;   in Loop: Header=BB266_376 Depth=1
	s_or_b64 exec, exec, s[14:15]
.LBB266_456:                            ;   in Loop: Header=BB266_376 Depth=1
	s_or_b64 exec, exec, s[12:13]
	v_lshrrev_b16_e32 v8, 8, v8
	v_cmp_ne_u16_e64 s[0:1], 0, v8
	v_mov_b32_e32 v24, 0
	s_and_saveexec_b64 s[12:13], s[0:1]
	s_cbranch_execz .LBB266_462
; %bb.457:                              ;   in Loop: Header=BB266_376 Depth=1
	v_cmp_ne_u16_e64 s[0:1], s24, v8
	v_bfrev_b32_e32 v24, 1
	s_and_saveexec_b64 s[14:15], s[0:1]
	s_cbranch_execz .LBB266_461
; %bb.458:                              ;   in Loop: Header=BB266_376 Depth=1
	v_and_b32_e32 v25, 0x7f, v8
	v_cmp_ne_u32_e64 s[0:1], s25, v25
	v_mov_b32_e32 v24, 0x7c010000
	s_and_saveexec_b64 s[22:23], s[0:1]
	s_cbranch_execz .LBB266_460
; %bb.459:                              ;   in Loop: Header=BB266_376 Depth=1
	v_and_b32_e32 v24, 7, v8
	v_ffbh_u32_e32 v48, v24
	v_min_u32_e32 v51, 32, v48
	v_subrev_u32_e32 v48, 28, v51
	v_lshlrev_b64 v[48:49], v48, v[8:9]
	v_lshrrev_b32_e32 v50, 3, v25
	v_sub_u32_e32 v49, 29, v51
	v_cmp_gt_u32_e64 s[0:1], 8, v25
	v_lshlrev_b32_e32 v8, 8, v8
	v_and_b32_e32 v48, 7, v48
	v_cndmask_b32_e64 v25, v50, v49, s[0:1]
	v_lshl_add_u32 v25, v25, 10, v34
	v_and_or_b32 v8, v8, s29, v25
	v_cndmask_b32_e64 v24, v24, v48, s[0:1]
	v_lshlrev_b32_e32 v8, 16, v8
	v_lshl_or_b32 v24, v24, 23, v8
.LBB266_460:                            ;   in Loop: Header=BB266_376 Depth=1
	s_or_b64 exec, exec, s[22:23]
.LBB266_461:                            ;   in Loop: Header=BB266_376 Depth=1
	s_or_b64 exec, exec, s[14:15]
.LBB266_462:                            ;   in Loop: Header=BB266_376 Depth=1
	s_or_b64 exec, exec, s[12:13]
	v_lshrrev_b32_e32 v8, 16, v19
	v_cmp_ne_u16_sdwa s[0:1], v8, v9 src0_sel:BYTE_0 src1_sel:DWORD
	s_and_saveexec_b64 s[12:13], s[0:1]
	s_cbranch_execz .LBB266_468
; %bb.463:                              ;   in Loop: Header=BB266_376 Depth=1
	v_cmp_ne_u16_sdwa s[0:1], v8, s24 src0_sel:BYTE_0 src1_sel:DWORD
	v_mov_b32_e32 v22, 0x8000
	s_and_saveexec_b64 s[14:15], s[0:1]
	s_cbranch_execz .LBB266_467
; %bb.464:                              ;   in Loop: Header=BB266_376 Depth=1
	v_bfe_u32 v25, v19, 16, 7
	v_cmp_ne_u32_e64 s[0:1], s25, v25
	v_mov_b32_e32 v22, 0x7c01
	s_and_saveexec_b64 s[22:23], s[0:1]
	s_cbranch_execz .LBB266_466
; %bb.465:                              ;   in Loop: Header=BB266_376 Depth=1
	v_and_b32_e32 v22, 7, v8
	v_ffbh_u32_e32 v48, v22
	v_min_u32_e32 v51, 32, v48
	v_subrev_u32_e32 v48, 28, v51
	v_lshlrev_b64 v[48:49], v48, v[8:9]
	v_lshrrev_b32_e32 v50, 3, v25
	v_sub_u32_e32 v49, 29, v51
	v_cmp_gt_u32_e64 s[0:1], 8, v25
	v_lshlrev_b32_e32 v8, 8, v8
	v_and_b32_e32 v48, 7, v48
	v_cndmask_b32_e64 v25, v50, v49, s[0:1]
	v_lshl_add_u32 v25, v25, 10, v34
	v_and_b32_e32 v25, 0xfc00, v25
	v_cndmask_b32_e64 v22, v22, v48, s[0:1]
	v_and_or_b32 v8, v8, s29, v25
	v_lshl_or_b32 v22, v22, 7, v8
.LBB266_466:                            ;   in Loop: Header=BB266_376 Depth=1
	s_or_b64 exec, exec, s[22:23]
.LBB266_467:                            ;   in Loop: Header=BB266_376 Depth=1
	s_or_b64 exec, exec, s[14:15]
.LBB266_468:                            ;   in Loop: Header=BB266_376 Depth=1
	s_or_b64 exec, exec, s[12:13]
	v_cmp_lt_u64_e64 s[0:1], s[6:7], v[18:19]
	v_mov_b32_e32 v18, 0
	s_and_saveexec_b64 s[12:13], s[0:1]
	s_cbranch_execz .LBB266_474
; %bb.469:                              ;   in Loop: Header=BB266_376 Depth=1
	v_lshrrev_b32_e32 v8, 24, v19
	v_cmp_ne_u32_e64 s[0:1], s24, v8
	v_bfrev_b32_e32 v18, 1
	s_and_saveexec_b64 s[14:15], s[0:1]
	s_cbranch_execz .LBB266_473
; %bb.470:                              ;   in Loop: Header=BB266_376 Depth=1
	v_and_b32_e32 v19, 0x7f, v8
	v_cmp_ne_u32_e64 s[0:1], s25, v19
	v_mov_b32_e32 v18, 0x7c010000
	s_and_saveexec_b64 s[22:23], s[0:1]
	s_cbranch_execz .LBB266_472
; %bb.471:                              ;   in Loop: Header=BB266_376 Depth=1
	v_and_b32_e32 v18, 7, v8
	v_ffbh_u32_e32 v48, v18
	v_min_u32_e32 v50, 32, v48
	v_subrev_u32_e32 v48, 28, v50
	v_lshlrev_b64 v[48:49], v48, v[8:9]
	v_lshrrev_b32_e32 v25, 3, v19
	v_sub_u32_e32 v49, 29, v50
	v_cmp_gt_u32_e64 s[0:1], 8, v19
	v_lshlrev_b32_e32 v8, 8, v8
	s_nop 0
	v_cndmask_b32_e64 v19, v25, v49, s[0:1]
	v_lshl_add_u32 v19, v19, 10, v34
	v_and_b32_e32 v25, 7, v48
	v_and_or_b32 v8, v8, s29, v19
	v_cndmask_b32_e64 v18, v18, v25, s[0:1]
	v_lshlrev_b32_e32 v8, 16, v8
	v_lshl_or_b32 v18, v18, 23, v8
.LBB266_472:                            ;   in Loop: Header=BB266_376 Depth=1
	s_or_b64 exec, exec, s[22:23]
.LBB266_473:                            ;   in Loop: Header=BB266_376 Depth=1
	s_or_b64 exec, exec, s[14:15]
.LBB266_474:                            ;   in Loop: Header=BB266_376 Depth=1
	s_or_b64 exec, exec, s[12:13]
	v_cvt_f32_f16_sdwa v49, v1 dst_sel:DWORD dst_unused:UNUSED_PAD src0_sel:WORD_1
	v_cvt_f32_f16_sdwa v48, v21 dst_sel:DWORD dst_unused:UNUSED_PAD src0_sel:WORD_1
	v_or_b32_e32 v1, v1, v17
	v_or_b32_e32 v8, v21, v20
	v_or_b32_e32 v22, v18, v22
	s_waitcnt vmcnt(0)
	v_pk_mul_f32 v[20:21], v[16:17], v[48:49] op_sel_hi:[0,1]
	v_cvt_f32_f16_e32 v48, v8
	v_cvt_f32_f16_e32 v49, v1
	v_cvt_pk_f16_f32 v1, v20, v21
	v_and_b32_e32 v17, 0xffff0000, v1
	v_lshlrev_b32_e32 v8, 16, v1
	v_pk_mul_f32 v[20:21], v[16:17], v[48:49] op_sel_hi:[0,1]
	v_cvt_pk_f16_f32 v1, v20, v21
	v_or_b32_e32 v21, v24, v23
	v_cvt_f32_f16_e32 v22, v22
	v_cvt_f32_f16_e32 v23, v21
	v_cvt_f32_f16_sdwa v25, v24 dst_sel:DWORD dst_unused:UNUSED_PAD src0_sel:WORD_1
	v_cvt_f32_f16_sdwa v24, v18 dst_sel:DWORD dst_unused:UNUSED_PAD src0_sel:WORD_1
	v_lshrrev_b32_e32 v19, 16, v1
	v_pk_mul_f32 v[22:23], v[16:17], v[22:23] op_sel_hi:[0,1]
	v_cvt_pk_f16_f32 v48, v22, v23
	v_pk_mul_f32 v[22:23], v[16:17], v[24:25] op_sel_hi:[0,1]
	v_cvt_pk_f16_f32 v16, v22, v23
	v_and_b32_e32 v20, 0xffff, v1
	v_and_b32_e32 v21, 0xffff0000, v16
	v_lshlrev_b32_e32 v16, 16, v16
	v_lshrrev_b32_e32 v23, 16, v48
	v_and_b32_e32 v22, 0xffff, v48
	v_or_b32_e32 v1, v17, v19
	v_or_b32_e32 v18, v8, v20
	;; [unrolled: 1-line block ×4, first 2 shown]
	s_and_saveexec_b64 s[12:13], vcc
	s_cbranch_execz .LBB266_476
; %bb.475:                              ;   in Loop: Header=BB266_376 Depth=1
	v_cmp_gt_i32_e64 s[0:1], s27, v32
	s_nop 1
	v_cndmask_b32_e64 v1, 0, v19, s[0:1]
	v_cmp_gt_i32_e64 s[0:1], s33, v41
	s_nop 1
	v_cndmask_b32_e64 v18, 0, v20, s[0:1]
	v_cmp_gt_i32_e64 s[0:1], s27, v40
	s_nop 1
	v_cndmask_b32_e64 v17, 0, v17, s[0:1]
	v_cmp_gt_i32_e64 s[0:1], s33, v39
	v_or_b32_e32 v1, v17, v1
	s_nop 0
	v_cndmask_b32_e64 v8, 0, v8, s[0:1]
	v_cmp_gt_i32_e64 s[0:1], s27, v38
	v_or_b32_e32 v18, v8, v18
	s_nop 0
	v_cndmask_b32_e64 v8, 0, v23, s[0:1]
	v_cmp_gt_i32_e64 s[0:1], s33, v37
	s_nop 1
	v_cndmask_b32_e64 v17, 0, v22, s[0:1]
	v_cmp_gt_i32_e64 s[0:1], s27, v36
	;; [unrolled: 3-line block ×3, first 2 shown]
	v_or_b32_e32 v25, v19, v8
	s_nop 0
	v_cndmask_b32_e64 v16, 0, v16, s[0:1]
	v_or_b32_e32 v24, v16, v17
.LBB266_476:                            ;   in Loop: Header=BB266_376 Depth=1
	s_or_b64 exec, exec, s[12:13]
	;;#ASMSTART
	v_pk_mul_f16 v1, v45, v1;

	;;#ASMEND
	;;#ASMSTART
	v_pk_mul_f16 v8, v44, v18;

	;;#ASMEND
	;; [unrolled: 4-line block ×4, first 2 shown]
	s_nop 0
	;;#ASMSTART
	v_pk_add_f16 v1, v1, v8;

	;;#ASMEND
	s_nop 0
	;;#ASMSTART
	v_pk_add_f16 v1, v1, v16;

	;;#ASMEND
	;; [unrolled: 5-line block ×3, first 2 shown]
	v_mov_b32_e32 v17, 0
	v_lshrrev_b32_e32 v8, 16, v1
	v_and_b32_e32 v1, 0xffff, v1
	;;#ASMSTART
	v_cvt_f32_f16 v48, v1;
	;;#ASMEND
	;;#ASMSTART
	v_cvt_f32_f16 v49, v8;
	;;#ASMEND
	global_load_dwordx2 v[18:19], v[14:15], off offset:1024
	v_mov_b32_e32 v1, 0
	global_load_dword v16, v1, s[10:11]
	s_waitcnt vmcnt(1)
	v_cmp_ne_u16_sdwa s[0:1], v18, v9 src0_sel:BYTE_0 src1_sel:DWORD
	s_and_saveexec_b64 s[12:13], s[0:1]
	s_cbranch_execz .LBB266_482
; %bb.477:                              ;   in Loop: Header=BB266_376 Depth=1
	v_cmp_ne_u16_sdwa s[0:1], v18, s24 src0_sel:BYTE_0 src1_sel:DWORD
	v_mov_b32_e32 v17, 0x8000
	s_and_saveexec_b64 s[14:15], s[0:1]
	s_cbranch_execz .LBB266_481
; %bb.478:                              ;   in Loop: Header=BB266_376 Depth=1
	v_and_b32_e32 v8, 0x7f, v18
	v_cmp_ne_u32_e64 s[0:1], s25, v8
	v_mov_b32_e32 v17, 0x7c01
	s_and_saveexec_b64 s[22:23], s[0:1]
	s_cbranch_execz .LBB266_480
; %bb.479:                              ;   in Loop: Header=BB266_376 Depth=1
	v_and_b32_e32 v17, 7, v18
	v_ffbh_u32_e32 v20, v17
	v_min_u32_e32 v23, 32, v20
	v_subrev_u32_e32 v20, 28, v23
	v_lshlrev_b64 v[20:21], v20, v[18:19]
	v_lshrrev_b32_e32 v22, 3, v8
	v_sub_u32_e32 v21, 29, v23
	v_cmp_gt_u32_e64 s[0:1], 8, v8
	v_and_b32_e32 v20, 7, v20
	s_nop 0
	v_cndmask_b32_e64 v8, v22, v21, s[0:1]
	v_lshl_add_u32 v8, v8, 10, v34
	v_lshlrev_b32_e32 v21, 8, v18
	v_and_b32_e32 v8, 0xfc00, v8
	v_cndmask_b32_e64 v17, v17, v20, s[0:1]
	v_and_or_b32 v8, v21, s29, v8
	v_lshl_or_b32 v17, v17, 7, v8
.LBB266_480:                            ;   in Loop: Header=BB266_376 Depth=1
	s_or_b64 exec, exec, s[22:23]
.LBB266_481:                            ;   in Loop: Header=BB266_376 Depth=1
	s_or_b64 exec, exec, s[14:15]
.LBB266_482:                            ;   in Loop: Header=BB266_376 Depth=1
	s_or_b64 exec, exec, s[12:13]
	v_lshrrev_b16_e32 v8, 8, v18
	v_cmp_ne_u16_e64 s[0:1], 0, v8
	s_and_saveexec_b64 s[12:13], s[0:1]
	s_cbranch_execz .LBB266_488
; %bb.483:                              ;   in Loop: Header=BB266_376 Depth=1
	v_cmp_ne_u16_e64 s[0:1], s24, v8
	v_bfrev_b32_e32 v1, 1
	s_and_saveexec_b64 s[14:15], s[0:1]
	s_cbranch_execz .LBB266_487
; %bb.484:                              ;   in Loop: Header=BB266_376 Depth=1
	v_and_b32_e32 v20, 0x7f, v8
	v_cmp_ne_u32_e64 s[0:1], s25, v20
	v_mov_b32_e32 v1, 0x7c010000
	s_and_saveexec_b64 s[22:23], s[0:1]
	s_cbranch_execz .LBB266_486
; %bb.485:                              ;   in Loop: Header=BB266_376 Depth=1
	v_and_b32_e32 v1, 7, v8
	v_ffbh_u32_e32 v22, v1
	v_min_u32_e32 v24, 32, v22
	v_subrev_u32_e32 v22, 28, v24
	v_lshlrev_b64 v[22:23], v22, v[8:9]
	v_lshrrev_b32_e32 v21, 3, v20
	v_sub_u32_e32 v23, 29, v24
	v_cmp_gt_u32_e64 s[0:1], 8, v20
	v_lshlrev_b32_e32 v8, 8, v8
	s_nop 0
	v_cndmask_b32_e64 v20, v21, v23, s[0:1]
	v_lshl_add_u32 v20, v20, 10, v34
	v_and_b32_e32 v21, 7, v22
	v_and_or_b32 v8, v8, s29, v20
	v_cndmask_b32_e64 v1, v1, v21, s[0:1]
	v_lshlrev_b32_e32 v8, 16, v8
	v_lshl_or_b32 v1, v1, 23, v8
.LBB266_486:                            ;   in Loop: Header=BB266_376 Depth=1
	s_or_b64 exec, exec, s[22:23]
.LBB266_487:                            ;   in Loop: Header=BB266_376 Depth=1
	s_or_b64 exec, exec, s[14:15]
.LBB266_488:                            ;   in Loop: Header=BB266_376 Depth=1
	s_or_b64 exec, exec, s[12:13]
	v_lshrrev_b32_e32 v8, 16, v18
	v_cmp_ne_u16_sdwa s[0:1], v8, v9 src0_sel:BYTE_0 src1_sel:DWORD
	v_mov_b32_e32 v21, 0
	v_mov_b32_e32 v20, 0
	s_and_saveexec_b64 s[12:13], s[0:1]
	s_cbranch_execz .LBB266_494
; %bb.489:                              ;   in Loop: Header=BB266_376 Depth=1
	v_cmp_ne_u16_sdwa s[0:1], v8, s24 src0_sel:BYTE_0 src1_sel:DWORD
	v_mov_b32_e32 v20, 0x8000
	s_and_saveexec_b64 s[14:15], s[0:1]
	s_cbranch_execz .LBB266_493
; %bb.490:                              ;   in Loop: Header=BB266_376 Depth=1
	v_bfe_u32 v22, v18, 16, 7
	v_cmp_ne_u32_e64 s[0:1], s25, v22
	v_mov_b32_e32 v20, 0x7c01
	s_and_saveexec_b64 s[22:23], s[0:1]
	s_cbranch_execz .LBB266_492
; %bb.491:                              ;   in Loop: Header=BB266_376 Depth=1
	v_and_b32_e32 v20, 7, v8
	v_ffbh_u32_e32 v24, v20
	v_min_u32_e32 v50, 32, v24
	v_subrev_u32_e32 v24, 28, v50
	v_lshlrev_b64 v[24:25], v24, v[8:9]
	v_lshrrev_b32_e32 v23, 3, v22
	v_sub_u32_e32 v25, 29, v50
	v_cmp_gt_u32_e64 s[0:1], 8, v22
	v_lshlrev_b32_e32 v8, 8, v8
	s_nop 0
	v_cndmask_b32_e64 v22, v23, v25, s[0:1]
	v_lshl_add_u32 v22, v22, 10, v34
	v_and_b32_e32 v23, 7, v24
	v_and_b32_e32 v22, 0xfc00, v22
	v_cndmask_b32_e64 v20, v20, v23, s[0:1]
	v_and_or_b32 v8, v8, s29, v22
	v_lshl_or_b32 v20, v20, 7, v8
.LBB266_492:                            ;   in Loop: Header=BB266_376 Depth=1
	s_or_b64 exec, exec, s[22:23]
.LBB266_493:                            ;   in Loop: Header=BB266_376 Depth=1
	s_or_b64 exec, exec, s[14:15]
.LBB266_494:                            ;   in Loop: Header=BB266_376 Depth=1
	s_or_b64 exec, exec, s[12:13]
	v_cmp_lt_u32_e64 s[0:1], s7, v18
	s_and_saveexec_b64 s[12:13], s[0:1]
	s_cbranch_execz .LBB266_500
; %bb.495:                              ;   in Loop: Header=BB266_376 Depth=1
	v_lshrrev_b32_e32 v8, 24, v18
	v_cmp_ne_u32_e64 s[0:1], s24, v8
	v_bfrev_b32_e32 v21, 1
	s_and_saveexec_b64 s[14:15], s[0:1]
	s_cbranch_execz .LBB266_499
; %bb.496:                              ;   in Loop: Header=BB266_376 Depth=1
	v_and_b32_e32 v22, 0x7f, v8
	v_cmp_ne_u32_e64 s[0:1], s25, v22
	v_mov_b32_e32 v21, 0x7c010000
	s_and_saveexec_b64 s[22:23], s[0:1]
	s_cbranch_execz .LBB266_498
; %bb.497:                              ;   in Loop: Header=BB266_376 Depth=1
	v_and_b32_e32 v21, 7, v8
	v_ffbh_u32_e32 v24, v21
	v_min_u32_e32 v50, 32, v24
	v_subrev_u32_e32 v24, 28, v50
	v_lshlrev_b64 v[24:25], v24, v[8:9]
	v_lshrrev_b32_e32 v23, 3, v22
	v_sub_u32_e32 v25, 29, v50
	v_cmp_gt_u32_e64 s[0:1], 8, v22
	v_lshlrev_b32_e32 v8, 8, v8
	s_nop 0
	v_cndmask_b32_e64 v22, v23, v25, s[0:1]
	v_lshl_add_u32 v22, v22, 10, v34
	v_and_b32_e32 v23, 7, v24
	v_and_or_b32 v8, v8, s29, v22
	v_cndmask_b32_e64 v21, v21, v23, s[0:1]
	v_lshlrev_b32_e32 v8, 16, v8
	v_lshl_or_b32 v21, v21, 23, v8
.LBB266_498:                            ;   in Loop: Header=BB266_376 Depth=1
	s_or_b64 exec, exec, s[22:23]
.LBB266_499:                            ;   in Loop: Header=BB266_376 Depth=1
	s_or_b64 exec, exec, s[14:15]
.LBB266_500:                            ;   in Loop: Header=BB266_376 Depth=1
	s_or_b64 exec, exec, s[12:13]
	v_mov_b32_e32 v8, v19
	v_cmp_ne_u16_sdwa s[0:1], v19, v9 src0_sel:BYTE_0 src1_sel:DWORD
	v_mov_b32_e32 v22, 0
	v_mov_b32_e32 v23, 0
	s_and_saveexec_b64 s[12:13], s[0:1]
	s_cbranch_execz .LBB266_506
; %bb.501:                              ;   in Loop: Header=BB266_376 Depth=1
	v_cmp_ne_u16_sdwa s[0:1], v19, s24 src0_sel:BYTE_0 src1_sel:DWORD
	v_mov_b32_e32 v23, 0x8000
	s_and_saveexec_b64 s[14:15], s[0:1]
	s_cbranch_execz .LBB266_505
; %bb.502:                              ;   in Loop: Header=BB266_376 Depth=1
	v_and_b32_e32 v24, 0x7f, v19
	v_cmp_ne_u32_e64 s[0:1], s25, v24
	v_mov_b32_e32 v23, 0x7c01
	s_and_saveexec_b64 s[22:23], s[0:1]
	s_cbranch_execz .LBB266_504
; %bb.503:                              ;   in Loop: Header=BB266_376 Depth=1
	v_and_b32_e32 v23, 7, v19
	v_ffbh_u32_e32 v50, v23
	v_min_u32_e32 v52, 32, v50
	v_subrev_u32_e32 v50, 28, v52
	v_lshlrev_b64 v[50:51], v50, v[8:9]
	v_lshrrev_b32_e32 v25, 3, v24
	v_sub_u32_e32 v51, 29, v52
	v_cmp_gt_u32_e64 s[0:1], 8, v24
	v_and_b32_e32 v50, 7, v50
	s_nop 0
	v_cndmask_b32_e64 v24, v25, v51, s[0:1]
	v_lshl_add_u32 v24, v24, 10, v34
	v_lshlrev_b32_e32 v25, 8, v19
	v_and_b32_e32 v24, 0xfc00, v24
	v_cndmask_b32_e64 v23, v23, v50, s[0:1]
	v_and_or_b32 v24, v25, s29, v24
	v_lshl_or_b32 v23, v23, 7, v24
.LBB266_504:                            ;   in Loop: Header=BB266_376 Depth=1
	s_or_b64 exec, exec, s[22:23]
.LBB266_505:                            ;   in Loop: Header=BB266_376 Depth=1
	s_or_b64 exec, exec, s[14:15]
.LBB266_506:                            ;   in Loop: Header=BB266_376 Depth=1
	s_or_b64 exec, exec, s[12:13]
	v_lshrrev_b16_e32 v8, 8, v8
	v_cmp_ne_u16_e64 s[0:1], 0, v8
	v_mov_b32_e32 v24, 0
	s_and_saveexec_b64 s[12:13], s[0:1]
	s_cbranch_execz .LBB266_512
; %bb.507:                              ;   in Loop: Header=BB266_376 Depth=1
	v_cmp_ne_u16_e64 s[0:1], s24, v8
	v_bfrev_b32_e32 v24, 1
	s_and_saveexec_b64 s[14:15], s[0:1]
	s_cbranch_execz .LBB266_511
; %bb.508:                              ;   in Loop: Header=BB266_376 Depth=1
	v_and_b32_e32 v25, 0x7f, v8
	v_cmp_ne_u32_e64 s[0:1], s25, v25
	v_mov_b32_e32 v24, 0x7c010000
	s_and_saveexec_b64 s[22:23], s[0:1]
	s_cbranch_execz .LBB266_510
; %bb.509:                              ;   in Loop: Header=BB266_376 Depth=1
	v_and_b32_e32 v24, 7, v8
	v_ffbh_u32_e32 v50, v24
	v_min_u32_e32 v53, 32, v50
	v_subrev_u32_e32 v50, 28, v53
	v_lshlrev_b64 v[50:51], v50, v[8:9]
	v_lshrrev_b32_e32 v52, 3, v25
	v_sub_u32_e32 v51, 29, v53
	v_cmp_gt_u32_e64 s[0:1], 8, v25
	v_lshlrev_b32_e32 v8, 8, v8
	v_and_b32_e32 v50, 7, v50
	v_cndmask_b32_e64 v25, v52, v51, s[0:1]
	v_lshl_add_u32 v25, v25, 10, v34
	v_and_or_b32 v8, v8, s29, v25
	v_cndmask_b32_e64 v24, v24, v50, s[0:1]
	v_lshlrev_b32_e32 v8, 16, v8
	v_lshl_or_b32 v24, v24, 23, v8
.LBB266_510:                            ;   in Loop: Header=BB266_376 Depth=1
	s_or_b64 exec, exec, s[22:23]
.LBB266_511:                            ;   in Loop: Header=BB266_376 Depth=1
	s_or_b64 exec, exec, s[14:15]
.LBB266_512:                            ;   in Loop: Header=BB266_376 Depth=1
	s_or_b64 exec, exec, s[12:13]
	v_lshrrev_b32_e32 v8, 16, v19
	v_cmp_ne_u16_sdwa s[0:1], v8, v9 src0_sel:BYTE_0 src1_sel:DWORD
	s_and_saveexec_b64 s[12:13], s[0:1]
	s_cbranch_execz .LBB266_518
; %bb.513:                              ;   in Loop: Header=BB266_376 Depth=1
	v_cmp_ne_u16_sdwa s[0:1], v8, s24 src0_sel:BYTE_0 src1_sel:DWORD
	v_mov_b32_e32 v22, 0x8000
	s_and_saveexec_b64 s[14:15], s[0:1]
	s_cbranch_execz .LBB266_517
; %bb.514:                              ;   in Loop: Header=BB266_376 Depth=1
	v_bfe_u32 v25, v19, 16, 7
	v_cmp_ne_u32_e64 s[0:1], s25, v25
	v_mov_b32_e32 v22, 0x7c01
	s_and_saveexec_b64 s[22:23], s[0:1]
	s_cbranch_execz .LBB266_516
; %bb.515:                              ;   in Loop: Header=BB266_376 Depth=1
	v_and_b32_e32 v22, 7, v8
	v_ffbh_u32_e32 v50, v22
	v_min_u32_e32 v53, 32, v50
	v_subrev_u32_e32 v50, 28, v53
	v_lshlrev_b64 v[50:51], v50, v[8:9]
	v_lshrrev_b32_e32 v52, 3, v25
	v_sub_u32_e32 v51, 29, v53
	v_cmp_gt_u32_e64 s[0:1], 8, v25
	v_lshlrev_b32_e32 v8, 8, v8
	v_and_b32_e32 v50, 7, v50
	v_cndmask_b32_e64 v25, v52, v51, s[0:1]
	v_lshl_add_u32 v25, v25, 10, v34
	v_and_b32_e32 v25, 0xfc00, v25
	v_cndmask_b32_e64 v22, v22, v50, s[0:1]
	v_and_or_b32 v8, v8, s29, v25
	v_lshl_or_b32 v22, v22, 7, v8
.LBB266_516:                            ;   in Loop: Header=BB266_376 Depth=1
	s_or_b64 exec, exec, s[22:23]
.LBB266_517:                            ;   in Loop: Header=BB266_376 Depth=1
	s_or_b64 exec, exec, s[14:15]
.LBB266_518:                            ;   in Loop: Header=BB266_376 Depth=1
	s_or_b64 exec, exec, s[12:13]
	v_cmp_lt_u64_e64 s[0:1], s[6:7], v[18:19]
	v_mov_b32_e32 v18, 0
	s_and_saveexec_b64 s[12:13], s[0:1]
	s_cbranch_execz .LBB266_524
; %bb.519:                              ;   in Loop: Header=BB266_376 Depth=1
	v_lshrrev_b32_e32 v8, 24, v19
	v_cmp_ne_u32_e64 s[0:1], s24, v8
	v_bfrev_b32_e32 v18, 1
	s_and_saveexec_b64 s[14:15], s[0:1]
	s_cbranch_execz .LBB266_523
; %bb.520:                              ;   in Loop: Header=BB266_376 Depth=1
	v_and_b32_e32 v19, 0x7f, v8
	v_cmp_ne_u32_e64 s[0:1], s25, v19
	v_mov_b32_e32 v18, 0x7c010000
	s_and_saveexec_b64 s[22:23], s[0:1]
	s_cbranch_execz .LBB266_522
; %bb.521:                              ;   in Loop: Header=BB266_376 Depth=1
	v_and_b32_e32 v18, 7, v8
	v_ffbh_u32_e32 v50, v18
	v_min_u32_e32 v52, 32, v50
	v_subrev_u32_e32 v50, 28, v52
	v_lshlrev_b64 v[50:51], v50, v[8:9]
	v_lshrrev_b32_e32 v25, 3, v19
	v_sub_u32_e32 v51, 29, v52
	v_cmp_gt_u32_e64 s[0:1], 8, v19
	v_lshlrev_b32_e32 v8, 8, v8
	s_nop 0
	v_cndmask_b32_e64 v19, v25, v51, s[0:1]
	v_lshl_add_u32 v19, v19, 10, v34
	v_and_b32_e32 v25, 7, v50
	v_and_or_b32 v8, v8, s29, v19
	v_cndmask_b32_e64 v18, v18, v25, s[0:1]
	v_lshlrev_b32_e32 v8, 16, v8
	v_lshl_or_b32 v18, v18, 23, v8
.LBB266_522:                            ;   in Loop: Header=BB266_376 Depth=1
	s_or_b64 exec, exec, s[22:23]
.LBB266_523:                            ;   in Loop: Header=BB266_376 Depth=1
	s_or_b64 exec, exec, s[14:15]
.LBB266_524:                            ;   in Loop: Header=BB266_376 Depth=1
	s_or_b64 exec, exec, s[12:13]
	v_cvt_f32_f16_sdwa v51, v1 dst_sel:DWORD dst_unused:UNUSED_PAD src0_sel:WORD_1
	v_cvt_f32_f16_sdwa v50, v21 dst_sel:DWORD dst_unused:UNUSED_PAD src0_sel:WORD_1
	v_or_b32_e32 v1, v1, v17
	v_or_b32_e32 v8, v21, v20
	;; [unrolled: 1-line block ×3, first 2 shown]
	s_waitcnt vmcnt(0)
	v_pk_mul_f32 v[20:21], v[16:17], v[50:51] op_sel_hi:[0,1]
	v_cvt_f32_f16_e32 v50, v8
	v_cvt_f32_f16_e32 v51, v1
	v_cvt_pk_f16_f32 v1, v20, v21
	v_and_b32_e32 v17, 0xffff0000, v1
	v_lshlrev_b32_e32 v8, 16, v1
	v_pk_mul_f32 v[20:21], v[16:17], v[50:51] op_sel_hi:[0,1]
	v_cvt_pk_f16_f32 v1, v20, v21
	v_or_b32_e32 v21, v24, v23
	v_cvt_f32_f16_e32 v22, v22
	v_cvt_f32_f16_e32 v23, v21
	v_cvt_f32_f16_sdwa v25, v24 dst_sel:DWORD dst_unused:UNUSED_PAD src0_sel:WORD_1
	v_cvt_f32_f16_sdwa v24, v18 dst_sel:DWORD dst_unused:UNUSED_PAD src0_sel:WORD_1
	v_lshrrev_b32_e32 v19, 16, v1
	v_pk_mul_f32 v[22:23], v[16:17], v[22:23] op_sel_hi:[0,1]
	v_cvt_pk_f16_f32 v50, v22, v23
	v_pk_mul_f32 v[22:23], v[16:17], v[24:25] op_sel_hi:[0,1]
	v_cvt_pk_f16_f32 v16, v22, v23
	v_and_b32_e32 v20, 0xffff, v1
	v_and_b32_e32 v21, 0xffff0000, v16
	v_lshlrev_b32_e32 v16, 16, v16
	v_lshrrev_b32_e32 v23, 16, v50
	v_and_b32_e32 v22, 0xffff, v50
	v_or_b32_e32 v1, v17, v19
	v_or_b32_e32 v18, v8, v20
	;; [unrolled: 1-line block ×4, first 2 shown]
	s_and_saveexec_b64 s[12:13], vcc
	s_cbranch_execz .LBB266_526
; %bb.525:                              ;   in Loop: Header=BB266_376 Depth=1
	v_cmp_gt_i32_e64 s[0:1], s27, v32
	s_nop 1
	v_cndmask_b32_e64 v1, 0, v19, s[0:1]
	v_cmp_gt_i32_e64 s[0:1], s33, v41
	s_nop 1
	v_cndmask_b32_e64 v18, 0, v20, s[0:1]
	;; [unrolled: 3-line block ×3, first 2 shown]
	v_cmp_gt_i32_e64 s[0:1], s33, v39
	v_or_b32_e32 v1, v17, v1
	s_nop 0
	v_cndmask_b32_e64 v8, 0, v8, s[0:1]
	v_cmp_gt_i32_e64 s[0:1], s27, v38
	v_or_b32_e32 v18, v8, v18
	s_nop 0
	v_cndmask_b32_e64 v8, 0, v23, s[0:1]
	v_cmp_gt_i32_e64 s[0:1], s33, v37
	s_nop 1
	v_cndmask_b32_e64 v17, 0, v22, s[0:1]
	v_cmp_gt_i32_e64 s[0:1], s27, v36
	;; [unrolled: 3-line block ×3, first 2 shown]
	v_or_b32_e32 v25, v19, v8
	s_nop 0
	v_cndmask_b32_e64 v16, 0, v16, s[0:1]
	v_or_b32_e32 v24, v16, v17
.LBB266_526:                            ;   in Loop: Header=BB266_376 Depth=1
	s_or_b64 exec, exec, s[12:13]
	;;#ASMSTART
	v_pk_mul_f16 v1, v45, v1;

	;;#ASMEND
	;;#ASMSTART
	v_pk_mul_f16 v8, v44, v18;

	;;#ASMEND
	;; [unrolled: 4-line block ×4, first 2 shown]
	s_nop 0
	;;#ASMSTART
	v_pk_add_f16 v1, v1, v8;

	;;#ASMEND
	s_nop 0
	;;#ASMSTART
	v_pk_add_f16 v1, v1, v16;

	;;#ASMEND
	;; [unrolled: 5-line block ×3, first 2 shown]
	v_mov_b32_e32 v17, 0
	v_lshrrev_b32_e32 v8, 16, v1
	v_and_b32_e32 v1, 0xffff, v1
	;;#ASMSTART
	v_cvt_f32_f16 v50, v1;
	;;#ASMEND
	;;#ASMSTART
	v_cvt_f32_f16 v51, v8;
	;;#ASMEND
	global_load_dwordx2 v[18:19], v[14:15], off offset:1536
	v_mov_b32_e32 v1, 0
	global_load_dword v16, v1, s[10:11]
	s_waitcnt vmcnt(1)
	v_cmp_ne_u16_sdwa s[0:1], v18, v9 src0_sel:BYTE_0 src1_sel:DWORD
	s_and_saveexec_b64 s[12:13], s[0:1]
	s_cbranch_execz .LBB266_532
; %bb.527:                              ;   in Loop: Header=BB266_376 Depth=1
	v_cmp_ne_u16_sdwa s[0:1], v18, s24 src0_sel:BYTE_0 src1_sel:DWORD
	v_mov_b32_e32 v17, 0x8000
	s_and_saveexec_b64 s[14:15], s[0:1]
	s_cbranch_execz .LBB266_531
; %bb.528:                              ;   in Loop: Header=BB266_376 Depth=1
	v_and_b32_e32 v8, 0x7f, v18
	v_cmp_ne_u32_e64 s[0:1], s25, v8
	v_mov_b32_e32 v17, 0x7c01
	s_and_saveexec_b64 s[22:23], s[0:1]
	s_cbranch_execz .LBB266_530
; %bb.529:                              ;   in Loop: Header=BB266_376 Depth=1
	v_and_b32_e32 v17, 7, v18
	v_ffbh_u32_e32 v20, v17
	v_min_u32_e32 v23, 32, v20
	v_subrev_u32_e32 v20, 28, v23
	v_lshlrev_b64 v[20:21], v20, v[18:19]
	v_lshrrev_b32_e32 v22, 3, v8
	v_sub_u32_e32 v21, 29, v23
	v_cmp_gt_u32_e64 s[0:1], 8, v8
	v_and_b32_e32 v20, 7, v20
	s_nop 0
	v_cndmask_b32_e64 v8, v22, v21, s[0:1]
	v_lshl_add_u32 v8, v8, 10, v34
	v_lshlrev_b32_e32 v21, 8, v18
	v_and_b32_e32 v8, 0xfc00, v8
	v_cndmask_b32_e64 v17, v17, v20, s[0:1]
	v_and_or_b32 v8, v21, s29, v8
	v_lshl_or_b32 v17, v17, 7, v8
.LBB266_530:                            ;   in Loop: Header=BB266_376 Depth=1
	s_or_b64 exec, exec, s[22:23]
.LBB266_531:                            ;   in Loop: Header=BB266_376 Depth=1
	s_or_b64 exec, exec, s[14:15]
.LBB266_532:                            ;   in Loop: Header=BB266_376 Depth=1
	s_or_b64 exec, exec, s[12:13]
	v_lshrrev_b16_e32 v8, 8, v18
	v_cmp_ne_u16_e64 s[0:1], 0, v8
	s_and_saveexec_b64 s[12:13], s[0:1]
	s_cbranch_execz .LBB266_538
; %bb.533:                              ;   in Loop: Header=BB266_376 Depth=1
	v_cmp_ne_u16_e64 s[0:1], s24, v8
	v_bfrev_b32_e32 v1, 1
	s_and_saveexec_b64 s[14:15], s[0:1]
	s_cbranch_execz .LBB266_537
; %bb.534:                              ;   in Loop: Header=BB266_376 Depth=1
	v_and_b32_e32 v20, 0x7f, v8
	v_cmp_ne_u32_e64 s[0:1], s25, v20
	v_mov_b32_e32 v1, 0x7c010000
	s_and_saveexec_b64 s[22:23], s[0:1]
	s_cbranch_execz .LBB266_536
; %bb.535:                              ;   in Loop: Header=BB266_376 Depth=1
	v_and_b32_e32 v1, 7, v8
	v_ffbh_u32_e32 v22, v1
	v_min_u32_e32 v24, 32, v22
	v_subrev_u32_e32 v22, 28, v24
	v_lshlrev_b64 v[22:23], v22, v[8:9]
	v_lshrrev_b32_e32 v21, 3, v20
	v_sub_u32_e32 v23, 29, v24
	v_cmp_gt_u32_e64 s[0:1], 8, v20
	v_lshlrev_b32_e32 v8, 8, v8
	s_nop 0
	v_cndmask_b32_e64 v20, v21, v23, s[0:1]
	v_lshl_add_u32 v20, v20, 10, v34
	v_and_b32_e32 v21, 7, v22
	v_and_or_b32 v8, v8, s29, v20
	v_cndmask_b32_e64 v1, v1, v21, s[0:1]
	v_lshlrev_b32_e32 v8, 16, v8
	v_lshl_or_b32 v1, v1, 23, v8
.LBB266_536:                            ;   in Loop: Header=BB266_376 Depth=1
	s_or_b64 exec, exec, s[22:23]
.LBB266_537:                            ;   in Loop: Header=BB266_376 Depth=1
	s_or_b64 exec, exec, s[14:15]
.LBB266_538:                            ;   in Loop: Header=BB266_376 Depth=1
	s_or_b64 exec, exec, s[12:13]
	v_lshrrev_b32_e32 v8, 16, v18
	v_cmp_ne_u16_sdwa s[0:1], v8, v9 src0_sel:BYTE_0 src1_sel:DWORD
	v_mov_b32_e32 v21, 0
	v_mov_b32_e32 v20, 0
	s_and_saveexec_b64 s[12:13], s[0:1]
	s_cbranch_execz .LBB266_544
; %bb.539:                              ;   in Loop: Header=BB266_376 Depth=1
	v_cmp_ne_u16_sdwa s[0:1], v8, s24 src0_sel:BYTE_0 src1_sel:DWORD
	v_mov_b32_e32 v20, 0x8000
	s_and_saveexec_b64 s[14:15], s[0:1]
	s_cbranch_execz .LBB266_543
; %bb.540:                              ;   in Loop: Header=BB266_376 Depth=1
	v_bfe_u32 v22, v18, 16, 7
	v_cmp_ne_u32_e64 s[0:1], s25, v22
	v_mov_b32_e32 v20, 0x7c01
	s_and_saveexec_b64 s[22:23], s[0:1]
	s_cbranch_execz .LBB266_542
; %bb.541:                              ;   in Loop: Header=BB266_376 Depth=1
	v_and_b32_e32 v20, 7, v8
	v_ffbh_u32_e32 v24, v20
	v_min_u32_e32 v52, 32, v24
	v_subrev_u32_e32 v24, 28, v52
	v_lshlrev_b64 v[24:25], v24, v[8:9]
	v_lshrrev_b32_e32 v23, 3, v22
	v_sub_u32_e32 v25, 29, v52
	v_cmp_gt_u32_e64 s[0:1], 8, v22
	v_lshlrev_b32_e32 v8, 8, v8
	s_nop 0
	v_cndmask_b32_e64 v22, v23, v25, s[0:1]
	v_lshl_add_u32 v22, v22, 10, v34
	v_and_b32_e32 v23, 7, v24
	v_and_b32_e32 v22, 0xfc00, v22
	v_cndmask_b32_e64 v20, v20, v23, s[0:1]
	v_and_or_b32 v8, v8, s29, v22
	v_lshl_or_b32 v20, v20, 7, v8
.LBB266_542:                            ;   in Loop: Header=BB266_376 Depth=1
	s_or_b64 exec, exec, s[22:23]
.LBB266_543:                            ;   in Loop: Header=BB266_376 Depth=1
	s_or_b64 exec, exec, s[14:15]
.LBB266_544:                            ;   in Loop: Header=BB266_376 Depth=1
	s_or_b64 exec, exec, s[12:13]
	v_cmp_lt_u32_e64 s[0:1], s7, v18
	s_and_saveexec_b64 s[12:13], s[0:1]
	s_cbranch_execz .LBB266_550
; %bb.545:                              ;   in Loop: Header=BB266_376 Depth=1
	v_lshrrev_b32_e32 v8, 24, v18
	v_cmp_ne_u32_e64 s[0:1], s24, v8
	v_bfrev_b32_e32 v21, 1
	s_and_saveexec_b64 s[14:15], s[0:1]
	s_cbranch_execz .LBB266_549
; %bb.546:                              ;   in Loop: Header=BB266_376 Depth=1
	v_and_b32_e32 v22, 0x7f, v8
	v_cmp_ne_u32_e64 s[0:1], s25, v22
	v_mov_b32_e32 v21, 0x7c010000
	s_and_saveexec_b64 s[22:23], s[0:1]
	s_cbranch_execz .LBB266_548
; %bb.547:                              ;   in Loop: Header=BB266_376 Depth=1
	v_and_b32_e32 v21, 7, v8
	v_ffbh_u32_e32 v24, v21
	v_min_u32_e32 v52, 32, v24
	v_subrev_u32_e32 v24, 28, v52
	v_lshlrev_b64 v[24:25], v24, v[8:9]
	v_lshrrev_b32_e32 v23, 3, v22
	v_sub_u32_e32 v25, 29, v52
	v_cmp_gt_u32_e64 s[0:1], 8, v22
	v_lshlrev_b32_e32 v8, 8, v8
	s_nop 0
	v_cndmask_b32_e64 v22, v23, v25, s[0:1]
	v_lshl_add_u32 v22, v22, 10, v34
	v_and_b32_e32 v23, 7, v24
	v_and_or_b32 v8, v8, s29, v22
	v_cndmask_b32_e64 v21, v21, v23, s[0:1]
	v_lshlrev_b32_e32 v8, 16, v8
	v_lshl_or_b32 v21, v21, 23, v8
.LBB266_548:                            ;   in Loop: Header=BB266_376 Depth=1
	s_or_b64 exec, exec, s[22:23]
.LBB266_549:                            ;   in Loop: Header=BB266_376 Depth=1
	s_or_b64 exec, exec, s[14:15]
.LBB266_550:                            ;   in Loop: Header=BB266_376 Depth=1
	s_or_b64 exec, exec, s[12:13]
	v_mov_b32_e32 v8, v19
	v_cmp_ne_u16_sdwa s[0:1], v19, v9 src0_sel:BYTE_0 src1_sel:DWORD
	v_mov_b32_e32 v22, 0
	v_mov_b32_e32 v23, 0
	s_and_saveexec_b64 s[12:13], s[0:1]
	s_cbranch_execz .LBB266_556
; %bb.551:                              ;   in Loop: Header=BB266_376 Depth=1
	v_cmp_ne_u16_sdwa s[0:1], v19, s24 src0_sel:BYTE_0 src1_sel:DWORD
	v_mov_b32_e32 v23, 0x8000
	s_and_saveexec_b64 s[14:15], s[0:1]
	s_cbranch_execz .LBB266_555
; %bb.552:                              ;   in Loop: Header=BB266_376 Depth=1
	v_and_b32_e32 v24, 0x7f, v19
	v_cmp_ne_u32_e64 s[0:1], s25, v24
	v_mov_b32_e32 v23, 0x7c01
	s_and_saveexec_b64 s[22:23], s[0:1]
	s_cbranch_execz .LBB266_554
; %bb.553:                              ;   in Loop: Header=BB266_376 Depth=1
	v_and_b32_e32 v23, 7, v19
	v_ffbh_u32_e32 v52, v23
	v_min_u32_e32 v54, 32, v52
	v_subrev_u32_e32 v52, 28, v54
	v_lshlrev_b64 v[52:53], v52, v[8:9]
	v_lshrrev_b32_e32 v25, 3, v24
	v_sub_u32_e32 v53, 29, v54
	v_cmp_gt_u32_e64 s[0:1], 8, v24
	v_and_b32_e32 v52, 7, v52
	s_nop 0
	v_cndmask_b32_e64 v24, v25, v53, s[0:1]
	v_lshl_add_u32 v24, v24, 10, v34
	v_lshlrev_b32_e32 v25, 8, v19
	v_and_b32_e32 v24, 0xfc00, v24
	v_cndmask_b32_e64 v23, v23, v52, s[0:1]
	v_and_or_b32 v24, v25, s29, v24
	v_lshl_or_b32 v23, v23, 7, v24
.LBB266_554:                            ;   in Loop: Header=BB266_376 Depth=1
	s_or_b64 exec, exec, s[22:23]
.LBB266_555:                            ;   in Loop: Header=BB266_376 Depth=1
	s_or_b64 exec, exec, s[14:15]
.LBB266_556:                            ;   in Loop: Header=BB266_376 Depth=1
	s_or_b64 exec, exec, s[12:13]
	v_lshrrev_b16_e32 v8, 8, v8
	v_cmp_ne_u16_e64 s[0:1], 0, v8
	v_mov_b32_e32 v24, 0
	s_and_saveexec_b64 s[12:13], s[0:1]
	s_cbranch_execz .LBB266_562
; %bb.557:                              ;   in Loop: Header=BB266_376 Depth=1
	v_cmp_ne_u16_e64 s[0:1], s24, v8
	v_bfrev_b32_e32 v24, 1
	s_and_saveexec_b64 s[14:15], s[0:1]
	s_cbranch_execz .LBB266_561
; %bb.558:                              ;   in Loop: Header=BB266_376 Depth=1
	v_and_b32_e32 v25, 0x7f, v8
	v_cmp_ne_u32_e64 s[0:1], s25, v25
	v_mov_b32_e32 v24, 0x7c010000
	s_and_saveexec_b64 s[22:23], s[0:1]
	s_cbranch_execz .LBB266_560
; %bb.559:                              ;   in Loop: Header=BB266_376 Depth=1
	v_and_b32_e32 v24, 7, v8
	v_ffbh_u32_e32 v52, v24
	v_min_u32_e32 v55, 32, v52
	v_subrev_u32_e32 v52, 28, v55
	v_lshlrev_b64 v[52:53], v52, v[8:9]
	v_lshrrev_b32_e32 v54, 3, v25
	v_sub_u32_e32 v53, 29, v55
	v_cmp_gt_u32_e64 s[0:1], 8, v25
	v_lshlrev_b32_e32 v8, 8, v8
	v_and_b32_e32 v52, 7, v52
	v_cndmask_b32_e64 v25, v54, v53, s[0:1]
	v_lshl_add_u32 v25, v25, 10, v34
	v_and_or_b32 v8, v8, s29, v25
	v_cndmask_b32_e64 v24, v24, v52, s[0:1]
	v_lshlrev_b32_e32 v8, 16, v8
	v_lshl_or_b32 v24, v24, 23, v8
.LBB266_560:                            ;   in Loop: Header=BB266_376 Depth=1
	s_or_b64 exec, exec, s[22:23]
.LBB266_561:                            ;   in Loop: Header=BB266_376 Depth=1
	s_or_b64 exec, exec, s[14:15]
.LBB266_562:                            ;   in Loop: Header=BB266_376 Depth=1
	s_or_b64 exec, exec, s[12:13]
	v_lshrrev_b32_e32 v8, 16, v19
	v_cmp_ne_u16_sdwa s[0:1], v8, v9 src0_sel:BYTE_0 src1_sel:DWORD
	s_and_saveexec_b64 s[12:13], s[0:1]
	s_cbranch_execz .LBB266_568
; %bb.563:                              ;   in Loop: Header=BB266_376 Depth=1
	v_cmp_ne_u16_sdwa s[0:1], v8, s24 src0_sel:BYTE_0 src1_sel:DWORD
	v_mov_b32_e32 v22, 0x8000
	s_and_saveexec_b64 s[14:15], s[0:1]
	s_cbranch_execz .LBB266_567
; %bb.564:                              ;   in Loop: Header=BB266_376 Depth=1
	v_bfe_u32 v25, v19, 16, 7
	v_cmp_ne_u32_e64 s[0:1], s25, v25
	v_mov_b32_e32 v22, 0x7c01
	s_and_saveexec_b64 s[22:23], s[0:1]
	s_cbranch_execz .LBB266_566
; %bb.565:                              ;   in Loop: Header=BB266_376 Depth=1
	v_and_b32_e32 v22, 7, v8
	v_ffbh_u32_e32 v52, v22
	v_min_u32_e32 v55, 32, v52
	v_subrev_u32_e32 v52, 28, v55
	v_lshlrev_b64 v[52:53], v52, v[8:9]
	v_lshrrev_b32_e32 v54, 3, v25
	v_sub_u32_e32 v53, 29, v55
	v_cmp_gt_u32_e64 s[0:1], 8, v25
	v_lshlrev_b32_e32 v8, 8, v8
	v_and_b32_e32 v52, 7, v52
	v_cndmask_b32_e64 v25, v54, v53, s[0:1]
	v_lshl_add_u32 v25, v25, 10, v34
	v_and_b32_e32 v25, 0xfc00, v25
	v_cndmask_b32_e64 v22, v22, v52, s[0:1]
	v_and_or_b32 v8, v8, s29, v25
	v_lshl_or_b32 v22, v22, 7, v8
.LBB266_566:                            ;   in Loop: Header=BB266_376 Depth=1
	s_or_b64 exec, exec, s[22:23]
.LBB266_567:                            ;   in Loop: Header=BB266_376 Depth=1
	s_or_b64 exec, exec, s[14:15]
.LBB266_568:                            ;   in Loop: Header=BB266_376 Depth=1
	s_or_b64 exec, exec, s[12:13]
	v_cmp_lt_u64_e64 s[0:1], s[6:7], v[18:19]
	v_mov_b32_e32 v18, 0
	s_and_saveexec_b64 s[12:13], s[0:1]
	s_cbranch_execz .LBB266_574
; %bb.569:                              ;   in Loop: Header=BB266_376 Depth=1
	v_lshrrev_b32_e32 v8, 24, v19
	v_cmp_ne_u32_e64 s[0:1], s24, v8
	v_bfrev_b32_e32 v18, 1
	s_and_saveexec_b64 s[14:15], s[0:1]
	s_cbranch_execz .LBB266_573
; %bb.570:                              ;   in Loop: Header=BB266_376 Depth=1
	v_and_b32_e32 v19, 0x7f, v8
	v_cmp_ne_u32_e64 s[0:1], s25, v19
	v_mov_b32_e32 v18, 0x7c010000
	s_and_saveexec_b64 s[22:23], s[0:1]
	s_cbranch_execz .LBB266_572
; %bb.571:                              ;   in Loop: Header=BB266_376 Depth=1
	v_and_b32_e32 v18, 7, v8
	v_ffbh_u32_e32 v52, v18
	v_min_u32_e32 v54, 32, v52
	v_subrev_u32_e32 v52, 28, v54
	v_lshlrev_b64 v[52:53], v52, v[8:9]
	v_lshrrev_b32_e32 v25, 3, v19
	v_sub_u32_e32 v53, 29, v54
	v_cmp_gt_u32_e64 s[0:1], 8, v19
	v_lshlrev_b32_e32 v8, 8, v8
	s_nop 0
	v_cndmask_b32_e64 v19, v25, v53, s[0:1]
	v_lshl_add_u32 v19, v19, 10, v34
	v_and_b32_e32 v25, 7, v52
	v_and_or_b32 v8, v8, s29, v19
	v_cndmask_b32_e64 v18, v18, v25, s[0:1]
	v_lshlrev_b32_e32 v8, 16, v8
	v_lshl_or_b32 v18, v18, 23, v8
.LBB266_572:                            ;   in Loop: Header=BB266_376 Depth=1
	s_or_b64 exec, exec, s[22:23]
.LBB266_573:                            ;   in Loop: Header=BB266_376 Depth=1
	s_or_b64 exec, exec, s[14:15]
.LBB266_574:                            ;   in Loop: Header=BB266_376 Depth=1
	s_or_b64 exec, exec, s[12:13]
	v_cvt_f32_f16_sdwa v53, v1 dst_sel:DWORD dst_unused:UNUSED_PAD src0_sel:WORD_1
	v_cvt_f32_f16_sdwa v52, v21 dst_sel:DWORD dst_unused:UNUSED_PAD src0_sel:WORD_1
	v_or_b32_e32 v1, v1, v17
	v_or_b32_e32 v8, v21, v20
	;; [unrolled: 1-line block ×3, first 2 shown]
	s_waitcnt vmcnt(0)
	v_pk_mul_f32 v[20:21], v[16:17], v[52:53] op_sel_hi:[0,1]
	v_cvt_f32_f16_e32 v52, v8
	v_cvt_f32_f16_e32 v53, v1
	v_cvt_pk_f16_f32 v1, v20, v21
	v_and_b32_e32 v17, 0xffff0000, v1
	v_lshlrev_b32_e32 v8, 16, v1
	v_pk_mul_f32 v[20:21], v[16:17], v[52:53] op_sel_hi:[0,1]
	v_cvt_pk_f16_f32 v1, v20, v21
	v_or_b32_e32 v21, v24, v23
	v_cvt_f32_f16_e32 v22, v22
	v_cvt_f32_f16_e32 v23, v21
	v_cvt_f32_f16_sdwa v25, v24 dst_sel:DWORD dst_unused:UNUSED_PAD src0_sel:WORD_1
	v_cvt_f32_f16_sdwa v24, v18 dst_sel:DWORD dst_unused:UNUSED_PAD src0_sel:WORD_1
	v_lshrrev_b32_e32 v19, 16, v1
	v_pk_mul_f32 v[22:23], v[16:17], v[22:23] op_sel_hi:[0,1]
	v_cvt_pk_f16_f32 v52, v22, v23
	v_pk_mul_f32 v[22:23], v[16:17], v[24:25] op_sel_hi:[0,1]
	v_cvt_pk_f16_f32 v16, v22, v23
	v_and_b32_e32 v20, 0xffff, v1
	v_and_b32_e32 v21, 0xffff0000, v16
	v_lshlrev_b32_e32 v16, 16, v16
	v_lshrrev_b32_e32 v23, 16, v52
	v_and_b32_e32 v22, 0xffff, v52
	v_or_b32_e32 v1, v17, v19
	v_or_b32_e32 v18, v8, v20
	;; [unrolled: 1-line block ×4, first 2 shown]
	s_and_saveexec_b64 s[12:13], vcc
	s_cbranch_execz .LBB266_576
; %bb.575:                              ;   in Loop: Header=BB266_376 Depth=1
	v_cmp_gt_i32_e64 s[0:1], s27, v32
	s_nop 1
	v_cndmask_b32_e64 v1, 0, v19, s[0:1]
	v_cmp_gt_i32_e64 s[0:1], s33, v41
	s_nop 1
	v_cndmask_b32_e64 v18, 0, v20, s[0:1]
	;; [unrolled: 3-line block ×3, first 2 shown]
	v_cmp_gt_i32_e64 s[0:1], s33, v39
	v_or_b32_e32 v1, v17, v1
	s_nop 0
	v_cndmask_b32_e64 v8, 0, v8, s[0:1]
	v_cmp_gt_i32_e64 s[0:1], s27, v38
	v_or_b32_e32 v18, v8, v18
	s_nop 0
	v_cndmask_b32_e64 v8, 0, v23, s[0:1]
	v_cmp_gt_i32_e64 s[0:1], s33, v37
	s_nop 1
	v_cndmask_b32_e64 v17, 0, v22, s[0:1]
	v_cmp_gt_i32_e64 s[0:1], s27, v36
	;; [unrolled: 3-line block ×3, first 2 shown]
	v_or_b32_e32 v25, v19, v8
	s_nop 0
	v_cndmask_b32_e64 v16, 0, v16, s[0:1]
	v_or_b32_e32 v24, v16, v17
.LBB266_576:                            ;   in Loop: Header=BB266_376 Depth=1
	s_or_b64 exec, exec, s[12:13]
	;;#ASMSTART
	v_pk_mul_f16 v1, v45, v1;

	;;#ASMEND
	;;#ASMSTART
	v_pk_mul_f16 v8, v44, v18;

	;;#ASMEND
	;; [unrolled: 4-line block ×4, first 2 shown]
	s_nop 0
	;;#ASMSTART
	v_pk_add_f16 v1, v1, v8;

	;;#ASMEND
	s_nop 0
	;;#ASMSTART
	v_pk_add_f16 v1, v1, v16;

	;;#ASMEND
	;; [unrolled: 5-line block ×3, first 2 shown]
	v_mov_b32_e32 v17, 0
	v_lshrrev_b32_e32 v8, 16, v1
	v_and_b32_e32 v1, 0xffff, v1
	;;#ASMSTART
	v_cvt_f32_f16 v52, v1;
	;;#ASMEND
	;;#ASMSTART
	v_cvt_f32_f16 v53, v8;
	;;#ASMEND
	global_load_dwordx2 v[18:19], v[14:15], off offset:2048
	v_mov_b32_e32 v1, 0
	global_load_dword v16, v1, s[10:11]
	s_waitcnt vmcnt(1)
	v_cmp_ne_u16_sdwa s[0:1], v18, v9 src0_sel:BYTE_0 src1_sel:DWORD
	s_and_saveexec_b64 s[12:13], s[0:1]
	s_cbranch_execz .LBB266_582
; %bb.577:                              ;   in Loop: Header=BB266_376 Depth=1
	v_cmp_ne_u16_sdwa s[0:1], v18, s24 src0_sel:BYTE_0 src1_sel:DWORD
	v_mov_b32_e32 v17, 0x8000
	s_and_saveexec_b64 s[14:15], s[0:1]
	s_cbranch_execz .LBB266_581
; %bb.578:                              ;   in Loop: Header=BB266_376 Depth=1
	v_and_b32_e32 v8, 0x7f, v18
	v_cmp_ne_u32_e64 s[0:1], s25, v8
	v_mov_b32_e32 v17, 0x7c01
	s_and_saveexec_b64 s[22:23], s[0:1]
	s_cbranch_execz .LBB266_580
; %bb.579:                              ;   in Loop: Header=BB266_376 Depth=1
	v_and_b32_e32 v17, 7, v18
	v_ffbh_u32_e32 v20, v17
	v_min_u32_e32 v23, 32, v20
	v_subrev_u32_e32 v20, 28, v23
	v_lshlrev_b64 v[20:21], v20, v[18:19]
	v_lshrrev_b32_e32 v22, 3, v8
	v_sub_u32_e32 v21, 29, v23
	v_cmp_gt_u32_e64 s[0:1], 8, v8
	v_and_b32_e32 v20, 7, v20
	s_nop 0
	v_cndmask_b32_e64 v8, v22, v21, s[0:1]
	v_lshl_add_u32 v8, v8, 10, v34
	v_lshlrev_b32_e32 v21, 8, v18
	v_and_b32_e32 v8, 0xfc00, v8
	v_cndmask_b32_e64 v17, v17, v20, s[0:1]
	v_and_or_b32 v8, v21, s29, v8
	v_lshl_or_b32 v17, v17, 7, v8
.LBB266_580:                            ;   in Loop: Header=BB266_376 Depth=1
	s_or_b64 exec, exec, s[22:23]
.LBB266_581:                            ;   in Loop: Header=BB266_376 Depth=1
	s_or_b64 exec, exec, s[14:15]
.LBB266_582:                            ;   in Loop: Header=BB266_376 Depth=1
	s_or_b64 exec, exec, s[12:13]
	v_lshrrev_b16_e32 v8, 8, v18
	v_cmp_ne_u16_e64 s[0:1], 0, v8
	s_and_saveexec_b64 s[12:13], s[0:1]
	s_cbranch_execz .LBB266_588
; %bb.583:                              ;   in Loop: Header=BB266_376 Depth=1
	v_cmp_ne_u16_e64 s[0:1], s24, v8
	v_bfrev_b32_e32 v1, 1
	s_and_saveexec_b64 s[14:15], s[0:1]
	s_cbranch_execz .LBB266_587
; %bb.584:                              ;   in Loop: Header=BB266_376 Depth=1
	v_and_b32_e32 v20, 0x7f, v8
	v_cmp_ne_u32_e64 s[0:1], s25, v20
	v_mov_b32_e32 v1, 0x7c010000
	s_and_saveexec_b64 s[22:23], s[0:1]
	s_cbranch_execz .LBB266_586
; %bb.585:                              ;   in Loop: Header=BB266_376 Depth=1
	v_and_b32_e32 v1, 7, v8
	v_ffbh_u32_e32 v22, v1
	v_min_u32_e32 v24, 32, v22
	v_subrev_u32_e32 v22, 28, v24
	v_lshlrev_b64 v[22:23], v22, v[8:9]
	v_lshrrev_b32_e32 v21, 3, v20
	v_sub_u32_e32 v23, 29, v24
	v_cmp_gt_u32_e64 s[0:1], 8, v20
	v_lshlrev_b32_e32 v8, 8, v8
	s_nop 0
	v_cndmask_b32_e64 v20, v21, v23, s[0:1]
	v_lshl_add_u32 v20, v20, 10, v34
	v_and_b32_e32 v21, 7, v22
	v_and_or_b32 v8, v8, s29, v20
	v_cndmask_b32_e64 v1, v1, v21, s[0:1]
	v_lshlrev_b32_e32 v8, 16, v8
	v_lshl_or_b32 v1, v1, 23, v8
.LBB266_586:                            ;   in Loop: Header=BB266_376 Depth=1
	s_or_b64 exec, exec, s[22:23]
.LBB266_587:                            ;   in Loop: Header=BB266_376 Depth=1
	s_or_b64 exec, exec, s[14:15]
.LBB266_588:                            ;   in Loop: Header=BB266_376 Depth=1
	s_or_b64 exec, exec, s[12:13]
	v_lshrrev_b32_e32 v8, 16, v18
	v_cmp_ne_u16_sdwa s[0:1], v8, v9 src0_sel:BYTE_0 src1_sel:DWORD
	v_mov_b32_e32 v21, 0
	v_mov_b32_e32 v20, 0
	s_and_saveexec_b64 s[12:13], s[0:1]
	s_cbranch_execz .LBB266_594
; %bb.589:                              ;   in Loop: Header=BB266_376 Depth=1
	v_cmp_ne_u16_sdwa s[0:1], v8, s24 src0_sel:BYTE_0 src1_sel:DWORD
	v_mov_b32_e32 v20, 0x8000
	s_and_saveexec_b64 s[14:15], s[0:1]
	s_cbranch_execz .LBB266_593
; %bb.590:                              ;   in Loop: Header=BB266_376 Depth=1
	v_bfe_u32 v22, v18, 16, 7
	v_cmp_ne_u32_e64 s[0:1], s25, v22
	v_mov_b32_e32 v20, 0x7c01
	s_and_saveexec_b64 s[22:23], s[0:1]
	s_cbranch_execz .LBB266_592
; %bb.591:                              ;   in Loop: Header=BB266_376 Depth=1
	v_and_b32_e32 v20, 7, v8
	v_ffbh_u32_e32 v24, v20
	v_min_u32_e32 v54, 32, v24
	v_subrev_u32_e32 v24, 28, v54
	v_lshlrev_b64 v[24:25], v24, v[8:9]
	v_lshrrev_b32_e32 v23, 3, v22
	v_sub_u32_e32 v25, 29, v54
	v_cmp_gt_u32_e64 s[0:1], 8, v22
	v_lshlrev_b32_e32 v8, 8, v8
	s_nop 0
	v_cndmask_b32_e64 v22, v23, v25, s[0:1]
	v_lshl_add_u32 v22, v22, 10, v34
	v_and_b32_e32 v23, 7, v24
	v_and_b32_e32 v22, 0xfc00, v22
	v_cndmask_b32_e64 v20, v20, v23, s[0:1]
	v_and_or_b32 v8, v8, s29, v22
	v_lshl_or_b32 v20, v20, 7, v8
.LBB266_592:                            ;   in Loop: Header=BB266_376 Depth=1
	s_or_b64 exec, exec, s[22:23]
.LBB266_593:                            ;   in Loop: Header=BB266_376 Depth=1
	s_or_b64 exec, exec, s[14:15]
.LBB266_594:                            ;   in Loop: Header=BB266_376 Depth=1
	s_or_b64 exec, exec, s[12:13]
	v_cmp_lt_u32_e64 s[0:1], s7, v18
	s_and_saveexec_b64 s[12:13], s[0:1]
	s_cbranch_execz .LBB266_600
; %bb.595:                              ;   in Loop: Header=BB266_376 Depth=1
	v_lshrrev_b32_e32 v8, 24, v18
	v_cmp_ne_u32_e64 s[0:1], s24, v8
	v_bfrev_b32_e32 v21, 1
	s_and_saveexec_b64 s[14:15], s[0:1]
	s_cbranch_execz .LBB266_599
; %bb.596:                              ;   in Loop: Header=BB266_376 Depth=1
	v_and_b32_e32 v22, 0x7f, v8
	v_cmp_ne_u32_e64 s[0:1], s25, v22
	v_mov_b32_e32 v21, 0x7c010000
	s_and_saveexec_b64 s[22:23], s[0:1]
	s_cbranch_execz .LBB266_598
; %bb.597:                              ;   in Loop: Header=BB266_376 Depth=1
	v_and_b32_e32 v21, 7, v8
	v_ffbh_u32_e32 v24, v21
	v_min_u32_e32 v54, 32, v24
	v_subrev_u32_e32 v24, 28, v54
	v_lshlrev_b64 v[24:25], v24, v[8:9]
	v_lshrrev_b32_e32 v23, 3, v22
	v_sub_u32_e32 v25, 29, v54
	v_cmp_gt_u32_e64 s[0:1], 8, v22
	v_lshlrev_b32_e32 v8, 8, v8
	s_nop 0
	v_cndmask_b32_e64 v22, v23, v25, s[0:1]
	v_lshl_add_u32 v22, v22, 10, v34
	v_and_b32_e32 v23, 7, v24
	v_and_or_b32 v8, v8, s29, v22
	v_cndmask_b32_e64 v21, v21, v23, s[0:1]
	v_lshlrev_b32_e32 v8, 16, v8
	v_lshl_or_b32 v21, v21, 23, v8
.LBB266_598:                            ;   in Loop: Header=BB266_376 Depth=1
	s_or_b64 exec, exec, s[22:23]
.LBB266_599:                            ;   in Loop: Header=BB266_376 Depth=1
	s_or_b64 exec, exec, s[14:15]
.LBB266_600:                            ;   in Loop: Header=BB266_376 Depth=1
	s_or_b64 exec, exec, s[12:13]
	v_mov_b32_e32 v8, v19
	v_cmp_ne_u16_sdwa s[0:1], v19, v9 src0_sel:BYTE_0 src1_sel:DWORD
	v_mov_b32_e32 v22, 0
	v_mov_b32_e32 v23, 0
	s_and_saveexec_b64 s[12:13], s[0:1]
	s_cbranch_execz .LBB266_606
; %bb.601:                              ;   in Loop: Header=BB266_376 Depth=1
	v_cmp_ne_u16_sdwa s[0:1], v19, s24 src0_sel:BYTE_0 src1_sel:DWORD
	v_mov_b32_e32 v23, 0x8000
	s_and_saveexec_b64 s[14:15], s[0:1]
	s_cbranch_execz .LBB266_605
; %bb.602:                              ;   in Loop: Header=BB266_376 Depth=1
	v_and_b32_e32 v24, 0x7f, v19
	v_cmp_ne_u32_e64 s[0:1], s25, v24
	v_mov_b32_e32 v23, 0x7c01
	s_and_saveexec_b64 s[22:23], s[0:1]
	s_cbranch_execz .LBB266_604
; %bb.603:                              ;   in Loop: Header=BB266_376 Depth=1
	v_and_b32_e32 v23, 7, v19
	v_ffbh_u32_e32 v54, v23
	v_min_u32_e32 v56, 32, v54
	v_subrev_u32_e32 v54, 28, v56
	v_lshlrev_b64 v[54:55], v54, v[8:9]
	v_lshrrev_b32_e32 v25, 3, v24
	v_sub_u32_e32 v55, 29, v56
	v_cmp_gt_u32_e64 s[0:1], 8, v24
	v_and_b32_e32 v54, 7, v54
	s_nop 0
	v_cndmask_b32_e64 v24, v25, v55, s[0:1]
	v_lshl_add_u32 v24, v24, 10, v34
	v_lshlrev_b32_e32 v25, 8, v19
	v_and_b32_e32 v24, 0xfc00, v24
	v_cndmask_b32_e64 v23, v23, v54, s[0:1]
	v_and_or_b32 v24, v25, s29, v24
	v_lshl_or_b32 v23, v23, 7, v24
.LBB266_604:                            ;   in Loop: Header=BB266_376 Depth=1
	s_or_b64 exec, exec, s[22:23]
.LBB266_605:                            ;   in Loop: Header=BB266_376 Depth=1
	s_or_b64 exec, exec, s[14:15]
.LBB266_606:                            ;   in Loop: Header=BB266_376 Depth=1
	s_or_b64 exec, exec, s[12:13]
	v_lshrrev_b16_e32 v8, 8, v8
	v_cmp_ne_u16_e64 s[0:1], 0, v8
	v_mov_b32_e32 v24, 0
	s_and_saveexec_b64 s[12:13], s[0:1]
	s_cbranch_execz .LBB266_612
; %bb.607:                              ;   in Loop: Header=BB266_376 Depth=1
	v_cmp_ne_u16_e64 s[0:1], s24, v8
	v_bfrev_b32_e32 v24, 1
	s_and_saveexec_b64 s[14:15], s[0:1]
	s_cbranch_execz .LBB266_611
; %bb.608:                              ;   in Loop: Header=BB266_376 Depth=1
	v_and_b32_e32 v25, 0x7f, v8
	v_cmp_ne_u32_e64 s[0:1], s25, v25
	v_mov_b32_e32 v24, 0x7c010000
	s_and_saveexec_b64 s[22:23], s[0:1]
	s_cbranch_execz .LBB266_610
; %bb.609:                              ;   in Loop: Header=BB266_376 Depth=1
	v_and_b32_e32 v24, 7, v8
	v_ffbh_u32_e32 v54, v24
	v_min_u32_e32 v57, 32, v54
	v_subrev_u32_e32 v54, 28, v57
	v_lshlrev_b64 v[54:55], v54, v[8:9]
	v_lshrrev_b32_e32 v56, 3, v25
	v_sub_u32_e32 v55, 29, v57
	v_cmp_gt_u32_e64 s[0:1], 8, v25
	v_lshlrev_b32_e32 v8, 8, v8
	v_and_b32_e32 v54, 7, v54
	v_cndmask_b32_e64 v25, v56, v55, s[0:1]
	v_lshl_add_u32 v25, v25, 10, v34
	v_and_or_b32 v8, v8, s29, v25
	v_cndmask_b32_e64 v24, v24, v54, s[0:1]
	v_lshlrev_b32_e32 v8, 16, v8
	v_lshl_or_b32 v24, v24, 23, v8
.LBB266_610:                            ;   in Loop: Header=BB266_376 Depth=1
	s_or_b64 exec, exec, s[22:23]
.LBB266_611:                            ;   in Loop: Header=BB266_376 Depth=1
	s_or_b64 exec, exec, s[14:15]
.LBB266_612:                            ;   in Loop: Header=BB266_376 Depth=1
	s_or_b64 exec, exec, s[12:13]
	v_lshrrev_b32_e32 v8, 16, v19
	v_cmp_ne_u16_sdwa s[0:1], v8, v9 src0_sel:BYTE_0 src1_sel:DWORD
	s_and_saveexec_b64 s[12:13], s[0:1]
	s_cbranch_execz .LBB266_618
; %bb.613:                              ;   in Loop: Header=BB266_376 Depth=1
	v_cmp_ne_u16_sdwa s[0:1], v8, s24 src0_sel:BYTE_0 src1_sel:DWORD
	v_mov_b32_e32 v22, 0x8000
	s_and_saveexec_b64 s[14:15], s[0:1]
	s_cbranch_execz .LBB266_617
; %bb.614:                              ;   in Loop: Header=BB266_376 Depth=1
	v_bfe_u32 v25, v19, 16, 7
	v_cmp_ne_u32_e64 s[0:1], s25, v25
	v_mov_b32_e32 v22, 0x7c01
	s_and_saveexec_b64 s[22:23], s[0:1]
	s_cbranch_execz .LBB266_616
; %bb.615:                              ;   in Loop: Header=BB266_376 Depth=1
	v_and_b32_e32 v22, 7, v8
	v_ffbh_u32_e32 v54, v22
	v_min_u32_e32 v57, 32, v54
	v_subrev_u32_e32 v54, 28, v57
	v_lshlrev_b64 v[54:55], v54, v[8:9]
	v_lshrrev_b32_e32 v56, 3, v25
	v_sub_u32_e32 v55, 29, v57
	v_cmp_gt_u32_e64 s[0:1], 8, v25
	v_lshlrev_b32_e32 v8, 8, v8
	v_and_b32_e32 v54, 7, v54
	v_cndmask_b32_e64 v25, v56, v55, s[0:1]
	v_lshl_add_u32 v25, v25, 10, v34
	v_and_b32_e32 v25, 0xfc00, v25
	v_cndmask_b32_e64 v22, v22, v54, s[0:1]
	v_and_or_b32 v8, v8, s29, v25
	v_lshl_or_b32 v22, v22, 7, v8
.LBB266_616:                            ;   in Loop: Header=BB266_376 Depth=1
	s_or_b64 exec, exec, s[22:23]
.LBB266_617:                            ;   in Loop: Header=BB266_376 Depth=1
	s_or_b64 exec, exec, s[14:15]
.LBB266_618:                            ;   in Loop: Header=BB266_376 Depth=1
	s_or_b64 exec, exec, s[12:13]
	v_cmp_lt_u64_e64 s[0:1], s[6:7], v[18:19]
	v_mov_b32_e32 v18, 0
	s_and_saveexec_b64 s[12:13], s[0:1]
	s_cbranch_execz .LBB266_624
; %bb.619:                              ;   in Loop: Header=BB266_376 Depth=1
	v_lshrrev_b32_e32 v8, 24, v19
	v_cmp_ne_u32_e64 s[0:1], s24, v8
	v_bfrev_b32_e32 v18, 1
	s_and_saveexec_b64 s[14:15], s[0:1]
	s_cbranch_execz .LBB266_623
; %bb.620:                              ;   in Loop: Header=BB266_376 Depth=1
	v_and_b32_e32 v19, 0x7f, v8
	v_cmp_ne_u32_e64 s[0:1], s25, v19
	v_mov_b32_e32 v18, 0x7c010000
	s_and_saveexec_b64 s[22:23], s[0:1]
	s_cbranch_execz .LBB266_622
; %bb.621:                              ;   in Loop: Header=BB266_376 Depth=1
	v_and_b32_e32 v18, 7, v8
	v_ffbh_u32_e32 v54, v18
	v_min_u32_e32 v56, 32, v54
	v_subrev_u32_e32 v54, 28, v56
	v_lshlrev_b64 v[54:55], v54, v[8:9]
	v_lshrrev_b32_e32 v25, 3, v19
	v_sub_u32_e32 v55, 29, v56
	v_cmp_gt_u32_e64 s[0:1], 8, v19
	v_lshlrev_b32_e32 v8, 8, v8
	s_nop 0
	v_cndmask_b32_e64 v19, v25, v55, s[0:1]
	v_lshl_add_u32 v19, v19, 10, v34
	v_and_b32_e32 v25, 7, v54
	v_and_or_b32 v8, v8, s29, v19
	v_cndmask_b32_e64 v18, v18, v25, s[0:1]
	v_lshlrev_b32_e32 v8, 16, v8
	v_lshl_or_b32 v18, v18, 23, v8
.LBB266_622:                            ;   in Loop: Header=BB266_376 Depth=1
	s_or_b64 exec, exec, s[22:23]
.LBB266_623:                            ;   in Loop: Header=BB266_376 Depth=1
	s_or_b64 exec, exec, s[14:15]
.LBB266_624:                            ;   in Loop: Header=BB266_376 Depth=1
	s_or_b64 exec, exec, s[12:13]
	v_cvt_f32_f16_sdwa v55, v1 dst_sel:DWORD dst_unused:UNUSED_PAD src0_sel:WORD_1
	v_cvt_f32_f16_sdwa v54, v21 dst_sel:DWORD dst_unused:UNUSED_PAD src0_sel:WORD_1
	v_or_b32_e32 v1, v1, v17
	v_or_b32_e32 v8, v21, v20
	;; [unrolled: 1-line block ×3, first 2 shown]
	s_waitcnt vmcnt(0)
	v_pk_mul_f32 v[20:21], v[16:17], v[54:55] op_sel_hi:[0,1]
	v_cvt_f32_f16_e32 v54, v8
	v_cvt_f32_f16_e32 v55, v1
	v_cvt_pk_f16_f32 v1, v20, v21
	v_and_b32_e32 v17, 0xffff0000, v1
	v_lshlrev_b32_e32 v8, 16, v1
	v_pk_mul_f32 v[20:21], v[16:17], v[54:55] op_sel_hi:[0,1]
	v_cvt_pk_f16_f32 v1, v20, v21
	v_or_b32_e32 v21, v24, v23
	v_cvt_f32_f16_e32 v22, v22
	v_cvt_f32_f16_e32 v23, v21
	v_cvt_f32_f16_sdwa v25, v24 dst_sel:DWORD dst_unused:UNUSED_PAD src0_sel:WORD_1
	v_cvt_f32_f16_sdwa v24, v18 dst_sel:DWORD dst_unused:UNUSED_PAD src0_sel:WORD_1
	v_lshrrev_b32_e32 v19, 16, v1
	v_pk_mul_f32 v[22:23], v[16:17], v[22:23] op_sel_hi:[0,1]
	v_cvt_pk_f16_f32 v54, v22, v23
	v_pk_mul_f32 v[22:23], v[16:17], v[24:25] op_sel_hi:[0,1]
	v_cvt_pk_f16_f32 v16, v22, v23
	v_and_b32_e32 v20, 0xffff, v1
	v_and_b32_e32 v21, 0xffff0000, v16
	v_lshlrev_b32_e32 v16, 16, v16
	v_lshrrev_b32_e32 v23, 16, v54
	v_and_b32_e32 v22, 0xffff, v54
	v_or_b32_e32 v1, v17, v19
	v_or_b32_e32 v18, v8, v20
	;; [unrolled: 1-line block ×4, first 2 shown]
	s_and_saveexec_b64 s[12:13], vcc
	s_cbranch_execz .LBB266_626
; %bb.625:                              ;   in Loop: Header=BB266_376 Depth=1
	v_cmp_gt_i32_e64 s[0:1], s27, v32
	s_nop 1
	v_cndmask_b32_e64 v1, 0, v19, s[0:1]
	v_cmp_gt_i32_e64 s[0:1], s33, v41
	s_nop 1
	v_cndmask_b32_e64 v18, 0, v20, s[0:1]
	;; [unrolled: 3-line block ×3, first 2 shown]
	v_cmp_gt_i32_e64 s[0:1], s33, v39
	v_or_b32_e32 v1, v17, v1
	s_nop 0
	v_cndmask_b32_e64 v8, 0, v8, s[0:1]
	v_cmp_gt_i32_e64 s[0:1], s27, v38
	v_or_b32_e32 v18, v8, v18
	s_nop 0
	v_cndmask_b32_e64 v8, 0, v23, s[0:1]
	v_cmp_gt_i32_e64 s[0:1], s33, v37
	s_nop 1
	v_cndmask_b32_e64 v17, 0, v22, s[0:1]
	v_cmp_gt_i32_e64 s[0:1], s27, v36
	;; [unrolled: 3-line block ×3, first 2 shown]
	v_or_b32_e32 v25, v19, v8
	s_nop 0
	v_cndmask_b32_e64 v16, 0, v16, s[0:1]
	v_or_b32_e32 v24, v16, v17
.LBB266_626:                            ;   in Loop: Header=BB266_376 Depth=1
	s_or_b64 exec, exec, s[12:13]
	;;#ASMSTART
	v_pk_mul_f16 v1, v45, v1;

	;;#ASMEND
	;;#ASMSTART
	v_pk_mul_f16 v8, v44, v18;

	;;#ASMEND
	;; [unrolled: 4-line block ×4, first 2 shown]
	s_nop 0
	;;#ASMSTART
	v_pk_add_f16 v1, v1, v8;

	;;#ASMEND
	s_nop 0
	;;#ASMSTART
	v_pk_add_f16 v1, v1, v16;

	;;#ASMEND
	s_nop 0
	;;#ASMSTART
	v_pk_add_f16 v1, v1, v17;

	;;#ASMEND
	v_mov_b32_e32 v17, 0
	v_lshrrev_b32_e32 v8, 16, v1
	v_and_b32_e32 v1, 0xffff, v1
	;;#ASMSTART
	v_cvt_f32_f16 v54, v1;
	;;#ASMEND
	;;#ASMSTART
	v_cvt_f32_f16 v55, v8;
	;;#ASMEND
	global_load_dwordx2 v[18:19], v[14:15], off offset:2560
	v_mov_b32_e32 v1, 0
	global_load_dword v16, v1, s[10:11]
	s_waitcnt vmcnt(1)
	v_cmp_ne_u16_sdwa s[0:1], v18, v9 src0_sel:BYTE_0 src1_sel:DWORD
	s_and_saveexec_b64 s[12:13], s[0:1]
	s_cbranch_execz .LBB266_632
; %bb.627:                              ;   in Loop: Header=BB266_376 Depth=1
	v_cmp_ne_u16_sdwa s[0:1], v18, s24 src0_sel:BYTE_0 src1_sel:DWORD
	v_mov_b32_e32 v17, 0x8000
	s_and_saveexec_b64 s[14:15], s[0:1]
	s_cbranch_execz .LBB266_631
; %bb.628:                              ;   in Loop: Header=BB266_376 Depth=1
	v_and_b32_e32 v8, 0x7f, v18
	v_cmp_ne_u32_e64 s[0:1], s25, v8
	v_mov_b32_e32 v17, 0x7c01
	s_and_saveexec_b64 s[22:23], s[0:1]
	s_cbranch_execz .LBB266_630
; %bb.629:                              ;   in Loop: Header=BB266_376 Depth=1
	v_and_b32_e32 v17, 7, v18
	v_ffbh_u32_e32 v20, v17
	v_min_u32_e32 v23, 32, v20
	v_subrev_u32_e32 v20, 28, v23
	v_lshlrev_b64 v[20:21], v20, v[18:19]
	v_lshrrev_b32_e32 v22, 3, v8
	v_sub_u32_e32 v21, 29, v23
	v_cmp_gt_u32_e64 s[0:1], 8, v8
	v_and_b32_e32 v20, 7, v20
	s_nop 0
	v_cndmask_b32_e64 v8, v22, v21, s[0:1]
	v_lshl_add_u32 v8, v8, 10, v34
	v_lshlrev_b32_e32 v21, 8, v18
	v_and_b32_e32 v8, 0xfc00, v8
	v_cndmask_b32_e64 v17, v17, v20, s[0:1]
	v_and_or_b32 v8, v21, s29, v8
	v_lshl_or_b32 v17, v17, 7, v8
.LBB266_630:                            ;   in Loop: Header=BB266_376 Depth=1
	s_or_b64 exec, exec, s[22:23]
.LBB266_631:                            ;   in Loop: Header=BB266_376 Depth=1
	s_or_b64 exec, exec, s[14:15]
.LBB266_632:                            ;   in Loop: Header=BB266_376 Depth=1
	s_or_b64 exec, exec, s[12:13]
	v_lshrrev_b16_e32 v8, 8, v18
	v_cmp_ne_u16_e64 s[0:1], 0, v8
	s_and_saveexec_b64 s[12:13], s[0:1]
	s_cbranch_execz .LBB266_638
; %bb.633:                              ;   in Loop: Header=BB266_376 Depth=1
	v_cmp_ne_u16_e64 s[0:1], s24, v8
	v_bfrev_b32_e32 v1, 1
	s_and_saveexec_b64 s[14:15], s[0:1]
	s_cbranch_execz .LBB266_637
; %bb.634:                              ;   in Loop: Header=BB266_376 Depth=1
	v_and_b32_e32 v20, 0x7f, v8
	v_cmp_ne_u32_e64 s[0:1], s25, v20
	v_mov_b32_e32 v1, 0x7c010000
	s_and_saveexec_b64 s[22:23], s[0:1]
	s_cbranch_execz .LBB266_636
; %bb.635:                              ;   in Loop: Header=BB266_376 Depth=1
	v_and_b32_e32 v1, 7, v8
	v_ffbh_u32_e32 v22, v1
	v_min_u32_e32 v24, 32, v22
	v_subrev_u32_e32 v22, 28, v24
	v_lshlrev_b64 v[22:23], v22, v[8:9]
	v_lshrrev_b32_e32 v21, 3, v20
	v_sub_u32_e32 v23, 29, v24
	v_cmp_gt_u32_e64 s[0:1], 8, v20
	v_lshlrev_b32_e32 v8, 8, v8
	s_nop 0
	v_cndmask_b32_e64 v20, v21, v23, s[0:1]
	v_lshl_add_u32 v20, v20, 10, v34
	v_and_b32_e32 v21, 7, v22
	v_and_or_b32 v8, v8, s29, v20
	v_cndmask_b32_e64 v1, v1, v21, s[0:1]
	v_lshlrev_b32_e32 v8, 16, v8
	v_lshl_or_b32 v1, v1, 23, v8
.LBB266_636:                            ;   in Loop: Header=BB266_376 Depth=1
	s_or_b64 exec, exec, s[22:23]
.LBB266_637:                            ;   in Loop: Header=BB266_376 Depth=1
	s_or_b64 exec, exec, s[14:15]
.LBB266_638:                            ;   in Loop: Header=BB266_376 Depth=1
	s_or_b64 exec, exec, s[12:13]
	v_lshrrev_b32_e32 v8, 16, v18
	v_cmp_ne_u16_sdwa s[0:1], v8, v9 src0_sel:BYTE_0 src1_sel:DWORD
	v_mov_b32_e32 v21, 0
	v_mov_b32_e32 v20, 0
	s_and_saveexec_b64 s[12:13], s[0:1]
	s_cbranch_execz .LBB266_644
; %bb.639:                              ;   in Loop: Header=BB266_376 Depth=1
	v_cmp_ne_u16_sdwa s[0:1], v8, s24 src0_sel:BYTE_0 src1_sel:DWORD
	v_mov_b32_e32 v20, 0x8000
	s_and_saveexec_b64 s[14:15], s[0:1]
	s_cbranch_execz .LBB266_643
; %bb.640:                              ;   in Loop: Header=BB266_376 Depth=1
	v_bfe_u32 v22, v18, 16, 7
	v_cmp_ne_u32_e64 s[0:1], s25, v22
	v_mov_b32_e32 v20, 0x7c01
	s_and_saveexec_b64 s[22:23], s[0:1]
	s_cbranch_execz .LBB266_642
; %bb.641:                              ;   in Loop: Header=BB266_376 Depth=1
	v_and_b32_e32 v20, 7, v8
	v_ffbh_u32_e32 v24, v20
	v_min_u32_e32 v56, 32, v24
	v_subrev_u32_e32 v24, 28, v56
	v_lshlrev_b64 v[24:25], v24, v[8:9]
	v_lshrrev_b32_e32 v23, 3, v22
	v_sub_u32_e32 v25, 29, v56
	v_cmp_gt_u32_e64 s[0:1], 8, v22
	v_lshlrev_b32_e32 v8, 8, v8
	s_nop 0
	v_cndmask_b32_e64 v22, v23, v25, s[0:1]
	v_lshl_add_u32 v22, v22, 10, v34
	v_and_b32_e32 v23, 7, v24
	v_and_b32_e32 v22, 0xfc00, v22
	v_cndmask_b32_e64 v20, v20, v23, s[0:1]
	v_and_or_b32 v8, v8, s29, v22
	v_lshl_or_b32 v20, v20, 7, v8
.LBB266_642:                            ;   in Loop: Header=BB266_376 Depth=1
	s_or_b64 exec, exec, s[22:23]
.LBB266_643:                            ;   in Loop: Header=BB266_376 Depth=1
	s_or_b64 exec, exec, s[14:15]
.LBB266_644:                            ;   in Loop: Header=BB266_376 Depth=1
	s_or_b64 exec, exec, s[12:13]
	v_cmp_lt_u32_e64 s[0:1], s7, v18
	s_and_saveexec_b64 s[12:13], s[0:1]
	s_cbranch_execz .LBB266_650
; %bb.645:                              ;   in Loop: Header=BB266_376 Depth=1
	v_lshrrev_b32_e32 v8, 24, v18
	v_cmp_ne_u32_e64 s[0:1], s24, v8
	v_bfrev_b32_e32 v21, 1
	s_and_saveexec_b64 s[14:15], s[0:1]
	s_cbranch_execz .LBB266_649
; %bb.646:                              ;   in Loop: Header=BB266_376 Depth=1
	v_and_b32_e32 v22, 0x7f, v8
	v_cmp_ne_u32_e64 s[0:1], s25, v22
	v_mov_b32_e32 v21, 0x7c010000
	s_and_saveexec_b64 s[22:23], s[0:1]
	s_cbranch_execz .LBB266_648
; %bb.647:                              ;   in Loop: Header=BB266_376 Depth=1
	v_and_b32_e32 v21, 7, v8
	v_ffbh_u32_e32 v24, v21
	v_min_u32_e32 v56, 32, v24
	v_subrev_u32_e32 v24, 28, v56
	v_lshlrev_b64 v[24:25], v24, v[8:9]
	v_lshrrev_b32_e32 v23, 3, v22
	v_sub_u32_e32 v25, 29, v56
	v_cmp_gt_u32_e64 s[0:1], 8, v22
	v_lshlrev_b32_e32 v8, 8, v8
	s_nop 0
	v_cndmask_b32_e64 v22, v23, v25, s[0:1]
	v_lshl_add_u32 v22, v22, 10, v34
	v_and_b32_e32 v23, 7, v24
	v_and_or_b32 v8, v8, s29, v22
	v_cndmask_b32_e64 v21, v21, v23, s[0:1]
	v_lshlrev_b32_e32 v8, 16, v8
	v_lshl_or_b32 v21, v21, 23, v8
.LBB266_648:                            ;   in Loop: Header=BB266_376 Depth=1
	s_or_b64 exec, exec, s[22:23]
.LBB266_649:                            ;   in Loop: Header=BB266_376 Depth=1
	s_or_b64 exec, exec, s[14:15]
.LBB266_650:                            ;   in Loop: Header=BB266_376 Depth=1
	s_or_b64 exec, exec, s[12:13]
	v_mov_b32_e32 v8, v19
	v_cmp_ne_u16_sdwa s[0:1], v19, v9 src0_sel:BYTE_0 src1_sel:DWORD
	v_mov_b32_e32 v22, 0
	v_mov_b32_e32 v23, 0
	s_and_saveexec_b64 s[12:13], s[0:1]
	s_cbranch_execz .LBB266_656
; %bb.651:                              ;   in Loop: Header=BB266_376 Depth=1
	v_cmp_ne_u16_sdwa s[0:1], v19, s24 src0_sel:BYTE_0 src1_sel:DWORD
	v_mov_b32_e32 v23, 0x8000
	s_and_saveexec_b64 s[14:15], s[0:1]
	s_cbranch_execz .LBB266_655
; %bb.652:                              ;   in Loop: Header=BB266_376 Depth=1
	v_and_b32_e32 v24, 0x7f, v19
	v_cmp_ne_u32_e64 s[0:1], s25, v24
	v_mov_b32_e32 v23, 0x7c01
	s_and_saveexec_b64 s[22:23], s[0:1]
	s_cbranch_execz .LBB266_654
; %bb.653:                              ;   in Loop: Header=BB266_376 Depth=1
	v_and_b32_e32 v23, 7, v19
	v_ffbh_u32_e32 v56, v23
	v_min_u32_e32 v58, 32, v56
	v_subrev_u32_e32 v56, 28, v58
	v_lshlrev_b64 v[56:57], v56, v[8:9]
	v_lshrrev_b32_e32 v25, 3, v24
	v_sub_u32_e32 v57, 29, v58
	v_cmp_gt_u32_e64 s[0:1], 8, v24
	v_and_b32_e32 v56, 7, v56
	s_nop 0
	v_cndmask_b32_e64 v24, v25, v57, s[0:1]
	v_lshl_add_u32 v24, v24, 10, v34
	v_lshlrev_b32_e32 v25, 8, v19
	v_and_b32_e32 v24, 0xfc00, v24
	v_cndmask_b32_e64 v23, v23, v56, s[0:1]
	v_and_or_b32 v24, v25, s29, v24
	v_lshl_or_b32 v23, v23, 7, v24
.LBB266_654:                            ;   in Loop: Header=BB266_376 Depth=1
	s_or_b64 exec, exec, s[22:23]
.LBB266_655:                            ;   in Loop: Header=BB266_376 Depth=1
	s_or_b64 exec, exec, s[14:15]
.LBB266_656:                            ;   in Loop: Header=BB266_376 Depth=1
	s_or_b64 exec, exec, s[12:13]
	v_lshrrev_b16_e32 v8, 8, v8
	v_cmp_ne_u16_e64 s[0:1], 0, v8
	v_mov_b32_e32 v24, 0
	s_and_saveexec_b64 s[12:13], s[0:1]
	s_cbranch_execz .LBB266_662
; %bb.657:                              ;   in Loop: Header=BB266_376 Depth=1
	v_cmp_ne_u16_e64 s[0:1], s24, v8
	v_bfrev_b32_e32 v24, 1
	s_and_saveexec_b64 s[14:15], s[0:1]
	s_cbranch_execz .LBB266_661
; %bb.658:                              ;   in Loop: Header=BB266_376 Depth=1
	v_and_b32_e32 v25, 0x7f, v8
	v_cmp_ne_u32_e64 s[0:1], s25, v25
	v_mov_b32_e32 v24, 0x7c010000
	s_and_saveexec_b64 s[22:23], s[0:1]
	s_cbranch_execz .LBB266_660
; %bb.659:                              ;   in Loop: Header=BB266_376 Depth=1
	v_and_b32_e32 v24, 7, v8
	v_ffbh_u32_e32 v56, v24
	v_min_u32_e32 v59, 32, v56
	v_subrev_u32_e32 v56, 28, v59
	v_lshlrev_b64 v[56:57], v56, v[8:9]
	v_lshrrev_b32_e32 v58, 3, v25
	v_sub_u32_e32 v57, 29, v59
	v_cmp_gt_u32_e64 s[0:1], 8, v25
	v_lshlrev_b32_e32 v8, 8, v8
	v_and_b32_e32 v56, 7, v56
	v_cndmask_b32_e64 v25, v58, v57, s[0:1]
	v_lshl_add_u32 v25, v25, 10, v34
	v_and_or_b32 v8, v8, s29, v25
	v_cndmask_b32_e64 v24, v24, v56, s[0:1]
	v_lshlrev_b32_e32 v8, 16, v8
	v_lshl_or_b32 v24, v24, 23, v8
.LBB266_660:                            ;   in Loop: Header=BB266_376 Depth=1
	s_or_b64 exec, exec, s[22:23]
.LBB266_661:                            ;   in Loop: Header=BB266_376 Depth=1
	s_or_b64 exec, exec, s[14:15]
.LBB266_662:                            ;   in Loop: Header=BB266_376 Depth=1
	s_or_b64 exec, exec, s[12:13]
	v_lshrrev_b32_e32 v8, 16, v19
	v_cmp_ne_u16_sdwa s[0:1], v8, v9 src0_sel:BYTE_0 src1_sel:DWORD
	s_and_saveexec_b64 s[12:13], s[0:1]
	s_cbranch_execz .LBB266_668
; %bb.663:                              ;   in Loop: Header=BB266_376 Depth=1
	v_cmp_ne_u16_sdwa s[0:1], v8, s24 src0_sel:BYTE_0 src1_sel:DWORD
	v_mov_b32_e32 v22, 0x8000
	s_and_saveexec_b64 s[14:15], s[0:1]
	s_cbranch_execz .LBB266_667
; %bb.664:                              ;   in Loop: Header=BB266_376 Depth=1
	v_bfe_u32 v25, v19, 16, 7
	v_cmp_ne_u32_e64 s[0:1], s25, v25
	v_mov_b32_e32 v22, 0x7c01
	s_and_saveexec_b64 s[22:23], s[0:1]
	s_cbranch_execz .LBB266_666
; %bb.665:                              ;   in Loop: Header=BB266_376 Depth=1
	v_and_b32_e32 v22, 7, v8
	v_ffbh_u32_e32 v56, v22
	v_min_u32_e32 v59, 32, v56
	v_subrev_u32_e32 v56, 28, v59
	v_lshlrev_b64 v[56:57], v56, v[8:9]
	v_lshrrev_b32_e32 v58, 3, v25
	v_sub_u32_e32 v57, 29, v59
	v_cmp_gt_u32_e64 s[0:1], 8, v25
	v_lshlrev_b32_e32 v8, 8, v8
	v_and_b32_e32 v56, 7, v56
	v_cndmask_b32_e64 v25, v58, v57, s[0:1]
	v_lshl_add_u32 v25, v25, 10, v34
	v_and_b32_e32 v25, 0xfc00, v25
	v_cndmask_b32_e64 v22, v22, v56, s[0:1]
	v_and_or_b32 v8, v8, s29, v25
	v_lshl_or_b32 v22, v22, 7, v8
.LBB266_666:                            ;   in Loop: Header=BB266_376 Depth=1
	s_or_b64 exec, exec, s[22:23]
.LBB266_667:                            ;   in Loop: Header=BB266_376 Depth=1
	s_or_b64 exec, exec, s[14:15]
.LBB266_668:                            ;   in Loop: Header=BB266_376 Depth=1
	s_or_b64 exec, exec, s[12:13]
	v_cmp_lt_u64_e64 s[0:1], s[6:7], v[18:19]
	v_mov_b32_e32 v18, 0
	s_and_saveexec_b64 s[12:13], s[0:1]
	s_cbranch_execz .LBB266_674
; %bb.669:                              ;   in Loop: Header=BB266_376 Depth=1
	v_lshrrev_b32_e32 v8, 24, v19
	v_cmp_ne_u32_e64 s[0:1], s24, v8
	v_bfrev_b32_e32 v18, 1
	s_and_saveexec_b64 s[14:15], s[0:1]
	s_cbranch_execz .LBB266_673
; %bb.670:                              ;   in Loop: Header=BB266_376 Depth=1
	v_and_b32_e32 v19, 0x7f, v8
	v_cmp_ne_u32_e64 s[0:1], s25, v19
	v_mov_b32_e32 v18, 0x7c010000
	s_and_saveexec_b64 s[22:23], s[0:1]
	s_cbranch_execz .LBB266_672
; %bb.671:                              ;   in Loop: Header=BB266_376 Depth=1
	v_and_b32_e32 v18, 7, v8
	v_ffbh_u32_e32 v56, v18
	v_min_u32_e32 v58, 32, v56
	v_subrev_u32_e32 v56, 28, v58
	v_lshlrev_b64 v[56:57], v56, v[8:9]
	v_lshrrev_b32_e32 v25, 3, v19
	v_sub_u32_e32 v57, 29, v58
	v_cmp_gt_u32_e64 s[0:1], 8, v19
	v_lshlrev_b32_e32 v8, 8, v8
	s_nop 0
	v_cndmask_b32_e64 v19, v25, v57, s[0:1]
	v_lshl_add_u32 v19, v19, 10, v34
	v_and_b32_e32 v25, 7, v56
	v_and_or_b32 v8, v8, s29, v19
	v_cndmask_b32_e64 v18, v18, v25, s[0:1]
	v_lshlrev_b32_e32 v8, 16, v8
	v_lshl_or_b32 v18, v18, 23, v8
.LBB266_672:                            ;   in Loop: Header=BB266_376 Depth=1
	s_or_b64 exec, exec, s[22:23]
.LBB266_673:                            ;   in Loop: Header=BB266_376 Depth=1
	s_or_b64 exec, exec, s[14:15]
.LBB266_674:                            ;   in Loop: Header=BB266_376 Depth=1
	s_or_b64 exec, exec, s[12:13]
	v_cvt_f32_f16_sdwa v57, v1 dst_sel:DWORD dst_unused:UNUSED_PAD src0_sel:WORD_1
	v_cvt_f32_f16_sdwa v56, v21 dst_sel:DWORD dst_unused:UNUSED_PAD src0_sel:WORD_1
	v_or_b32_e32 v1, v1, v17
	v_or_b32_e32 v8, v21, v20
	;; [unrolled: 1-line block ×3, first 2 shown]
	s_waitcnt vmcnt(0)
	v_pk_mul_f32 v[20:21], v[16:17], v[56:57] op_sel_hi:[0,1]
	v_cvt_f32_f16_e32 v56, v8
	v_cvt_f32_f16_e32 v57, v1
	v_cvt_pk_f16_f32 v1, v20, v21
	v_and_b32_e32 v17, 0xffff0000, v1
	v_lshlrev_b32_e32 v8, 16, v1
	v_pk_mul_f32 v[20:21], v[16:17], v[56:57] op_sel_hi:[0,1]
	v_cvt_pk_f16_f32 v1, v20, v21
	v_or_b32_e32 v21, v24, v23
	v_cvt_f32_f16_e32 v22, v22
	v_cvt_f32_f16_e32 v23, v21
	v_cvt_f32_f16_sdwa v25, v24 dst_sel:DWORD dst_unused:UNUSED_PAD src0_sel:WORD_1
	v_cvt_f32_f16_sdwa v24, v18 dst_sel:DWORD dst_unused:UNUSED_PAD src0_sel:WORD_1
	v_lshrrev_b32_e32 v19, 16, v1
	v_pk_mul_f32 v[22:23], v[16:17], v[22:23] op_sel_hi:[0,1]
	v_cvt_pk_f16_f32 v56, v22, v23
	v_pk_mul_f32 v[22:23], v[16:17], v[24:25] op_sel_hi:[0,1]
	v_cvt_pk_f16_f32 v16, v22, v23
	v_and_b32_e32 v20, 0xffff, v1
	v_and_b32_e32 v21, 0xffff0000, v16
	v_lshlrev_b32_e32 v16, 16, v16
	v_lshrrev_b32_e32 v23, 16, v56
	v_and_b32_e32 v22, 0xffff, v56
	v_or_b32_e32 v1, v17, v19
	v_or_b32_e32 v18, v8, v20
	;; [unrolled: 1-line block ×4, first 2 shown]
	s_and_saveexec_b64 s[12:13], vcc
	s_cbranch_execz .LBB266_676
; %bb.675:                              ;   in Loop: Header=BB266_376 Depth=1
	v_cmp_gt_i32_e64 s[0:1], s27, v32
	s_nop 1
	v_cndmask_b32_e64 v1, 0, v19, s[0:1]
	v_cmp_gt_i32_e64 s[0:1], s33, v41
	s_nop 1
	v_cndmask_b32_e64 v18, 0, v20, s[0:1]
	;; [unrolled: 3-line block ×3, first 2 shown]
	v_cmp_gt_i32_e64 s[0:1], s33, v39
	v_or_b32_e32 v1, v17, v1
	s_nop 0
	v_cndmask_b32_e64 v8, 0, v8, s[0:1]
	v_cmp_gt_i32_e64 s[0:1], s27, v38
	v_or_b32_e32 v18, v8, v18
	s_nop 0
	v_cndmask_b32_e64 v8, 0, v23, s[0:1]
	v_cmp_gt_i32_e64 s[0:1], s33, v37
	s_nop 1
	v_cndmask_b32_e64 v17, 0, v22, s[0:1]
	v_cmp_gt_i32_e64 s[0:1], s27, v36
	;; [unrolled: 3-line block ×3, first 2 shown]
	v_or_b32_e32 v25, v19, v8
	s_nop 0
	v_cndmask_b32_e64 v16, 0, v16, s[0:1]
	v_or_b32_e32 v24, v16, v17
.LBB266_676:                            ;   in Loop: Header=BB266_376 Depth=1
	s_or_b64 exec, exec, s[12:13]
	;;#ASMSTART
	v_pk_mul_f16 v1, v45, v1;

	;;#ASMEND
	;;#ASMSTART
	v_pk_mul_f16 v8, v44, v18;

	;;#ASMEND
	;; [unrolled: 4-line block ×4, first 2 shown]
	s_nop 0
	;;#ASMSTART
	v_pk_add_f16 v1, v1, v8;

	;;#ASMEND
	s_nop 0
	;;#ASMSTART
	v_pk_add_f16 v1, v1, v16;

	;;#ASMEND
	;; [unrolled: 5-line block ×3, first 2 shown]
	s_nop 0
	v_lshrrev_b32_e32 v8, 16, v1
	v_and_b32_e32 v1, 0xffff, v1
	;;#ASMSTART
	v_cvt_f32_f16 v24, v1;
	;;#ASMEND
	;;#ASMSTART
	v_cvt_f32_f16 v25, v8;
	;;#ASMEND
	global_load_dwordx2 v[16:17], v[14:15], off offset:3072
	v_mov_b32_e32 v1, 0
	global_load_dword v14, v1, s[10:11]
	v_mov_b32_e32 v15, 0
	s_waitcnt vmcnt(1)
	v_cmp_ne_u16_sdwa s[0:1], v16, v9 src0_sel:BYTE_0 src1_sel:DWORD
	s_and_saveexec_b64 s[12:13], s[0:1]
	s_cbranch_execz .LBB266_682
; %bb.677:                              ;   in Loop: Header=BB266_376 Depth=1
	v_cmp_ne_u16_sdwa s[0:1], v16, s24 src0_sel:BYTE_0 src1_sel:DWORD
	v_mov_b32_e32 v15, 0x8000
	s_and_saveexec_b64 s[14:15], s[0:1]
	s_cbranch_execz .LBB266_681
; %bb.678:                              ;   in Loop: Header=BB266_376 Depth=1
	v_and_b32_e32 v8, 0x7f, v16
	v_cmp_ne_u32_e64 s[0:1], s25, v8
	v_mov_b32_e32 v15, 0x7c01
	s_and_saveexec_b64 s[22:23], s[0:1]
	s_cbranch_execz .LBB266_680
; %bb.679:                              ;   in Loop: Header=BB266_376 Depth=1
	v_and_b32_e32 v15, 7, v16
	v_ffbh_u32_e32 v18, v15
	v_min_u32_e32 v21, 32, v18
	v_subrev_u32_e32 v18, 28, v21
	v_lshlrev_b64 v[18:19], v18, v[16:17]
	v_lshrrev_b32_e32 v20, 3, v8
	v_sub_u32_e32 v19, 29, v21
	v_cmp_gt_u32_e64 s[0:1], 8, v8
	v_and_b32_e32 v18, 7, v18
	s_nop 0
	v_cndmask_b32_e64 v8, v20, v19, s[0:1]
	v_lshl_add_u32 v8, v8, 10, v34
	v_lshlrev_b32_e32 v19, 8, v16
	v_and_b32_e32 v8, 0xfc00, v8
	v_cndmask_b32_e64 v15, v15, v18, s[0:1]
	v_and_or_b32 v8, v19, s29, v8
	v_lshl_or_b32 v15, v15, 7, v8
.LBB266_680:                            ;   in Loop: Header=BB266_376 Depth=1
	s_or_b64 exec, exec, s[22:23]
.LBB266_681:                            ;   in Loop: Header=BB266_376 Depth=1
	s_or_b64 exec, exec, s[14:15]
.LBB266_682:                            ;   in Loop: Header=BB266_376 Depth=1
	s_or_b64 exec, exec, s[12:13]
	v_lshrrev_b16_e32 v8, 8, v16
	v_cmp_ne_u16_e64 s[0:1], 0, v8
	s_and_saveexec_b64 s[12:13], s[0:1]
	s_cbranch_execz .LBB266_688
; %bb.683:                              ;   in Loop: Header=BB266_376 Depth=1
	v_cmp_ne_u16_e64 s[0:1], s24, v8
	v_bfrev_b32_e32 v1, 1
	s_and_saveexec_b64 s[14:15], s[0:1]
	s_cbranch_execz .LBB266_687
; %bb.684:                              ;   in Loop: Header=BB266_376 Depth=1
	v_and_b32_e32 v18, 0x7f, v8
	v_cmp_ne_u32_e64 s[0:1], s25, v18
	v_mov_b32_e32 v1, 0x7c010000
	s_and_saveexec_b64 s[22:23], s[0:1]
	s_cbranch_execz .LBB266_686
; %bb.685:                              ;   in Loop: Header=BB266_376 Depth=1
	v_and_b32_e32 v1, 7, v8
	v_ffbh_u32_e32 v20, v1
	v_min_u32_e32 v22, 32, v20
	v_subrev_u32_e32 v20, 28, v22
	v_lshlrev_b64 v[20:21], v20, v[8:9]
	v_lshrrev_b32_e32 v19, 3, v18
	v_sub_u32_e32 v21, 29, v22
	v_cmp_gt_u32_e64 s[0:1], 8, v18
	v_lshlrev_b32_e32 v8, 8, v8
	s_nop 0
	v_cndmask_b32_e64 v18, v19, v21, s[0:1]
	v_lshl_add_u32 v18, v18, 10, v34
	v_and_b32_e32 v19, 7, v20
	v_and_or_b32 v8, v8, s29, v18
	v_cndmask_b32_e64 v1, v1, v19, s[0:1]
	v_lshlrev_b32_e32 v8, 16, v8
	v_lshl_or_b32 v1, v1, 23, v8
.LBB266_686:                            ;   in Loop: Header=BB266_376 Depth=1
	s_or_b64 exec, exec, s[22:23]
.LBB266_687:                            ;   in Loop: Header=BB266_376 Depth=1
	s_or_b64 exec, exec, s[14:15]
.LBB266_688:                            ;   in Loop: Header=BB266_376 Depth=1
	s_or_b64 exec, exec, s[12:13]
	v_lshrrev_b32_e32 v8, 16, v16
	v_cmp_ne_u16_sdwa s[0:1], v8, v9 src0_sel:BYTE_0 src1_sel:DWORD
	v_mov_b32_e32 v19, 0
	v_mov_b32_e32 v18, 0
	s_and_saveexec_b64 s[12:13], s[0:1]
	s_cbranch_execz .LBB266_694
; %bb.689:                              ;   in Loop: Header=BB266_376 Depth=1
	v_cmp_ne_u16_sdwa s[0:1], v8, s24 src0_sel:BYTE_0 src1_sel:DWORD
	v_mov_b32_e32 v18, 0x8000
	s_and_saveexec_b64 s[14:15], s[0:1]
	s_cbranch_execz .LBB266_693
; %bb.690:                              ;   in Loop: Header=BB266_376 Depth=1
	v_bfe_u32 v20, v16, 16, 7
	v_cmp_ne_u32_e64 s[0:1], s25, v20
	v_mov_b32_e32 v18, 0x7c01
	s_and_saveexec_b64 s[22:23], s[0:1]
	s_cbranch_execz .LBB266_692
; %bb.691:                              ;   in Loop: Header=BB266_376 Depth=1
	v_and_b32_e32 v18, 7, v8
	v_ffbh_u32_e32 v22, v18
	v_min_u32_e32 v56, 32, v22
	v_subrev_u32_e32 v22, 28, v56
	v_lshlrev_b64 v[22:23], v22, v[8:9]
	v_lshrrev_b32_e32 v21, 3, v20
	v_sub_u32_e32 v23, 29, v56
	v_cmp_gt_u32_e64 s[0:1], 8, v20
	v_lshlrev_b32_e32 v8, 8, v8
	s_nop 0
	v_cndmask_b32_e64 v20, v21, v23, s[0:1]
	v_lshl_add_u32 v20, v20, 10, v34
	v_and_b32_e32 v21, 7, v22
	v_and_b32_e32 v20, 0xfc00, v20
	v_cndmask_b32_e64 v18, v18, v21, s[0:1]
	v_and_or_b32 v8, v8, s29, v20
	v_lshl_or_b32 v18, v18, 7, v8
.LBB266_692:                            ;   in Loop: Header=BB266_376 Depth=1
	s_or_b64 exec, exec, s[22:23]
.LBB266_693:                            ;   in Loop: Header=BB266_376 Depth=1
	s_or_b64 exec, exec, s[14:15]
.LBB266_694:                            ;   in Loop: Header=BB266_376 Depth=1
	s_or_b64 exec, exec, s[12:13]
	v_cmp_lt_u32_e64 s[0:1], s7, v16
	s_and_saveexec_b64 s[12:13], s[0:1]
	s_cbranch_execz .LBB266_700
; %bb.695:                              ;   in Loop: Header=BB266_376 Depth=1
	v_lshrrev_b32_e32 v8, 24, v16
	v_cmp_ne_u32_e64 s[0:1], s24, v8
	v_bfrev_b32_e32 v19, 1
	s_and_saveexec_b64 s[14:15], s[0:1]
	s_cbranch_execz .LBB266_699
; %bb.696:                              ;   in Loop: Header=BB266_376 Depth=1
	v_and_b32_e32 v20, 0x7f, v8
	v_cmp_ne_u32_e64 s[0:1], s25, v20
	v_mov_b32_e32 v19, 0x7c010000
	s_and_saveexec_b64 s[22:23], s[0:1]
	s_cbranch_execz .LBB266_698
; %bb.697:                              ;   in Loop: Header=BB266_376 Depth=1
	v_and_b32_e32 v19, 7, v8
	v_ffbh_u32_e32 v22, v19
	v_min_u32_e32 v56, 32, v22
	v_subrev_u32_e32 v22, 28, v56
	v_lshlrev_b64 v[22:23], v22, v[8:9]
	v_lshrrev_b32_e32 v21, 3, v20
	v_sub_u32_e32 v23, 29, v56
	v_cmp_gt_u32_e64 s[0:1], 8, v20
	v_lshlrev_b32_e32 v8, 8, v8
	s_nop 0
	v_cndmask_b32_e64 v20, v21, v23, s[0:1]
	v_lshl_add_u32 v20, v20, 10, v34
	v_and_b32_e32 v21, 7, v22
	v_and_or_b32 v8, v8, s29, v20
	v_cndmask_b32_e64 v19, v19, v21, s[0:1]
	v_lshlrev_b32_e32 v8, 16, v8
	v_lshl_or_b32 v19, v19, 23, v8
.LBB266_698:                            ;   in Loop: Header=BB266_376 Depth=1
	s_or_b64 exec, exec, s[22:23]
.LBB266_699:                            ;   in Loop: Header=BB266_376 Depth=1
	s_or_b64 exec, exec, s[14:15]
.LBB266_700:                            ;   in Loop: Header=BB266_376 Depth=1
	s_or_b64 exec, exec, s[12:13]
	v_mov_b32_e32 v8, v17
	v_cmp_ne_u16_sdwa s[0:1], v17, v9 src0_sel:BYTE_0 src1_sel:DWORD
	v_mov_b32_e32 v20, 0
	v_mov_b32_e32 v21, 0
	s_and_saveexec_b64 s[12:13], s[0:1]
	s_cbranch_execz .LBB266_706
; %bb.701:                              ;   in Loop: Header=BB266_376 Depth=1
	v_cmp_ne_u16_sdwa s[0:1], v17, s24 src0_sel:BYTE_0 src1_sel:DWORD
	v_mov_b32_e32 v21, 0x8000
	s_and_saveexec_b64 s[14:15], s[0:1]
	s_cbranch_execz .LBB266_705
; %bb.702:                              ;   in Loop: Header=BB266_376 Depth=1
	v_and_b32_e32 v22, 0x7f, v17
	v_cmp_ne_u32_e64 s[0:1], s25, v22
	v_mov_b32_e32 v21, 0x7c01
	s_and_saveexec_b64 s[22:23], s[0:1]
	s_cbranch_execz .LBB266_704
; %bb.703:                              ;   in Loop: Header=BB266_376 Depth=1
	v_and_b32_e32 v21, 7, v17
	v_ffbh_u32_e32 v56, v21
	v_min_u32_e32 v58, 32, v56
	v_subrev_u32_e32 v56, 28, v58
	v_lshlrev_b64 v[56:57], v56, v[8:9]
	v_lshrrev_b32_e32 v23, 3, v22
	v_sub_u32_e32 v57, 29, v58
	v_cmp_gt_u32_e64 s[0:1], 8, v22
	v_and_b32_e32 v56, 7, v56
	s_nop 0
	v_cndmask_b32_e64 v22, v23, v57, s[0:1]
	v_lshl_add_u32 v22, v22, 10, v34
	v_lshlrev_b32_e32 v23, 8, v17
	v_and_b32_e32 v22, 0xfc00, v22
	v_cndmask_b32_e64 v21, v21, v56, s[0:1]
	v_and_or_b32 v22, v23, s29, v22
	v_lshl_or_b32 v21, v21, 7, v22
.LBB266_704:                            ;   in Loop: Header=BB266_376 Depth=1
	s_or_b64 exec, exec, s[22:23]
.LBB266_705:                            ;   in Loop: Header=BB266_376 Depth=1
	s_or_b64 exec, exec, s[14:15]
.LBB266_706:                            ;   in Loop: Header=BB266_376 Depth=1
	s_or_b64 exec, exec, s[12:13]
	v_lshrrev_b16_e32 v8, 8, v8
	v_cmp_ne_u16_e64 s[0:1], 0, v8
	v_mov_b32_e32 v22, 0
	s_and_saveexec_b64 s[12:13], s[0:1]
	s_cbranch_execz .LBB266_712
; %bb.707:                              ;   in Loop: Header=BB266_376 Depth=1
	v_cmp_ne_u16_e64 s[0:1], s24, v8
	v_bfrev_b32_e32 v22, 1
	s_and_saveexec_b64 s[14:15], s[0:1]
	s_cbranch_execz .LBB266_711
; %bb.708:                              ;   in Loop: Header=BB266_376 Depth=1
	v_and_b32_e32 v23, 0x7f, v8
	v_cmp_ne_u32_e64 s[0:1], s25, v23
	v_mov_b32_e32 v22, 0x7c010000
	s_and_saveexec_b64 s[22:23], s[0:1]
	s_cbranch_execz .LBB266_710
; %bb.709:                              ;   in Loop: Header=BB266_376 Depth=1
	v_and_b32_e32 v22, 7, v8
	v_ffbh_u32_e32 v56, v22
	v_min_u32_e32 v59, 32, v56
	v_subrev_u32_e32 v56, 28, v59
	v_lshlrev_b64 v[56:57], v56, v[8:9]
	v_lshrrev_b32_e32 v58, 3, v23
	v_sub_u32_e32 v57, 29, v59
	v_cmp_gt_u32_e64 s[0:1], 8, v23
	v_lshlrev_b32_e32 v8, 8, v8
	v_and_b32_e32 v56, 7, v56
	v_cndmask_b32_e64 v23, v58, v57, s[0:1]
	v_lshl_add_u32 v23, v23, 10, v34
	v_and_or_b32 v8, v8, s29, v23
	v_cndmask_b32_e64 v22, v22, v56, s[0:1]
	v_lshlrev_b32_e32 v8, 16, v8
	v_lshl_or_b32 v22, v22, 23, v8
.LBB266_710:                            ;   in Loop: Header=BB266_376 Depth=1
	s_or_b64 exec, exec, s[22:23]
.LBB266_711:                            ;   in Loop: Header=BB266_376 Depth=1
	s_or_b64 exec, exec, s[14:15]
.LBB266_712:                            ;   in Loop: Header=BB266_376 Depth=1
	s_or_b64 exec, exec, s[12:13]
	v_lshrrev_b32_e32 v8, 16, v17
	v_cmp_ne_u16_sdwa s[0:1], v8, v9 src0_sel:BYTE_0 src1_sel:DWORD
	s_and_saveexec_b64 s[12:13], s[0:1]
	s_cbranch_execz .LBB266_718
; %bb.713:                              ;   in Loop: Header=BB266_376 Depth=1
	v_cmp_ne_u16_sdwa s[0:1], v8, s24 src0_sel:BYTE_0 src1_sel:DWORD
	v_mov_b32_e32 v20, 0x8000
	s_and_saveexec_b64 s[14:15], s[0:1]
	s_cbranch_execz .LBB266_717
; %bb.714:                              ;   in Loop: Header=BB266_376 Depth=1
	v_bfe_u32 v23, v17, 16, 7
	v_cmp_ne_u32_e64 s[0:1], s25, v23
	v_mov_b32_e32 v20, 0x7c01
	s_and_saveexec_b64 s[22:23], s[0:1]
	s_cbranch_execz .LBB266_716
; %bb.715:                              ;   in Loop: Header=BB266_376 Depth=1
	v_and_b32_e32 v20, 7, v8
	v_ffbh_u32_e32 v56, v20
	v_min_u32_e32 v59, 32, v56
	v_subrev_u32_e32 v56, 28, v59
	v_lshlrev_b64 v[56:57], v56, v[8:9]
	v_lshrrev_b32_e32 v58, 3, v23
	v_sub_u32_e32 v57, 29, v59
	v_cmp_gt_u32_e64 s[0:1], 8, v23
	v_lshlrev_b32_e32 v8, 8, v8
	v_and_b32_e32 v56, 7, v56
	v_cndmask_b32_e64 v23, v58, v57, s[0:1]
	v_lshl_add_u32 v23, v23, 10, v34
	v_and_b32_e32 v23, 0xfc00, v23
	v_cndmask_b32_e64 v20, v20, v56, s[0:1]
	v_and_or_b32 v8, v8, s29, v23
	v_lshl_or_b32 v20, v20, 7, v8
.LBB266_716:                            ;   in Loop: Header=BB266_376 Depth=1
	s_or_b64 exec, exec, s[22:23]
.LBB266_717:                            ;   in Loop: Header=BB266_376 Depth=1
	s_or_b64 exec, exec, s[14:15]
.LBB266_718:                            ;   in Loop: Header=BB266_376 Depth=1
	s_or_b64 exec, exec, s[12:13]
	v_cmp_lt_u64_e64 s[0:1], s[6:7], v[16:17]
	v_mov_b32_e32 v23, 0
	s_and_saveexec_b64 s[12:13], s[0:1]
	s_cbranch_execz .LBB266_724
; %bb.719:                              ;   in Loop: Header=BB266_376 Depth=1
	v_lshrrev_b32_e32 v8, 24, v17
	v_cmp_ne_u32_e64 s[0:1], s24, v8
	v_bfrev_b32_e32 v23, 1
	s_and_saveexec_b64 s[14:15], s[0:1]
	s_cbranch_execz .LBB266_723
; %bb.720:                              ;   in Loop: Header=BB266_376 Depth=1
	v_and_b32_e32 v16, 0x7f, v8
	v_cmp_ne_u32_e64 s[0:1], s25, v16
	v_mov_b32_e32 v23, 0x7c010000
	s_and_saveexec_b64 s[22:23], s[0:1]
	s_cbranch_execz .LBB266_722
; %bb.721:                              ;   in Loop: Header=BB266_376 Depth=1
	v_and_b32_e32 v17, 7, v8
	v_ffbh_u32_e32 v56, v17
	v_min_u32_e32 v58, 32, v56
	v_subrev_u32_e32 v56, 28, v58
	v_lshlrev_b64 v[56:57], v56, v[8:9]
	v_lshrrev_b32_e32 v23, 3, v16
	v_sub_u32_e32 v57, 29, v58
	v_cmp_gt_u32_e64 s[0:1], 8, v16
	v_lshlrev_b32_e32 v8, 8, v8
	s_nop 0
	v_cndmask_b32_e64 v16, v23, v57, s[0:1]
	v_lshl_add_u32 v16, v16, 10, v34
	v_and_b32_e32 v23, 7, v56
	v_and_or_b32 v8, v8, s29, v16
	v_cndmask_b32_e64 v17, v17, v23, s[0:1]
	v_lshlrev_b32_e32 v8, 16, v8
	v_lshl_or_b32 v23, v17, 23, v8
.LBB266_722:                            ;   in Loop: Header=BB266_376 Depth=1
	s_or_b64 exec, exec, s[22:23]
.LBB266_723:                            ;   in Loop: Header=BB266_376 Depth=1
	s_or_b64 exec, exec, s[14:15]
.LBB266_724:                            ;   in Loop: Header=BB266_376 Depth=1
	s_or_b64 exec, exec, s[12:13]
	v_cvt_f32_f16_sdwa v17, v1 dst_sel:DWORD dst_unused:UNUSED_PAD src0_sel:WORD_1
	v_cvt_f32_f16_sdwa v16, v19 dst_sel:DWORD dst_unused:UNUSED_PAD src0_sel:WORD_1
	v_or_b32_e32 v1, v1, v15
	v_or_b32_e32 v8, v19, v18
	v_cvt_f32_f16_e32 v18, v8
	v_cvt_f32_f16_e32 v19, v1
	s_waitcnt vmcnt(0)
	v_pk_mul_f32 v[16:17], v[14:15], v[16:17] op_sel_hi:[0,1]
	v_cvt_pk_f16_f32 v1, v16, v17
	v_and_b32_e32 v15, 0xffff0000, v1
	v_pk_mul_f32 v[18:19], v[14:15], v[18:19] op_sel_hi:[0,1]
	v_lshlrev_b32_e32 v16, 16, v1
	v_cvt_pk_f16_f32 v1, v18, v19
	v_or_b32_e32 v8, v22, v21
	v_or_b32_e32 v19, v23, v20
	v_cvt_f32_f16_e32 v20, v19
	v_cvt_f32_f16_e32 v21, v8
	v_cvt_f32_f16_sdwa v57, v22 dst_sel:DWORD dst_unused:UNUSED_PAD src0_sel:WORD_1
	v_cvt_f32_f16_sdwa v56, v23 dst_sel:DWORD dst_unused:UNUSED_PAD src0_sel:WORD_1
	v_lshrrev_b32_e32 v17, 16, v1
	v_pk_mul_f32 v[20:21], v[14:15], v[20:21] op_sel_hi:[0,1]
	v_cvt_pk_f16_f32 v22, v20, v21
	v_pk_mul_f32 v[20:21], v[14:15], v[56:57] op_sel_hi:[0,1]
	v_cvt_pk_f16_f32 v14, v20, v21
	v_and_b32_e32 v18, 0xffff, v1
	v_and_b32_e32 v19, 0xffff0000, v14
	v_lshlrev_b32_e32 v14, 16, v14
	v_lshrrev_b32_e32 v23, 16, v22
	v_and_b32_e32 v22, 0xffff, v22
	v_or_b32_e32 v1, v15, v17
	v_or_b32_e32 v8, v16, v18
	;; [unrolled: 1-line block ×4, first 2 shown]
	s_and_saveexec_b64 s[0:1], vcc
	s_cbranch_execz .LBB266_375
; %bb.725:                              ;   in Loop: Header=BB266_376 Depth=1
	v_cmp_gt_i32_e32 vcc, s27, v32
	s_nop 1
	v_cndmask_b32_e32 v1, 0, v17, vcc
	v_cmp_gt_i32_e32 vcc, s33, v41
	s_nop 1
	v_cndmask_b32_e32 v8, 0, v18, vcc
	;; [unrolled: 3-line block ×3, first 2 shown]
	v_cmp_gt_i32_e32 vcc, s33, v39
	v_or_b32_e32 v1, v15, v1
	s_nop 0
	v_cndmask_b32_e32 v16, 0, v16, vcc
	v_cmp_gt_i32_e32 vcc, s27, v38
	v_or_b32_e32 v8, v16, v8
	s_nop 0
	v_cndmask_b32_e32 v15, 0, v23, vcc
	v_cmp_gt_i32_e32 vcc, s33, v37
	s_nop 1
	v_cndmask_b32_e32 v16, 0, v22, vcc
	v_cmp_gt_i32_e32 vcc, s27, v36
	;; [unrolled: 3-line block ×3, first 2 shown]
	v_or_b32_e32 v21, v17, v15
	s_nop 0
	v_cndmask_b32_e32 v14, 0, v14, vcc
	v_or_b32_e32 v20, v14, v16
	s_branch .LBB266_375
.LBB266_726:
	s_or_b64 exec, exec, s[8:9]
.LBB266_727:
	s_or_b64 exec, exec, s[2:3]
	ds_bpermute_b32 v8, v28, v6
	ds_bpermute_b32 v9, v28, v7
	;; [unrolled: 1-line block ×6, first 2 shown]
	s_waitcnt lgkmcnt(4)
	v_pk_add_f32 v[6:7], v[6:7], v[8:9]
	ds_bpermute_b32 v8, v29, v6
	ds_bpermute_b32 v9, v29, v7
	;; [unrolled: 1-line block ×3, first 2 shown]
	s_waitcnt lgkmcnt(5)
	v_pk_add_f32 v[4:5], v[4:5], v[10:11]
	s_waitcnt lgkmcnt(3)
	v_pk_add_f32 v[2:3], v[2:3], v[12:13]
	ds_bpermute_b32 v10, v29, v4
	ds_bpermute_b32 v11, v29, v5
	;; [unrolled: 1-line block ×4, first 2 shown]
	s_waitcnt lgkmcnt(5)
	v_pk_add_f32 v[6:7], v[6:7], v[8:9]
	s_waitcnt lgkmcnt(4)
	v_add_f32_e32 v8, v31, v1
	ds_bpermute_b32 v9, v29, v8
	v_and_b32_e32 v1, 0x3c3, v0
	s_waitcnt lgkmcnt(3)
	v_pk_add_f32 v[4:5], v[4:5], v[10:11]
	s_waitcnt lgkmcnt(1)
	v_pk_add_f32 v[2:3], v[2:3], v[12:13]
	v_cmp_ne_u32_e32 vcc, 64, v1
	s_waitcnt lgkmcnt(0)
	s_barrier
	s_and_saveexec_b64 s[0:1], vcc
	s_xor_b64 s[0:1], exec, s[0:1]
; %bb.728:
                                        ; implicit-def: $vgpr27
; %bb.729:
	s_or_saveexec_b64 s[0:1], s[0:1]
	v_add_f32_e32 v8, v8, v9
	s_xor_b64 exec, exec, s[0:1]
	s_cbranch_execz .LBB266_731
; %bb.730:
	v_add_u32_e32 v9, 0xf0, v27
	ds_write2_b32 v9, v6, v7 offset1:16
	ds_write2_b32 v9, v4, v5 offset0:32 offset1:48
	ds_write2_b32 v9, v2, v3 offset0:64 offset1:80
	ds_write_b32 v9, v8 offset:384
.LBB266_731:
	s_or_b64 exec, exec, s[0:1]
	v_cmp_gt_u32_e32 vcc, 64, v0
	v_lshrrev_b32_e32 v0, 2, v0
	s_waitcnt lgkmcnt(0)
	s_barrier
	s_and_saveexec_b64 s[0:1], vcc
	s_cbranch_execz .LBB266_741
; %bb.732:
	v_mov_b32_e32 v9, 0xf0
	v_cmp_eq_u32_e32 vcc, 0, v30
	v_lshl_add_u32 v9, v0, 2, v9
	s_and_saveexec_b64 s[2:3], vcc
	s_cbranch_execnz .LBB266_744
; %bb.733:
	s_or_b64 exec, exec, s[2:3]
	s_and_saveexec_b64 s[2:3], vcc
	s_cbranch_execnz .LBB266_745
.LBB266_734:
	s_or_b64 exec, exec, s[2:3]
	s_and_saveexec_b64 s[2:3], vcc
	s_cbranch_execnz .LBB266_746
.LBB266_735:
	s_or_b64 exec, exec, s[2:3]
	s_and_saveexec_b64 s[2:3], vcc
	s_cbranch_execnz .LBB266_747
.LBB266_736:
	s_or_b64 exec, exec, s[2:3]
	s_and_saveexec_b64 s[2:3], vcc
	s_cbranch_execnz .LBB266_748
.LBB266_737:
	s_or_b64 exec, exec, s[2:3]
	s_and_saveexec_b64 s[2:3], vcc
	s_cbranch_execnz .LBB266_749
.LBB266_738:
	s_or_b64 exec, exec, s[2:3]
	s_and_saveexec_b64 s[2:3], vcc
	s_cbranch_execz .LBB266_740
.LBB266_739:
	ds_read_b32 v9, v9 offset:384
	s_waitcnt lgkmcnt(0)
	v_add_f32_e32 v8, v8, v9
.LBB266_740:
	s_or_b64 exec, exec, s[2:3]
.LBB266_741:
	s_or_b64 exec, exec, s[0:1]
	v_cmp_eq_u32_e32 vcc, 0, v1
	s_barrier
	s_and_saveexec_b64 s[0:1], vcc
	s_cbranch_execz .LBB266_743
; %bb.742:
	s_mul_i32 s0, s16, s17
	s_mul_i32 s0, s0, s5
	s_mulk_i32 s0, 0x70
	s_ashr_i32 s1, s0, 31
	s_lshl_b64 s[0:1], s[0:1], 1
	s_add_u32 s2, s20, s0
	s_mul_i32 s0, s17, s18
	s_addc_u32 s3, s21, s1
	s_ashr_i32 s1, s0, 31
	s_lshl_b64 s[0:1], s[0:1], 1
	s_add_u32 s2, s2, s0
	s_mul_i32 s0, s4, 0x70
	s_addc_u32 s3, s3, s1
	s_ashr_i32 s1, s0, 31
	s_lshl_b64 s[0:1], s[0:1], 1
	s_add_u32 s0, s2, s0
	s_addc_u32 s1, s3, s1
	v_lshlrev_b32_e32 v0, 1, v0
	;;#ASMSTART
	v_cvt_f16_f32 v1, v6;

	;;#ASMEND
	global_store_short v0, v1, s[0:1]
	;;#ASMSTART
	v_cvt_f16_f32 v1, v7;

	;;#ASMEND
	global_store_short v0, v1, s[0:1] offset:32
	;;#ASMSTART
	v_cvt_f16_f32 v1, v4;

	;;#ASMEND
	global_store_short v0, v1, s[0:1] offset:64
	;; [unrolled: 5-line block ×6, first 2 shown]
.LBB266_743:
	s_endpgm
.LBB266_744:
	ds_read_b32 v10, v9
	s_waitcnt lgkmcnt(0)
	v_add_f32_e32 v6, v6, v10
	s_or_b64 exec, exec, s[2:3]
	s_and_saveexec_b64 s[2:3], vcc
	s_cbranch_execz .LBB266_734
.LBB266_745:
	ds_read_b32 v10, v9 offset:64
	s_waitcnt lgkmcnt(0)
	v_add_f32_e32 v7, v7, v10
	s_or_b64 exec, exec, s[2:3]
	s_and_saveexec_b64 s[2:3], vcc
	s_cbranch_execz .LBB266_735
.LBB266_746:
	ds_read_b32 v10, v9 offset:128
	s_waitcnt lgkmcnt(0)
	v_add_f32_e32 v4, v4, v10
	s_or_b64 exec, exec, s[2:3]
	s_and_saveexec_b64 s[2:3], vcc
	s_cbranch_execz .LBB266_736
.LBB266_747:
	ds_read_b32 v10, v9 offset:192
	s_waitcnt lgkmcnt(0)
	v_add_f32_e32 v5, v5, v10
	s_or_b64 exec, exec, s[2:3]
	s_and_saveexec_b64 s[2:3], vcc
	s_cbranch_execz .LBB266_737
.LBB266_748:
	ds_read_b32 v10, v9 offset:256
	s_waitcnt lgkmcnt(0)
	v_add_f32_e32 v2, v2, v10
	s_or_b64 exec, exec, s[2:3]
	s_and_saveexec_b64 s[2:3], vcc
	s_cbranch_execz .LBB266_738
.LBB266_749:
	ds_read_b32 v10, v9 offset:320
	s_waitcnt lgkmcnt(0)
	v_add_f32_e32 v3, v3, v10
	s_or_b64 exec, exec, s[2:3]
	s_and_saveexec_b64 s[2:3], vcc
	s_cbranch_execnz .LBB266_739
	s_branch .LBB266_740
	.section	.rodata,"a",@progbits
	.p2align	6, 0x0
	.amdhsa_kernel _ZN4vllm25paged_attention_v1_kernelIthLi112ELi32ELi128ELNS_18Fp8KVCacheDataTypeE1ELb0EEEvPT_PKS2_PKT0_S8_ifPKiSA_iPKfiiiSC_SC_iiiii
		.amdhsa_group_segment_fixed_size 240
		.amdhsa_private_segment_fixed_size 0
		.amdhsa_kernarg_size 384
		.amdhsa_user_sgpr_count 2
		.amdhsa_user_sgpr_dispatch_ptr 0
		.amdhsa_user_sgpr_queue_ptr 0
		.amdhsa_user_sgpr_kernarg_segment_ptr 1
		.amdhsa_user_sgpr_dispatch_id 0
		.amdhsa_user_sgpr_kernarg_preload_length 0
		.amdhsa_user_sgpr_kernarg_preload_offset 0
		.amdhsa_user_sgpr_private_segment_size 0
		.amdhsa_uses_dynamic_stack 0
		.amdhsa_enable_private_segment 0
		.amdhsa_system_sgpr_workgroup_id_x 1
		.amdhsa_system_sgpr_workgroup_id_y 1
		.amdhsa_system_sgpr_workgroup_id_z 1
		.amdhsa_system_sgpr_workgroup_info 0
		.amdhsa_system_vgpr_workitem_id 0
		.amdhsa_next_free_vgpr 84
		.amdhsa_next_free_sgpr 46
		.amdhsa_accum_offset 84
		.amdhsa_reserve_vcc 1
		.amdhsa_float_round_mode_32 0
		.amdhsa_float_round_mode_16_64 0
		.amdhsa_float_denorm_mode_32 3
		.amdhsa_float_denorm_mode_16_64 3
		.amdhsa_dx10_clamp 1
		.amdhsa_ieee_mode 1
		.amdhsa_fp16_overflow 0
		.amdhsa_tg_split 0
		.amdhsa_exception_fp_ieee_invalid_op 0
		.amdhsa_exception_fp_denorm_src 0
		.amdhsa_exception_fp_ieee_div_zero 0
		.amdhsa_exception_fp_ieee_overflow 0
		.amdhsa_exception_fp_ieee_underflow 0
		.amdhsa_exception_fp_ieee_inexact 0
		.amdhsa_exception_int_div_zero 0
	.end_amdhsa_kernel
	.section	.text._ZN4vllm25paged_attention_v1_kernelIthLi112ELi32ELi128ELNS_18Fp8KVCacheDataTypeE1ELb0EEEvPT_PKS2_PKT0_S8_ifPKiSA_iPKfiiiSC_SC_iiiii,"axG",@progbits,_ZN4vllm25paged_attention_v1_kernelIthLi112ELi32ELi128ELNS_18Fp8KVCacheDataTypeE1ELb0EEEvPT_PKS2_PKT0_S8_ifPKiSA_iPKfiiiSC_SC_iiiii,comdat
.Lfunc_end266:
	.size	_ZN4vllm25paged_attention_v1_kernelIthLi112ELi32ELi128ELNS_18Fp8KVCacheDataTypeE1ELb0EEEvPT_PKS2_PKT0_S8_ifPKiSA_iPKfiiiSC_SC_iiiii, .Lfunc_end266-_ZN4vllm25paged_attention_v1_kernelIthLi112ELi32ELi128ELNS_18Fp8KVCacheDataTypeE1ELb0EEEvPT_PKS2_PKT0_S8_ifPKiSA_iPKfiiiSC_SC_iiiii
                                        ; -- End function
	.set _ZN4vllm25paged_attention_v1_kernelIthLi112ELi32ELi128ELNS_18Fp8KVCacheDataTypeE1ELb0EEEvPT_PKS2_PKT0_S8_ifPKiSA_iPKfiiiSC_SC_iiiii.num_vgpr, 84
	.set _ZN4vllm25paged_attention_v1_kernelIthLi112ELi32ELi128ELNS_18Fp8KVCacheDataTypeE1ELb0EEEvPT_PKS2_PKT0_S8_ifPKiSA_iPKfiiiSC_SC_iiiii.num_agpr, 0
	.set _ZN4vllm25paged_attention_v1_kernelIthLi112ELi32ELi128ELNS_18Fp8KVCacheDataTypeE1ELb0EEEvPT_PKS2_PKT0_S8_ifPKiSA_iPKfiiiSC_SC_iiiii.numbered_sgpr, 46
	.set _ZN4vllm25paged_attention_v1_kernelIthLi112ELi32ELi128ELNS_18Fp8KVCacheDataTypeE1ELb0EEEvPT_PKS2_PKT0_S8_ifPKiSA_iPKfiiiSC_SC_iiiii.num_named_barrier, 0
	.set _ZN4vllm25paged_attention_v1_kernelIthLi112ELi32ELi128ELNS_18Fp8KVCacheDataTypeE1ELb0EEEvPT_PKS2_PKT0_S8_ifPKiSA_iPKfiiiSC_SC_iiiii.private_seg_size, 0
	.set _ZN4vllm25paged_attention_v1_kernelIthLi112ELi32ELi128ELNS_18Fp8KVCacheDataTypeE1ELb0EEEvPT_PKS2_PKT0_S8_ifPKiSA_iPKfiiiSC_SC_iiiii.uses_vcc, 1
	.set _ZN4vllm25paged_attention_v1_kernelIthLi112ELi32ELi128ELNS_18Fp8KVCacheDataTypeE1ELb0EEEvPT_PKS2_PKT0_S8_ifPKiSA_iPKfiiiSC_SC_iiiii.uses_flat_scratch, 0
	.set _ZN4vllm25paged_attention_v1_kernelIthLi112ELi32ELi128ELNS_18Fp8KVCacheDataTypeE1ELb0EEEvPT_PKS2_PKT0_S8_ifPKiSA_iPKfiiiSC_SC_iiiii.has_dyn_sized_stack, 0
	.set _ZN4vllm25paged_attention_v1_kernelIthLi112ELi32ELi128ELNS_18Fp8KVCacheDataTypeE1ELb0EEEvPT_PKS2_PKT0_S8_ifPKiSA_iPKfiiiSC_SC_iiiii.has_recursion, 0
	.set _ZN4vllm25paged_attention_v1_kernelIthLi112ELi32ELi128ELNS_18Fp8KVCacheDataTypeE1ELb0EEEvPT_PKS2_PKT0_S8_ifPKiSA_iPKfiiiSC_SC_iiiii.has_indirect_call, 0
	.section	.AMDGPU.csdata,"",@progbits
; Kernel info:
; codeLenInByte = 32164
; TotalNumSgprs: 52
; NumVgprs: 84
; NumAgprs: 0
; TotalNumVgprs: 84
; ScratchSize: 0
; MemoryBound: 0
; FloatMode: 240
; IeeeMode: 1
; LDSByteSize: 240 bytes/workgroup (compile time only)
; SGPRBlocks: 6
; VGPRBlocks: 10
; NumSGPRsForWavesPerEU: 52
; NumVGPRsForWavesPerEU: 84
; AccumOffset: 84
; Occupancy: 5
; WaveLimiterHint : 1
; COMPUTE_PGM_RSRC2:SCRATCH_EN: 0
; COMPUTE_PGM_RSRC2:USER_SGPR: 2
; COMPUTE_PGM_RSRC2:TRAP_HANDLER: 0
; COMPUTE_PGM_RSRC2:TGID_X_EN: 1
; COMPUTE_PGM_RSRC2:TGID_Y_EN: 1
; COMPUTE_PGM_RSRC2:TGID_Z_EN: 1
; COMPUTE_PGM_RSRC2:TIDIG_COMP_CNT: 0
; COMPUTE_PGM_RSRC3_GFX90A:ACCUM_OFFSET: 20
; COMPUTE_PGM_RSRC3_GFX90A:TG_SPLIT: 0
	.section	.text._ZN4vllm25paged_attention_v1_kernelIthLi120ELi32ELi128ELNS_18Fp8KVCacheDataTypeE1ELb0EEEvPT_PKS2_PKT0_S8_ifPKiSA_iPKfiiiSC_SC_iiiii,"axG",@progbits,_ZN4vllm25paged_attention_v1_kernelIthLi120ELi32ELi128ELNS_18Fp8KVCacheDataTypeE1ELb0EEEvPT_PKS2_PKT0_S8_ifPKiSA_iPKfiiiSC_SC_iiiii,comdat
	.protected	_ZN4vllm25paged_attention_v1_kernelIthLi120ELi32ELi128ELNS_18Fp8KVCacheDataTypeE1ELb0EEEvPT_PKS2_PKT0_S8_ifPKiSA_iPKfiiiSC_SC_iiiii ; -- Begin function _ZN4vllm25paged_attention_v1_kernelIthLi120ELi32ELi128ELNS_18Fp8KVCacheDataTypeE1ELb0EEEvPT_PKS2_PKT0_S8_ifPKiSA_iPKfiiiSC_SC_iiiii
	.globl	_ZN4vllm25paged_attention_v1_kernelIthLi120ELi32ELi128ELNS_18Fp8KVCacheDataTypeE1ELb0EEEvPT_PKS2_PKT0_S8_ifPKiSA_iPKfiiiSC_SC_iiiii
	.p2align	8
	.type	_ZN4vllm25paged_attention_v1_kernelIthLi120ELi32ELi128ELNS_18Fp8KVCacheDataTypeE1ELb0EEEvPT_PKS2_PKT0_S8_ifPKiSA_iPKfiiiSC_SC_iiiii,@function
_ZN4vllm25paged_attention_v1_kernelIthLi120ELi32ELi128ELNS_18Fp8KVCacheDataTypeE1ELb0EEEvPT_PKS2_PKT0_S8_ifPKiSA_iPKfiiiSC_SC_iiiii: ; @_ZN4vllm25paged_attention_v1_kernelIthLi120ELi32ELi128ELNS_18Fp8KVCacheDataTypeE1ELb0EEEvPT_PKS2_PKT0_S8_ifPKiSA_iPKfiiiSC_SC_iiiii
; %bb.0:
	s_load_dword s5, s[0:1], 0x80
	s_load_dwordx2 s[6:7], s[0:1], 0x30
	s_load_dwordx2 s[28:29], s[0:1], 0x20
	s_mov_b32 s16, s3
	s_ashr_i32 s17, s3, 31
	s_lshl_b64 s[8:9], s[16:17], 2
	s_waitcnt lgkmcnt(0)
	s_add_u32 s6, s6, s8
	s_addc_u32 s7, s7, s9
	s_abs_i32 s3, s28
	v_cvt_f32_u32_e32 v1, s3
	s_sub_i32 s10, 0, s3
	s_abs_i32 s9, s5
	s_xor_b32 s8, s5, s28
	v_rcp_iflag_f32_e32 v1, v1
	s_ashr_i32 s8, s8, 31
	s_mov_b32 s28, 0
	v_mul_f32_e32 v1, 0x4f7ffffe, v1
	v_cvt_u32_f32_e32 v1, v1
	s_nop 0
	v_readfirstlane_b32 s11, v1
	s_mul_i32 s10, s10, s11
	s_mul_hi_u32 s10, s11, s10
	s_add_i32 s11, s11, s10
	s_mul_hi_u32 s10, s9, s11
	s_mul_i32 s11, s10, s3
	s_sub_i32 s9, s9, s11
	s_add_i32 s11, s10, 1
	s_sub_i32 s12, s9, s3
	s_cmp_ge_u32 s9, s3
	s_cselect_b32 s10, s11, s10
	s_cselect_b32 s9, s12, s9
	s_add_i32 s11, s10, 1
	s_cmp_ge_u32 s9, s3
	s_cselect_b32 s3, s11, s10
	s_xor_b32 s3, s3, s8
	s_sub_i32 s12, s3, s8
	s_abs_i32 s10, s12
	v_cvt_f32_u32_e32 v1, s10
	s_load_dwordx2 s[8:9], s[0:1], 0x40
	s_sub_i32 s3, 0, s10
	s_abs_i32 s11, s2
	v_rcp_iflag_f32_e32 v1, v1
	s_nop 0
	v_mul_f32_e32 v1, 0x4f7ffffe, v1
	v_cvt_u32_f32_e32 v1, v1
	s_nop 0
	v_readfirstlane_b32 s13, v1
	s_mul_i32 s3, s3, s13
	s_mul_hi_u32 s3, s13, s3
	s_add_i32 s13, s13, s3
	s_waitcnt lgkmcnt(0)
	s_cmp_eq_u64 s[8:9], 0
	s_mul_hi_u32 s17, s11, s13
	s_cbranch_scc1 .LBB267_2
; %bb.1:
	s_ashr_i32 s3, s2, 31
	s_lshl_b64 s[14:15], s[2:3], 2
	s_add_u32 s8, s8, s14
	s_addc_u32 s9, s9, s15
	s_load_dword s28, s[8:9], 0x0
.LBB267_2:
	s_load_dword s33, s[6:7], 0x0
	s_ashr_i32 s7, s12, 31
	s_load_dwordx4 s[12:15], s[0:1], 0x48
	s_ashr_i32 s6, s2, 31
	v_and_b32_e32 v4, 1, v0
	s_movk_i32 s8, 0x78
	s_mul_i32 s18, s2, 0x78
	v_cmp_gt_u32_e32 vcc, 30, v0
	v_lshlrev_b32_e32 v1, 3, v0
	s_and_saveexec_b64 s[2:3], vcc
	s_cbranch_execz .LBB267_4
; %bb.3:
	s_load_dwordx2 s[20:21], s[0:1], 0x8
	s_waitcnt lgkmcnt(0)
	s_mul_i32 s22, s12, s16
	s_ashr_i32 s23, s22, 31
	s_lshl_b64 s[22:23], s[22:23], 1
	v_lshlrev_b32_e32 v5, 2, v0
	s_add_u32 s9, s20, s22
	s_addc_u32 s12, s21, s23
	s_ashr_i32 s19, s18, 31
	s_lshl_b64 s[20:21], s[18:19], 1
	s_add_u32 s20, s9, s20
	s_addc_u32 s21, s12, s21
	global_load_dwordx2 v[2:3], v1, s[20:21]
	v_and_b32_e32 v5, 0xff8, v5
	v_mad_u32_u24 v5, v4, s8, v5
	s_waitcnt vmcnt(0)
	ds_write_b64 v5, v[2:3]
.LBB267_4:
	s_or_b64 exec, exec, s[2:3]
	s_waitcnt lgkmcnt(0)
	s_add_i32 s3, s33, 31
	s_ashr_i32 s8, s3, 31
	s_lshr_b32 s8, s8, 27
	s_add_i32 s3, s3, s8
	s_ashr_i32 s19, s3, 5
	s_xor_b32 s3, s6, s7
	s_mul_i32 s6, s17, s10
	s_sub_i32 s6, s11, s6
	s_add_i32 s7, s17, 1
	s_sub_i32 s8, s6, s10
	s_load_dwordx2 s[22:23], s[0:1], 0x28
	s_load_dword s2, s[0:1], 0x38
	s_cmp_ge_u32 s6, s10
	s_cselect_b32 s7, s7, s17
	s_cselect_b32 s6, s8, s6
	s_add_i32 s8, s7, 1
	s_cmp_ge_u32 s6, s10
	s_cselect_b32 s6, s8, s7
	v_lshrrev_b32_e32 v34, 6, v0
	s_xor_b32 s6, s6, s3
	s_waitcnt lgkmcnt(0)
	s_mul_i32 s24, s2, s16
	s_sub_i32 s12, s6, s3
	s_ashr_i32 s25, s24, 31
	v_cmp_le_i32_e64 s[6:7], s19, v34
	v_mbcnt_lo_u32_b32 v9, -1, 0
	s_barrier
                                        ; implicit-def: $vgpr11
                                        ; implicit-def: $vgpr2
                                        ; implicit-def: $vgpr8
	s_and_saveexec_b64 s[2:3], s[6:7]
	s_xor_b64 s[2:3], exec, s[2:3]
; %bb.5:
	v_mbcnt_hi_u32_b32 v11, -1, v9
	v_and_b32_e32 v2, 64, v11
	v_add_u32_e32 v8, 64, v2
                                        ; implicit-def: $vgpr4
                                        ; implicit-def: $vgpr9
; %bb.6:
	s_or_saveexec_b64 s[30:31], s[2:3]
	s_load_dwordx2 s[20:21], s[0:1], 0x0
	s_load_dwordx2 s[26:27], s[0:1], 0x18
	s_load_dword s17, s[0:1], 0x88
	s_load_dwordx4 s[8:11], s[0:1], 0x58
	v_mov_b32_e32 v13, 0xff7fffff
	s_mul_i32 s12, s12, s14
	v_lshrrev_b32_e32 v12, 4, v0
	s_xor_b64 exec, exec, s[30:31]
	s_cbranch_execz .LBB267_372
; %bb.7:
	s_load_dwordx2 s[0:1], s[0:1], 0x10
	s_ashr_i32 s2, s12, 31
	v_bfe_u32 v8, v0, 1, 5
	v_lshlrev_b32_e32 v2, 4, v8
	v_mov_b32_e32 v3, 0
	s_waitcnt lgkmcnt(0)
	s_add_u32 s0, s0, s12
	s_addc_u32 s1, s1, s2
	v_lshl_add_u64 v[6:7], s[0:1], 0, v[2:3]
	v_lshlrev_b32_e32 v2, 2, v4
	v_mul_u32_u24_e32 v14, 0x78, v4
	v_cmp_eq_u32_e32 vcc, 0, v4
	v_lshl_add_u64 v[4:5], v[6:7], 0, v[2:3]
	s_sub_i32 s41, 1, s33
	v_lshlrev_b32_e32 v2, 2, v8
	s_lshl_b64 s[0:1], s[24:25], 2
	v_lshl_or_b32 v2, v34, 7, v2
	s_add_u32 s0, s22, s0
	v_add_u32_e32 v16, 0x100, v2
	v_and_b32_e32 v2, 60, v12
	s_addc_u32 s1, s23, s1
	s_mov_b32 s40, s13
	v_cmp_neq_f32_e64 s[2:3], s28, 0
	v_lshl_or_b32 v15, v34, 5, v8
	v_lshl_add_u64 v[6:7], s[0:1], 0, v[2:3]
	v_mov_b32_e32 v13, 0xff7fffff
	s_mov_b64 s[14:15], 0
	s_movk_i32 s42, 0x80
	s_movk_i32 s43, 0x7f
	s_mov_b32 s44, 0x8000
	s_mov_b32 s45, 0xffffff
	v_mbcnt_hi_u32_b32 v11, -1, v9
	v_mov_b32_e32 v17, 0x2000
	v_mov_b32_e32 v18, v34
	s_branch .LBB267_9
.LBB267_8:                              ;   in Loop: Header=BB267_9 Depth=1
	s_or_b64 exec, exec, s[34:35]
	v_add_u32_e32 v18, 2, v18
	v_cmp_le_i32_e64 s[0:1], s19, v18
	v_add_u32_e32 v15, 64, v15
	v_add_u32_e32 v16, 0x100, v16
	s_or_b64 s[14:15], s[0:1], s[14:15]
	v_lshl_add_u64 v[6:7], v[6:7], 0, 8
	s_andn2_b64 exec, exec, s[14:15]
	s_cbranch_execz .LBB267_371
.LBB267_9:                              ; =>This Inner Loop Header: Depth=1
	global_load_dword v2, v[6:7], off
	v_mov_b32_e32 v20, 0
	s_waitcnt vmcnt(0)
	v_mad_i64_i32 v[8:9], s[0:1], v2, s40, v[4:5]
	s_waitcnt lgkmcnt(0)
	global_load_dword v10, v[8:9], off
	global_load_dword v19, v3, s[8:9]
	s_waitcnt vmcnt(1)
	v_cmp_ne_u16_sdwa s[0:1], v10, v3 src0_sel:BYTE_0 src1_sel:DWORD
	s_and_saveexec_b64 s[34:35], s[0:1]
	s_cbranch_execz .LBB267_15
; %bb.10:                               ;   in Loop: Header=BB267_9 Depth=1
	v_cmp_ne_u16_sdwa s[0:1], v10, s42 src0_sel:BYTE_0 src1_sel:DWORD
	v_mov_b32_e32 v20, 0x8000
	s_and_saveexec_b64 s[36:37], s[0:1]
	s_cbranch_execz .LBB267_14
; %bb.11:                               ;   in Loop: Header=BB267_9 Depth=1
	v_and_b32_e32 v2, 0x7f, v10
	v_cmp_ne_u32_e64 s[0:1], s43, v2
	v_mov_b32_e32 v20, 0x7c01
	s_and_saveexec_b64 s[38:39], s[0:1]
	s_cbranch_execz .LBB267_13
; %bb.12:                               ;   in Loop: Header=BB267_9 Depth=1
	v_and_b32_e32 v22, 7, v10
	v_ffbh_u32_e32 v20, v22
	v_min_u32_e32 v24, 32, v20
	v_subrev_u32_e32 v20, 28, v24
	v_lshlrev_b64 v[20:21], v20, v[10:11]
	v_lshrrev_b32_e32 v23, 3, v2
	v_sub_u32_e32 v21, 29, v24
	v_cmp_gt_u32_e64 s[0:1], 8, v2
	v_and_b32_e32 v20, 7, v20
	s_nop 0
	v_cndmask_b32_e64 v2, v23, v21, s[0:1]
	v_lshl_add_u32 v2, v2, 10, v17
	v_lshlrev_b32_e32 v21, 8, v10
	v_and_b32_e32 v2, 0xfc00, v2
	v_cndmask_b32_e64 v20, v22, v20, s[0:1]
	v_and_or_b32 v2, v21, s44, v2
	v_lshl_or_b32 v20, v20, 7, v2
.LBB267_13:                             ;   in Loop: Header=BB267_9 Depth=1
	s_or_b64 exec, exec, s[38:39]
.LBB267_14:                             ;   in Loop: Header=BB267_9 Depth=1
	s_or_b64 exec, exec, s[36:37]
.LBB267_15:                             ;   in Loop: Header=BB267_9 Depth=1
	s_or_b64 exec, exec, s[34:35]
	v_lshrrev_b16_e32 v2, 8, v10
	v_cmp_ne_u16_e64 s[0:1], 0, v2
	v_mov_b32_e32 v21, 0
	v_mov_b32_e32 v22, 0
	s_and_saveexec_b64 s[34:35], s[0:1]
	s_cbranch_execz .LBB267_21
; %bb.16:                               ;   in Loop: Header=BB267_9 Depth=1
	v_cmp_ne_u16_e64 s[0:1], s42, v2
	v_bfrev_b32_e32 v22, 1
	s_and_saveexec_b64 s[36:37], s[0:1]
	s_cbranch_execz .LBB267_20
; %bb.17:                               ;   in Loop: Header=BB267_9 Depth=1
	v_and_b32_e32 v23, 0x7f, v2
	v_cmp_ne_u32_e64 s[0:1], s43, v23
	v_mov_b32_e32 v22, 0x7c010000
	s_and_saveexec_b64 s[38:39], s[0:1]
	s_cbranch_execz .LBB267_19
; %bb.18:                               ;   in Loop: Header=BB267_9 Depth=1
	v_and_b32_e32 v22, 7, v2
	v_ffbh_u32_e32 v24, v22
	v_min_u32_e32 v27, 32, v24
	v_subrev_u32_e32 v24, 28, v27
	v_lshlrev_b64 v[24:25], v24, v[2:3]
	v_lshrrev_b32_e32 v26, 3, v23
	v_sub_u32_e32 v25, 29, v27
	v_cmp_gt_u32_e64 s[0:1], 8, v23
	v_lshlrev_b32_e32 v2, 8, v2
	v_and_b32_e32 v24, 7, v24
	v_cndmask_b32_e64 v23, v26, v25, s[0:1]
	v_lshl_add_u32 v23, v23, 10, v17
	v_and_or_b32 v2, v2, s44, v23
	v_cndmask_b32_e64 v22, v22, v24, s[0:1]
	v_lshlrev_b32_e32 v2, 16, v2
	v_lshl_or_b32 v22, v22, 23, v2
.LBB267_19:                             ;   in Loop: Header=BB267_9 Depth=1
	s_or_b64 exec, exec, s[38:39]
.LBB267_20:                             ;   in Loop: Header=BB267_9 Depth=1
	s_or_b64 exec, exec, s[36:37]
.LBB267_21:                             ;   in Loop: Header=BB267_9 Depth=1
	s_or_b64 exec, exec, s[34:35]
	v_lshrrev_b32_e32 v2, 16, v10
	v_cmp_ne_u16_sdwa s[0:1], v2, v3 src0_sel:BYTE_0 src1_sel:DWORD
	s_and_saveexec_b64 s[34:35], s[0:1]
	s_cbranch_execz .LBB267_27
; %bb.22:                               ;   in Loop: Header=BB267_9 Depth=1
	v_cmp_ne_u16_sdwa s[0:1], v2, s42 src0_sel:BYTE_0 src1_sel:DWORD
	v_mov_b32_e32 v21, 0x8000
	s_and_saveexec_b64 s[36:37], s[0:1]
	s_cbranch_execz .LBB267_26
; %bb.23:                               ;   in Loop: Header=BB267_9 Depth=1
	v_bfe_u32 v23, v10, 16, 7
	v_cmp_ne_u32_e64 s[0:1], s43, v23
	v_mov_b32_e32 v21, 0x7c01
	s_and_saveexec_b64 s[38:39], s[0:1]
	s_cbranch_execz .LBB267_25
; %bb.24:                               ;   in Loop: Header=BB267_9 Depth=1
	v_and_b32_e32 v21, 7, v2
	v_ffbh_u32_e32 v24, v21
	v_min_u32_e32 v27, 32, v24
	v_subrev_u32_e32 v24, 28, v27
	v_lshlrev_b64 v[24:25], v24, v[2:3]
	v_lshrrev_b32_e32 v26, 3, v23
	v_sub_u32_e32 v25, 29, v27
	v_cmp_gt_u32_e64 s[0:1], 8, v23
	v_lshlrev_b32_e32 v2, 8, v2
	v_and_b32_e32 v24, 7, v24
	v_cndmask_b32_e64 v23, v26, v25, s[0:1]
	v_lshl_add_u32 v23, v23, 10, v17
	v_and_b32_e32 v23, 0xfc00, v23
	v_cndmask_b32_e64 v21, v21, v24, s[0:1]
	v_and_or_b32 v2, v2, s44, v23
	v_lshl_or_b32 v21, v21, 7, v2
.LBB267_25:                             ;   in Loop: Header=BB267_9 Depth=1
	s_or_b64 exec, exec, s[38:39]
.LBB267_26:                             ;   in Loop: Header=BB267_9 Depth=1
	s_or_b64 exec, exec, s[36:37]
.LBB267_27:                             ;   in Loop: Header=BB267_9 Depth=1
	s_or_b64 exec, exec, s[34:35]
	v_cmp_lt_u32_e64 s[0:1], s45, v10
	v_mov_b32_e32 v24, 0
	v_mov_b32_e32 v23, 0
	s_and_saveexec_b64 s[34:35], s[0:1]
	s_cbranch_execz .LBB267_33
; %bb.28:                               ;   in Loop: Header=BB267_9 Depth=1
	v_lshrrev_b32_e32 v2, 24, v10
	v_cmp_ne_u32_e64 s[0:1], s42, v2
	v_bfrev_b32_e32 v23, 1
	s_and_saveexec_b64 s[36:37], s[0:1]
	s_cbranch_execz .LBB267_32
; %bb.29:                               ;   in Loop: Header=BB267_9 Depth=1
	v_and_b32_e32 v10, 0x7f, v2
	v_cmp_ne_u32_e64 s[0:1], s43, v10
	v_mov_b32_e32 v23, 0x7c010000
	s_and_saveexec_b64 s[38:39], s[0:1]
	s_cbranch_execz .LBB267_31
; %bb.30:                               ;   in Loop: Header=BB267_9 Depth=1
	v_and_b32_e32 v23, 7, v2
	v_ffbh_u32_e32 v26, v23
	v_min_u32_e32 v28, 32, v26
	v_subrev_u32_e32 v26, 28, v28
	v_lshlrev_b64 v[26:27], v26, v[2:3]
	v_lshrrev_b32_e32 v25, 3, v10
	v_sub_u32_e32 v27, 29, v28
	v_cmp_gt_u32_e64 s[0:1], 8, v10
	v_lshlrev_b32_e32 v2, 8, v2
	s_nop 0
	v_cndmask_b32_e64 v10, v25, v27, s[0:1]
	v_lshl_add_u32 v10, v10, 10, v17
	v_and_b32_e32 v25, 7, v26
	v_and_or_b32 v2, v2, s44, v10
	v_cndmask_b32_e64 v23, v23, v25, s[0:1]
	v_lshlrev_b32_e32 v2, 16, v2
	v_lshl_or_b32 v23, v23, 23, v2
.LBB267_31:                             ;   in Loop: Header=BB267_9 Depth=1
	s_or_b64 exec, exec, s[38:39]
.LBB267_32:                             ;   in Loop: Header=BB267_9 Depth=1
	s_or_b64 exec, exec, s[36:37]
.LBB267_33:                             ;   in Loop: Header=BB267_9 Depth=1
	s_or_b64 exec, exec, s[34:35]
	global_load_dword v10, v[8:9], off offset:8
	s_waitcnt vmcnt(0)
	v_cmp_ne_u16_sdwa s[0:1], v10, v3 src0_sel:BYTE_0 src1_sel:DWORD
	s_and_saveexec_b64 s[34:35], s[0:1]
	s_cbranch_execz .LBB267_39
; %bb.34:                               ;   in Loop: Header=BB267_9 Depth=1
	v_cmp_ne_u16_sdwa s[0:1], v10, s42 src0_sel:BYTE_0 src1_sel:DWORD
	v_mov_b32_e32 v24, 0x8000
	s_and_saveexec_b64 s[36:37], s[0:1]
	s_cbranch_execz .LBB267_38
; %bb.35:                               ;   in Loop: Header=BB267_9 Depth=1
	v_and_b32_e32 v2, 0x7f, v10
	v_cmp_ne_u32_e64 s[0:1], s43, v2
	v_mov_b32_e32 v24, 0x7c01
	s_and_saveexec_b64 s[38:39], s[0:1]
	s_cbranch_execz .LBB267_37
; %bb.36:                               ;   in Loop: Header=BB267_9 Depth=1
	v_and_b32_e32 v26, 7, v10
	v_ffbh_u32_e32 v24, v26
	v_min_u32_e32 v28, 32, v24
	v_subrev_u32_e32 v24, 28, v28
	v_lshlrev_b64 v[24:25], v24, v[10:11]
	v_lshrrev_b32_e32 v27, 3, v2
	v_sub_u32_e32 v25, 29, v28
	v_cmp_gt_u32_e64 s[0:1], 8, v2
	v_and_b32_e32 v24, 7, v24
	s_nop 0
	v_cndmask_b32_e64 v2, v27, v25, s[0:1]
	v_lshl_add_u32 v2, v2, 10, v17
	v_lshlrev_b32_e32 v25, 8, v10
	v_and_b32_e32 v2, 0xfc00, v2
	v_cndmask_b32_e64 v24, v26, v24, s[0:1]
	v_and_or_b32 v2, v25, s44, v2
	v_lshl_or_b32 v24, v24, 7, v2
.LBB267_37:                             ;   in Loop: Header=BB267_9 Depth=1
	s_or_b64 exec, exec, s[38:39]
.LBB267_38:                             ;   in Loop: Header=BB267_9 Depth=1
	s_or_b64 exec, exec, s[36:37]
.LBB267_39:                             ;   in Loop: Header=BB267_9 Depth=1
	s_or_b64 exec, exec, s[34:35]
	v_lshrrev_b16_e32 v2, 8, v10
	v_cmp_ne_u16_e64 s[0:1], 0, v2
	v_mov_b32_e32 v25, 0
	v_mov_b32_e32 v26, 0
	s_and_saveexec_b64 s[34:35], s[0:1]
	s_cbranch_execz .LBB267_45
; %bb.40:                               ;   in Loop: Header=BB267_9 Depth=1
	v_cmp_ne_u16_e64 s[0:1], s42, v2
	v_bfrev_b32_e32 v26, 1
	s_and_saveexec_b64 s[36:37], s[0:1]
	s_cbranch_execz .LBB267_44
; %bb.41:                               ;   in Loop: Header=BB267_9 Depth=1
	v_and_b32_e32 v27, 0x7f, v2
	v_cmp_ne_u32_e64 s[0:1], s43, v27
	v_mov_b32_e32 v26, 0x7c010000
	s_and_saveexec_b64 s[38:39], s[0:1]
	s_cbranch_execz .LBB267_43
; %bb.42:                               ;   in Loop: Header=BB267_9 Depth=1
	v_and_b32_e32 v26, 7, v2
	v_ffbh_u32_e32 v28, v26
	v_min_u32_e32 v31, 32, v28
	v_subrev_u32_e32 v28, 28, v31
	v_lshlrev_b64 v[28:29], v28, v[2:3]
	v_lshrrev_b32_e32 v30, 3, v27
	v_sub_u32_e32 v29, 29, v31
	v_cmp_gt_u32_e64 s[0:1], 8, v27
	v_lshlrev_b32_e32 v2, 8, v2
	v_and_b32_e32 v28, 7, v28
	v_cndmask_b32_e64 v27, v30, v29, s[0:1]
	v_lshl_add_u32 v27, v27, 10, v17
	v_and_or_b32 v2, v2, s44, v27
	v_cndmask_b32_e64 v26, v26, v28, s[0:1]
	v_lshlrev_b32_e32 v2, 16, v2
	v_lshl_or_b32 v26, v26, 23, v2
.LBB267_43:                             ;   in Loop: Header=BB267_9 Depth=1
	s_or_b64 exec, exec, s[38:39]
.LBB267_44:                             ;   in Loop: Header=BB267_9 Depth=1
	s_or_b64 exec, exec, s[36:37]
.LBB267_45:                             ;   in Loop: Header=BB267_9 Depth=1
	s_or_b64 exec, exec, s[34:35]
	v_lshrrev_b32_e32 v2, 16, v10
	v_cmp_ne_u16_sdwa s[0:1], v2, v3 src0_sel:BYTE_0 src1_sel:DWORD
	s_and_saveexec_b64 s[34:35], s[0:1]
	s_cbranch_execz .LBB267_51
; %bb.46:                               ;   in Loop: Header=BB267_9 Depth=1
	v_cmp_ne_u16_sdwa s[0:1], v2, s42 src0_sel:BYTE_0 src1_sel:DWORD
	v_mov_b32_e32 v25, 0x8000
	s_and_saveexec_b64 s[36:37], s[0:1]
	s_cbranch_execz .LBB267_50
; %bb.47:                               ;   in Loop: Header=BB267_9 Depth=1
	v_bfe_u32 v27, v10, 16, 7
	v_cmp_ne_u32_e64 s[0:1], s43, v27
	v_mov_b32_e32 v25, 0x7c01
	s_and_saveexec_b64 s[38:39], s[0:1]
	s_cbranch_execz .LBB267_49
; %bb.48:                               ;   in Loop: Header=BB267_9 Depth=1
	v_and_b32_e32 v25, 7, v2
	v_ffbh_u32_e32 v28, v25
	v_min_u32_e32 v31, 32, v28
	v_subrev_u32_e32 v28, 28, v31
	v_lshlrev_b64 v[28:29], v28, v[2:3]
	v_lshrrev_b32_e32 v30, 3, v27
	v_sub_u32_e32 v29, 29, v31
	v_cmp_gt_u32_e64 s[0:1], 8, v27
	v_lshlrev_b32_e32 v2, 8, v2
	v_and_b32_e32 v28, 7, v28
	v_cndmask_b32_e64 v27, v30, v29, s[0:1]
	v_lshl_add_u32 v27, v27, 10, v17
	v_and_b32_e32 v27, 0xfc00, v27
	v_cndmask_b32_e64 v25, v25, v28, s[0:1]
	v_and_or_b32 v2, v2, s44, v27
	v_lshl_or_b32 v25, v25, 7, v2
.LBB267_49:                             ;   in Loop: Header=BB267_9 Depth=1
	s_or_b64 exec, exec, s[38:39]
.LBB267_50:                             ;   in Loop: Header=BB267_9 Depth=1
	s_or_b64 exec, exec, s[36:37]
.LBB267_51:                             ;   in Loop: Header=BB267_9 Depth=1
	s_or_b64 exec, exec, s[34:35]
	v_cmp_lt_u32_e64 s[0:1], s45, v10
	v_mov_b32_e32 v28, 0
	v_mov_b32_e32 v27, 0
	s_and_saveexec_b64 s[34:35], s[0:1]
	s_cbranch_execz .LBB267_57
; %bb.52:                               ;   in Loop: Header=BB267_9 Depth=1
	v_lshrrev_b32_e32 v2, 24, v10
	v_cmp_ne_u32_e64 s[0:1], s42, v2
	v_bfrev_b32_e32 v27, 1
	s_and_saveexec_b64 s[36:37], s[0:1]
	s_cbranch_execz .LBB267_56
; %bb.53:                               ;   in Loop: Header=BB267_9 Depth=1
	v_and_b32_e32 v10, 0x7f, v2
	v_cmp_ne_u32_e64 s[0:1], s43, v10
	v_mov_b32_e32 v27, 0x7c010000
	s_and_saveexec_b64 s[38:39], s[0:1]
	s_cbranch_execz .LBB267_55
; %bb.54:                               ;   in Loop: Header=BB267_9 Depth=1
	v_and_b32_e32 v27, 7, v2
	v_ffbh_u32_e32 v30, v27
	v_min_u32_e32 v32, 32, v30
	v_subrev_u32_e32 v30, 28, v32
	v_lshlrev_b64 v[30:31], v30, v[2:3]
	v_lshrrev_b32_e32 v29, 3, v10
	v_sub_u32_e32 v31, 29, v32
	v_cmp_gt_u32_e64 s[0:1], 8, v10
	v_lshlrev_b32_e32 v2, 8, v2
	s_nop 0
	v_cndmask_b32_e64 v10, v29, v31, s[0:1]
	v_lshl_add_u32 v10, v10, 10, v17
	v_and_b32_e32 v29, 7, v30
	v_and_or_b32 v2, v2, s44, v10
	v_cndmask_b32_e64 v27, v27, v29, s[0:1]
	v_lshlrev_b32_e32 v2, 16, v2
	v_lshl_or_b32 v27, v27, 23, v2
.LBB267_55:                             ;   in Loop: Header=BB267_9 Depth=1
	s_or_b64 exec, exec, s[38:39]
.LBB267_56:                             ;   in Loop: Header=BB267_9 Depth=1
	s_or_b64 exec, exec, s[36:37]
.LBB267_57:                             ;   in Loop: Header=BB267_9 Depth=1
	s_or_b64 exec, exec, s[34:35]
	global_load_dword v10, v[8:9], off offset:512
	s_waitcnt vmcnt(0)
	v_cmp_ne_u16_sdwa s[0:1], v10, v3 src0_sel:BYTE_0 src1_sel:DWORD
	s_and_saveexec_b64 s[34:35], s[0:1]
	s_cbranch_execz .LBB267_63
; %bb.58:                               ;   in Loop: Header=BB267_9 Depth=1
	v_cmp_ne_u16_sdwa s[0:1], v10, s42 src0_sel:BYTE_0 src1_sel:DWORD
	v_mov_b32_e32 v28, 0x8000
	s_and_saveexec_b64 s[36:37], s[0:1]
	s_cbranch_execz .LBB267_62
; %bb.59:                               ;   in Loop: Header=BB267_9 Depth=1
	v_and_b32_e32 v2, 0x7f, v10
	v_cmp_ne_u32_e64 s[0:1], s43, v2
	v_mov_b32_e32 v28, 0x7c01
	s_and_saveexec_b64 s[38:39], s[0:1]
	s_cbranch_execz .LBB267_61
; %bb.60:                               ;   in Loop: Header=BB267_9 Depth=1
	v_and_b32_e32 v30, 7, v10
	v_ffbh_u32_e32 v28, v30
	v_min_u32_e32 v32, 32, v28
	v_subrev_u32_e32 v28, 28, v32
	v_lshlrev_b64 v[28:29], v28, v[10:11]
	v_lshrrev_b32_e32 v31, 3, v2
	v_sub_u32_e32 v29, 29, v32
	v_cmp_gt_u32_e64 s[0:1], 8, v2
	v_and_b32_e32 v28, 7, v28
	s_nop 0
	v_cndmask_b32_e64 v2, v31, v29, s[0:1]
	v_lshl_add_u32 v2, v2, 10, v17
	v_lshlrev_b32_e32 v29, 8, v10
	v_and_b32_e32 v2, 0xfc00, v2
	v_cndmask_b32_e64 v28, v30, v28, s[0:1]
	v_and_or_b32 v2, v29, s44, v2
	v_lshl_or_b32 v28, v28, 7, v2
.LBB267_61:                             ;   in Loop: Header=BB267_9 Depth=1
	s_or_b64 exec, exec, s[38:39]
.LBB267_62:                             ;   in Loop: Header=BB267_9 Depth=1
	s_or_b64 exec, exec, s[36:37]
.LBB267_63:                             ;   in Loop: Header=BB267_9 Depth=1
	s_or_b64 exec, exec, s[34:35]
	v_lshrrev_b16_e32 v2, 8, v10
	v_cmp_ne_u16_e64 s[0:1], 0, v2
	v_mov_b32_e32 v29, 0
	v_mov_b32_e32 v30, 0
	s_and_saveexec_b64 s[34:35], s[0:1]
	s_cbranch_execz .LBB267_69
; %bb.64:                               ;   in Loop: Header=BB267_9 Depth=1
	v_cmp_ne_u16_e64 s[0:1], s42, v2
	v_bfrev_b32_e32 v30, 1
	s_and_saveexec_b64 s[36:37], s[0:1]
	s_cbranch_execz .LBB267_68
; %bb.65:                               ;   in Loop: Header=BB267_9 Depth=1
	v_and_b32_e32 v31, 0x7f, v2
	v_cmp_ne_u32_e64 s[0:1], s43, v31
	v_mov_b32_e32 v30, 0x7c010000
	s_and_saveexec_b64 s[38:39], s[0:1]
	s_cbranch_execz .LBB267_67
; %bb.66:                               ;   in Loop: Header=BB267_9 Depth=1
	v_and_b32_e32 v30, 7, v2
	v_ffbh_u32_e32 v32, v30
	v_min_u32_e32 v36, 32, v32
	v_subrev_u32_e32 v32, 28, v36
	v_lshlrev_b64 v[32:33], v32, v[2:3]
	v_lshrrev_b32_e32 v35, 3, v31
	v_sub_u32_e32 v33, 29, v36
	v_cmp_gt_u32_e64 s[0:1], 8, v31
	v_lshlrev_b32_e32 v2, 8, v2
	v_and_b32_e32 v32, 7, v32
	v_cndmask_b32_e64 v31, v35, v33, s[0:1]
	v_lshl_add_u32 v31, v31, 10, v17
	v_and_or_b32 v2, v2, s44, v31
	v_cndmask_b32_e64 v30, v30, v32, s[0:1]
	v_lshlrev_b32_e32 v2, 16, v2
	v_lshl_or_b32 v30, v30, 23, v2
.LBB267_67:                             ;   in Loop: Header=BB267_9 Depth=1
	s_or_b64 exec, exec, s[38:39]
.LBB267_68:                             ;   in Loop: Header=BB267_9 Depth=1
	s_or_b64 exec, exec, s[36:37]
.LBB267_69:                             ;   in Loop: Header=BB267_9 Depth=1
	s_or_b64 exec, exec, s[34:35]
	v_lshrrev_b32_e32 v2, 16, v10
	v_cmp_ne_u16_sdwa s[0:1], v2, v3 src0_sel:BYTE_0 src1_sel:DWORD
	s_and_saveexec_b64 s[34:35], s[0:1]
	s_cbranch_execz .LBB267_75
; %bb.70:                               ;   in Loop: Header=BB267_9 Depth=1
	v_cmp_ne_u16_sdwa s[0:1], v2, s42 src0_sel:BYTE_0 src1_sel:DWORD
	v_mov_b32_e32 v29, 0x8000
	s_and_saveexec_b64 s[36:37], s[0:1]
	s_cbranch_execz .LBB267_74
; %bb.71:                               ;   in Loop: Header=BB267_9 Depth=1
	v_bfe_u32 v31, v10, 16, 7
	v_cmp_ne_u32_e64 s[0:1], s43, v31
	v_mov_b32_e32 v29, 0x7c01
	s_and_saveexec_b64 s[38:39], s[0:1]
	s_cbranch_execz .LBB267_73
; %bb.72:                               ;   in Loop: Header=BB267_9 Depth=1
	v_and_b32_e32 v29, 7, v2
	v_ffbh_u32_e32 v32, v29
	v_min_u32_e32 v36, 32, v32
	v_subrev_u32_e32 v32, 28, v36
	v_lshlrev_b64 v[32:33], v32, v[2:3]
	v_lshrrev_b32_e32 v35, 3, v31
	v_sub_u32_e32 v33, 29, v36
	v_cmp_gt_u32_e64 s[0:1], 8, v31
	v_lshlrev_b32_e32 v2, 8, v2
	v_and_b32_e32 v32, 7, v32
	v_cndmask_b32_e64 v31, v35, v33, s[0:1]
	v_lshl_add_u32 v31, v31, 10, v17
	v_and_b32_e32 v31, 0xfc00, v31
	v_cndmask_b32_e64 v29, v29, v32, s[0:1]
	v_and_or_b32 v2, v2, s44, v31
	v_lshl_or_b32 v29, v29, 7, v2
.LBB267_73:                             ;   in Loop: Header=BB267_9 Depth=1
	s_or_b64 exec, exec, s[38:39]
.LBB267_74:                             ;   in Loop: Header=BB267_9 Depth=1
	s_or_b64 exec, exec, s[36:37]
.LBB267_75:                             ;   in Loop: Header=BB267_9 Depth=1
	s_or_b64 exec, exec, s[34:35]
	v_cmp_lt_u32_e64 s[0:1], s45, v10
	v_mov_b32_e32 v32, 0
	v_mov_b32_e32 v31, 0
	s_and_saveexec_b64 s[34:35], s[0:1]
	s_cbranch_execz .LBB267_81
; %bb.76:                               ;   in Loop: Header=BB267_9 Depth=1
	v_lshrrev_b32_e32 v2, 24, v10
	v_cmp_ne_u32_e64 s[0:1], s42, v2
	v_bfrev_b32_e32 v31, 1
	s_and_saveexec_b64 s[36:37], s[0:1]
	s_cbranch_execz .LBB267_80
; %bb.77:                               ;   in Loop: Header=BB267_9 Depth=1
	v_and_b32_e32 v10, 0x7f, v2
	v_cmp_ne_u32_e64 s[0:1], s43, v10
	v_mov_b32_e32 v31, 0x7c010000
	s_and_saveexec_b64 s[38:39], s[0:1]
	s_cbranch_execz .LBB267_79
; %bb.78:                               ;   in Loop: Header=BB267_9 Depth=1
	v_and_b32_e32 v31, 7, v2
	v_ffbh_u32_e32 v35, v31
	v_min_u32_e32 v35, 32, v35
	v_lshrrev_b32_e32 v33, 3, v10
	v_subrev_u32_e32 v36, 28, v35
	v_sub_u32_e32 v35, 29, v35
	v_cmp_gt_u32_e64 s[0:1], 8, v10
	v_lshlrev_b64 v[36:37], v36, v[2:3]
	v_lshlrev_b32_e32 v2, 8, v2
	v_cndmask_b32_e64 v10, v33, v35, s[0:1]
	v_lshl_add_u32 v10, v10, 10, v17
	v_and_b32_e32 v33, 7, v36
	v_and_or_b32 v2, v2, s44, v10
	v_cndmask_b32_e64 v31, v31, v33, s[0:1]
	v_lshlrev_b32_e32 v2, 16, v2
	v_lshl_or_b32 v31, v31, 23, v2
.LBB267_79:                             ;   in Loop: Header=BB267_9 Depth=1
	s_or_b64 exec, exec, s[38:39]
.LBB267_80:                             ;   in Loop: Header=BB267_9 Depth=1
	s_or_b64 exec, exec, s[36:37]
.LBB267_81:                             ;   in Loop: Header=BB267_9 Depth=1
	s_or_b64 exec, exec, s[34:35]
	global_load_dword v10, v[8:9], off offset:520
	s_waitcnt vmcnt(0)
	v_cmp_ne_u16_sdwa s[0:1], v10, v3 src0_sel:BYTE_0 src1_sel:DWORD
	s_and_saveexec_b64 s[34:35], s[0:1]
	s_cbranch_execz .LBB267_87
; %bb.82:                               ;   in Loop: Header=BB267_9 Depth=1
	v_cmp_ne_u16_sdwa s[0:1], v10, s42 src0_sel:BYTE_0 src1_sel:DWORD
	v_mov_b32_e32 v32, 0x8000
	s_and_saveexec_b64 s[36:37], s[0:1]
	s_cbranch_execz .LBB267_86
; %bb.83:                               ;   in Loop: Header=BB267_9 Depth=1
	v_and_b32_e32 v2, 0x7f, v10
	v_cmp_ne_u32_e64 s[0:1], s43, v2
	v_mov_b32_e32 v32, 0x7c01
	s_and_saveexec_b64 s[38:39], s[0:1]
	s_cbranch_execz .LBB267_85
; %bb.84:                               ;   in Loop: Header=BB267_9 Depth=1
	v_and_b32_e32 v35, 7, v10
	v_ffbh_u32_e32 v32, v35
	v_min_u32_e32 v37, 32, v32
	v_subrev_u32_e32 v32, 28, v37
	v_lshlrev_b64 v[32:33], v32, v[10:11]
	v_lshrrev_b32_e32 v36, 3, v2
	v_sub_u32_e32 v33, 29, v37
	v_cmp_gt_u32_e64 s[0:1], 8, v2
	v_and_b32_e32 v32, 7, v32
	s_nop 0
	v_cndmask_b32_e64 v2, v36, v33, s[0:1]
	v_lshl_add_u32 v2, v2, 10, v17
	v_lshlrev_b32_e32 v33, 8, v10
	v_and_b32_e32 v2, 0xfc00, v2
	v_cndmask_b32_e64 v32, v35, v32, s[0:1]
	v_and_or_b32 v2, v33, s44, v2
	v_lshl_or_b32 v32, v32, 7, v2
.LBB267_85:                             ;   in Loop: Header=BB267_9 Depth=1
	s_or_b64 exec, exec, s[38:39]
.LBB267_86:                             ;   in Loop: Header=BB267_9 Depth=1
	s_or_b64 exec, exec, s[36:37]
.LBB267_87:                             ;   in Loop: Header=BB267_9 Depth=1
	s_or_b64 exec, exec, s[34:35]
	v_lshrrev_b16_e32 v2, 8, v10
	v_cmp_ne_u16_e64 s[0:1], 0, v2
	v_mov_b32_e32 v33, 0
	v_mov_b32_e32 v35, 0
	s_and_saveexec_b64 s[34:35], s[0:1]
	s_cbranch_execz .LBB267_93
; %bb.88:                               ;   in Loop: Header=BB267_9 Depth=1
	v_cmp_ne_u16_e64 s[0:1], s42, v2
	v_bfrev_b32_e32 v35, 1
	s_and_saveexec_b64 s[36:37], s[0:1]
	s_cbranch_execz .LBB267_92
; %bb.89:                               ;   in Loop: Header=BB267_9 Depth=1
	v_and_b32_e32 v36, 0x7f, v2
	v_cmp_ne_u32_e64 s[0:1], s43, v36
	v_mov_b32_e32 v35, 0x7c010000
	s_and_saveexec_b64 s[38:39], s[0:1]
	s_cbranch_execz .LBB267_91
; %bb.90:                               ;   in Loop: Header=BB267_9 Depth=1
	v_and_b32_e32 v35, 7, v2
	v_ffbh_u32_e32 v38, v35
	v_min_u32_e32 v40, 32, v38
	v_subrev_u32_e32 v38, 28, v40
	v_lshlrev_b64 v[38:39], v38, v[2:3]
	v_lshrrev_b32_e32 v37, 3, v36
	v_sub_u32_e32 v39, 29, v40
	v_cmp_gt_u32_e64 s[0:1], 8, v36
	v_lshlrev_b32_e32 v2, 8, v2
	s_nop 0
	v_cndmask_b32_e64 v36, v37, v39, s[0:1]
	v_lshl_add_u32 v36, v36, 10, v17
	v_and_b32_e32 v37, 7, v38
	v_and_or_b32 v2, v2, s44, v36
	v_cndmask_b32_e64 v35, v35, v37, s[0:1]
	v_lshlrev_b32_e32 v2, 16, v2
	v_lshl_or_b32 v35, v35, 23, v2
.LBB267_91:                             ;   in Loop: Header=BB267_9 Depth=1
	s_or_b64 exec, exec, s[38:39]
.LBB267_92:                             ;   in Loop: Header=BB267_9 Depth=1
	s_or_b64 exec, exec, s[36:37]
.LBB267_93:                             ;   in Loop: Header=BB267_9 Depth=1
	s_or_b64 exec, exec, s[34:35]
	v_lshrrev_b32_e32 v2, 16, v10
	v_cmp_ne_u16_sdwa s[0:1], v2, v3 src0_sel:BYTE_0 src1_sel:DWORD
	s_and_saveexec_b64 s[34:35], s[0:1]
	s_cbranch_execz .LBB267_99
; %bb.94:                               ;   in Loop: Header=BB267_9 Depth=1
	v_cmp_ne_u16_sdwa s[0:1], v2, s42 src0_sel:BYTE_0 src1_sel:DWORD
	v_mov_b32_e32 v33, 0x8000
	s_and_saveexec_b64 s[36:37], s[0:1]
	s_cbranch_execz .LBB267_98
; %bb.95:                               ;   in Loop: Header=BB267_9 Depth=1
	v_bfe_u32 v36, v10, 16, 7
	v_cmp_ne_u32_e64 s[0:1], s43, v36
	v_mov_b32_e32 v33, 0x7c01
	s_and_saveexec_b64 s[38:39], s[0:1]
	s_cbranch_execz .LBB267_97
; %bb.96:                               ;   in Loop: Header=BB267_9 Depth=1
	v_and_b32_e32 v33, 7, v2
	v_ffbh_u32_e32 v38, v33
	v_min_u32_e32 v40, 32, v38
	v_subrev_u32_e32 v38, 28, v40
	v_lshlrev_b64 v[38:39], v38, v[2:3]
	v_lshrrev_b32_e32 v37, 3, v36
	v_sub_u32_e32 v39, 29, v40
	v_cmp_gt_u32_e64 s[0:1], 8, v36
	v_lshlrev_b32_e32 v2, 8, v2
	s_nop 0
	v_cndmask_b32_e64 v36, v37, v39, s[0:1]
	v_lshl_add_u32 v36, v36, 10, v17
	v_and_b32_e32 v37, 7, v38
	v_and_b32_e32 v36, 0xfc00, v36
	v_cndmask_b32_e64 v33, v33, v37, s[0:1]
	v_and_or_b32 v2, v2, s44, v36
	v_lshl_or_b32 v33, v33, 7, v2
.LBB267_97:                             ;   in Loop: Header=BB267_9 Depth=1
	s_or_b64 exec, exec, s[38:39]
.LBB267_98:                             ;   in Loop: Header=BB267_9 Depth=1
	s_or_b64 exec, exec, s[36:37]
.LBB267_99:                             ;   in Loop: Header=BB267_9 Depth=1
	s_or_b64 exec, exec, s[34:35]
	v_cmp_lt_u32_e64 s[0:1], s45, v10
	v_mov_b32_e32 v37, 0
	v_mov_b32_e32 v36, 0
	s_and_saveexec_b64 s[34:35], s[0:1]
	s_cbranch_execz .LBB267_105
; %bb.100:                              ;   in Loop: Header=BB267_9 Depth=1
	v_lshrrev_b32_e32 v2, 24, v10
	v_cmp_ne_u32_e64 s[0:1], s42, v2
	v_bfrev_b32_e32 v36, 1
	s_and_saveexec_b64 s[36:37], s[0:1]
	s_cbranch_execz .LBB267_104
; %bb.101:                              ;   in Loop: Header=BB267_9 Depth=1
	v_and_b32_e32 v10, 0x7f, v2
	v_cmp_ne_u32_e64 s[0:1], s43, v10
	v_mov_b32_e32 v36, 0x7c010000
	s_and_saveexec_b64 s[38:39], s[0:1]
	s_cbranch_execz .LBB267_103
; %bb.102:                              ;   in Loop: Header=BB267_9 Depth=1
	v_and_b32_e32 v36, 7, v2
	v_ffbh_u32_e32 v38, v36
	v_min_u32_e32 v41, 32, v38
	v_subrev_u32_e32 v38, 28, v41
	v_lshlrev_b64 v[38:39], v38, v[2:3]
	v_lshrrev_b32_e32 v40, 3, v10
	v_sub_u32_e32 v39, 29, v41
	v_cmp_gt_u32_e64 s[0:1], 8, v10
	v_lshlrev_b32_e32 v2, 8, v2
	v_and_b32_e32 v38, 7, v38
	v_cndmask_b32_e64 v10, v40, v39, s[0:1]
	v_lshl_add_u32 v10, v10, 10, v17
	v_and_or_b32 v2, v2, s44, v10
	v_cndmask_b32_e64 v36, v36, v38, s[0:1]
	v_lshlrev_b32_e32 v2, 16, v2
	v_lshl_or_b32 v36, v36, 23, v2
.LBB267_103:                            ;   in Loop: Header=BB267_9 Depth=1
	s_or_b64 exec, exec, s[38:39]
.LBB267_104:                            ;   in Loop: Header=BB267_9 Depth=1
	s_or_b64 exec, exec, s[36:37]
.LBB267_105:                            ;   in Loop: Header=BB267_9 Depth=1
	s_or_b64 exec, exec, s[34:35]
	global_load_dword v10, v[8:9], off offset:1024
	s_waitcnt vmcnt(0)
	v_cmp_ne_u16_sdwa s[0:1], v10, v3 src0_sel:BYTE_0 src1_sel:DWORD
	s_and_saveexec_b64 s[34:35], s[0:1]
	s_cbranch_execz .LBB267_111
; %bb.106:                              ;   in Loop: Header=BB267_9 Depth=1
	v_cmp_ne_u16_sdwa s[0:1], v10, s42 src0_sel:BYTE_0 src1_sel:DWORD
	v_mov_b32_e32 v37, 0x8000
	s_and_saveexec_b64 s[36:37], s[0:1]
	s_cbranch_execz .LBB267_110
; %bb.107:                              ;   in Loop: Header=BB267_9 Depth=1
	v_and_b32_e32 v2, 0x7f, v10
	v_cmp_ne_u32_e64 s[0:1], s43, v2
	v_mov_b32_e32 v37, 0x7c01
	s_and_saveexec_b64 s[38:39], s[0:1]
	s_cbranch_execz .LBB267_109
; %bb.108:                              ;   in Loop: Header=BB267_9 Depth=1
	v_and_b32_e32 v37, 7, v10
	v_ffbh_u32_e32 v38, v37
	v_min_u32_e32 v41, 32, v38
	v_subrev_u32_e32 v38, 28, v41
	v_lshlrev_b64 v[38:39], v38, v[10:11]
	v_lshrrev_b32_e32 v40, 3, v2
	v_sub_u32_e32 v39, 29, v41
	v_cmp_gt_u32_e64 s[0:1], 8, v2
	v_and_b32_e32 v38, 7, v38
	s_nop 0
	v_cndmask_b32_e64 v2, v40, v39, s[0:1]
	v_lshl_add_u32 v2, v2, 10, v17
	v_lshlrev_b32_e32 v39, 8, v10
	v_and_b32_e32 v2, 0xfc00, v2
	v_cndmask_b32_e64 v37, v37, v38, s[0:1]
	v_and_or_b32 v2, v39, s44, v2
	v_lshl_or_b32 v37, v37, 7, v2
.LBB267_109:                            ;   in Loop: Header=BB267_9 Depth=1
	s_or_b64 exec, exec, s[38:39]
.LBB267_110:                            ;   in Loop: Header=BB267_9 Depth=1
	s_or_b64 exec, exec, s[36:37]
.LBB267_111:                            ;   in Loop: Header=BB267_9 Depth=1
	s_or_b64 exec, exec, s[34:35]
	v_lshrrev_b16_e32 v2, 8, v10
	v_cmp_ne_u16_e64 s[0:1], 0, v2
	v_mov_b32_e32 v38, 0
	v_mov_b32_e32 v39, 0
	s_and_saveexec_b64 s[34:35], s[0:1]
	s_cbranch_execz .LBB267_117
; %bb.112:                              ;   in Loop: Header=BB267_9 Depth=1
	v_cmp_ne_u16_e64 s[0:1], s42, v2
	v_bfrev_b32_e32 v39, 1
	s_and_saveexec_b64 s[36:37], s[0:1]
	s_cbranch_execz .LBB267_116
; %bb.113:                              ;   in Loop: Header=BB267_9 Depth=1
	v_and_b32_e32 v40, 0x7f, v2
	v_cmp_ne_u32_e64 s[0:1], s43, v40
	v_mov_b32_e32 v39, 0x7c010000
	s_and_saveexec_b64 s[38:39], s[0:1]
	s_cbranch_execz .LBB267_115
; %bb.114:                              ;   in Loop: Header=BB267_9 Depth=1
	v_and_b32_e32 v39, 7, v2
	v_ffbh_u32_e32 v42, v39
	v_min_u32_e32 v44, 32, v42
	v_subrev_u32_e32 v42, 28, v44
	v_lshlrev_b64 v[42:43], v42, v[2:3]
	v_lshrrev_b32_e32 v41, 3, v40
	v_sub_u32_e32 v43, 29, v44
	v_cmp_gt_u32_e64 s[0:1], 8, v40
	v_lshlrev_b32_e32 v2, 8, v2
	s_nop 0
	v_cndmask_b32_e64 v40, v41, v43, s[0:1]
	v_lshl_add_u32 v40, v40, 10, v17
	v_and_b32_e32 v41, 7, v42
	v_and_or_b32 v2, v2, s44, v40
	v_cndmask_b32_e64 v39, v39, v41, s[0:1]
	v_lshlrev_b32_e32 v2, 16, v2
	v_lshl_or_b32 v39, v39, 23, v2
.LBB267_115:                            ;   in Loop: Header=BB267_9 Depth=1
	s_or_b64 exec, exec, s[38:39]
.LBB267_116:                            ;   in Loop: Header=BB267_9 Depth=1
	s_or_b64 exec, exec, s[36:37]
.LBB267_117:                            ;   in Loop: Header=BB267_9 Depth=1
	s_or_b64 exec, exec, s[34:35]
	v_lshrrev_b32_e32 v2, 16, v10
	v_cmp_ne_u16_sdwa s[0:1], v2, v3 src0_sel:BYTE_0 src1_sel:DWORD
	s_and_saveexec_b64 s[34:35], s[0:1]
	s_cbranch_execz .LBB267_123
; %bb.118:                              ;   in Loop: Header=BB267_9 Depth=1
	v_cmp_ne_u16_sdwa s[0:1], v2, s42 src0_sel:BYTE_0 src1_sel:DWORD
	v_mov_b32_e32 v38, 0x8000
	s_and_saveexec_b64 s[36:37], s[0:1]
	s_cbranch_execz .LBB267_122
; %bb.119:                              ;   in Loop: Header=BB267_9 Depth=1
	v_bfe_u32 v40, v10, 16, 7
	v_cmp_ne_u32_e64 s[0:1], s43, v40
	v_mov_b32_e32 v38, 0x7c01
	s_and_saveexec_b64 s[38:39], s[0:1]
	s_cbranch_execz .LBB267_121
; %bb.120:                              ;   in Loop: Header=BB267_9 Depth=1
	v_and_b32_e32 v38, 7, v2
	v_ffbh_u32_e32 v42, v38
	v_min_u32_e32 v44, 32, v42
	v_subrev_u32_e32 v42, 28, v44
	v_lshlrev_b64 v[42:43], v42, v[2:3]
	v_lshrrev_b32_e32 v41, 3, v40
	v_sub_u32_e32 v43, 29, v44
	v_cmp_gt_u32_e64 s[0:1], 8, v40
	v_lshlrev_b32_e32 v2, 8, v2
	s_nop 0
	v_cndmask_b32_e64 v40, v41, v43, s[0:1]
	v_lshl_add_u32 v40, v40, 10, v17
	v_and_b32_e32 v41, 7, v42
	v_and_b32_e32 v40, 0xfc00, v40
	v_cndmask_b32_e64 v38, v38, v41, s[0:1]
	v_and_or_b32 v2, v2, s44, v40
	v_lshl_or_b32 v38, v38, 7, v2
.LBB267_121:                            ;   in Loop: Header=BB267_9 Depth=1
	s_or_b64 exec, exec, s[38:39]
.LBB267_122:                            ;   in Loop: Header=BB267_9 Depth=1
	s_or_b64 exec, exec, s[36:37]
.LBB267_123:                            ;   in Loop: Header=BB267_9 Depth=1
	s_or_b64 exec, exec, s[34:35]
	v_cmp_lt_u32_e64 s[0:1], s45, v10
	v_mov_b32_e32 v41, 0
	v_mov_b32_e32 v40, 0
	s_and_saveexec_b64 s[34:35], s[0:1]
	s_cbranch_execz .LBB267_129
; %bb.124:                              ;   in Loop: Header=BB267_9 Depth=1
	v_lshrrev_b32_e32 v2, 24, v10
	v_cmp_ne_u32_e64 s[0:1], s42, v2
	v_bfrev_b32_e32 v40, 1
	s_and_saveexec_b64 s[36:37], s[0:1]
	s_cbranch_execz .LBB267_128
; %bb.125:                              ;   in Loop: Header=BB267_9 Depth=1
	v_and_b32_e32 v10, 0x7f, v2
	v_cmp_ne_u32_e64 s[0:1], s43, v10
	v_mov_b32_e32 v40, 0x7c010000
	s_and_saveexec_b64 s[38:39], s[0:1]
	s_cbranch_execz .LBB267_127
; %bb.126:                              ;   in Loop: Header=BB267_9 Depth=1
	v_and_b32_e32 v40, 7, v2
	v_ffbh_u32_e32 v42, v40
	v_min_u32_e32 v45, 32, v42
	v_subrev_u32_e32 v42, 28, v45
	v_lshlrev_b64 v[42:43], v42, v[2:3]
	v_lshrrev_b32_e32 v44, 3, v10
	v_sub_u32_e32 v43, 29, v45
	v_cmp_gt_u32_e64 s[0:1], 8, v10
	v_lshlrev_b32_e32 v2, 8, v2
	v_and_b32_e32 v42, 7, v42
	v_cndmask_b32_e64 v10, v44, v43, s[0:1]
	v_lshl_add_u32 v10, v10, 10, v17
	v_and_or_b32 v2, v2, s44, v10
	v_cndmask_b32_e64 v40, v40, v42, s[0:1]
	v_lshlrev_b32_e32 v2, 16, v2
	v_lshl_or_b32 v40, v40, 23, v2
.LBB267_127:                            ;   in Loop: Header=BB267_9 Depth=1
	s_or_b64 exec, exec, s[38:39]
.LBB267_128:                            ;   in Loop: Header=BB267_9 Depth=1
	s_or_b64 exec, exec, s[36:37]
.LBB267_129:                            ;   in Loop: Header=BB267_9 Depth=1
	s_or_b64 exec, exec, s[34:35]
	global_load_dword v10, v[8:9], off offset:1032
	s_waitcnt vmcnt(0)
	v_cmp_ne_u16_sdwa s[0:1], v10, v3 src0_sel:BYTE_0 src1_sel:DWORD
	s_and_saveexec_b64 s[34:35], s[0:1]
	s_cbranch_execz .LBB267_135
; %bb.130:                              ;   in Loop: Header=BB267_9 Depth=1
	v_cmp_ne_u16_sdwa s[0:1], v10, s42 src0_sel:BYTE_0 src1_sel:DWORD
	v_mov_b32_e32 v41, 0x8000
	s_and_saveexec_b64 s[36:37], s[0:1]
	s_cbranch_execz .LBB267_134
; %bb.131:                              ;   in Loop: Header=BB267_9 Depth=1
	v_and_b32_e32 v2, 0x7f, v10
	v_cmp_ne_u32_e64 s[0:1], s43, v2
	v_mov_b32_e32 v41, 0x7c01
	s_and_saveexec_b64 s[38:39], s[0:1]
	s_cbranch_execz .LBB267_133
; %bb.132:                              ;   in Loop: Header=BB267_9 Depth=1
	v_and_b32_e32 v41, 7, v10
	v_ffbh_u32_e32 v42, v41
	v_min_u32_e32 v45, 32, v42
	v_subrev_u32_e32 v42, 28, v45
	v_lshlrev_b64 v[42:43], v42, v[10:11]
	v_lshrrev_b32_e32 v44, 3, v2
	v_sub_u32_e32 v43, 29, v45
	v_cmp_gt_u32_e64 s[0:1], 8, v2
	v_and_b32_e32 v42, 7, v42
	s_nop 0
	v_cndmask_b32_e64 v2, v44, v43, s[0:1]
	v_lshl_add_u32 v2, v2, 10, v17
	v_lshlrev_b32_e32 v43, 8, v10
	v_and_b32_e32 v2, 0xfc00, v2
	v_cndmask_b32_e64 v41, v41, v42, s[0:1]
	v_and_or_b32 v2, v43, s44, v2
	v_lshl_or_b32 v41, v41, 7, v2
.LBB267_133:                            ;   in Loop: Header=BB267_9 Depth=1
	s_or_b64 exec, exec, s[38:39]
.LBB267_134:                            ;   in Loop: Header=BB267_9 Depth=1
	s_or_b64 exec, exec, s[36:37]
.LBB267_135:                            ;   in Loop: Header=BB267_9 Depth=1
	s_or_b64 exec, exec, s[34:35]
	v_lshrrev_b16_e32 v2, 8, v10
	v_cmp_ne_u16_e64 s[0:1], 0, v2
	v_mov_b32_e32 v42, 0
	v_mov_b32_e32 v43, 0
	s_and_saveexec_b64 s[34:35], s[0:1]
	s_cbranch_execz .LBB267_141
; %bb.136:                              ;   in Loop: Header=BB267_9 Depth=1
	v_cmp_ne_u16_e64 s[0:1], s42, v2
	v_bfrev_b32_e32 v43, 1
	s_and_saveexec_b64 s[36:37], s[0:1]
	s_cbranch_execz .LBB267_140
; %bb.137:                              ;   in Loop: Header=BB267_9 Depth=1
	v_and_b32_e32 v44, 0x7f, v2
	v_cmp_ne_u32_e64 s[0:1], s43, v44
	v_mov_b32_e32 v43, 0x7c010000
	s_and_saveexec_b64 s[38:39], s[0:1]
	s_cbranch_execz .LBB267_139
; %bb.138:                              ;   in Loop: Header=BB267_9 Depth=1
	v_and_b32_e32 v43, 7, v2
	v_ffbh_u32_e32 v46, v43
	v_min_u32_e32 v48, 32, v46
	v_subrev_u32_e32 v46, 28, v48
	v_lshlrev_b64 v[46:47], v46, v[2:3]
	v_lshrrev_b32_e32 v45, 3, v44
	v_sub_u32_e32 v47, 29, v48
	v_cmp_gt_u32_e64 s[0:1], 8, v44
	v_lshlrev_b32_e32 v2, 8, v2
	s_nop 0
	v_cndmask_b32_e64 v44, v45, v47, s[0:1]
	v_lshl_add_u32 v44, v44, 10, v17
	v_and_b32_e32 v45, 7, v46
	v_and_or_b32 v2, v2, s44, v44
	v_cndmask_b32_e64 v43, v43, v45, s[0:1]
	v_lshlrev_b32_e32 v2, 16, v2
	v_lshl_or_b32 v43, v43, 23, v2
.LBB267_139:                            ;   in Loop: Header=BB267_9 Depth=1
	s_or_b64 exec, exec, s[38:39]
.LBB267_140:                            ;   in Loop: Header=BB267_9 Depth=1
	s_or_b64 exec, exec, s[36:37]
.LBB267_141:                            ;   in Loop: Header=BB267_9 Depth=1
	s_or_b64 exec, exec, s[34:35]
	v_lshrrev_b32_e32 v2, 16, v10
	v_cmp_ne_u16_sdwa s[0:1], v2, v3 src0_sel:BYTE_0 src1_sel:DWORD
	s_and_saveexec_b64 s[34:35], s[0:1]
	s_cbranch_execz .LBB267_147
; %bb.142:                              ;   in Loop: Header=BB267_9 Depth=1
	v_cmp_ne_u16_sdwa s[0:1], v2, s42 src0_sel:BYTE_0 src1_sel:DWORD
	v_mov_b32_e32 v42, 0x8000
	s_and_saveexec_b64 s[36:37], s[0:1]
	s_cbranch_execz .LBB267_146
; %bb.143:                              ;   in Loop: Header=BB267_9 Depth=1
	v_bfe_u32 v44, v10, 16, 7
	v_cmp_ne_u32_e64 s[0:1], s43, v44
	v_mov_b32_e32 v42, 0x7c01
	s_and_saveexec_b64 s[38:39], s[0:1]
	s_cbranch_execz .LBB267_145
; %bb.144:                              ;   in Loop: Header=BB267_9 Depth=1
	v_and_b32_e32 v42, 7, v2
	v_ffbh_u32_e32 v46, v42
	v_min_u32_e32 v48, 32, v46
	v_subrev_u32_e32 v46, 28, v48
	v_lshlrev_b64 v[46:47], v46, v[2:3]
	v_lshrrev_b32_e32 v45, 3, v44
	v_sub_u32_e32 v47, 29, v48
	v_cmp_gt_u32_e64 s[0:1], 8, v44
	v_lshlrev_b32_e32 v2, 8, v2
	s_nop 0
	v_cndmask_b32_e64 v44, v45, v47, s[0:1]
	v_lshl_add_u32 v44, v44, 10, v17
	v_and_b32_e32 v45, 7, v46
	v_and_b32_e32 v44, 0xfc00, v44
	v_cndmask_b32_e64 v42, v42, v45, s[0:1]
	v_and_or_b32 v2, v2, s44, v44
	v_lshl_or_b32 v42, v42, 7, v2
.LBB267_145:                            ;   in Loop: Header=BB267_9 Depth=1
	s_or_b64 exec, exec, s[38:39]
.LBB267_146:                            ;   in Loop: Header=BB267_9 Depth=1
	s_or_b64 exec, exec, s[36:37]
.LBB267_147:                            ;   in Loop: Header=BB267_9 Depth=1
	s_or_b64 exec, exec, s[34:35]
	v_cmp_lt_u32_e64 s[0:1], s45, v10
	v_mov_b32_e32 v45, 0
	v_mov_b32_e32 v44, 0
	s_and_saveexec_b64 s[34:35], s[0:1]
	s_cbranch_execz .LBB267_153
; %bb.148:                              ;   in Loop: Header=BB267_9 Depth=1
	v_lshrrev_b32_e32 v2, 24, v10
	v_cmp_ne_u32_e64 s[0:1], s42, v2
	v_bfrev_b32_e32 v44, 1
	s_and_saveexec_b64 s[36:37], s[0:1]
	s_cbranch_execz .LBB267_152
; %bb.149:                              ;   in Loop: Header=BB267_9 Depth=1
	v_and_b32_e32 v10, 0x7f, v2
	v_cmp_ne_u32_e64 s[0:1], s43, v10
	v_mov_b32_e32 v44, 0x7c010000
	s_and_saveexec_b64 s[38:39], s[0:1]
	s_cbranch_execz .LBB267_151
; %bb.150:                              ;   in Loop: Header=BB267_9 Depth=1
	v_and_b32_e32 v44, 7, v2
	v_ffbh_u32_e32 v46, v44
	v_min_u32_e32 v49, 32, v46
	v_subrev_u32_e32 v46, 28, v49
	v_lshlrev_b64 v[46:47], v46, v[2:3]
	v_lshrrev_b32_e32 v48, 3, v10
	v_sub_u32_e32 v47, 29, v49
	v_cmp_gt_u32_e64 s[0:1], 8, v10
	v_lshlrev_b32_e32 v2, 8, v2
	v_and_b32_e32 v46, 7, v46
	v_cndmask_b32_e64 v10, v48, v47, s[0:1]
	v_lshl_add_u32 v10, v10, 10, v17
	v_and_or_b32 v2, v2, s44, v10
	v_cndmask_b32_e64 v44, v44, v46, s[0:1]
	v_lshlrev_b32_e32 v2, 16, v2
	v_lshl_or_b32 v44, v44, 23, v2
.LBB267_151:                            ;   in Loop: Header=BB267_9 Depth=1
	s_or_b64 exec, exec, s[38:39]
.LBB267_152:                            ;   in Loop: Header=BB267_9 Depth=1
	s_or_b64 exec, exec, s[36:37]
.LBB267_153:                            ;   in Loop: Header=BB267_9 Depth=1
	s_or_b64 exec, exec, s[34:35]
	global_load_dword v10, v[8:9], off offset:1536
	s_waitcnt vmcnt(0)
	v_cmp_ne_u16_sdwa s[0:1], v10, v3 src0_sel:BYTE_0 src1_sel:DWORD
	s_and_saveexec_b64 s[34:35], s[0:1]
	s_cbranch_execz .LBB267_159
; %bb.154:                              ;   in Loop: Header=BB267_9 Depth=1
	v_cmp_ne_u16_sdwa s[0:1], v10, s42 src0_sel:BYTE_0 src1_sel:DWORD
	v_mov_b32_e32 v45, 0x8000
	s_and_saveexec_b64 s[36:37], s[0:1]
	s_cbranch_execz .LBB267_158
; %bb.155:                              ;   in Loop: Header=BB267_9 Depth=1
	v_and_b32_e32 v2, 0x7f, v10
	v_cmp_ne_u32_e64 s[0:1], s43, v2
	v_mov_b32_e32 v45, 0x7c01
	s_and_saveexec_b64 s[38:39], s[0:1]
	s_cbranch_execz .LBB267_157
; %bb.156:                              ;   in Loop: Header=BB267_9 Depth=1
	v_and_b32_e32 v45, 7, v10
	v_ffbh_u32_e32 v46, v45
	v_min_u32_e32 v49, 32, v46
	v_subrev_u32_e32 v46, 28, v49
	v_lshlrev_b64 v[46:47], v46, v[10:11]
	v_lshrrev_b32_e32 v48, 3, v2
	v_sub_u32_e32 v47, 29, v49
	v_cmp_gt_u32_e64 s[0:1], 8, v2
	v_and_b32_e32 v46, 7, v46
	s_nop 0
	v_cndmask_b32_e64 v2, v48, v47, s[0:1]
	v_lshl_add_u32 v2, v2, 10, v17
	v_lshlrev_b32_e32 v47, 8, v10
	v_and_b32_e32 v2, 0xfc00, v2
	v_cndmask_b32_e64 v45, v45, v46, s[0:1]
	v_and_or_b32 v2, v47, s44, v2
	v_lshl_or_b32 v45, v45, 7, v2
.LBB267_157:                            ;   in Loop: Header=BB267_9 Depth=1
	s_or_b64 exec, exec, s[38:39]
.LBB267_158:                            ;   in Loop: Header=BB267_9 Depth=1
	s_or_b64 exec, exec, s[36:37]
.LBB267_159:                            ;   in Loop: Header=BB267_9 Depth=1
	s_or_b64 exec, exec, s[34:35]
	v_lshrrev_b16_e32 v2, 8, v10
	v_cmp_ne_u16_e64 s[0:1], 0, v2
	v_mov_b32_e32 v46, 0
	v_mov_b32_e32 v47, 0
	s_and_saveexec_b64 s[34:35], s[0:1]
	s_cbranch_execz .LBB267_165
; %bb.160:                              ;   in Loop: Header=BB267_9 Depth=1
	v_cmp_ne_u16_e64 s[0:1], s42, v2
	v_bfrev_b32_e32 v47, 1
	s_and_saveexec_b64 s[36:37], s[0:1]
	s_cbranch_execz .LBB267_164
; %bb.161:                              ;   in Loop: Header=BB267_9 Depth=1
	v_and_b32_e32 v48, 0x7f, v2
	v_cmp_ne_u32_e64 s[0:1], s43, v48
	v_mov_b32_e32 v47, 0x7c010000
	s_and_saveexec_b64 s[38:39], s[0:1]
	s_cbranch_execz .LBB267_163
; %bb.162:                              ;   in Loop: Header=BB267_9 Depth=1
	v_and_b32_e32 v47, 7, v2
	v_ffbh_u32_e32 v50, v47
	v_min_u32_e32 v52, 32, v50
	v_subrev_u32_e32 v50, 28, v52
	v_lshlrev_b64 v[50:51], v50, v[2:3]
	v_lshrrev_b32_e32 v49, 3, v48
	v_sub_u32_e32 v51, 29, v52
	v_cmp_gt_u32_e64 s[0:1], 8, v48
	v_lshlrev_b32_e32 v2, 8, v2
	s_nop 0
	v_cndmask_b32_e64 v48, v49, v51, s[0:1]
	v_lshl_add_u32 v48, v48, 10, v17
	v_and_b32_e32 v49, 7, v50
	v_and_or_b32 v2, v2, s44, v48
	v_cndmask_b32_e64 v47, v47, v49, s[0:1]
	v_lshlrev_b32_e32 v2, 16, v2
	v_lshl_or_b32 v47, v47, 23, v2
.LBB267_163:                            ;   in Loop: Header=BB267_9 Depth=1
	s_or_b64 exec, exec, s[38:39]
.LBB267_164:                            ;   in Loop: Header=BB267_9 Depth=1
	s_or_b64 exec, exec, s[36:37]
.LBB267_165:                            ;   in Loop: Header=BB267_9 Depth=1
	s_or_b64 exec, exec, s[34:35]
	v_lshrrev_b32_e32 v2, 16, v10
	v_cmp_ne_u16_sdwa s[0:1], v2, v3 src0_sel:BYTE_0 src1_sel:DWORD
	s_and_saveexec_b64 s[34:35], s[0:1]
	s_cbranch_execz .LBB267_171
; %bb.166:                              ;   in Loop: Header=BB267_9 Depth=1
	v_cmp_ne_u16_sdwa s[0:1], v2, s42 src0_sel:BYTE_0 src1_sel:DWORD
	v_mov_b32_e32 v46, 0x8000
	s_and_saveexec_b64 s[36:37], s[0:1]
	s_cbranch_execz .LBB267_170
; %bb.167:                              ;   in Loop: Header=BB267_9 Depth=1
	v_bfe_u32 v48, v10, 16, 7
	v_cmp_ne_u32_e64 s[0:1], s43, v48
	v_mov_b32_e32 v46, 0x7c01
	s_and_saveexec_b64 s[38:39], s[0:1]
	s_cbranch_execz .LBB267_169
; %bb.168:                              ;   in Loop: Header=BB267_9 Depth=1
	v_and_b32_e32 v46, 7, v2
	v_ffbh_u32_e32 v50, v46
	v_min_u32_e32 v52, 32, v50
	v_subrev_u32_e32 v50, 28, v52
	v_lshlrev_b64 v[50:51], v50, v[2:3]
	v_lshrrev_b32_e32 v49, 3, v48
	v_sub_u32_e32 v51, 29, v52
	v_cmp_gt_u32_e64 s[0:1], 8, v48
	v_lshlrev_b32_e32 v2, 8, v2
	s_nop 0
	v_cndmask_b32_e64 v48, v49, v51, s[0:1]
	v_lshl_add_u32 v48, v48, 10, v17
	v_and_b32_e32 v49, 7, v50
	v_and_b32_e32 v48, 0xfc00, v48
	v_cndmask_b32_e64 v46, v46, v49, s[0:1]
	v_and_or_b32 v2, v2, s44, v48
	v_lshl_or_b32 v46, v46, 7, v2
.LBB267_169:                            ;   in Loop: Header=BB267_9 Depth=1
	s_or_b64 exec, exec, s[38:39]
.LBB267_170:                            ;   in Loop: Header=BB267_9 Depth=1
	s_or_b64 exec, exec, s[36:37]
.LBB267_171:                            ;   in Loop: Header=BB267_9 Depth=1
	s_or_b64 exec, exec, s[34:35]
	v_cmp_lt_u32_e64 s[0:1], s45, v10
	v_mov_b32_e32 v49, 0
	v_mov_b32_e32 v48, 0
	s_and_saveexec_b64 s[34:35], s[0:1]
	s_cbranch_execz .LBB267_177
; %bb.172:                              ;   in Loop: Header=BB267_9 Depth=1
	v_lshrrev_b32_e32 v2, 24, v10
	v_cmp_ne_u32_e64 s[0:1], s42, v2
	v_bfrev_b32_e32 v48, 1
	s_and_saveexec_b64 s[36:37], s[0:1]
	s_cbranch_execz .LBB267_176
; %bb.173:                              ;   in Loop: Header=BB267_9 Depth=1
	v_and_b32_e32 v10, 0x7f, v2
	v_cmp_ne_u32_e64 s[0:1], s43, v10
	v_mov_b32_e32 v48, 0x7c010000
	s_and_saveexec_b64 s[38:39], s[0:1]
	s_cbranch_execz .LBB267_175
; %bb.174:                              ;   in Loop: Header=BB267_9 Depth=1
	v_and_b32_e32 v48, 7, v2
	v_ffbh_u32_e32 v50, v48
	v_min_u32_e32 v53, 32, v50
	v_subrev_u32_e32 v50, 28, v53
	v_lshlrev_b64 v[50:51], v50, v[2:3]
	v_lshrrev_b32_e32 v52, 3, v10
	v_sub_u32_e32 v51, 29, v53
	v_cmp_gt_u32_e64 s[0:1], 8, v10
	v_lshlrev_b32_e32 v2, 8, v2
	v_and_b32_e32 v50, 7, v50
	v_cndmask_b32_e64 v10, v52, v51, s[0:1]
	v_lshl_add_u32 v10, v10, 10, v17
	v_and_or_b32 v2, v2, s44, v10
	v_cndmask_b32_e64 v48, v48, v50, s[0:1]
	v_lshlrev_b32_e32 v2, 16, v2
	v_lshl_or_b32 v48, v48, 23, v2
.LBB267_175:                            ;   in Loop: Header=BB267_9 Depth=1
	s_or_b64 exec, exec, s[38:39]
.LBB267_176:                            ;   in Loop: Header=BB267_9 Depth=1
	s_or_b64 exec, exec, s[36:37]
.LBB267_177:                            ;   in Loop: Header=BB267_9 Depth=1
	s_or_b64 exec, exec, s[34:35]
	global_load_dword v10, v[8:9], off offset:1544
	s_waitcnt vmcnt(0)
	v_cmp_ne_u16_sdwa s[0:1], v10, v3 src0_sel:BYTE_0 src1_sel:DWORD
	s_and_saveexec_b64 s[34:35], s[0:1]
	s_cbranch_execz .LBB267_183
; %bb.178:                              ;   in Loop: Header=BB267_9 Depth=1
	v_cmp_ne_u16_sdwa s[0:1], v10, s42 src0_sel:BYTE_0 src1_sel:DWORD
	v_mov_b32_e32 v49, 0x8000
	s_and_saveexec_b64 s[36:37], s[0:1]
	s_cbranch_execz .LBB267_182
; %bb.179:                              ;   in Loop: Header=BB267_9 Depth=1
	v_and_b32_e32 v2, 0x7f, v10
	v_cmp_ne_u32_e64 s[0:1], s43, v2
	v_mov_b32_e32 v49, 0x7c01
	s_and_saveexec_b64 s[38:39], s[0:1]
	s_cbranch_execz .LBB267_181
; %bb.180:                              ;   in Loop: Header=BB267_9 Depth=1
	v_and_b32_e32 v49, 7, v10
	v_ffbh_u32_e32 v50, v49
	v_min_u32_e32 v53, 32, v50
	v_subrev_u32_e32 v50, 28, v53
	v_lshlrev_b64 v[50:51], v50, v[10:11]
	v_lshrrev_b32_e32 v52, 3, v2
	v_sub_u32_e32 v51, 29, v53
	v_cmp_gt_u32_e64 s[0:1], 8, v2
	v_and_b32_e32 v50, 7, v50
	s_nop 0
	v_cndmask_b32_e64 v2, v52, v51, s[0:1]
	v_lshl_add_u32 v2, v2, 10, v17
	v_lshlrev_b32_e32 v51, 8, v10
	v_and_b32_e32 v2, 0xfc00, v2
	v_cndmask_b32_e64 v49, v49, v50, s[0:1]
	v_and_or_b32 v2, v51, s44, v2
	v_lshl_or_b32 v49, v49, 7, v2
.LBB267_181:                            ;   in Loop: Header=BB267_9 Depth=1
	s_or_b64 exec, exec, s[38:39]
.LBB267_182:                            ;   in Loop: Header=BB267_9 Depth=1
	s_or_b64 exec, exec, s[36:37]
.LBB267_183:                            ;   in Loop: Header=BB267_9 Depth=1
	s_or_b64 exec, exec, s[34:35]
	v_lshrrev_b16_e32 v2, 8, v10
	v_cmp_ne_u16_e64 s[0:1], 0, v2
	v_mov_b32_e32 v50, 0
	v_mov_b32_e32 v51, 0
	s_and_saveexec_b64 s[34:35], s[0:1]
	s_cbranch_execz .LBB267_189
; %bb.184:                              ;   in Loop: Header=BB267_9 Depth=1
	v_cmp_ne_u16_e64 s[0:1], s42, v2
	v_bfrev_b32_e32 v51, 1
	s_and_saveexec_b64 s[36:37], s[0:1]
	s_cbranch_execz .LBB267_188
; %bb.185:                              ;   in Loop: Header=BB267_9 Depth=1
	v_and_b32_e32 v52, 0x7f, v2
	v_cmp_ne_u32_e64 s[0:1], s43, v52
	v_mov_b32_e32 v51, 0x7c010000
	s_and_saveexec_b64 s[38:39], s[0:1]
	s_cbranch_execz .LBB267_187
; %bb.186:                              ;   in Loop: Header=BB267_9 Depth=1
	v_and_b32_e32 v51, 7, v2
	v_ffbh_u32_e32 v54, v51
	v_min_u32_e32 v56, 32, v54
	v_subrev_u32_e32 v54, 28, v56
	v_lshlrev_b64 v[54:55], v54, v[2:3]
	v_lshrrev_b32_e32 v53, 3, v52
	v_sub_u32_e32 v55, 29, v56
	v_cmp_gt_u32_e64 s[0:1], 8, v52
	v_lshlrev_b32_e32 v2, 8, v2
	s_nop 0
	v_cndmask_b32_e64 v52, v53, v55, s[0:1]
	v_lshl_add_u32 v52, v52, 10, v17
	v_and_b32_e32 v53, 7, v54
	v_and_or_b32 v2, v2, s44, v52
	v_cndmask_b32_e64 v51, v51, v53, s[0:1]
	v_lshlrev_b32_e32 v2, 16, v2
	v_lshl_or_b32 v51, v51, 23, v2
.LBB267_187:                            ;   in Loop: Header=BB267_9 Depth=1
	s_or_b64 exec, exec, s[38:39]
.LBB267_188:                            ;   in Loop: Header=BB267_9 Depth=1
	s_or_b64 exec, exec, s[36:37]
.LBB267_189:                            ;   in Loop: Header=BB267_9 Depth=1
	s_or_b64 exec, exec, s[34:35]
	v_lshrrev_b32_e32 v2, 16, v10
	v_cmp_ne_u16_sdwa s[0:1], v2, v3 src0_sel:BYTE_0 src1_sel:DWORD
	s_and_saveexec_b64 s[34:35], s[0:1]
	s_cbranch_execz .LBB267_195
; %bb.190:                              ;   in Loop: Header=BB267_9 Depth=1
	v_cmp_ne_u16_sdwa s[0:1], v2, s42 src0_sel:BYTE_0 src1_sel:DWORD
	v_mov_b32_e32 v50, 0x8000
	s_and_saveexec_b64 s[36:37], s[0:1]
	s_cbranch_execz .LBB267_194
; %bb.191:                              ;   in Loop: Header=BB267_9 Depth=1
	v_bfe_u32 v52, v10, 16, 7
	v_cmp_ne_u32_e64 s[0:1], s43, v52
	v_mov_b32_e32 v50, 0x7c01
	s_and_saveexec_b64 s[38:39], s[0:1]
	s_cbranch_execz .LBB267_193
; %bb.192:                              ;   in Loop: Header=BB267_9 Depth=1
	v_and_b32_e32 v50, 7, v2
	v_ffbh_u32_e32 v54, v50
	v_min_u32_e32 v56, 32, v54
	v_subrev_u32_e32 v54, 28, v56
	v_lshlrev_b64 v[54:55], v54, v[2:3]
	v_lshrrev_b32_e32 v53, 3, v52
	v_sub_u32_e32 v55, 29, v56
	v_cmp_gt_u32_e64 s[0:1], 8, v52
	v_lshlrev_b32_e32 v2, 8, v2
	s_nop 0
	v_cndmask_b32_e64 v52, v53, v55, s[0:1]
	v_lshl_add_u32 v52, v52, 10, v17
	v_and_b32_e32 v53, 7, v54
	v_and_b32_e32 v52, 0xfc00, v52
	v_cndmask_b32_e64 v50, v50, v53, s[0:1]
	v_and_or_b32 v2, v2, s44, v52
	v_lshl_or_b32 v50, v50, 7, v2
.LBB267_193:                            ;   in Loop: Header=BB267_9 Depth=1
	s_or_b64 exec, exec, s[38:39]
.LBB267_194:                            ;   in Loop: Header=BB267_9 Depth=1
	s_or_b64 exec, exec, s[36:37]
.LBB267_195:                            ;   in Loop: Header=BB267_9 Depth=1
	s_or_b64 exec, exec, s[34:35]
	v_cmp_lt_u32_e64 s[0:1], s45, v10
	v_mov_b32_e32 v53, 0
	v_mov_b32_e32 v52, 0
	s_and_saveexec_b64 s[34:35], s[0:1]
	s_cbranch_execz .LBB267_201
; %bb.196:                              ;   in Loop: Header=BB267_9 Depth=1
	v_lshrrev_b32_e32 v2, 24, v10
	v_cmp_ne_u32_e64 s[0:1], s42, v2
	v_bfrev_b32_e32 v52, 1
	s_and_saveexec_b64 s[36:37], s[0:1]
	s_cbranch_execz .LBB267_200
; %bb.197:                              ;   in Loop: Header=BB267_9 Depth=1
	v_and_b32_e32 v10, 0x7f, v2
	v_cmp_ne_u32_e64 s[0:1], s43, v10
	v_mov_b32_e32 v52, 0x7c010000
	s_and_saveexec_b64 s[38:39], s[0:1]
	s_cbranch_execz .LBB267_199
; %bb.198:                              ;   in Loop: Header=BB267_9 Depth=1
	v_and_b32_e32 v52, 7, v2
	v_ffbh_u32_e32 v54, v52
	v_min_u32_e32 v57, 32, v54
	v_subrev_u32_e32 v54, 28, v57
	v_lshlrev_b64 v[54:55], v54, v[2:3]
	v_lshrrev_b32_e32 v56, 3, v10
	v_sub_u32_e32 v55, 29, v57
	v_cmp_gt_u32_e64 s[0:1], 8, v10
	v_lshlrev_b32_e32 v2, 8, v2
	v_and_b32_e32 v54, 7, v54
	v_cndmask_b32_e64 v10, v56, v55, s[0:1]
	v_lshl_add_u32 v10, v10, 10, v17
	v_and_or_b32 v2, v2, s44, v10
	v_cndmask_b32_e64 v52, v52, v54, s[0:1]
	v_lshlrev_b32_e32 v2, 16, v2
	v_lshl_or_b32 v52, v52, 23, v2
.LBB267_199:                            ;   in Loop: Header=BB267_9 Depth=1
	s_or_b64 exec, exec, s[38:39]
.LBB267_200:                            ;   in Loop: Header=BB267_9 Depth=1
	s_or_b64 exec, exec, s[36:37]
.LBB267_201:                            ;   in Loop: Header=BB267_9 Depth=1
	s_or_b64 exec, exec, s[34:35]
	global_load_dword v10, v[8:9], off offset:2048
	s_waitcnt vmcnt(0)
	v_cmp_ne_u16_sdwa s[0:1], v10, v3 src0_sel:BYTE_0 src1_sel:DWORD
	s_and_saveexec_b64 s[34:35], s[0:1]
	s_cbranch_execz .LBB267_207
; %bb.202:                              ;   in Loop: Header=BB267_9 Depth=1
	v_cmp_ne_u16_sdwa s[0:1], v10, s42 src0_sel:BYTE_0 src1_sel:DWORD
	v_mov_b32_e32 v53, 0x8000
	s_and_saveexec_b64 s[36:37], s[0:1]
	s_cbranch_execz .LBB267_206
; %bb.203:                              ;   in Loop: Header=BB267_9 Depth=1
	v_and_b32_e32 v2, 0x7f, v10
	v_cmp_ne_u32_e64 s[0:1], s43, v2
	v_mov_b32_e32 v53, 0x7c01
	s_and_saveexec_b64 s[38:39], s[0:1]
	s_cbranch_execz .LBB267_205
; %bb.204:                              ;   in Loop: Header=BB267_9 Depth=1
	v_and_b32_e32 v53, 7, v10
	v_ffbh_u32_e32 v54, v53
	v_min_u32_e32 v57, 32, v54
	v_subrev_u32_e32 v54, 28, v57
	v_lshlrev_b64 v[54:55], v54, v[10:11]
	v_lshrrev_b32_e32 v56, 3, v2
	v_sub_u32_e32 v55, 29, v57
	v_cmp_gt_u32_e64 s[0:1], 8, v2
	v_and_b32_e32 v54, 7, v54
	s_nop 0
	v_cndmask_b32_e64 v2, v56, v55, s[0:1]
	v_lshl_add_u32 v2, v2, 10, v17
	v_lshlrev_b32_e32 v55, 8, v10
	v_and_b32_e32 v2, 0xfc00, v2
	v_cndmask_b32_e64 v53, v53, v54, s[0:1]
	v_and_or_b32 v2, v55, s44, v2
	v_lshl_or_b32 v53, v53, 7, v2
.LBB267_205:                            ;   in Loop: Header=BB267_9 Depth=1
	s_or_b64 exec, exec, s[38:39]
.LBB267_206:                            ;   in Loop: Header=BB267_9 Depth=1
	s_or_b64 exec, exec, s[36:37]
.LBB267_207:                            ;   in Loop: Header=BB267_9 Depth=1
	s_or_b64 exec, exec, s[34:35]
	v_lshrrev_b16_e32 v2, 8, v10
	v_cmp_ne_u16_e64 s[0:1], 0, v2
	v_mov_b32_e32 v54, 0
	v_mov_b32_e32 v55, 0
	s_and_saveexec_b64 s[34:35], s[0:1]
	s_cbranch_execz .LBB267_213
; %bb.208:                              ;   in Loop: Header=BB267_9 Depth=1
	v_cmp_ne_u16_e64 s[0:1], s42, v2
	v_bfrev_b32_e32 v55, 1
	s_and_saveexec_b64 s[36:37], s[0:1]
	s_cbranch_execz .LBB267_212
; %bb.209:                              ;   in Loop: Header=BB267_9 Depth=1
	v_and_b32_e32 v56, 0x7f, v2
	v_cmp_ne_u32_e64 s[0:1], s43, v56
	v_mov_b32_e32 v55, 0x7c010000
	s_and_saveexec_b64 s[38:39], s[0:1]
	s_cbranch_execz .LBB267_211
; %bb.210:                              ;   in Loop: Header=BB267_9 Depth=1
	v_and_b32_e32 v55, 7, v2
	v_ffbh_u32_e32 v58, v55
	v_min_u32_e32 v60, 32, v58
	v_subrev_u32_e32 v58, 28, v60
	v_lshlrev_b64 v[58:59], v58, v[2:3]
	v_lshrrev_b32_e32 v57, 3, v56
	v_sub_u32_e32 v59, 29, v60
	v_cmp_gt_u32_e64 s[0:1], 8, v56
	v_lshlrev_b32_e32 v2, 8, v2
	s_nop 0
	v_cndmask_b32_e64 v56, v57, v59, s[0:1]
	v_lshl_add_u32 v56, v56, 10, v17
	v_and_b32_e32 v57, 7, v58
	v_and_or_b32 v2, v2, s44, v56
	v_cndmask_b32_e64 v55, v55, v57, s[0:1]
	v_lshlrev_b32_e32 v2, 16, v2
	v_lshl_or_b32 v55, v55, 23, v2
.LBB267_211:                            ;   in Loop: Header=BB267_9 Depth=1
	s_or_b64 exec, exec, s[38:39]
.LBB267_212:                            ;   in Loop: Header=BB267_9 Depth=1
	s_or_b64 exec, exec, s[36:37]
.LBB267_213:                            ;   in Loop: Header=BB267_9 Depth=1
	s_or_b64 exec, exec, s[34:35]
	v_lshrrev_b32_e32 v2, 16, v10
	v_cmp_ne_u16_sdwa s[0:1], v2, v3 src0_sel:BYTE_0 src1_sel:DWORD
	s_and_saveexec_b64 s[34:35], s[0:1]
	s_cbranch_execz .LBB267_219
; %bb.214:                              ;   in Loop: Header=BB267_9 Depth=1
	v_cmp_ne_u16_sdwa s[0:1], v2, s42 src0_sel:BYTE_0 src1_sel:DWORD
	v_mov_b32_e32 v54, 0x8000
	s_and_saveexec_b64 s[36:37], s[0:1]
	s_cbranch_execz .LBB267_218
; %bb.215:                              ;   in Loop: Header=BB267_9 Depth=1
	v_bfe_u32 v56, v10, 16, 7
	v_cmp_ne_u32_e64 s[0:1], s43, v56
	v_mov_b32_e32 v54, 0x7c01
	s_and_saveexec_b64 s[38:39], s[0:1]
	s_cbranch_execz .LBB267_217
; %bb.216:                              ;   in Loop: Header=BB267_9 Depth=1
	v_and_b32_e32 v54, 7, v2
	v_ffbh_u32_e32 v58, v54
	v_min_u32_e32 v60, 32, v58
	v_subrev_u32_e32 v58, 28, v60
	v_lshlrev_b64 v[58:59], v58, v[2:3]
	v_lshrrev_b32_e32 v57, 3, v56
	v_sub_u32_e32 v59, 29, v60
	v_cmp_gt_u32_e64 s[0:1], 8, v56
	v_lshlrev_b32_e32 v2, 8, v2
	s_nop 0
	v_cndmask_b32_e64 v56, v57, v59, s[0:1]
	v_lshl_add_u32 v56, v56, 10, v17
	v_and_b32_e32 v57, 7, v58
	v_and_b32_e32 v56, 0xfc00, v56
	v_cndmask_b32_e64 v54, v54, v57, s[0:1]
	v_and_or_b32 v2, v2, s44, v56
	v_lshl_or_b32 v54, v54, 7, v2
.LBB267_217:                            ;   in Loop: Header=BB267_9 Depth=1
	s_or_b64 exec, exec, s[38:39]
.LBB267_218:                            ;   in Loop: Header=BB267_9 Depth=1
	s_or_b64 exec, exec, s[36:37]
.LBB267_219:                            ;   in Loop: Header=BB267_9 Depth=1
	s_or_b64 exec, exec, s[34:35]
	v_cmp_lt_u32_e64 s[0:1], s45, v10
	v_mov_b32_e32 v57, 0
	v_mov_b32_e32 v56, 0
	s_and_saveexec_b64 s[34:35], s[0:1]
	s_cbranch_execz .LBB267_225
; %bb.220:                              ;   in Loop: Header=BB267_9 Depth=1
	v_lshrrev_b32_e32 v2, 24, v10
	v_cmp_ne_u32_e64 s[0:1], s42, v2
	v_bfrev_b32_e32 v56, 1
	s_and_saveexec_b64 s[36:37], s[0:1]
	s_cbranch_execz .LBB267_224
; %bb.221:                              ;   in Loop: Header=BB267_9 Depth=1
	v_and_b32_e32 v10, 0x7f, v2
	v_cmp_ne_u32_e64 s[0:1], s43, v10
	v_mov_b32_e32 v56, 0x7c010000
	s_and_saveexec_b64 s[38:39], s[0:1]
	s_cbranch_execz .LBB267_223
; %bb.222:                              ;   in Loop: Header=BB267_9 Depth=1
	v_and_b32_e32 v56, 7, v2
	v_ffbh_u32_e32 v58, v56
	v_min_u32_e32 v61, 32, v58
	v_subrev_u32_e32 v58, 28, v61
	v_lshlrev_b64 v[58:59], v58, v[2:3]
	v_lshrrev_b32_e32 v60, 3, v10
	v_sub_u32_e32 v59, 29, v61
	v_cmp_gt_u32_e64 s[0:1], 8, v10
	v_lshlrev_b32_e32 v2, 8, v2
	v_and_b32_e32 v58, 7, v58
	v_cndmask_b32_e64 v10, v60, v59, s[0:1]
	v_lshl_add_u32 v10, v10, 10, v17
	v_and_or_b32 v2, v2, s44, v10
	v_cndmask_b32_e64 v56, v56, v58, s[0:1]
	v_lshlrev_b32_e32 v2, 16, v2
	v_lshl_or_b32 v56, v56, 23, v2
.LBB267_223:                            ;   in Loop: Header=BB267_9 Depth=1
	s_or_b64 exec, exec, s[38:39]
.LBB267_224:                            ;   in Loop: Header=BB267_9 Depth=1
	s_or_b64 exec, exec, s[36:37]
.LBB267_225:                            ;   in Loop: Header=BB267_9 Depth=1
	s_or_b64 exec, exec, s[34:35]
	global_load_dword v10, v[8:9], off offset:2056
	s_waitcnt vmcnt(0)
	v_cmp_ne_u16_sdwa s[0:1], v10, v3 src0_sel:BYTE_0 src1_sel:DWORD
	s_and_saveexec_b64 s[34:35], s[0:1]
	s_cbranch_execz .LBB267_231
; %bb.226:                              ;   in Loop: Header=BB267_9 Depth=1
	v_cmp_ne_u16_sdwa s[0:1], v10, s42 src0_sel:BYTE_0 src1_sel:DWORD
	v_mov_b32_e32 v57, 0x8000
	s_and_saveexec_b64 s[36:37], s[0:1]
	s_cbranch_execz .LBB267_230
; %bb.227:                              ;   in Loop: Header=BB267_9 Depth=1
	v_and_b32_e32 v2, 0x7f, v10
	v_cmp_ne_u32_e64 s[0:1], s43, v2
	v_mov_b32_e32 v57, 0x7c01
	s_and_saveexec_b64 s[38:39], s[0:1]
	s_cbranch_execz .LBB267_229
; %bb.228:                              ;   in Loop: Header=BB267_9 Depth=1
	v_and_b32_e32 v57, 7, v10
	v_ffbh_u32_e32 v58, v57
	v_min_u32_e32 v61, 32, v58
	v_subrev_u32_e32 v58, 28, v61
	v_lshlrev_b64 v[58:59], v58, v[10:11]
	v_lshrrev_b32_e32 v60, 3, v2
	v_sub_u32_e32 v59, 29, v61
	v_cmp_gt_u32_e64 s[0:1], 8, v2
	v_and_b32_e32 v58, 7, v58
	s_nop 0
	v_cndmask_b32_e64 v2, v60, v59, s[0:1]
	v_lshl_add_u32 v2, v2, 10, v17
	v_lshlrev_b32_e32 v59, 8, v10
	v_and_b32_e32 v2, 0xfc00, v2
	v_cndmask_b32_e64 v57, v57, v58, s[0:1]
	v_and_or_b32 v2, v59, s44, v2
	v_lshl_or_b32 v57, v57, 7, v2
.LBB267_229:                            ;   in Loop: Header=BB267_9 Depth=1
	s_or_b64 exec, exec, s[38:39]
.LBB267_230:                            ;   in Loop: Header=BB267_9 Depth=1
	s_or_b64 exec, exec, s[36:37]
.LBB267_231:                            ;   in Loop: Header=BB267_9 Depth=1
	s_or_b64 exec, exec, s[34:35]
	v_lshrrev_b16_e32 v2, 8, v10
	v_cmp_ne_u16_e64 s[0:1], 0, v2
	v_mov_b32_e32 v58, 0
	v_mov_b32_e32 v59, 0
	s_and_saveexec_b64 s[34:35], s[0:1]
	s_cbranch_execz .LBB267_237
; %bb.232:                              ;   in Loop: Header=BB267_9 Depth=1
	v_cmp_ne_u16_e64 s[0:1], s42, v2
	v_bfrev_b32_e32 v59, 1
	s_and_saveexec_b64 s[36:37], s[0:1]
	s_cbranch_execz .LBB267_236
; %bb.233:                              ;   in Loop: Header=BB267_9 Depth=1
	v_and_b32_e32 v60, 0x7f, v2
	v_cmp_ne_u32_e64 s[0:1], s43, v60
	v_mov_b32_e32 v59, 0x7c010000
	s_and_saveexec_b64 s[38:39], s[0:1]
	s_cbranch_execz .LBB267_235
; %bb.234:                              ;   in Loop: Header=BB267_9 Depth=1
	v_and_b32_e32 v59, 7, v2
	v_ffbh_u32_e32 v62, v59
	v_min_u32_e32 v64, 32, v62
	v_subrev_u32_e32 v62, 28, v64
	v_lshlrev_b64 v[62:63], v62, v[2:3]
	v_lshrrev_b32_e32 v61, 3, v60
	v_sub_u32_e32 v63, 29, v64
	v_cmp_gt_u32_e64 s[0:1], 8, v60
	v_lshlrev_b32_e32 v2, 8, v2
	s_nop 0
	v_cndmask_b32_e64 v60, v61, v63, s[0:1]
	v_lshl_add_u32 v60, v60, 10, v17
	v_and_b32_e32 v61, 7, v62
	v_and_or_b32 v2, v2, s44, v60
	v_cndmask_b32_e64 v59, v59, v61, s[0:1]
	v_lshlrev_b32_e32 v2, 16, v2
	v_lshl_or_b32 v59, v59, 23, v2
.LBB267_235:                            ;   in Loop: Header=BB267_9 Depth=1
	s_or_b64 exec, exec, s[38:39]
.LBB267_236:                            ;   in Loop: Header=BB267_9 Depth=1
	s_or_b64 exec, exec, s[36:37]
.LBB267_237:                            ;   in Loop: Header=BB267_9 Depth=1
	s_or_b64 exec, exec, s[34:35]
	v_lshrrev_b32_e32 v2, 16, v10
	v_cmp_ne_u16_sdwa s[0:1], v2, v3 src0_sel:BYTE_0 src1_sel:DWORD
	s_and_saveexec_b64 s[34:35], s[0:1]
	s_cbranch_execz .LBB267_243
; %bb.238:                              ;   in Loop: Header=BB267_9 Depth=1
	v_cmp_ne_u16_sdwa s[0:1], v2, s42 src0_sel:BYTE_0 src1_sel:DWORD
	v_mov_b32_e32 v58, 0x8000
	s_and_saveexec_b64 s[36:37], s[0:1]
	s_cbranch_execz .LBB267_242
; %bb.239:                              ;   in Loop: Header=BB267_9 Depth=1
	v_bfe_u32 v60, v10, 16, 7
	v_cmp_ne_u32_e64 s[0:1], s43, v60
	v_mov_b32_e32 v58, 0x7c01
	s_and_saveexec_b64 s[38:39], s[0:1]
	s_cbranch_execz .LBB267_241
; %bb.240:                              ;   in Loop: Header=BB267_9 Depth=1
	v_and_b32_e32 v58, 7, v2
	v_ffbh_u32_e32 v62, v58
	v_min_u32_e32 v64, 32, v62
	v_subrev_u32_e32 v62, 28, v64
	v_lshlrev_b64 v[62:63], v62, v[2:3]
	v_lshrrev_b32_e32 v61, 3, v60
	v_sub_u32_e32 v63, 29, v64
	v_cmp_gt_u32_e64 s[0:1], 8, v60
	v_lshlrev_b32_e32 v2, 8, v2
	s_nop 0
	v_cndmask_b32_e64 v60, v61, v63, s[0:1]
	v_lshl_add_u32 v60, v60, 10, v17
	v_and_b32_e32 v61, 7, v62
	v_and_b32_e32 v60, 0xfc00, v60
	v_cndmask_b32_e64 v58, v58, v61, s[0:1]
	v_and_or_b32 v2, v2, s44, v60
	v_lshl_or_b32 v58, v58, 7, v2
.LBB267_241:                            ;   in Loop: Header=BB267_9 Depth=1
	s_or_b64 exec, exec, s[38:39]
.LBB267_242:                            ;   in Loop: Header=BB267_9 Depth=1
	s_or_b64 exec, exec, s[36:37]
.LBB267_243:                            ;   in Loop: Header=BB267_9 Depth=1
	s_or_b64 exec, exec, s[34:35]
	v_cmp_lt_u32_e64 s[0:1], s45, v10
	v_mov_b32_e32 v61, 0
	v_mov_b32_e32 v60, 0
	s_and_saveexec_b64 s[34:35], s[0:1]
	s_cbranch_execz .LBB267_249
; %bb.244:                              ;   in Loop: Header=BB267_9 Depth=1
	v_lshrrev_b32_e32 v2, 24, v10
	v_cmp_ne_u32_e64 s[0:1], s42, v2
	v_bfrev_b32_e32 v60, 1
	s_and_saveexec_b64 s[36:37], s[0:1]
	s_cbranch_execz .LBB267_248
; %bb.245:                              ;   in Loop: Header=BB267_9 Depth=1
	v_and_b32_e32 v10, 0x7f, v2
	v_cmp_ne_u32_e64 s[0:1], s43, v10
	v_mov_b32_e32 v60, 0x7c010000
	s_and_saveexec_b64 s[38:39], s[0:1]
	s_cbranch_execz .LBB267_247
; %bb.246:                              ;   in Loop: Header=BB267_9 Depth=1
	v_and_b32_e32 v60, 7, v2
	v_ffbh_u32_e32 v62, v60
	v_min_u32_e32 v65, 32, v62
	v_subrev_u32_e32 v62, 28, v65
	v_lshlrev_b64 v[62:63], v62, v[2:3]
	v_lshrrev_b32_e32 v64, 3, v10
	v_sub_u32_e32 v63, 29, v65
	v_cmp_gt_u32_e64 s[0:1], 8, v10
	v_lshlrev_b32_e32 v2, 8, v2
	v_and_b32_e32 v62, 7, v62
	v_cndmask_b32_e64 v10, v64, v63, s[0:1]
	v_lshl_add_u32 v10, v10, 10, v17
	v_and_or_b32 v2, v2, s44, v10
	v_cndmask_b32_e64 v60, v60, v62, s[0:1]
	v_lshlrev_b32_e32 v2, 16, v2
	v_lshl_or_b32 v60, v60, 23, v2
.LBB267_247:                            ;   in Loop: Header=BB267_9 Depth=1
	s_or_b64 exec, exec, s[38:39]
.LBB267_248:                            ;   in Loop: Header=BB267_9 Depth=1
	s_or_b64 exec, exec, s[36:37]
.LBB267_249:                            ;   in Loop: Header=BB267_9 Depth=1
	s_or_b64 exec, exec, s[34:35]
	global_load_dword v10, v[8:9], off offset:2560
	s_waitcnt vmcnt(0)
	v_cmp_ne_u16_sdwa s[0:1], v10, v3 src0_sel:BYTE_0 src1_sel:DWORD
	s_and_saveexec_b64 s[34:35], s[0:1]
	s_cbranch_execz .LBB267_255
; %bb.250:                              ;   in Loop: Header=BB267_9 Depth=1
	v_cmp_ne_u16_sdwa s[0:1], v10, s42 src0_sel:BYTE_0 src1_sel:DWORD
	v_mov_b32_e32 v61, 0x8000
	s_and_saveexec_b64 s[36:37], s[0:1]
	s_cbranch_execz .LBB267_254
; %bb.251:                              ;   in Loop: Header=BB267_9 Depth=1
	v_and_b32_e32 v2, 0x7f, v10
	v_cmp_ne_u32_e64 s[0:1], s43, v2
	v_mov_b32_e32 v61, 0x7c01
	s_and_saveexec_b64 s[38:39], s[0:1]
	s_cbranch_execz .LBB267_253
; %bb.252:                              ;   in Loop: Header=BB267_9 Depth=1
	v_and_b32_e32 v61, 7, v10
	v_ffbh_u32_e32 v62, v61
	v_min_u32_e32 v65, 32, v62
	v_subrev_u32_e32 v62, 28, v65
	v_lshlrev_b64 v[62:63], v62, v[10:11]
	v_lshrrev_b32_e32 v64, 3, v2
	v_sub_u32_e32 v63, 29, v65
	v_cmp_gt_u32_e64 s[0:1], 8, v2
	v_and_b32_e32 v62, 7, v62
	s_nop 0
	v_cndmask_b32_e64 v2, v64, v63, s[0:1]
	v_lshl_add_u32 v2, v2, 10, v17
	v_lshlrev_b32_e32 v63, 8, v10
	v_and_b32_e32 v2, 0xfc00, v2
	v_cndmask_b32_e64 v61, v61, v62, s[0:1]
	v_and_or_b32 v2, v63, s44, v2
	v_lshl_or_b32 v61, v61, 7, v2
.LBB267_253:                            ;   in Loop: Header=BB267_9 Depth=1
	s_or_b64 exec, exec, s[38:39]
.LBB267_254:                            ;   in Loop: Header=BB267_9 Depth=1
	s_or_b64 exec, exec, s[36:37]
.LBB267_255:                            ;   in Loop: Header=BB267_9 Depth=1
	s_or_b64 exec, exec, s[34:35]
	v_lshrrev_b16_e32 v2, 8, v10
	v_cmp_ne_u16_e64 s[0:1], 0, v2
	v_mov_b32_e32 v62, 0
	v_mov_b32_e32 v63, 0
	s_and_saveexec_b64 s[34:35], s[0:1]
	s_cbranch_execz .LBB267_261
; %bb.256:                              ;   in Loop: Header=BB267_9 Depth=1
	v_cmp_ne_u16_e64 s[0:1], s42, v2
	v_bfrev_b32_e32 v63, 1
	s_and_saveexec_b64 s[36:37], s[0:1]
	s_cbranch_execz .LBB267_260
; %bb.257:                              ;   in Loop: Header=BB267_9 Depth=1
	v_and_b32_e32 v64, 0x7f, v2
	v_cmp_ne_u32_e64 s[0:1], s43, v64
	v_mov_b32_e32 v63, 0x7c010000
	s_and_saveexec_b64 s[38:39], s[0:1]
	s_cbranch_execz .LBB267_259
; %bb.258:                              ;   in Loop: Header=BB267_9 Depth=1
	v_and_b32_e32 v63, 7, v2
	v_ffbh_u32_e32 v66, v63
	v_min_u32_e32 v68, 32, v66
	v_subrev_u32_e32 v66, 28, v68
	v_lshlrev_b64 v[66:67], v66, v[2:3]
	v_lshrrev_b32_e32 v65, 3, v64
	v_sub_u32_e32 v67, 29, v68
	v_cmp_gt_u32_e64 s[0:1], 8, v64
	v_lshlrev_b32_e32 v2, 8, v2
	s_nop 0
	v_cndmask_b32_e64 v64, v65, v67, s[0:1]
	v_lshl_add_u32 v64, v64, 10, v17
	v_and_b32_e32 v65, 7, v66
	v_and_or_b32 v2, v2, s44, v64
	v_cndmask_b32_e64 v63, v63, v65, s[0:1]
	v_lshlrev_b32_e32 v2, 16, v2
	v_lshl_or_b32 v63, v63, 23, v2
.LBB267_259:                            ;   in Loop: Header=BB267_9 Depth=1
	s_or_b64 exec, exec, s[38:39]
.LBB267_260:                            ;   in Loop: Header=BB267_9 Depth=1
	s_or_b64 exec, exec, s[36:37]
.LBB267_261:                            ;   in Loop: Header=BB267_9 Depth=1
	s_or_b64 exec, exec, s[34:35]
	v_lshrrev_b32_e32 v2, 16, v10
	v_cmp_ne_u16_sdwa s[0:1], v2, v3 src0_sel:BYTE_0 src1_sel:DWORD
	s_and_saveexec_b64 s[34:35], s[0:1]
	s_cbranch_execz .LBB267_267
; %bb.262:                              ;   in Loop: Header=BB267_9 Depth=1
	v_cmp_ne_u16_sdwa s[0:1], v2, s42 src0_sel:BYTE_0 src1_sel:DWORD
	v_mov_b32_e32 v62, 0x8000
	s_and_saveexec_b64 s[36:37], s[0:1]
	s_cbranch_execz .LBB267_266
; %bb.263:                              ;   in Loop: Header=BB267_9 Depth=1
	v_bfe_u32 v64, v10, 16, 7
	v_cmp_ne_u32_e64 s[0:1], s43, v64
	v_mov_b32_e32 v62, 0x7c01
	s_and_saveexec_b64 s[38:39], s[0:1]
	s_cbranch_execz .LBB267_265
; %bb.264:                              ;   in Loop: Header=BB267_9 Depth=1
	v_and_b32_e32 v62, 7, v2
	v_ffbh_u32_e32 v66, v62
	v_min_u32_e32 v68, 32, v66
	v_subrev_u32_e32 v66, 28, v68
	v_lshlrev_b64 v[66:67], v66, v[2:3]
	v_lshrrev_b32_e32 v65, 3, v64
	v_sub_u32_e32 v67, 29, v68
	v_cmp_gt_u32_e64 s[0:1], 8, v64
	v_lshlrev_b32_e32 v2, 8, v2
	s_nop 0
	v_cndmask_b32_e64 v64, v65, v67, s[0:1]
	v_lshl_add_u32 v64, v64, 10, v17
	v_and_b32_e32 v65, 7, v66
	v_and_b32_e32 v64, 0xfc00, v64
	v_cndmask_b32_e64 v62, v62, v65, s[0:1]
	v_and_or_b32 v2, v2, s44, v64
	v_lshl_or_b32 v62, v62, 7, v2
.LBB267_265:                            ;   in Loop: Header=BB267_9 Depth=1
	s_or_b64 exec, exec, s[38:39]
.LBB267_266:                            ;   in Loop: Header=BB267_9 Depth=1
	s_or_b64 exec, exec, s[36:37]
.LBB267_267:                            ;   in Loop: Header=BB267_9 Depth=1
	s_or_b64 exec, exec, s[34:35]
	v_cmp_lt_u32_e64 s[0:1], s45, v10
	v_mov_b32_e32 v65, 0
	v_mov_b32_e32 v64, 0
	s_and_saveexec_b64 s[34:35], s[0:1]
	s_cbranch_execz .LBB267_273
; %bb.268:                              ;   in Loop: Header=BB267_9 Depth=1
	v_lshrrev_b32_e32 v2, 24, v10
	v_cmp_ne_u32_e64 s[0:1], s42, v2
	v_bfrev_b32_e32 v64, 1
	s_and_saveexec_b64 s[36:37], s[0:1]
	s_cbranch_execz .LBB267_272
; %bb.269:                              ;   in Loop: Header=BB267_9 Depth=1
	v_and_b32_e32 v10, 0x7f, v2
	v_cmp_ne_u32_e64 s[0:1], s43, v10
	v_mov_b32_e32 v64, 0x7c010000
	s_and_saveexec_b64 s[38:39], s[0:1]
	s_cbranch_execz .LBB267_271
; %bb.270:                              ;   in Loop: Header=BB267_9 Depth=1
	v_and_b32_e32 v64, 7, v2
	v_ffbh_u32_e32 v66, v64
	v_min_u32_e32 v69, 32, v66
	v_subrev_u32_e32 v66, 28, v69
	v_lshlrev_b64 v[66:67], v66, v[2:3]
	v_lshrrev_b32_e32 v68, 3, v10
	v_sub_u32_e32 v67, 29, v69
	v_cmp_gt_u32_e64 s[0:1], 8, v10
	v_lshlrev_b32_e32 v2, 8, v2
	v_and_b32_e32 v66, 7, v66
	v_cndmask_b32_e64 v10, v68, v67, s[0:1]
	v_lshl_add_u32 v10, v10, 10, v17
	v_and_or_b32 v2, v2, s44, v10
	v_cndmask_b32_e64 v64, v64, v66, s[0:1]
	v_lshlrev_b32_e32 v2, 16, v2
	v_lshl_or_b32 v64, v64, 23, v2
.LBB267_271:                            ;   in Loop: Header=BB267_9 Depth=1
	s_or_b64 exec, exec, s[38:39]
.LBB267_272:                            ;   in Loop: Header=BB267_9 Depth=1
	s_or_b64 exec, exec, s[36:37]
.LBB267_273:                            ;   in Loop: Header=BB267_9 Depth=1
	s_or_b64 exec, exec, s[34:35]
	global_load_dword v10, v[8:9], off offset:2568
	s_waitcnt vmcnt(0)
	v_cmp_ne_u16_sdwa s[0:1], v10, v3 src0_sel:BYTE_0 src1_sel:DWORD
	s_and_saveexec_b64 s[34:35], s[0:1]
	s_cbranch_execz .LBB267_279
; %bb.274:                              ;   in Loop: Header=BB267_9 Depth=1
	v_cmp_ne_u16_sdwa s[0:1], v10, s42 src0_sel:BYTE_0 src1_sel:DWORD
	v_mov_b32_e32 v65, 0x8000
	s_and_saveexec_b64 s[36:37], s[0:1]
	s_cbranch_execz .LBB267_278
; %bb.275:                              ;   in Loop: Header=BB267_9 Depth=1
	v_and_b32_e32 v2, 0x7f, v10
	v_cmp_ne_u32_e64 s[0:1], s43, v2
	v_mov_b32_e32 v65, 0x7c01
	s_and_saveexec_b64 s[38:39], s[0:1]
	s_cbranch_execz .LBB267_277
; %bb.276:                              ;   in Loop: Header=BB267_9 Depth=1
	v_and_b32_e32 v65, 7, v10
	v_ffbh_u32_e32 v66, v65
	v_min_u32_e32 v69, 32, v66
	v_subrev_u32_e32 v66, 28, v69
	v_lshlrev_b64 v[66:67], v66, v[10:11]
	v_lshrrev_b32_e32 v68, 3, v2
	v_sub_u32_e32 v67, 29, v69
	v_cmp_gt_u32_e64 s[0:1], 8, v2
	v_and_b32_e32 v66, 7, v66
	s_nop 0
	v_cndmask_b32_e64 v2, v68, v67, s[0:1]
	v_lshl_add_u32 v2, v2, 10, v17
	v_lshlrev_b32_e32 v67, 8, v10
	v_and_b32_e32 v2, 0xfc00, v2
	v_cndmask_b32_e64 v65, v65, v66, s[0:1]
	v_and_or_b32 v2, v67, s44, v2
	v_lshl_or_b32 v65, v65, 7, v2
.LBB267_277:                            ;   in Loop: Header=BB267_9 Depth=1
	s_or_b64 exec, exec, s[38:39]
.LBB267_278:                            ;   in Loop: Header=BB267_9 Depth=1
	s_or_b64 exec, exec, s[36:37]
.LBB267_279:                            ;   in Loop: Header=BB267_9 Depth=1
	s_or_b64 exec, exec, s[34:35]
	v_lshrrev_b16_e32 v2, 8, v10
	v_cmp_ne_u16_e64 s[0:1], 0, v2
	v_mov_b32_e32 v66, 0
	v_mov_b32_e32 v67, 0
	s_and_saveexec_b64 s[34:35], s[0:1]
	s_cbranch_execz .LBB267_285
; %bb.280:                              ;   in Loop: Header=BB267_9 Depth=1
	v_cmp_ne_u16_e64 s[0:1], s42, v2
	v_bfrev_b32_e32 v67, 1
	s_and_saveexec_b64 s[36:37], s[0:1]
	s_cbranch_execz .LBB267_284
; %bb.281:                              ;   in Loop: Header=BB267_9 Depth=1
	v_and_b32_e32 v68, 0x7f, v2
	v_cmp_ne_u32_e64 s[0:1], s43, v68
	v_mov_b32_e32 v67, 0x7c010000
	s_and_saveexec_b64 s[38:39], s[0:1]
	s_cbranch_execz .LBB267_283
; %bb.282:                              ;   in Loop: Header=BB267_9 Depth=1
	v_and_b32_e32 v67, 7, v2
	v_ffbh_u32_e32 v70, v67
	v_min_u32_e32 v72, 32, v70
	v_subrev_u32_e32 v70, 28, v72
	v_lshlrev_b64 v[70:71], v70, v[2:3]
	v_lshrrev_b32_e32 v69, 3, v68
	v_sub_u32_e32 v71, 29, v72
	v_cmp_gt_u32_e64 s[0:1], 8, v68
	v_lshlrev_b32_e32 v2, 8, v2
	s_nop 0
	v_cndmask_b32_e64 v68, v69, v71, s[0:1]
	v_lshl_add_u32 v68, v68, 10, v17
	v_and_b32_e32 v69, 7, v70
	v_and_or_b32 v2, v2, s44, v68
	v_cndmask_b32_e64 v67, v67, v69, s[0:1]
	v_lshlrev_b32_e32 v2, 16, v2
	v_lshl_or_b32 v67, v67, 23, v2
.LBB267_283:                            ;   in Loop: Header=BB267_9 Depth=1
	s_or_b64 exec, exec, s[38:39]
.LBB267_284:                            ;   in Loop: Header=BB267_9 Depth=1
	s_or_b64 exec, exec, s[36:37]
.LBB267_285:                            ;   in Loop: Header=BB267_9 Depth=1
	s_or_b64 exec, exec, s[34:35]
	v_lshrrev_b32_e32 v2, 16, v10
	v_cmp_ne_u16_sdwa s[0:1], v2, v3 src0_sel:BYTE_0 src1_sel:DWORD
	s_and_saveexec_b64 s[34:35], s[0:1]
	s_cbranch_execz .LBB267_291
; %bb.286:                              ;   in Loop: Header=BB267_9 Depth=1
	v_cmp_ne_u16_sdwa s[0:1], v2, s42 src0_sel:BYTE_0 src1_sel:DWORD
	v_mov_b32_e32 v66, 0x8000
	s_and_saveexec_b64 s[36:37], s[0:1]
	s_cbranch_execz .LBB267_290
; %bb.287:                              ;   in Loop: Header=BB267_9 Depth=1
	v_bfe_u32 v68, v10, 16, 7
	v_cmp_ne_u32_e64 s[0:1], s43, v68
	v_mov_b32_e32 v66, 0x7c01
	s_and_saveexec_b64 s[38:39], s[0:1]
	s_cbranch_execz .LBB267_289
; %bb.288:                              ;   in Loop: Header=BB267_9 Depth=1
	v_and_b32_e32 v66, 7, v2
	v_ffbh_u32_e32 v70, v66
	v_min_u32_e32 v72, 32, v70
	v_subrev_u32_e32 v70, 28, v72
	v_lshlrev_b64 v[70:71], v70, v[2:3]
	v_lshrrev_b32_e32 v69, 3, v68
	v_sub_u32_e32 v71, 29, v72
	v_cmp_gt_u32_e64 s[0:1], 8, v68
	v_lshlrev_b32_e32 v2, 8, v2
	s_nop 0
	v_cndmask_b32_e64 v68, v69, v71, s[0:1]
	v_lshl_add_u32 v68, v68, 10, v17
	v_and_b32_e32 v69, 7, v70
	v_and_b32_e32 v68, 0xfc00, v68
	v_cndmask_b32_e64 v66, v66, v69, s[0:1]
	v_and_or_b32 v2, v2, s44, v68
	v_lshl_or_b32 v66, v66, 7, v2
.LBB267_289:                            ;   in Loop: Header=BB267_9 Depth=1
	s_or_b64 exec, exec, s[38:39]
.LBB267_290:                            ;   in Loop: Header=BB267_9 Depth=1
	s_or_b64 exec, exec, s[36:37]
.LBB267_291:                            ;   in Loop: Header=BB267_9 Depth=1
	s_or_b64 exec, exec, s[34:35]
	v_cmp_lt_u32_e64 s[0:1], s45, v10
	v_mov_b32_e32 v69, 0
	v_mov_b32_e32 v68, 0
	s_and_saveexec_b64 s[34:35], s[0:1]
	s_cbranch_execz .LBB267_297
; %bb.292:                              ;   in Loop: Header=BB267_9 Depth=1
	v_lshrrev_b32_e32 v2, 24, v10
	v_cmp_ne_u32_e64 s[0:1], s42, v2
	v_bfrev_b32_e32 v68, 1
	s_and_saveexec_b64 s[36:37], s[0:1]
	s_cbranch_execz .LBB267_296
; %bb.293:                              ;   in Loop: Header=BB267_9 Depth=1
	v_and_b32_e32 v10, 0x7f, v2
	v_cmp_ne_u32_e64 s[0:1], s43, v10
	v_mov_b32_e32 v68, 0x7c010000
	s_and_saveexec_b64 s[38:39], s[0:1]
	s_cbranch_execz .LBB267_295
; %bb.294:                              ;   in Loop: Header=BB267_9 Depth=1
	v_and_b32_e32 v68, 7, v2
	v_ffbh_u32_e32 v70, v68
	v_min_u32_e32 v73, 32, v70
	v_subrev_u32_e32 v70, 28, v73
	v_lshlrev_b64 v[70:71], v70, v[2:3]
	v_lshrrev_b32_e32 v72, 3, v10
	v_sub_u32_e32 v71, 29, v73
	v_cmp_gt_u32_e64 s[0:1], 8, v10
	v_lshlrev_b32_e32 v2, 8, v2
	v_and_b32_e32 v70, 7, v70
	v_cndmask_b32_e64 v10, v72, v71, s[0:1]
	v_lshl_add_u32 v10, v10, 10, v17
	v_and_or_b32 v2, v2, s44, v10
	v_cndmask_b32_e64 v68, v68, v70, s[0:1]
	v_lshlrev_b32_e32 v2, 16, v2
	v_lshl_or_b32 v68, v68, 23, v2
.LBB267_295:                            ;   in Loop: Header=BB267_9 Depth=1
	s_or_b64 exec, exec, s[38:39]
.LBB267_296:                            ;   in Loop: Header=BB267_9 Depth=1
	s_or_b64 exec, exec, s[36:37]
.LBB267_297:                            ;   in Loop: Header=BB267_9 Depth=1
	s_or_b64 exec, exec, s[34:35]
	global_load_dword v10, v[8:9], off offset:3072
	s_waitcnt vmcnt(0)
	v_cmp_ne_u16_sdwa s[0:1], v10, v3 src0_sel:BYTE_0 src1_sel:DWORD
	s_and_saveexec_b64 s[34:35], s[0:1]
	s_cbranch_execz .LBB267_303
; %bb.298:                              ;   in Loop: Header=BB267_9 Depth=1
	v_cmp_ne_u16_sdwa s[0:1], v10, s42 src0_sel:BYTE_0 src1_sel:DWORD
	v_mov_b32_e32 v69, 0x8000
	s_and_saveexec_b64 s[36:37], s[0:1]
	s_cbranch_execz .LBB267_302
; %bb.299:                              ;   in Loop: Header=BB267_9 Depth=1
	v_and_b32_e32 v2, 0x7f, v10
	v_cmp_ne_u32_e64 s[0:1], s43, v2
	v_mov_b32_e32 v69, 0x7c01
	s_and_saveexec_b64 s[38:39], s[0:1]
	s_cbranch_execz .LBB267_301
; %bb.300:                              ;   in Loop: Header=BB267_9 Depth=1
	v_and_b32_e32 v69, 7, v10
	v_ffbh_u32_e32 v70, v69
	v_min_u32_e32 v73, 32, v70
	v_subrev_u32_e32 v70, 28, v73
	v_lshlrev_b64 v[70:71], v70, v[10:11]
	v_lshrrev_b32_e32 v72, 3, v2
	v_sub_u32_e32 v71, 29, v73
	v_cmp_gt_u32_e64 s[0:1], 8, v2
	v_and_b32_e32 v70, 7, v70
	s_nop 0
	v_cndmask_b32_e64 v2, v72, v71, s[0:1]
	v_lshl_add_u32 v2, v2, 10, v17
	v_lshlrev_b32_e32 v71, 8, v10
	v_and_b32_e32 v2, 0xfc00, v2
	v_cndmask_b32_e64 v69, v69, v70, s[0:1]
	v_and_or_b32 v2, v71, s44, v2
	v_lshl_or_b32 v69, v69, 7, v2
.LBB267_301:                            ;   in Loop: Header=BB267_9 Depth=1
	s_or_b64 exec, exec, s[38:39]
.LBB267_302:                            ;   in Loop: Header=BB267_9 Depth=1
	s_or_b64 exec, exec, s[36:37]
.LBB267_303:                            ;   in Loop: Header=BB267_9 Depth=1
	s_or_b64 exec, exec, s[34:35]
	v_lshrrev_b16_e32 v2, 8, v10
	v_cmp_ne_u16_e64 s[0:1], 0, v2
	v_mov_b32_e32 v70, 0
	v_mov_b32_e32 v71, 0
	s_and_saveexec_b64 s[34:35], s[0:1]
	s_cbranch_execz .LBB267_309
; %bb.304:                              ;   in Loop: Header=BB267_9 Depth=1
	v_cmp_ne_u16_e64 s[0:1], s42, v2
	v_bfrev_b32_e32 v71, 1
	s_and_saveexec_b64 s[36:37], s[0:1]
	s_cbranch_execz .LBB267_308
; %bb.305:                              ;   in Loop: Header=BB267_9 Depth=1
	v_and_b32_e32 v72, 0x7f, v2
	v_cmp_ne_u32_e64 s[0:1], s43, v72
	v_mov_b32_e32 v71, 0x7c010000
	s_and_saveexec_b64 s[38:39], s[0:1]
	s_cbranch_execz .LBB267_307
; %bb.306:                              ;   in Loop: Header=BB267_9 Depth=1
	v_and_b32_e32 v71, 7, v2
	v_ffbh_u32_e32 v74, v71
	v_min_u32_e32 v76, 32, v74
	v_subrev_u32_e32 v74, 28, v76
	v_lshlrev_b64 v[74:75], v74, v[2:3]
	v_lshrrev_b32_e32 v73, 3, v72
	v_sub_u32_e32 v75, 29, v76
	v_cmp_gt_u32_e64 s[0:1], 8, v72
	v_lshlrev_b32_e32 v2, 8, v2
	s_nop 0
	v_cndmask_b32_e64 v72, v73, v75, s[0:1]
	v_lshl_add_u32 v72, v72, 10, v17
	v_and_b32_e32 v73, 7, v74
	v_and_or_b32 v2, v2, s44, v72
	v_cndmask_b32_e64 v71, v71, v73, s[0:1]
	v_lshlrev_b32_e32 v2, 16, v2
	v_lshl_or_b32 v71, v71, 23, v2
.LBB267_307:                            ;   in Loop: Header=BB267_9 Depth=1
	s_or_b64 exec, exec, s[38:39]
.LBB267_308:                            ;   in Loop: Header=BB267_9 Depth=1
	s_or_b64 exec, exec, s[36:37]
.LBB267_309:                            ;   in Loop: Header=BB267_9 Depth=1
	s_or_b64 exec, exec, s[34:35]
	v_lshrrev_b32_e32 v2, 16, v10
	v_cmp_ne_u16_sdwa s[0:1], v2, v3 src0_sel:BYTE_0 src1_sel:DWORD
	s_and_saveexec_b64 s[34:35], s[0:1]
	s_cbranch_execz .LBB267_315
; %bb.310:                              ;   in Loop: Header=BB267_9 Depth=1
	v_cmp_ne_u16_sdwa s[0:1], v2, s42 src0_sel:BYTE_0 src1_sel:DWORD
	v_mov_b32_e32 v70, 0x8000
	s_and_saveexec_b64 s[36:37], s[0:1]
	s_cbranch_execz .LBB267_314
; %bb.311:                              ;   in Loop: Header=BB267_9 Depth=1
	v_bfe_u32 v72, v10, 16, 7
	v_cmp_ne_u32_e64 s[0:1], s43, v72
	v_mov_b32_e32 v70, 0x7c01
	s_and_saveexec_b64 s[38:39], s[0:1]
	s_cbranch_execz .LBB267_313
; %bb.312:                              ;   in Loop: Header=BB267_9 Depth=1
	v_and_b32_e32 v70, 7, v2
	v_ffbh_u32_e32 v74, v70
	v_min_u32_e32 v76, 32, v74
	v_subrev_u32_e32 v74, 28, v76
	v_lshlrev_b64 v[74:75], v74, v[2:3]
	v_lshrrev_b32_e32 v73, 3, v72
	v_sub_u32_e32 v75, 29, v76
	v_cmp_gt_u32_e64 s[0:1], 8, v72
	v_lshlrev_b32_e32 v2, 8, v2
	s_nop 0
	v_cndmask_b32_e64 v72, v73, v75, s[0:1]
	v_lshl_add_u32 v72, v72, 10, v17
	v_and_b32_e32 v73, 7, v74
	v_and_b32_e32 v72, 0xfc00, v72
	v_cndmask_b32_e64 v70, v70, v73, s[0:1]
	v_and_or_b32 v2, v2, s44, v72
	v_lshl_or_b32 v70, v70, 7, v2
.LBB267_313:                            ;   in Loop: Header=BB267_9 Depth=1
	s_or_b64 exec, exec, s[38:39]
.LBB267_314:                            ;   in Loop: Header=BB267_9 Depth=1
	s_or_b64 exec, exec, s[36:37]
.LBB267_315:                            ;   in Loop: Header=BB267_9 Depth=1
	s_or_b64 exec, exec, s[34:35]
	v_cmp_lt_u32_e64 s[0:1], s45, v10
	v_mov_b32_e32 v72, 0
	v_mov_b32_e32 v73, 0
	s_and_saveexec_b64 s[34:35], s[0:1]
	s_cbranch_execz .LBB267_321
; %bb.316:                              ;   in Loop: Header=BB267_9 Depth=1
	v_lshrrev_b32_e32 v2, 24, v10
	v_cmp_ne_u32_e64 s[0:1], s42, v2
	v_bfrev_b32_e32 v73, 1
	s_and_saveexec_b64 s[36:37], s[0:1]
	s_cbranch_execz .LBB267_320
; %bb.317:                              ;   in Loop: Header=BB267_9 Depth=1
	v_and_b32_e32 v10, 0x7f, v2
	v_cmp_ne_u32_e64 s[0:1], s43, v10
	v_mov_b32_e32 v73, 0x7c010000
	s_and_saveexec_b64 s[38:39], s[0:1]
	s_cbranch_execz .LBB267_319
; %bb.318:                              ;   in Loop: Header=BB267_9 Depth=1
	v_and_b32_e32 v73, 7, v2
	v_ffbh_u32_e32 v74, v73
	v_min_u32_e32 v77, 32, v74
	v_subrev_u32_e32 v74, 28, v77
	v_lshlrev_b64 v[74:75], v74, v[2:3]
	v_lshrrev_b32_e32 v76, 3, v10
	v_sub_u32_e32 v75, 29, v77
	v_cmp_gt_u32_e64 s[0:1], 8, v10
	v_lshlrev_b32_e32 v2, 8, v2
	v_and_b32_e32 v74, 7, v74
	v_cndmask_b32_e64 v10, v76, v75, s[0:1]
	v_lshl_add_u32 v10, v10, 10, v17
	v_and_or_b32 v2, v2, s44, v10
	v_cndmask_b32_e64 v73, v73, v74, s[0:1]
	v_lshlrev_b32_e32 v2, 16, v2
	v_lshl_or_b32 v73, v73, 23, v2
.LBB267_319:                            ;   in Loop: Header=BB267_9 Depth=1
	s_or_b64 exec, exec, s[38:39]
.LBB267_320:                            ;   in Loop: Header=BB267_9 Depth=1
	s_or_b64 exec, exec, s[36:37]
.LBB267_321:                            ;   in Loop: Header=BB267_9 Depth=1
	s_or_b64 exec, exec, s[34:35]
	global_load_dword v10, v[8:9], off offset:3080
	s_waitcnt vmcnt(0)
	v_cmp_ne_u16_sdwa s[0:1], v10, v3 src0_sel:BYTE_0 src1_sel:DWORD
	s_and_saveexec_b64 s[34:35], s[0:1]
	s_cbranch_execz .LBB267_327
; %bb.322:                              ;   in Loop: Header=BB267_9 Depth=1
	v_cmp_ne_u16_sdwa s[0:1], v10, s42 src0_sel:BYTE_0 src1_sel:DWORD
	v_mov_b32_e32 v72, 0x8000
	s_and_saveexec_b64 s[36:37], s[0:1]
	s_cbranch_execz .LBB267_326
; %bb.323:                              ;   in Loop: Header=BB267_9 Depth=1
	v_and_b32_e32 v2, 0x7f, v10
	v_cmp_ne_u32_e64 s[0:1], s43, v2
	v_mov_b32_e32 v72, 0x7c01
	s_and_saveexec_b64 s[38:39], s[0:1]
	s_cbranch_execz .LBB267_325
; %bb.324:                              ;   in Loop: Header=BB267_9 Depth=1
	v_and_b32_e32 v72, 7, v10
	v_ffbh_u32_e32 v74, v72
	v_min_u32_e32 v77, 32, v74
	v_subrev_u32_e32 v74, 28, v77
	v_lshlrev_b64 v[74:75], v74, v[10:11]
	v_lshrrev_b32_e32 v76, 3, v2
	v_sub_u32_e32 v75, 29, v77
	v_cmp_gt_u32_e64 s[0:1], 8, v2
	v_and_b32_e32 v74, 7, v74
	s_nop 0
	v_cndmask_b32_e64 v2, v76, v75, s[0:1]
	v_lshl_add_u32 v2, v2, 10, v17
	v_lshlrev_b32_e32 v75, 8, v10
	v_and_b32_e32 v2, 0xfc00, v2
	v_cndmask_b32_e64 v72, v72, v74, s[0:1]
	v_and_or_b32 v2, v75, s44, v2
	v_lshl_or_b32 v72, v72, 7, v2
.LBB267_325:                            ;   in Loop: Header=BB267_9 Depth=1
	s_or_b64 exec, exec, s[38:39]
.LBB267_326:                            ;   in Loop: Header=BB267_9 Depth=1
	s_or_b64 exec, exec, s[36:37]
.LBB267_327:                            ;   in Loop: Header=BB267_9 Depth=1
	s_or_b64 exec, exec, s[34:35]
	v_lshrrev_b16_e32 v2, 8, v10
	v_cmp_ne_u16_e64 s[0:1], 0, v2
	v_mov_b32_e32 v74, 0
	v_mov_b32_e32 v75, 0
	s_and_saveexec_b64 s[34:35], s[0:1]
	s_cbranch_execz .LBB267_333
; %bb.328:                              ;   in Loop: Header=BB267_9 Depth=1
	v_cmp_ne_u16_e64 s[0:1], s42, v2
	v_bfrev_b32_e32 v75, 1
	s_and_saveexec_b64 s[36:37], s[0:1]
	s_cbranch_execz .LBB267_332
; %bb.329:                              ;   in Loop: Header=BB267_9 Depth=1
	v_and_b32_e32 v76, 0x7f, v2
	v_cmp_ne_u32_e64 s[0:1], s43, v76
	v_mov_b32_e32 v75, 0x7c010000
	s_and_saveexec_b64 s[38:39], s[0:1]
	s_cbranch_execz .LBB267_331
; %bb.330:                              ;   in Loop: Header=BB267_9 Depth=1
	v_and_b32_e32 v75, 7, v2
	v_ffbh_u32_e32 v78, v75
	v_min_u32_e32 v80, 32, v78
	v_subrev_u32_e32 v78, 28, v80
	v_lshlrev_b64 v[78:79], v78, v[2:3]
	v_lshrrev_b32_e32 v77, 3, v76
	v_sub_u32_e32 v79, 29, v80
	v_cmp_gt_u32_e64 s[0:1], 8, v76
	v_lshlrev_b32_e32 v2, 8, v2
	s_nop 0
	v_cndmask_b32_e64 v76, v77, v79, s[0:1]
	v_lshl_add_u32 v76, v76, 10, v17
	v_and_b32_e32 v77, 7, v78
	v_and_or_b32 v2, v2, s44, v76
	v_cndmask_b32_e64 v75, v75, v77, s[0:1]
	v_lshlrev_b32_e32 v2, 16, v2
	v_lshl_or_b32 v75, v75, 23, v2
.LBB267_331:                            ;   in Loop: Header=BB267_9 Depth=1
	s_or_b64 exec, exec, s[38:39]
.LBB267_332:                            ;   in Loop: Header=BB267_9 Depth=1
	s_or_b64 exec, exec, s[36:37]
.LBB267_333:                            ;   in Loop: Header=BB267_9 Depth=1
	s_or_b64 exec, exec, s[34:35]
	v_lshrrev_b32_e32 v2, 16, v10
	v_cmp_ne_u16_sdwa s[0:1], v2, v3 src0_sel:BYTE_0 src1_sel:DWORD
	s_and_saveexec_b64 s[34:35], s[0:1]
	s_cbranch_execz .LBB267_339
; %bb.334:                              ;   in Loop: Header=BB267_9 Depth=1
	v_cmp_ne_u16_sdwa s[0:1], v2, s42 src0_sel:BYTE_0 src1_sel:DWORD
	v_mov_b32_e32 v74, 0x8000
	s_and_saveexec_b64 s[36:37], s[0:1]
	s_cbranch_execz .LBB267_338
; %bb.335:                              ;   in Loop: Header=BB267_9 Depth=1
	v_bfe_u32 v76, v10, 16, 7
	v_cmp_ne_u32_e64 s[0:1], s43, v76
	v_mov_b32_e32 v74, 0x7c01
	s_and_saveexec_b64 s[38:39], s[0:1]
	s_cbranch_execz .LBB267_337
; %bb.336:                              ;   in Loop: Header=BB267_9 Depth=1
	v_and_b32_e32 v74, 7, v2
	v_ffbh_u32_e32 v78, v74
	v_min_u32_e32 v80, 32, v78
	v_subrev_u32_e32 v78, 28, v80
	v_lshlrev_b64 v[78:79], v78, v[2:3]
	v_lshrrev_b32_e32 v77, 3, v76
	v_sub_u32_e32 v79, 29, v80
	v_cmp_gt_u32_e64 s[0:1], 8, v76
	v_lshlrev_b32_e32 v2, 8, v2
	s_nop 0
	v_cndmask_b32_e64 v76, v77, v79, s[0:1]
	v_lshl_add_u32 v76, v76, 10, v17
	v_and_b32_e32 v77, 7, v78
	v_and_b32_e32 v76, 0xfc00, v76
	v_cndmask_b32_e64 v74, v74, v77, s[0:1]
	v_and_or_b32 v2, v2, s44, v76
	v_lshl_or_b32 v74, v74, 7, v2
.LBB267_337:                            ;   in Loop: Header=BB267_9 Depth=1
	s_or_b64 exec, exec, s[38:39]
.LBB267_338:                            ;   in Loop: Header=BB267_9 Depth=1
	s_or_b64 exec, exec, s[36:37]
.LBB267_339:                            ;   in Loop: Header=BB267_9 Depth=1
	s_or_b64 exec, exec, s[34:35]
	v_cmp_lt_u32_e64 s[0:1], s45, v10
	v_mov_b32_e32 v76, 0
	v_mov_b32_e32 v77, 0
	s_and_saveexec_b64 s[34:35], s[0:1]
	s_cbranch_execz .LBB267_345
; %bb.340:                              ;   in Loop: Header=BB267_9 Depth=1
	v_lshrrev_b32_e32 v2, 24, v10
	v_cmp_ne_u32_e64 s[0:1], s42, v2
	v_bfrev_b32_e32 v77, 1
	s_and_saveexec_b64 s[36:37], s[0:1]
	s_cbranch_execz .LBB267_344
; %bb.341:                              ;   in Loop: Header=BB267_9 Depth=1
	v_and_b32_e32 v10, 0x7f, v2
	v_cmp_ne_u32_e64 s[0:1], s43, v10
	v_mov_b32_e32 v77, 0x7c010000
	s_and_saveexec_b64 s[38:39], s[0:1]
	s_cbranch_execz .LBB267_343
; %bb.342:                              ;   in Loop: Header=BB267_9 Depth=1
	v_and_b32_e32 v77, 7, v2
	v_ffbh_u32_e32 v78, v77
	v_min_u32_e32 v81, 32, v78
	v_subrev_u32_e32 v78, 28, v81
	v_lshlrev_b64 v[78:79], v78, v[2:3]
	v_lshrrev_b32_e32 v80, 3, v10
	v_sub_u32_e32 v79, 29, v81
	v_cmp_gt_u32_e64 s[0:1], 8, v10
	v_lshlrev_b32_e32 v2, 8, v2
	v_and_b32_e32 v78, 7, v78
	v_cndmask_b32_e64 v10, v80, v79, s[0:1]
	v_lshl_add_u32 v10, v10, 10, v17
	v_and_or_b32 v2, v2, s44, v10
	v_cndmask_b32_e64 v77, v77, v78, s[0:1]
	v_lshlrev_b32_e32 v2, 16, v2
	v_lshl_or_b32 v77, v77, 23, v2
.LBB267_343:                            ;   in Loop: Header=BB267_9 Depth=1
	s_or_b64 exec, exec, s[38:39]
.LBB267_344:                            ;   in Loop: Header=BB267_9 Depth=1
	s_or_b64 exec, exec, s[36:37]
.LBB267_345:                            ;   in Loop: Header=BB267_9 Depth=1
	s_or_b64 exec, exec, s[34:35]
	global_load_dword v8, v[8:9], off offset:3584
	s_waitcnt vmcnt(0)
	v_cmp_ne_u16_sdwa s[0:1], v8, v3 src0_sel:BYTE_0 src1_sel:DWORD
	s_and_saveexec_b64 s[34:35], s[0:1]
	s_cbranch_execz .LBB267_351
; %bb.346:                              ;   in Loop: Header=BB267_9 Depth=1
	v_cmp_ne_u16_sdwa s[0:1], v8, s42 src0_sel:BYTE_0 src1_sel:DWORD
	v_mov_b32_e32 v76, 0x8000
	s_and_saveexec_b64 s[36:37], s[0:1]
	s_cbranch_execz .LBB267_350
; %bb.347:                              ;   in Loop: Header=BB267_9 Depth=1
	v_and_b32_e32 v2, 0x7f, v8
	v_cmp_ne_u32_e64 s[0:1], s43, v2
	v_mov_b32_e32 v76, 0x7c01
	s_and_saveexec_b64 s[38:39], s[0:1]
	s_cbranch_execz .LBB267_349
; %bb.348:                              ;   in Loop: Header=BB267_9 Depth=1
	v_and_b32_e32 v9, 7, v8
	v_ffbh_u32_e32 v76, v9
	v_min_u32_e32 v76, 32, v76
	v_lshrrev_b32_e32 v10, 3, v2
	v_subrev_u32_e32 v78, 28, v76
	v_sub_u32_e32 v76, 29, v76
	v_cmp_gt_u32_e64 s[0:1], 8, v2
	v_lshlrev_b64 v[78:79], v78, v[8:9]
	s_nop 0
	v_cndmask_b32_e64 v2, v10, v76, s[0:1]
	v_lshl_add_u32 v2, v2, 10, v17
	v_lshlrev_b32_e32 v10, 8, v8
	v_and_b32_e32 v76, 7, v78
	v_and_b32_e32 v2, 0xfc00, v2
	v_cndmask_b32_e64 v9, v9, v76, s[0:1]
	v_and_or_b32 v2, v10, s44, v2
	v_lshl_or_b32 v76, v9, 7, v2
.LBB267_349:                            ;   in Loop: Header=BB267_9 Depth=1
	s_or_b64 exec, exec, s[38:39]
.LBB267_350:                            ;   in Loop: Header=BB267_9 Depth=1
	s_or_b64 exec, exec, s[36:37]
.LBB267_351:                            ;   in Loop: Header=BB267_9 Depth=1
	s_or_b64 exec, exec, s[34:35]
	v_lshrrev_b16_e32 v2, 8, v8
	v_cmp_ne_u16_e64 s[0:1], 0, v2
	v_mov_b32_e32 v78, 0
	v_mov_b32_e32 v79, 0
	s_and_saveexec_b64 s[34:35], s[0:1]
	s_cbranch_execz .LBB267_357
; %bb.352:                              ;   in Loop: Header=BB267_9 Depth=1
	v_cmp_ne_u16_e64 s[0:1], s42, v2
	v_bfrev_b32_e32 v79, 1
	s_and_saveexec_b64 s[36:37], s[0:1]
	s_cbranch_execz .LBB267_356
; %bb.353:                              ;   in Loop: Header=BB267_9 Depth=1
	v_and_b32_e32 v9, 0x7f, v2
	v_cmp_ne_u32_e64 s[0:1], s43, v9
	v_mov_b32_e32 v79, 0x7c010000
	s_and_saveexec_b64 s[38:39], s[0:1]
	s_cbranch_execz .LBB267_355
; %bb.354:                              ;   in Loop: Header=BB267_9 Depth=1
	v_and_b32_e32 v10, 7, v2
	v_ffbh_u32_e32 v80, v10
	v_min_u32_e32 v82, 32, v80
	v_subrev_u32_e32 v80, 28, v82
	v_lshlrev_b64 v[80:81], v80, v[2:3]
	v_lshrrev_b32_e32 v79, 3, v9
	v_sub_u32_e32 v81, 29, v82
	v_cmp_gt_u32_e64 s[0:1], 8, v9
	v_lshlrev_b32_e32 v2, 8, v2
	s_nop 0
	v_cndmask_b32_e64 v9, v79, v81, s[0:1]
	v_lshl_add_u32 v9, v9, 10, v17
	v_and_b32_e32 v79, 7, v80
	v_and_or_b32 v2, v2, s44, v9
	v_cndmask_b32_e64 v10, v10, v79, s[0:1]
	v_lshlrev_b32_e32 v2, 16, v2
	v_lshl_or_b32 v79, v10, 23, v2
.LBB267_355:                            ;   in Loop: Header=BB267_9 Depth=1
	s_or_b64 exec, exec, s[38:39]
.LBB267_356:                            ;   in Loop: Header=BB267_9 Depth=1
	s_or_b64 exec, exec, s[36:37]
.LBB267_357:                            ;   in Loop: Header=BB267_9 Depth=1
	s_or_b64 exec, exec, s[34:35]
	v_lshrrev_b32_e32 v2, 16, v8
	v_cmp_ne_u16_sdwa s[0:1], v2, v3 src0_sel:BYTE_0 src1_sel:DWORD
	s_and_saveexec_b64 s[34:35], s[0:1]
	s_cbranch_execz .LBB267_363
; %bb.358:                              ;   in Loop: Header=BB267_9 Depth=1
	v_cmp_ne_u16_sdwa s[0:1], v2, s42 src0_sel:BYTE_0 src1_sel:DWORD
	v_mov_b32_e32 v78, 0x8000
	s_and_saveexec_b64 s[36:37], s[0:1]
	s_cbranch_execz .LBB267_362
; %bb.359:                              ;   in Loop: Header=BB267_9 Depth=1
	v_bfe_u32 v9, v8, 16, 7
	v_cmp_ne_u32_e64 s[0:1], s43, v9
	v_mov_b32_e32 v78, 0x7c01
	s_and_saveexec_b64 s[38:39], s[0:1]
	s_cbranch_execz .LBB267_361
; %bb.360:                              ;   in Loop: Header=BB267_9 Depth=1
	v_and_b32_e32 v10, 7, v2
	v_ffbh_u32_e32 v80, v10
	v_min_u32_e32 v82, 32, v80
	v_subrev_u32_e32 v80, 28, v82
	v_lshlrev_b64 v[80:81], v80, v[2:3]
	v_lshrrev_b32_e32 v78, 3, v9
	v_sub_u32_e32 v81, 29, v82
	v_cmp_gt_u32_e64 s[0:1], 8, v9
	v_lshlrev_b32_e32 v2, 8, v2
	s_nop 0
	v_cndmask_b32_e64 v9, v78, v81, s[0:1]
	v_lshl_add_u32 v9, v9, 10, v17
	v_and_b32_e32 v78, 7, v80
	v_and_b32_e32 v9, 0xfc00, v9
	v_cndmask_b32_e64 v10, v10, v78, s[0:1]
	v_and_or_b32 v2, v2, s44, v9
	v_lshl_or_b32 v78, v10, 7, v2
.LBB267_361:                            ;   in Loop: Header=BB267_9 Depth=1
	s_or_b64 exec, exec, s[38:39]
.LBB267_362:                            ;   in Loop: Header=BB267_9 Depth=1
	s_or_b64 exec, exec, s[36:37]
.LBB267_363:                            ;   in Loop: Header=BB267_9 Depth=1
	s_or_b64 exec, exec, s[34:35]
	v_cmp_lt_u32_e64 s[0:1], s45, v8
	v_mov_b32_e32 v80, 0
	s_and_saveexec_b64 s[34:35], s[0:1]
	s_cbranch_execz .LBB267_369
; %bb.364:                              ;   in Loop: Header=BB267_9 Depth=1
	v_lshrrev_b32_e32 v2, 24, v8
	v_cmp_ne_u32_e64 s[0:1], s42, v2
	v_bfrev_b32_e32 v80, 1
	s_and_saveexec_b64 s[36:37], s[0:1]
	s_cbranch_execz .LBB267_368
; %bb.365:                              ;   in Loop: Header=BB267_9 Depth=1
	v_and_b32_e32 v8, 0x7f, v2
	v_cmp_ne_u32_e64 s[0:1], s43, v8
	v_mov_b32_e32 v80, 0x7c010000
	s_and_saveexec_b64 s[38:39], s[0:1]
	s_cbranch_execz .LBB267_367
; %bb.366:                              ;   in Loop: Header=BB267_9 Depth=1
	v_and_b32_e32 v9, 7, v2
	v_ffbh_u32_e32 v80, v9
	v_min_u32_e32 v82, 32, v80
	v_subrev_u32_e32 v80, 28, v82
	v_lshlrev_b64 v[80:81], v80, v[2:3]
	v_lshrrev_b32_e32 v10, 3, v8
	v_sub_u32_e32 v81, 29, v82
	v_cmp_gt_u32_e64 s[0:1], 8, v8
	v_lshlrev_b32_e32 v2, 8, v2
	s_nop 0
	v_cndmask_b32_e64 v8, v10, v81, s[0:1]
	v_lshl_add_u32 v8, v8, 10, v17
	v_and_b32_e32 v10, 7, v80
	v_and_or_b32 v2, v2, s44, v8
	v_cndmask_b32_e64 v9, v9, v10, s[0:1]
	v_lshlrev_b32_e32 v2, 16, v2
	v_lshl_or_b32 v80, v9, 23, v2
.LBB267_367:                            ;   in Loop: Header=BB267_9 Depth=1
	s_or_b64 exec, exec, s[38:39]
.LBB267_368:                            ;   in Loop: Header=BB267_9 Depth=1
	s_or_b64 exec, exec, s[36:37]
.LBB267_369:                            ;   in Loop: Header=BB267_9 Depth=1
	s_or_b64 exec, exec, s[34:35]
	v_or_b32_e32 v69, v71, v69
	v_or_b32_e32 v2, v75, v72
	v_fma_mixlo_f16 v72, v19, v69, 0 op_sel_hi:[0,1,0]
	v_or_b32_e32 v69, v73, v70
	v_or_b32_e32 v65, v67, v65
	v_fma_mixlo_f16 v70, v19, v69, 0 op_sel_hi:[0,1,0]
	v_fma_mixlo_f16 v69, v19, v73, 0 op_sel:[0,1,0] op_sel_hi:[0,1,0]
	v_fma_mixlo_f16 v73, v19, v65, 0 op_sel_hi:[0,1,0]
	v_or_b32_e32 v65, v68, v66
	v_or_b32_e32 v61, v63, v61
	v_fma_mixlo_f16 v66, v19, v65, 0 op_sel_hi:[0,1,0]
	v_fma_mixlo_f16 v65, v19, v68, 0 op_sel:[0,1,0] op_sel_hi:[0,1,0]
	;; [unrolled: 5-line block ×6, first 2 shown]
	v_fma_mixlo_f16 v52, v19, v45, 0 op_sel_hi:[0,1,0]
	v_or_b32_e32 v45, v48, v46
	v_or_b32_e32 v28, v30, v28
	;; [unrolled: 1-line block ×3, first 2 shown]
	v_fma_mixlo_f16 v46, v19, v45, 0 op_sel_hi:[0,1,0]
	v_fma_mixlo_f16 v45, v19, v48, 0 op_sel:[0,1,0] op_sel_hi:[0,1,0]
	v_fma_mixlo_f16 v48, v19, v28, 0 op_sel_hi:[0,1,0]
	v_or_b32_e32 v28, v31, v29
	v_fma_mixlo_f16 v29, v19, v24, 0 op_sel_hi:[0,1,0]
	v_or_b32_e32 v24, v27, v25
	v_fma_mixlo_f16 v9, v19, v75, 0 op_sel:[0,1,0] op_sel_hi:[0,1,0]
	v_fma_mixlo_f16 v75, v19, v24, 0 op_sel_hi:[0,1,0]
	ds_read_b64 v[24:25], v14
	v_or_b32_e32 v20, v22, v20
	v_fma_mixlo_f16 v10, v19, v2, 0 op_sel_hi:[0,1,0]
	v_or_b32_e32 v2, v77, v74
	v_fma_mixlo_f16 v74, v19, v28, 0 op_sel_hi:[0,1,0]
	v_fma_mixlo_f16 v28, v19, v26, 0 op_sel:[0,1,0] op_sel_hi:[0,1,0]
	v_fma_mixlo_f16 v26, v19, v20, 0 op_sel_hi:[0,1,0]
	v_or_b32_e32 v20, v23, v21
	v_fma_mixlo_f16 v8, v19, v2, 0 op_sel_hi:[0,1,0]
	v_fma_mixlo_f16 v2, v19, v77, 0 op_sel:[0,1,0] op_sel_hi:[0,1,0]
	v_fma_mixlo_f16 v77, v19, v27, 0 op_sel:[0,1,0] op_sel_hi:[0,1,0]
	;; [unrolled: 1-line block ×3, first 2 shown]
	v_fma_mixlo_f16 v21, v19, v20, 0 op_sel_hi:[0,1,0]
	s_waitcnt lgkmcnt(0)
	v_lshrrev_b32_e32 v27, 16, v24
	v_and_b32_e32 v24, 0xffff, v24
	v_fma_mixlo_f16 v23, v19, v23, 0 op_sel:[0,1,0] op_sel_hi:[0,1,0]
	v_or_b32_e32 v76, v79, v76
	v_fma_mixlo_f16 v20, v19, v79, 0 op_sel:[0,1,0] op_sel_hi:[0,1,0]
	;;#ASMSTART
	v_cvt_f32_f16 v79, v24;
	;;#ASMEND
	v_and_b32_e32 v24, 0xffff, v26
	v_and_b32_e32 v22, 0xffff, v22
	;; [unrolled: 1-line block ×3, first 2 shown]
	;;#ASMSTART
	v_cvt_f32_f16 v81, v27;
	;;#ASMEND
	;;#ASMSTART
	v_cvt_f32_f16 v82, v24;
	;;#ASMEND
	;; [unrolled: 3-line block ×3, first 2 shown]
	v_lshrrev_b32_e32 v22, 16, v25
	v_and_b32_e32 v24, 0xffff, v25
	;;#ASMSTART
	v_cvt_f32_f16 v84, v24;
	;;#ASMEND
	;;#ASMSTART
	v_cvt_f32_f16 v85, v22;
	;;#ASMEND
	;; [unrolled: 3-line block ×3, first 2 shown]
	v_and_b32_e32 v21, 0xffff, v23
	;;#ASMSTART
	v_cvt_f32_f16 v87, v21;
	;;#ASMEND
	ds_read_b64 v[26:27], v14 offset:8
	v_and_b32_e32 v25, 0xffff, v29
	v_fma_mixlo_f16 v30, v19, v30, 0 op_sel:[0,1,0] op_sel_hi:[0,1,0]
	v_fma_mixlo_f16 v31, v19, v31, 0 op_sel:[0,1,0] op_sel_hi:[0,1,0]
	v_fma_mixlo_f16 v24, v19, v76, 0 op_sel_hi:[0,1,0]
	s_waitcnt lgkmcnt(0)
	v_lshrrev_b32_e32 v23, 16, v26
	v_and_b32_e32 v22, 0xffff, v26
	v_and_b32_e32 v26, 0xffff, v28
	;;#ASMSTART
	v_cvt_f32_f16 v22, v22;
	;;#ASMEND
	;;#ASMSTART
	v_cvt_f32_f16 v23, v23;
	;;#ASMEND
	;; [unrolled: 3-line block ×4, first 2 shown]
	v_and_b32_e32 v28, 0xffff, v77
	v_mul_f32_e32 v22, v22, v25
	v_mul_f32_e32 v23, v23, v26
	v_lshrrev_b32_e32 v26, 16, v27
	v_and_b32_e32 v25, 0xffff, v27
	v_and_b32_e32 v27, 0xffff, v75
	;;#ASMSTART
	v_cvt_f32_f16 v25, v25;
	;;#ASMEND
	;;#ASMSTART
	v_cvt_f32_f16 v26, v26;
	;;#ASMEND
	;; [unrolled: 3-line block ×4, first 2 shown]
	ds_read_b64 v[28:29], v14 offset:16
	v_mul_f32_e32 v25, v25, v27
	v_mul_f32_e32 v26, v26, v75
	v_or_b32_e32 v32, v35, v32
	v_fma_mixlo_f16 v32, v19, v32, 0 op_sel_hi:[0,1,0]
	s_waitcnt lgkmcnt(0)
	v_lshrrev_b32_e32 v75, 16, v28
	v_and_b32_e32 v27, 0xffff, v28
	v_and_b32_e32 v28, 0xffff, v48
	;;#ASMSTART
	v_cvt_f32_f16 v27, v27;
	;;#ASMEND
	;;#ASMSTART
	v_cvt_f32_f16 v75, v75;
	;;#ASMEND
	;; [unrolled: 3-line block ×3, first 2 shown]
	v_and_b32_e32 v28, 0xffff, v30
	;;#ASMSTART
	v_cvt_f32_f16 v30, v28;
	;;#ASMEND
	v_lshrrev_b32_e32 v28, 16, v29
	v_and_b32_e32 v29, 0xffff, v29
	;;#ASMSTART
	v_cvt_f32_f16 v76, v29;
	;;#ASMEND
	;;#ASMSTART
	v_cvt_f32_f16 v77, v28;
	;;#ASMEND
	v_and_b32_e32 v28, 0xffff, v74
	;;#ASMSTART
	v_cvt_f32_f16 v74, v28;
	;;#ASMEND
	v_and_b32_e32 v28, 0xffff, v31
	;;#ASMSTART
	v_cvt_f32_f16 v31, v28;
	;;#ASMEND
	ds_read_b64 v[28:29], v14 offset:24
	v_fmac_f32_e32 v22, v79, v82
	v_fmac_f32_e32 v23, v81, v83
	v_fma_mixlo_f16 v35, v19, v35, 0 op_sel:[0,1,0] op_sel_hi:[0,1,0]
	v_fmac_f32_e32 v26, v85, v87
	v_fmac_f32_e32 v22, v27, v48
	v_fmac_f32_e32 v23, v75, v30
	s_waitcnt lgkmcnt(0)
	v_lshrrev_b32_e32 v30, 16, v28
	v_and_b32_e32 v27, 0xffff, v28
	v_and_b32_e32 v28, 0xffff, v32
	v_or_b32_e32 v33, v36, v33
	v_fmac_f32_e32 v26, v77, v31
	;;#ASMSTART
	v_cvt_f32_f16 v27, v27;
	;;#ASMEND
	;;#ASMSTART
	v_cvt_f32_f16 v30, v30;
	;;#ASMEND
	;; [unrolled: 3-line block ×3, first 2 shown]
	v_and_b32_e32 v28, 0xffff, v35
	v_fma_mixlo_f16 v33, v19, v33, 0 op_sel_hi:[0,1,0]
	;;#ASMSTART
	v_cvt_f32_f16 v32, v28;
	;;#ASMEND
	v_lshrrev_b32_e32 v28, 16, v29
	v_fma_mixlo_f16 v36, v19, v36, 0 op_sel:[0,1,0] op_sel_hi:[0,1,0]
	v_and_b32_e32 v29, 0xffff, v29
	;;#ASMSTART
	v_cvt_f32_f16 v35, v29;
	;;#ASMEND
	;;#ASMSTART
	v_cvt_f32_f16 v48, v28;
	;;#ASMEND
	v_and_b32_e32 v28, 0xffff, v33
	;;#ASMSTART
	v_cvt_f32_f16 v33, v28;
	;;#ASMEND
	v_and_b32_e32 v28, 0xffff, v36
	;;#ASMSTART
	v_cvt_f32_f16 v36, v28;
	;;#ASMEND
	ds_read_b64 v[28:29], v14 offset:32
	v_or_b32_e32 v37, v39, v37
	v_fma_mixlo_f16 v37, v19, v37, 0 op_sel_hi:[0,1,0]
	v_fma_mixlo_f16 v39, v19, v39, 0 op_sel:[0,1,0] op_sel_hi:[0,1,0]
	v_fmac_f32_e32 v22, v27, v31
	v_fmac_f32_e32 v23, v30, v32
	s_waitcnt lgkmcnt(0)
	v_lshrrev_b32_e32 v30, 16, v28
	v_and_b32_e32 v27, 0xffff, v28
	v_and_b32_e32 v28, 0xffff, v37
	v_or_b32_e32 v38, v40, v38
	v_fmac_f32_e32 v25, v84, v86
	;;#ASMSTART
	v_cvt_f32_f16 v27, v27;
	;;#ASMEND
	;;#ASMSTART
	v_cvt_f32_f16 v30, v30;
	;;#ASMEND
	;; [unrolled: 3-line block ×3, first 2 shown]
	v_and_b32_e32 v28, 0xffff, v39
	v_fma_mixlo_f16 v38, v19, v38, 0 op_sel_hi:[0,1,0]
	v_fmac_f32_e32 v25, v76, v74
	;;#ASMSTART
	v_cvt_f32_f16 v32, v28;
	;;#ASMEND
	v_lshrrev_b32_e32 v28, 16, v29
	v_fma_mixlo_f16 v40, v19, v40, 0 op_sel:[0,1,0] op_sel_hi:[0,1,0]
	v_fmac_f32_e32 v25, v35, v33
	v_and_b32_e32 v29, 0xffff, v29
	;;#ASMSTART
	v_cvt_f32_f16 v33, v29;
	;;#ASMEND
	;;#ASMSTART
	v_cvt_f32_f16 v35, v28;
	;;#ASMEND
	v_and_b32_e32 v28, 0xffff, v38
	v_fmac_f32_e32 v26, v48, v36
	;;#ASMSTART
	v_cvt_f32_f16 v36, v28;
	;;#ASMEND
	v_and_b32_e32 v28, 0xffff, v40
	;;#ASMSTART
	v_cvt_f32_f16 v37, v28;
	;;#ASMEND
	ds_read_b64 v[28:29], v14 offset:40
	v_or_b32_e32 v41, v43, v41
	v_fma_mixlo_f16 v41, v19, v41, 0 op_sel_hi:[0,1,0]
	v_fma_mixlo_f16 v43, v19, v43, 0 op_sel:[0,1,0] op_sel_hi:[0,1,0]
	v_fmac_f32_e32 v22, v27, v31
	v_fmac_f32_e32 v23, v30, v32
	s_waitcnt lgkmcnt(0)
	v_lshrrev_b32_e32 v30, 16, v28
	v_and_b32_e32 v27, 0xffff, v28
	v_and_b32_e32 v28, 0xffff, v41
	v_or_b32_e32 v42, v44, v42
	;;#ASMSTART
	v_cvt_f32_f16 v27, v27;
	;;#ASMEND
	;;#ASMSTART
	v_cvt_f32_f16 v30, v30;
	;;#ASMEND
	;; [unrolled: 3-line block ×3, first 2 shown]
	v_and_b32_e32 v28, 0xffff, v43
	v_fma_mixlo_f16 v42, v19, v42, 0 op_sel_hi:[0,1,0]
	;;#ASMSTART
	v_cvt_f32_f16 v32, v28;
	;;#ASMEND
	v_lshrrev_b32_e32 v28, 16, v29
	v_fma_mixlo_f16 v44, v19, v44, 0 op_sel:[0,1,0] op_sel_hi:[0,1,0]
	v_fmac_f32_e32 v25, v33, v36
	v_fmac_f32_e32 v26, v35, v37
	v_and_b32_e32 v29, 0xffff, v29
	;;#ASMSTART
	v_cvt_f32_f16 v33, v29;
	;;#ASMEND
	;;#ASMSTART
	v_cvt_f32_f16 v35, v28;
	;;#ASMEND
	v_and_b32_e32 v28, 0xffff, v42
	;;#ASMSTART
	v_cvt_f32_f16 v36, v28;
	;;#ASMEND
	v_and_b32_e32 v28, 0xffff, v44
	;;#ASMSTART
	v_cvt_f32_f16 v37, v28;
	;;#ASMEND
	ds_read_b64 v[28:29], v14 offset:48
	v_fma_mixlo_f16 v47, v19, v47, 0 op_sel:[0,1,0] op_sel_hi:[0,1,0]
	v_fmac_f32_e32 v22, v27, v31
	v_fmac_f32_e32 v23, v30, v32
	v_fmac_f32_e32 v25, v33, v36
	s_waitcnt lgkmcnt(0)
	v_lshrrev_b32_e32 v30, 16, v28
	v_and_b32_e32 v27, 0xffff, v28
	v_and_b32_e32 v28, 0xffff, v52
	;;#ASMSTART
	v_cvt_f32_f16 v27, v27;
	;;#ASMEND
	;;#ASMSTART
	v_cvt_f32_f16 v30, v30;
	;;#ASMEND
	;;#ASMSTART
	v_cvt_f32_f16 v31, v28;
	;;#ASMEND
	v_and_b32_e32 v28, 0xffff, v47
	;;#ASMSTART
	v_cvt_f32_f16 v32, v28;
	;;#ASMEND
	v_lshrrev_b32_e32 v28, 16, v29
	v_fmac_f32_e32 v26, v35, v37
	v_and_b32_e32 v29, 0xffff, v29
	;;#ASMSTART
	v_cvt_f32_f16 v33, v29;
	;;#ASMEND
	;;#ASMSTART
	v_cvt_f32_f16 v35, v28;
	;;#ASMEND
	v_and_b32_e32 v28, 0xffff, v46
	;;#ASMSTART
	v_cvt_f32_f16 v36, v28;
	;;#ASMEND
	v_and_b32_e32 v28, 0xffff, v45
	;;#ASMSTART
	v_cvt_f32_f16 v37, v28;
	;;#ASMEND
	ds_read_b64 v[28:29], v14 offset:56
	v_fma_mixlo_f16 v51, v19, v51, 0 op_sel:[0,1,0] op_sel_hi:[0,1,0]
	v_fmac_f32_e32 v22, v27, v31
	v_fmac_f32_e32 v23, v30, v32
	v_fmac_f32_e32 v25, v33, v36
	s_waitcnt lgkmcnt(0)
	v_lshrrev_b32_e32 v30, 16, v28
	v_and_b32_e32 v27, 0xffff, v28
	v_and_b32_e32 v28, 0xffff, v56
	;;#ASMSTART
	v_cvt_f32_f16 v27, v27;
	;;#ASMEND
	;;#ASMSTART
	v_cvt_f32_f16 v30, v30;
	;;#ASMEND
	;;#ASMSTART
	v_cvt_f32_f16 v31, v28;
	;;#ASMEND
	v_and_b32_e32 v28, 0xffff, v51
	;;#ASMSTART
	v_cvt_f32_f16 v32, v28;
	;;#ASMEND
	v_lshrrev_b32_e32 v28, 16, v29
	;; [unrolled: 39-line block ×7, first 2 shown]
	v_fmac_f32_e32 v26, v35, v37
	v_and_b32_e32 v29, 0xffff, v29
	;;#ASMSTART
	v_cvt_f32_f16 v33, v29;
	;;#ASMEND
	;;#ASMSTART
	v_cvt_f32_f16 v35, v28;
	;;#ASMEND
	v_and_b32_e32 v28, 0xffff, v70
	;;#ASMSTART
	v_cvt_f32_f16 v36, v28;
	;;#ASMEND
	v_and_b32_e32 v28, 0xffff, v69
	;;#ASMSTART
	v_cvt_f32_f16 v37, v28;
	;;#ASMEND
	ds_read_b64 v[28:29], v14 offset:104
	v_fmac_f32_e32 v22, v27, v31
	v_fmac_f32_e32 v23, v30, v32
	v_and_b32_e32 v10, 0xffff, v10
	v_and_b32_e32 v9, 0xffff, v9
	s_waitcnt lgkmcnt(0)
	v_lshrrev_b32_e32 v30, 16, v28
	v_and_b32_e32 v27, 0xffff, v28
	;;#ASMSTART
	v_cvt_f32_f16 v27, v27;
	;;#ASMEND
	;;#ASMSTART
	v_cvt_f32_f16 v28, v30;
	;;#ASMEND
	;; [unrolled: 3-line block ×4, first 2 shown]
	v_lshrrev_b32_e32 v9, 16, v29
	v_and_b32_e32 v29, 0xffff, v29
	v_and_b32_e32 v8, 0xffff, v8
	;; [unrolled: 1-line block ×3, first 2 shown]
	;;#ASMSTART
	v_cvt_f32_f16 v29, v29;
	;;#ASMEND
	;;#ASMSTART
	v_cvt_f32_f16 v31, v9;
	;;#ASMEND
	;; [unrolled: 3-line block ×4, first 2 shown]
	ds_read_b64 v[8:9], v14 offset:112
	v_fmac_f32_e32 v26, v35, v37
	v_fmac_f32_e32 v22, v27, v10
	;; [unrolled: 1-line block ×3, first 2 shown]
	v_or_b32_e32 v21, v80, v78
	s_waitcnt lgkmcnt(0)
	v_lshrrev_b32_e32 v10, 16, v8
	v_and_b32_e32 v2, 0xffff, v8
	;;#ASMSTART
	v_cvt_f32_f16 v2, v2;
	;;#ASMEND
	;;#ASMSTART
	v_cvt_f32_f16 v8, v10;
	;;#ASMEND
	v_and_b32_e32 v10, 0xffff, v24
	v_fma_mixlo_f16 v21, v19, v21, 0 op_sel_hi:[0,1,0]
	v_fmac_f32_e32 v25, v33, v36
	v_fmac_f32_e32 v23, v28, v30
	;;#ASMSTART
	v_cvt_f32_f16 v10, v10;
	;;#ASMEND
	v_and_b32_e32 v20, 0xffff, v20
	v_fmac_f32_e32 v22, v2, v10
	v_and_b32_e32 v2, 0xffff, v9
	v_fma_mixlo_f16 v19, v19, v80, 0 op_sel:[0,1,0] op_sel_hi:[0,1,0]
	v_fmac_f32_e32 v25, v29, v32
	;;#ASMSTART
	v_cvt_f32_f16 v20, v20;
	;;#ASMEND
	;;#ASMSTART
	v_cvt_f32_f16 v2, v2;
	;;#ASMEND
	v_and_b32_e32 v10, 0xffff, v19
	v_fmac_f32_e32 v23, v8, v20
	v_lshrrev_b32_e32 v8, 16, v9
	v_and_b32_e32 v9, 0xffff, v21
	;;#ASMSTART
	v_cvt_f32_f16 v8, v8;
	;;#ASMEND
	;;#ASMSTART
	v_cvt_f32_f16 v9, v9;
	;;#ASMEND
	;; [unrolled: 3-line block ×3, first 2 shown]
	s_nop 0
	v_fmac_f32_e32 v25, v2, v9
	v_add_f32_e32 v2, v22, v23
	v_fmac_f32_e32 v26, v8, v10
	v_add_f32_e32 v2, v2, v25
	v_add_f32_e32 v9, v26, v2
	v_and_b32_e32 v2, 64, v11
	v_xor_b32_e32 v10, 1, v11
	v_add_u32_e32 v8, 64, v2
	v_cmp_lt_i32_e64 s[0:1], v10, v8
	s_nop 1
	v_cndmask_b32_e64 v10, v11, v10, s[0:1]
	v_lshlrev_b32_e32 v10, 2, v10
	ds_bpermute_b32 v10, v10, v9
	s_and_saveexec_b64 s[34:35], vcc
	s_cbranch_execz .LBB267_8
; %bb.370:                              ;   in Loop: Header=BB267_9 Depth=1
	v_add_u32_e32 v19, s41, v15
	v_cvt_f32_i32_e32 v19, v19
	s_waitcnt lgkmcnt(0)
	v_add_f32_e32 v9, v9, v10
	v_cmp_gt_i32_e64 s[0:1], s33, v15
	v_max_f32_e32 v10, v13, v13
	v_mul_f32_e32 v19, s28, v19
	v_cndmask_b32_e64 v19, 0, v19, s[2:3]
	v_fmac_f32_e32 v19, s29, v9
	v_cndmask_b32_e64 v9, 0, v19, s[0:1]
	ds_write_b32 v16, v9
	v_max_f32_e32 v9, v10, v19
	v_cndmask_b32_e64 v13, v13, v9, s[0:1]
	s_branch .LBB267_8
.LBB267_371:
	s_or_b64 exec, exec, s[14:15]
.LBB267_372:
	s_or_b64 exec, exec, s[30:31]
	v_xor_b32_e32 v3, 32, v11
	v_cmp_lt_i32_e32 vcc, v3, v8
	v_xor_b32_e32 v6, 16, v11
	v_max_f32_e32 v5, v13, v13
	v_cndmask_b32_e32 v3, v11, v3, vcc
	v_lshlrev_b32_e32 v3, 2, v3
	ds_bpermute_b32 v4, v3, v13
	v_cmp_lt_i32_e32 vcc, v6, v8
	v_xor_b32_e32 v7, 8, v11
	v_xor_b32_e32 v9, 4, v11
	;; [unrolled: 1-line block ×3, first 2 shown]
	s_waitcnt lgkmcnt(0)
	v_max_f32_e32 v4, v4, v4
	v_max_f32_e32 v4, v5, v4
	v_cndmask_b32_e32 v5, v11, v6, vcc
	v_lshlrev_b32_e32 v5, 2, v5
	ds_bpermute_b32 v6, v5, v4
	v_cmp_lt_i32_e32 vcc, v7, v8
	s_waitcnt lgkmcnt(0)
	v_max_f32_e32 v6, v6, v6
	v_max_f32_e32 v4, v4, v6
	v_cndmask_b32_e32 v6, v11, v7, vcc
	v_lshlrev_b32_e32 v6, 2, v6
	ds_bpermute_b32 v7, v6, v4
	v_cmp_lt_i32_e32 vcc, v9, v8
	;; [unrolled: 7-line block ×3, first 2 shown]
	s_waitcnt lgkmcnt(0)
	v_max_f32_e32 v9, v9, v9
	v_max_f32_e32 v10, v4, v9
	v_cndmask_b32_e32 v4, v11, v13, vcc
	v_lshlrev_b32_e32 v35, 2, v4
	ds_bpermute_b32 v13, v35, v10
	v_and_b32_e32 v4, 63, v0
	v_cmp_eq_u32_e32 vcc, 0, v4
	v_lshlrev_b32_e32 v9, 2, v34
	s_and_saveexec_b64 s[0:1], vcc
	s_cbranch_execz .LBB267_374
; %bb.373:
	s_waitcnt lgkmcnt(0)
	v_max_f32_e32 v13, v13, v13
	v_max_f32_e32 v10, v10, v10
	;; [unrolled: 1-line block ×3, first 2 shown]
	ds_write_b32 v9, v10 offset:240
.LBB267_374:
	s_or_b64 exec, exec, s[0:1]
	v_cmp_gt_u32_e64 s[0:1], 2, v4
	s_waitcnt lgkmcnt(0)
	v_mov_b32_e32 v13, 0xff7fffff
	v_lshlrev_b32_e32 v10, 2, v4
	s_barrier
	s_and_saveexec_b64 s[2:3], s[0:1]
; %bb.375:
	ds_read_b32 v13, v10 offset:240
; %bb.376:
	s_or_b64 exec, exec, s[2:3]
	v_xor_b32_e32 v14, 1, v11
	v_cmp_lt_i32_e64 s[2:3], v14, v8
	v_lshlrev_b32_e32 v2, 2, v2
	s_nop 0
	v_cndmask_b32_e64 v8, v11, v14, s[2:3]
	v_lshlrev_b32_e32 v36, 2, v8
	s_waitcnt lgkmcnt(0)
	ds_bpermute_b32 v8, v36, v13
	v_max_f32_e32 v13, v13, v13
	s_lshl_b32 s2, s19, 5
	s_min_i32 s30, s2, s33
	v_cmp_gt_i32_e64 s[2:3], s30, v0
	s_waitcnt lgkmcnt(0)
	v_max_f32_e32 v8, v8, v8
	v_max_f32_e32 v8, v13, v8
	ds_bpermute_b32 v8, v2, v8
	v_mov_b32_e32 v2, 0
	s_and_saveexec_b64 s[14:15], s[2:3]
	s_cbranch_execz .LBB267_380
; %bb.377:
	v_mov_b32_e32 v2, 0x100
	v_lshl_add_u32 v13, v0, 2, v2
	v_mov_b32_e32 v2, 0
	s_mov_b64 s[28:29], 0
	v_mov_b32_e32 v14, v0
.LBB267_378:                            ; =>This Inner Loop Header: Depth=1
	ds_read_b32 v15, v13
	v_add_u32_e32 v14, 0x80, v14
	v_cmp_le_i32_e64 s[8:9], s30, v14
	s_or_b64 s[28:29], s[8:9], s[28:29]
	s_waitcnt lgkmcnt(0)
	v_sub_f32_e32 v15, v15, v8
	v_mul_f32_e32 v15, 0x3fb8aa3b, v15
	v_exp_f32_e32 v15, v15
	ds_write_b32 v13, v15
	v_add_f32_e32 v2, v2, v15
	v_add_u32_e32 v13, 0x200, v13
	s_andn2_b64 exec, exec, s[28:29]
	s_cbranch_execnz .LBB267_378
; %bb.379:
	s_or_b64 exec, exec, s[28:29]
.LBB267_380:
	s_or_b64 exec, exec, s[14:15]
	ds_bpermute_b32 v3, v3, v2
	s_waitcnt lgkmcnt(0)
	v_add_f32_e32 v2, v2, v3
	ds_bpermute_b32 v3, v5, v2
	s_waitcnt lgkmcnt(0)
	v_add_f32_e32 v2, v2, v3
	;; [unrolled: 3-line block ×6, first 2 shown]
	s_and_saveexec_b64 s[8:9], vcc
; %bb.381:
	ds_write_b32 v9, v2 offset:248
; %bb.382:
	s_or_b64 exec, exec, s[8:9]
	s_waitcnt lgkmcnt(0)
	s_barrier
	s_and_saveexec_b64 s[8:9], s[0:1]
; %bb.383:
	ds_read_b32 v2, v10 offset:248
; %bb.384:
	s_or_b64 exec, exec, s[8:9]
	s_waitcnt lgkmcnt(0)
	ds_bpermute_b32 v3, v36, v2
	v_lshlrev_b32_e32 v5, 2, v11
	s_waitcnt lgkmcnt(0)
	v_add_f32_e32 v2, v2, v3
	v_and_b32_e32 v3, 0xffffff00, v5
	ds_bpermute_b32 v2, v3, v2
	s_and_saveexec_b64 s[0:1], s[2:3]
	s_cbranch_execz .LBB267_397
; %bb.385:
	s_waitcnt lgkmcnt(0)
	v_add_f32_e32 v2, 0x358637bd, v2
	v_div_scale_f32 v3, s[2:3], v2, v2, 1.0
	v_rcp_f32_e32 v5, v3
	v_div_scale_f32 v6, vcc, 1.0, v2, 1.0
	s_movk_i32 s2, 0x7f
	v_fma_f32 v7, -v3, v5, 1.0
	v_fmac_f32_e32 v5, v7, v5
	v_mul_f32_e32 v7, v6, v5
	v_fma_f32 v8, -v3, v7, v6
	v_fmac_f32_e32 v7, v8, v5
	v_fma_f32 v3, -v3, v7, v6
	v_div_fmas_f32 v3, v3, v5, v7
	v_xad_u32 v5, v0, -1, s30
	v_div_fixup_f32 v2, v3, v2, 1.0
	v_cmp_lt_u32_e32 vcc, s2, v5
	s_mov_b64 s[8:9], -1
	v_mov_b32_e32 v3, v0
	s_and_saveexec_b64 s[2:3], vcc
	s_cbranch_execz .LBB267_394
; %bb.386:
	v_lshrrev_b32_e32 v5, 7, v5
	v_add_u32_e32 v7, -1, v5
	v_lshrrev_b32_e32 v6, 1, v7
	v_mov_b32_e32 v3, v2
	v_add_u32_e32 v6, 1, v6
	v_cmp_lt_u32_e32 vcc, 13, v7
	v_mov_b32_e32 v9, 0
	s_and_saveexec_b64 s[8:9], vcc
	s_cbranch_execz .LBB267_390
; %bb.387:
	v_mov_b32_e32 v8, 0x100
	v_and_b32_e32 v7, -8, v6
	v_lshl_add_u32 v8, v0, 2, v8
	s_mov_b32 s28, 0
	s_mov_b64 s[14:15], 0
.LBB267_388:                            ; =>This Inner Loop Header: Depth=1
	ds_read2st64_b32 v[10:11], v8 offset1:2
	ds_read2st64_b32 v[14:15], v8 offset0:4 offset1:6
	ds_read2st64_b32 v[16:17], v8 offset0:8 offset1:10
	;; [unrolled: 1-line block ×3, first 2 shown]
	v_add_u32_e32 v7, -8, v7
	s_waitcnt lgkmcnt(3)
	v_pk_mul_f32 v[10:11], v[2:3], v[10:11]
	s_waitcnt lgkmcnt(2)
	v_pk_mul_f32 v[14:15], v[2:3], v[14:15]
	ds_write2st64_b32 v8, v10, v11 offset1:2
	ds_write2st64_b32 v8, v14, v15 offset0:4 offset1:6
	ds_read2st64_b32 v[14:15], v8 offset0:16 offset1:18
	s_waitcnt lgkmcnt(4)
	v_pk_mul_f32 v[10:11], v[2:3], v[16:17]
	ds_write2st64_b32 v8, v10, v11 offset0:8 offset1:10
	s_waitcnt lgkmcnt(4)
	v_pk_mul_f32 v[10:11], v[2:3], v[18:19]
	ds_write2st64_b32 v8, v10, v11 offset0:12 offset1:14
	ds_read2st64_b32 v[10:11], v8 offset0:20 offset1:22
	s_waitcnt lgkmcnt(3)
	v_pk_mul_f32 v[14:15], v[2:3], v[14:15]
	ds_read2st64_b32 v[16:17], v8 offset0:24 offset1:26
	ds_write2st64_b32 v8, v14, v15 offset0:16 offset1:18
	ds_read2st64_b32 v[14:15], v8 offset0:28 offset1:30
	s_waitcnt lgkmcnt(3)
	v_pk_mul_f32 v[10:11], v[2:3], v[10:11]
	ds_write2st64_b32 v8, v10, v11 offset0:20 offset1:22
	s_waitcnt lgkmcnt(3)
	v_pk_mul_f32 v[10:11], v[2:3], v[16:17]
	ds_write2st64_b32 v8, v10, v11 offset0:24 offset1:26
	s_waitcnt lgkmcnt(2)
	v_pk_mul_f32 v[10:11], v[2:3], v[14:15]
	s_add_i32 s28, s28, 16
	v_cmp_eq_u32_e32 vcc, 0, v7
	ds_write2st64_b32 v8, v10, v11 offset0:28 offset1:30
	v_add_u32_e32 v8, 0x2000, v8
	s_or_b64 s[14:15], vcc, s[14:15]
	v_mov_b32_e32 v9, s28
	s_andn2_b64 exec, exec, s[14:15]
	s_cbranch_execnz .LBB267_388
; %bb.389:
	s_or_b64 exec, exec, s[14:15]
.LBB267_390:
	s_or_b64 exec, exec, s[8:9]
	v_and_b32_e32 v6, 7, v6
	v_cmp_ne_u32_e32 vcc, 0, v6
	s_and_saveexec_b64 s[8:9], vcc
	s_cbranch_execz .LBB267_393
; %bb.391:
	v_lshlrev_b32_e32 v7, 9, v9
	v_lshlrev_b32_e32 v8, 2, v0
	s_movk_i32 s14, 0x100
	v_add3_u32 v7, v7, v8, s14
	s_mov_b64 s[14:15], 0
.LBB267_392:                            ; =>This Inner Loop Header: Depth=1
	ds_read2st64_b32 v[8:9], v7 offset1:2
	v_add_u32_e32 v6, -1, v6
	v_cmp_eq_u32_e32 vcc, 0, v6
	s_or_b64 s[14:15], vcc, s[14:15]
	s_waitcnt lgkmcnt(0)
	v_pk_mul_f32 v[8:9], v[2:3], v[8:9]
	ds_write2st64_b32 v7, v8, v9 offset1:2
	v_add_u32_e32 v7, 0x400, v7
	s_andn2_b64 exec, exec, s[14:15]
	s_cbranch_execnz .LBB267_392
.LBB267_393:
	s_or_b64 exec, exec, s[8:9]
	v_add_u32_e32 v5, 1, v5
	v_and_b32_e32 v6, 0x3fffffe, v5
	v_cmp_ne_u32_e32 vcc, v5, v6
	v_lshl_add_u32 v3, v6, 7, v0
	s_orn2_b64 s[8:9], vcc, exec
.LBB267_394:
	s_or_b64 exec, exec, s[2:3]
	s_and_b64 exec, exec, s[8:9]
	s_cbranch_execz .LBB267_397
; %bb.395:
	v_mov_b32_e32 v5, 0x100
	v_lshl_add_u32 v5, v3, 2, v5
	s_mov_b64 s[2:3], 0
.LBB267_396:                            ; =>This Inner Loop Header: Depth=1
	ds_read_b32 v6, v5
	v_add_u32_e32 v3, 0x80, v3
	v_cmp_le_i32_e32 vcc, s30, v3
	s_or_b64 s[2:3], vcc, s[2:3]
	s_waitcnt lgkmcnt(0)
	v_mul_f32_e32 v6, v2, v6
	ds_write_b32 v5, v6
	v_add_u32_e32 v5, 0x200, v5
	s_andn2_b64 exec, exec, s[2:3]
	s_cbranch_execnz .LBB267_396
.LBB267_397:
	s_or_b64 exec, exec, s[0:1]
	v_lshrrev_b32_e32 v37, 2, v4
	s_waitcnt lgkmcnt(0)
	s_barrier
	s_and_saveexec_b64 s[0:1], s[6:7]
	s_xor_b64 s[0:1], exec, s[0:1]
; %bb.398:
	v_lshrrev_b32_e32 v37, 2, v4
                                        ; implicit-def: $vgpr34
                                        ; implicit-def: $vgpr1
                                        ; implicit-def: $vgpr12
; %bb.399:
	s_or_saveexec_b64 s[6:7], s[0:1]
	v_mov_b32_e32 v3, 0
	v_and_b32_e32 v38, 3, v0
	v_mov_b32_e32 v2, 0
	v_mov_b32_e32 v5, 0
	;; [unrolled: 1-line block ×7, first 2 shown]
	s_xor_b64 exec, exec, s[6:7]
	s_cbranch_execz .LBB267_805
; %bb.400:
	s_ashr_i32 s1, s12, 31
	s_add_u32 s0, s26, s12
	v_or_b32_e32 v2, 0x70, v37
	s_movk_i32 s2, 0x78
	v_and_b32_e32 v1, 24, v1
	s_addc_u32 s1, s27, s1
	s_add_i32 s29, s19, -1
	v_cmp_gt_u32_e32 vcc, s2, v2
	s_lshl_b64 s[2:3], s[24:25], 2
	v_lshl_or_b32 v10, v37, 5, v1
	v_lshl_or_b32 v14, v2, 5, v1
	;; [unrolled: 1-line block ×3, first 2 shown]
	v_lshlrev_b32_e32 v1, 5, v38
	s_add_u32 s2, s22, s2
	s_mov_b32 s8, -1
	v_mov_b32_e32 v13, 0
	v_lshl_or_b32 v1, v34, 7, v1
	v_and_b32_e32 v12, 60, v12
	s_addc_u32 s3, s23, s3
	s_mov_b32 s28, s13
	s_mov_b32 s9, 0xffffff
	v_mov_b32_e32 v11, v13
	v_mov_b32_e32 v15, v13
	s_mov_b32 s30, s33
	v_add_u32_e32 v40, 0x100, v1
	v_lshl_add_u64 v[16:17], s[2:3], 0, v[12:13]
	s_mov_b64 s[12:13], 0
	v_mov_b64_e32 v[18:19], s[0:1]
	s_movk_i32 s31, 0x80
	s_movk_i32 s34, 0x7f
	s_mov_b32 s35, 0x8000
	v_mov_b32_e32 v41, 0x2000
	v_mov_b32_e32 v3, 0
	;; [unrolled: 1-line block ×9, first 2 shown]
	s_branch .LBB267_403
.LBB267_401:                            ;   in Loop: Header=BB267_403 Depth=1
	s_or_b64 exec, exec, s[2:3]
	;;#ASMSTART
	v_pk_mul_f16 v1, v47, v1;

	;;#ASMEND
	;;#ASMSTART
	v_pk_mul_f16 v12, v46, v22;

	;;#ASMEND
	;; [unrolled: 4-line block ×4, first 2 shown]
	s_nop 0
	;;#ASMSTART
	v_pk_add_f16 v1, v1, v12;

	;;#ASMEND
	s_nop 0
	;;#ASMSTART
	v_pk_add_f16 v1, v1, v20;

	;;#ASMEND
	;; [unrolled: 5-line block ×3, first 2 shown]
	s_nop 0
	v_lshrrev_b32_e32 v12, 16, v1
	v_and_b32_e32 v1, 0xffff, v1
	;;#ASMSTART
	v_cvt_f32_f16 v1, v1;
	;;#ASMEND
	;;#ASMSTART
	v_cvt_f32_f16 v12, v12;
	;;#ASMEND
	s_nop 0
	v_add_f32_e32 v1, v1, v12
	v_add_f32_e32 v3, v3, v1
.LBB267_402:                            ;   in Loop: Header=BB267_403 Depth=1
	s_or_b64 exec, exec, s[14:15]
	v_add_f32_e32 v1, v30, v31
	v_add_f32_e32 v2, v2, v1
	;; [unrolled: 1-line block ×11, first 2 shown]
	v_add_u32_e32 v34, 2, v34
	v_add_f32_e32 v9, v9, v1
	v_add_f32_e32 v1, v42, v43
	v_cmp_le_i32_e64 s[0:1], s19, v34
	v_add_f32_e32 v8, v8, v1
	v_add_u32_e32 v39, 64, v39
	v_add_u32_e32 v40, 0x100, v40
	s_or_b64 s[12:13], s[0:1], s[12:13]
	v_lshl_add_u64 v[16:17], v[16:17], 0, 8
	s_andn2_b64 exec, exec, s[12:13]
	s_cbranch_execz .LBB267_804
.LBB267_403:                            ; =>This Inner Loop Header: Depth=1
	global_load_dword v1, v[16:17], off
	ds_read2_b64 v[20:23], v40 offset1:1
	ds_read2_b64 v[24:27], v40 offset0:2 offset1:3
	s_waitcnt lgkmcnt(1)
	;;#ASMSTART
	v_cvt_f16_f32 v42, v20;

	;;#ASMEND
	;;#ASMSTART
	v_cvt_f16_f32 v43, v21;

	;;#ASMEND
	;; [unrolled: 4-line block ×4, first 2 shown]
	s_waitcnt lgkmcnt(0)
	;;#ASMSTART
	v_cvt_f16_f32 v48, v24;

	;;#ASMEND
	;;#ASMSTART
	v_cvt_f16_f32 v49, v25;

	;;#ASMEND
	;; [unrolled: 4-line block ×4, first 2 shown]
	s_waitcnt vmcnt(0)
	v_mad_i64_i32 v[20:21], s[0:1], v1, s28, v[18:19]
	v_lshl_add_u64 v[22:23], v[20:21], 0, v[10:11]
	global_load_dwordx2 v[26:27], v[22:23], off
	global_load_dword v24, v13, s[10:11]
	v_mov_b32_e32 v1, 0
	s_waitcnt vmcnt(1)
	v_cmp_ne_u16_sdwa s[0:1], v26, v13 src0_sel:BYTE_0 src1_sel:DWORD
	s_and_saveexec_b64 s[2:3], s[0:1]
	s_cbranch_execz .LBB267_409
; %bb.404:                              ;   in Loop: Header=BB267_403 Depth=1
	v_cmp_ne_u16_sdwa s[0:1], v26, s31 src0_sel:BYTE_0 src1_sel:DWORD
	v_mov_b32_e32 v1, 0x8000
	s_and_saveexec_b64 s[14:15], s[0:1]
	s_cbranch_execz .LBB267_408
; %bb.405:                              ;   in Loop: Header=BB267_403 Depth=1
	v_and_b32_e32 v12, 0x7f, v26
	v_cmp_ne_u32_e64 s[0:1], s34, v12
	v_mov_b32_e32 v1, 0x7c01
	s_and_saveexec_b64 s[22:23], s[0:1]
	s_cbranch_execz .LBB267_407
; %bb.406:                              ;   in Loop: Header=BB267_403 Depth=1
	v_and_b32_e32 v1, 7, v26
	v_ffbh_u32_e32 v28, v1
	v_min_u32_e32 v30, 32, v28
	v_subrev_u32_e32 v28, 28, v30
	v_lshlrev_b64 v[28:29], v28, v[26:27]
	v_lshrrev_b32_e32 v25, 3, v12
	v_sub_u32_e32 v29, 29, v30
	v_cmp_gt_u32_e64 s[0:1], 8, v12
	v_and_b32_e32 v28, 7, v28
	s_nop 0
	v_cndmask_b32_e64 v12, v25, v29, s[0:1]
	v_lshl_add_u32 v12, v12, 10, v41
	v_lshlrev_b32_e32 v25, 8, v26
	v_and_b32_e32 v12, 0xfc00, v12
	v_cndmask_b32_e64 v1, v1, v28, s[0:1]
	v_and_or_b32 v12, v25, s35, v12
	v_lshl_or_b32 v1, v1, 7, v12
.LBB267_407:                            ;   in Loop: Header=BB267_403 Depth=1
	s_or_b64 exec, exec, s[22:23]
.LBB267_408:                            ;   in Loop: Header=BB267_403 Depth=1
	s_or_b64 exec, exec, s[14:15]
.LBB267_409:                            ;   in Loop: Header=BB267_403 Depth=1
	s_or_b64 exec, exec, s[2:3]
	v_lshrrev_b16_e32 v12, 8, v26
	v_cmp_ne_u16_e64 s[0:1], 0, v12
	v_mov_b32_e32 v25, 0
	v_mov_b32_e32 v28, 0
	s_and_saveexec_b64 s[2:3], s[0:1]
	s_cbranch_execz .LBB267_415
; %bb.410:                              ;   in Loop: Header=BB267_403 Depth=1
	v_cmp_ne_u16_e64 s[0:1], s31, v12
	v_bfrev_b32_e32 v28, 1
	s_and_saveexec_b64 s[14:15], s[0:1]
	s_cbranch_execz .LBB267_414
; %bb.411:                              ;   in Loop: Header=BB267_403 Depth=1
	v_and_b32_e32 v29, 0x7f, v12
	v_cmp_ne_u32_e64 s[0:1], s34, v29
	v_mov_b32_e32 v28, 0x7c010000
	s_and_saveexec_b64 s[22:23], s[0:1]
	s_cbranch_execz .LBB267_413
; %bb.412:                              ;   in Loop: Header=BB267_403 Depth=1
	v_and_b32_e32 v28, 7, v12
	v_ffbh_u32_e32 v30, v28
	v_min_u32_e32 v33, 32, v30
	v_subrev_u32_e32 v30, 28, v33
	v_lshlrev_b64 v[30:31], v30, v[12:13]
	v_lshrrev_b32_e32 v32, 3, v29
	v_sub_u32_e32 v31, 29, v33
	v_cmp_gt_u32_e64 s[0:1], 8, v29
	v_lshlrev_b32_e32 v12, 8, v12
	v_and_b32_e32 v30, 7, v30
	v_cndmask_b32_e64 v29, v32, v31, s[0:1]
	v_lshl_add_u32 v29, v29, 10, v41
	v_and_or_b32 v12, v12, s35, v29
	v_cndmask_b32_e64 v28, v28, v30, s[0:1]
	v_lshlrev_b32_e32 v12, 16, v12
	v_lshl_or_b32 v28, v28, 23, v12
.LBB267_413:                            ;   in Loop: Header=BB267_403 Depth=1
	s_or_b64 exec, exec, s[22:23]
.LBB267_414:                            ;   in Loop: Header=BB267_403 Depth=1
	s_or_b64 exec, exec, s[14:15]
.LBB267_415:                            ;   in Loop: Header=BB267_403 Depth=1
	s_or_b64 exec, exec, s[2:3]
	v_lshrrev_b32_e32 v12, 16, v26
	v_cmp_ne_u16_sdwa s[0:1], v12, v13 src0_sel:BYTE_0 src1_sel:DWORD
	s_and_saveexec_b64 s[2:3], s[0:1]
	s_cbranch_execz .LBB267_421
; %bb.416:                              ;   in Loop: Header=BB267_403 Depth=1
	v_cmp_ne_u16_sdwa s[0:1], v12, s31 src0_sel:BYTE_0 src1_sel:DWORD
	v_mov_b32_e32 v25, 0x8000
	s_and_saveexec_b64 s[14:15], s[0:1]
	s_cbranch_execz .LBB267_420
; %bb.417:                              ;   in Loop: Header=BB267_403 Depth=1
	v_bfe_u32 v29, v26, 16, 7
	v_cmp_ne_u32_e64 s[0:1], s34, v29
	v_mov_b32_e32 v25, 0x7c01
	s_and_saveexec_b64 s[22:23], s[0:1]
	s_cbranch_execz .LBB267_419
; %bb.418:                              ;   in Loop: Header=BB267_403 Depth=1
	v_and_b32_e32 v25, 7, v12
	v_ffbh_u32_e32 v30, v25
	v_min_u32_e32 v33, 32, v30
	v_subrev_u32_e32 v30, 28, v33
	v_lshlrev_b64 v[30:31], v30, v[12:13]
	v_lshrrev_b32_e32 v32, 3, v29
	v_sub_u32_e32 v31, 29, v33
	v_cmp_gt_u32_e64 s[0:1], 8, v29
	v_lshlrev_b32_e32 v12, 8, v12
	v_and_b32_e32 v30, 7, v30
	v_cndmask_b32_e64 v29, v32, v31, s[0:1]
	v_lshl_add_u32 v29, v29, 10, v41
	v_and_b32_e32 v29, 0xfc00, v29
	v_cndmask_b32_e64 v25, v25, v30, s[0:1]
	v_and_or_b32 v12, v12, s35, v29
	v_lshl_or_b32 v25, v25, 7, v12
.LBB267_419:                            ;   in Loop: Header=BB267_403 Depth=1
	s_or_b64 exec, exec, s[22:23]
.LBB267_420:                            ;   in Loop: Header=BB267_403 Depth=1
	s_or_b64 exec, exec, s[14:15]
.LBB267_421:                            ;   in Loop: Header=BB267_403 Depth=1
	s_or_b64 exec, exec, s[2:3]
	v_cmp_lt_u32_e64 s[0:1], s9, v26
	v_mov_b32_e32 v29, 0
	v_mov_b32_e32 v30, 0
	s_and_saveexec_b64 s[2:3], s[0:1]
	s_cbranch_execz .LBB267_427
; %bb.422:                              ;   in Loop: Header=BB267_403 Depth=1
	v_lshrrev_b32_e32 v12, 24, v26
	v_cmp_ne_u32_e64 s[0:1], s31, v12
	v_bfrev_b32_e32 v30, 1
	s_and_saveexec_b64 s[14:15], s[0:1]
	s_cbranch_execz .LBB267_426
; %bb.423:                              ;   in Loop: Header=BB267_403 Depth=1
	v_and_b32_e32 v31, 0x7f, v12
	v_cmp_ne_u32_e64 s[0:1], s34, v31
	v_mov_b32_e32 v30, 0x7c010000
	s_and_saveexec_b64 s[22:23], s[0:1]
	s_cbranch_execz .LBB267_425
; %bb.424:                              ;   in Loop: Header=BB267_403 Depth=1
	v_and_b32_e32 v30, 7, v12
	v_ffbh_u32_e32 v32, v30
	v_min_u32_e32 v47, 32, v32
	v_subrev_u32_e32 v32, 28, v47
	v_lshlrev_b64 v[32:33], v32, v[12:13]
	v_lshrrev_b32_e32 v46, 3, v31
	v_sub_u32_e32 v33, 29, v47
	v_cmp_gt_u32_e64 s[0:1], 8, v31
	v_lshlrev_b32_e32 v12, 8, v12
	v_and_b32_e32 v32, 7, v32
	v_cndmask_b32_e64 v31, v46, v33, s[0:1]
	v_lshl_add_u32 v31, v31, 10, v41
	v_and_or_b32 v12, v12, s35, v31
	v_cndmask_b32_e64 v30, v30, v32, s[0:1]
	v_lshlrev_b32_e32 v12, 16, v12
	v_lshl_or_b32 v30, v30, 23, v12
.LBB267_425:                            ;   in Loop: Header=BB267_403 Depth=1
	s_or_b64 exec, exec, s[22:23]
.LBB267_426:                            ;   in Loop: Header=BB267_403 Depth=1
	s_or_b64 exec, exec, s[14:15]
.LBB267_427:                            ;   in Loop: Header=BB267_403 Depth=1
	s_or_b64 exec, exec, s[2:3]
	v_mov_b32_e32 v12, v27
	v_cmp_ne_u16_sdwa s[0:1], v27, v13 src0_sel:BYTE_0 src1_sel:DWORD
	s_and_saveexec_b64 s[2:3], s[0:1]
	s_cbranch_execz .LBB267_433
; %bb.428:                              ;   in Loop: Header=BB267_403 Depth=1
	v_cmp_ne_u16_sdwa s[0:1], v27, s31 src0_sel:BYTE_0 src1_sel:DWORD
	v_mov_b32_e32 v29, 0x8000
	s_and_saveexec_b64 s[14:15], s[0:1]
	s_cbranch_execz .LBB267_432
; %bb.429:                              ;   in Loop: Header=BB267_403 Depth=1
	v_and_b32_e32 v31, 0x7f, v27
	v_cmp_ne_u32_e64 s[0:1], s34, v31
	v_mov_b32_e32 v29, 0x7c01
	s_and_saveexec_b64 s[22:23], s[0:1]
	s_cbranch_execz .LBB267_431
; %bb.430:                              ;   in Loop: Header=BB267_403 Depth=1
	v_and_b32_e32 v29, 7, v27
	v_ffbh_u32_e32 v32, v29
	v_min_u32_e32 v47, 32, v32
	v_subrev_u32_e32 v32, 28, v47
	v_lshlrev_b64 v[32:33], v32, v[12:13]
	v_lshrrev_b32_e32 v46, 3, v31
	v_sub_u32_e32 v33, 29, v47
	v_cmp_gt_u32_e64 s[0:1], 8, v31
	v_and_b32_e32 v32, 7, v32
	s_nop 0
	v_cndmask_b32_e64 v31, v46, v33, s[0:1]
	v_lshl_add_u32 v31, v31, 10, v41
	v_lshlrev_b32_e32 v33, 8, v27
	v_and_b32_e32 v31, 0xfc00, v31
	v_cndmask_b32_e64 v29, v29, v32, s[0:1]
	v_and_or_b32 v31, v33, s35, v31
	v_lshl_or_b32 v29, v29, 7, v31
.LBB267_431:                            ;   in Loop: Header=BB267_403 Depth=1
	s_or_b64 exec, exec, s[22:23]
.LBB267_432:                            ;   in Loop: Header=BB267_403 Depth=1
	s_or_b64 exec, exec, s[14:15]
.LBB267_433:                            ;   in Loop: Header=BB267_403 Depth=1
	s_or_b64 exec, exec, s[2:3]
	v_lshrrev_b16_e32 v12, 8, v12
	v_cmp_ne_u16_e64 s[0:1], 0, v12
	v_mov_b32_e32 v32, 0
	v_mov_b32_e32 v31, 0
	s_and_saveexec_b64 s[2:3], s[0:1]
	s_cbranch_execz .LBB267_439
; %bb.434:                              ;   in Loop: Header=BB267_403 Depth=1
	v_cmp_ne_u16_e64 s[0:1], s31, v12
	v_bfrev_b32_e32 v31, 1
	s_and_saveexec_b64 s[14:15], s[0:1]
	s_cbranch_execz .LBB267_438
; %bb.435:                              ;   in Loop: Header=BB267_403 Depth=1
	v_and_b32_e32 v33, 0x7f, v12
	v_cmp_ne_u32_e64 s[0:1], s34, v33
	v_mov_b32_e32 v31, 0x7c010000
	s_and_saveexec_b64 s[22:23], s[0:1]
	s_cbranch_execz .LBB267_437
; %bb.436:                              ;   in Loop: Header=BB267_403 Depth=1
	v_and_b32_e32 v31, 7, v12
	v_ffbh_u32_e32 v46, v31
	v_min_u32_e32 v53, 32, v46
	v_subrev_u32_e32 v46, 28, v53
	v_lshlrev_b64 v[46:47], v46, v[12:13]
	v_lshrrev_b32_e32 v52, 3, v33
	v_sub_u32_e32 v47, 29, v53
	v_cmp_gt_u32_e64 s[0:1], 8, v33
	v_lshlrev_b32_e32 v12, 8, v12
	v_and_b32_e32 v46, 7, v46
	v_cndmask_b32_e64 v33, v52, v47, s[0:1]
	v_lshl_add_u32 v33, v33, 10, v41
	v_and_or_b32 v12, v12, s35, v33
	v_cndmask_b32_e64 v31, v31, v46, s[0:1]
	v_lshlrev_b32_e32 v12, 16, v12
	v_lshl_or_b32 v31, v31, 23, v12
.LBB267_437:                            ;   in Loop: Header=BB267_403 Depth=1
	s_or_b64 exec, exec, s[22:23]
.LBB267_438:                            ;   in Loop: Header=BB267_403 Depth=1
	s_or_b64 exec, exec, s[14:15]
.LBB267_439:                            ;   in Loop: Header=BB267_403 Depth=1
	s_or_b64 exec, exec, s[2:3]
	v_lshrrev_b32_e32 v12, 16, v27
	v_cmp_ne_u16_sdwa s[0:1], v12, v13 src0_sel:BYTE_0 src1_sel:DWORD
	s_and_saveexec_b64 s[2:3], s[0:1]
	s_cbranch_execz .LBB267_445
; %bb.440:                              ;   in Loop: Header=BB267_403 Depth=1
	v_cmp_ne_u16_sdwa s[0:1], v12, s31 src0_sel:BYTE_0 src1_sel:DWORD
	v_mov_b32_e32 v32, 0x8000
	s_and_saveexec_b64 s[14:15], s[0:1]
	s_cbranch_execz .LBB267_444
; %bb.441:                              ;   in Loop: Header=BB267_403 Depth=1
	v_bfe_u32 v33, v27, 16, 7
	v_cmp_ne_u32_e64 s[0:1], s34, v33
	v_mov_b32_e32 v32, 0x7c01
	s_and_saveexec_b64 s[22:23], s[0:1]
	s_cbranch_execz .LBB267_443
; %bb.442:                              ;   in Loop: Header=BB267_403 Depth=1
	v_and_b32_e32 v32, 7, v12
	v_ffbh_u32_e32 v46, v32
	v_min_u32_e32 v53, 32, v46
	v_subrev_u32_e32 v46, 28, v53
	v_lshlrev_b64 v[46:47], v46, v[12:13]
	v_lshrrev_b32_e32 v52, 3, v33
	v_sub_u32_e32 v47, 29, v53
	v_cmp_gt_u32_e64 s[0:1], 8, v33
	v_lshlrev_b32_e32 v12, 8, v12
	v_and_b32_e32 v46, 7, v46
	v_cndmask_b32_e64 v33, v52, v47, s[0:1]
	v_lshl_add_u32 v33, v33, 10, v41
	v_and_b32_e32 v33, 0xfc00, v33
	v_cndmask_b32_e64 v32, v32, v46, s[0:1]
	v_and_or_b32 v12, v12, s35, v33
	v_lshl_or_b32 v32, v32, 7, v12
.LBB267_443:                            ;   in Loop: Header=BB267_403 Depth=1
	s_or_b64 exec, exec, s[22:23]
.LBB267_444:                            ;   in Loop: Header=BB267_403 Depth=1
	s_or_b64 exec, exec, s[14:15]
.LBB267_445:                            ;   in Loop: Header=BB267_403 Depth=1
	s_or_b64 exec, exec, s[2:3]
	v_cmp_lt_u64_e64 s[0:1], s[8:9], v[26:27]
	v_mov_b32_e32 v33, 0
	s_and_saveexec_b64 s[2:3], s[0:1]
	s_cbranch_execz .LBB267_451
; %bb.446:                              ;   in Loop: Header=BB267_403 Depth=1
	v_lshrrev_b32_e32 v12, 24, v27
	v_cmp_ne_u32_e64 s[0:1], s31, v12
	v_bfrev_b32_e32 v33, 1
	s_and_saveexec_b64 s[14:15], s[0:1]
	s_cbranch_execz .LBB267_450
; %bb.447:                              ;   in Loop: Header=BB267_403 Depth=1
	v_and_b32_e32 v26, 0x7f, v12
	v_cmp_ne_u32_e64 s[0:1], s34, v26
	v_mov_b32_e32 v33, 0x7c010000
	s_and_saveexec_b64 s[22:23], s[0:1]
	s_cbranch_execz .LBB267_449
; %bb.448:                              ;   in Loop: Header=BB267_403 Depth=1
	v_and_b32_e32 v27, 7, v12
	v_ffbh_u32_e32 v46, v27
	v_min_u32_e32 v52, 32, v46
	v_subrev_u32_e32 v46, 28, v52
	v_lshlrev_b64 v[46:47], v46, v[12:13]
	v_lshrrev_b32_e32 v33, 3, v26
	v_sub_u32_e32 v47, 29, v52
	v_cmp_gt_u32_e64 s[0:1], 8, v26
	v_lshlrev_b32_e32 v12, 8, v12
	s_nop 0
	v_cndmask_b32_e64 v26, v33, v47, s[0:1]
	v_lshl_add_u32 v26, v26, 10, v41
	v_and_b32_e32 v33, 7, v46
	v_and_or_b32 v12, v12, s35, v26
	v_cndmask_b32_e64 v27, v27, v33, s[0:1]
	v_lshlrev_b32_e32 v12, 16, v12
	v_lshl_or_b32 v33, v27, 23, v12
.LBB267_449:                            ;   in Loop: Header=BB267_403 Depth=1
	s_or_b64 exec, exec, s[22:23]
.LBB267_450:                            ;   in Loop: Header=BB267_403 Depth=1
	s_or_b64 exec, exec, s[14:15]
.LBB267_451:                            ;   in Loop: Header=BB267_403 Depth=1
	s_or_b64 exec, exec, s[2:3]
	v_cvt_f32_f16_sdwa v27, v28 dst_sel:DWORD dst_unused:UNUSED_PAD src0_sel:WORD_1
	v_cvt_f32_f16_sdwa v26, v30 dst_sel:DWORD dst_unused:UNUSED_PAD src0_sel:WORD_1
	v_or_b32_e32 v1, v28, v1
	v_or_b32_e32 v12, v30, v25
	v_cvt_f32_f16_e32 v46, v12
	v_cvt_f32_f16_e32 v47, v1
	s_waitcnt vmcnt(0)
	v_pk_mul_f32 v[26:27], v[24:25], v[26:27] op_sel_hi:[0,1]
	v_cvt_pk_f16_f32 v1, v26, v27
	v_and_b32_e32 v25, 0xffff0000, v1
	v_pk_mul_f32 v[46:47], v[24:25], v[46:47] op_sel_hi:[0,1]
	v_or_b32_e32 v12, v31, v29
	v_or_b32_e32 v29, v33, v32
	v_lshlrev_b32_e32 v26, 16, v1
	v_cvt_pk_f16_f32 v1, v46, v47
	v_cvt_f32_f16_e32 v46, v29
	v_cvt_f32_f16_e32 v47, v12
	v_cvt_f32_f16_sdwa v31, v31 dst_sel:DWORD dst_unused:UNUSED_PAD src0_sel:WORD_1
	v_cvt_f32_f16_sdwa v30, v33 dst_sel:DWORD dst_unused:UNUSED_PAD src0_sel:WORD_1
	v_lshrrev_b32_e32 v27, 16, v1
	v_pk_mul_f32 v[32:33], v[24:25], v[46:47] op_sel_hi:[0,1]
	v_cvt_pk_f16_f32 v32, v32, v33
	v_pk_mul_f32 v[30:31], v[24:25], v[30:31] op_sel_hi:[0,1]
	v_cvt_pk_f16_f32 v24, v30, v31
	v_and_b32_e32 v28, 0xffff, v1
	v_and_b32_e32 v29, 0xffff0000, v24
	v_lshlrev_b32_e32 v24, 16, v24
	v_lshrrev_b32_e32 v31, 16, v32
	v_and_b32_e32 v30, 0xffff, v32
	v_cmp_eq_u32_e64 s[0:1], s29, v34
	v_or_b32_e32 v1, v25, v27
	v_or_b32_e32 v12, v26, v28
	;; [unrolled: 1-line block ×4, first 2 shown]
	s_and_saveexec_b64 s[14:15], s[0:1]
	s_cbranch_execz .LBB267_453
; %bb.452:                              ;   in Loop: Header=BB267_403 Depth=1
	v_add_u32_e32 v32, 2, v39
	v_cmp_gt_i32_e64 s[2:3], s30, v39
	v_or_b32_e32 v1, 1, v39
	v_or_b32_e32 v12, 3, v39
	v_cndmask_b32_e64 v27, 0, v27, s[2:3]
	v_cmp_gt_i32_e64 s[2:3], s33, v32
	s_nop 1
	v_cndmask_b32_e64 v28, 0, v28, s[2:3]
	v_cmp_gt_i32_e64 s[2:3], s30, v1
	s_nop 1
	v_cndmask_b32_e64 v1, 0, v25, s[2:3]
	v_cmp_gt_i32_e64 s[2:3], s33, v12
	v_or_b32_e32 v25, 4, v39
	v_or_b32_e32 v1, v1, v27
	v_cndmask_b32_e64 v12, 0, v26, s[2:3]
	v_or_b32_e32 v26, 6, v39
	v_cmp_gt_i32_e64 s[2:3], s30, v25
	v_or_b32_e32 v27, 5, v39
	v_or_b32_e32 v12, v12, v28
	v_cndmask_b32_e64 v25, 0, v31, s[2:3]
	v_cmp_gt_i32_e64 s[2:3], s33, v26
	v_or_b32_e32 v28, 7, v39
	s_nop 0
	v_cndmask_b32_e64 v26, 0, v30, s[2:3]
	v_cmp_gt_i32_e64 s[2:3], s30, v27
	s_nop 1
	v_cndmask_b32_e64 v27, 0, v29, s[2:3]
	v_cmp_gt_i32_e64 s[2:3], s33, v28
	v_or_b32_e32 v33, v27, v25
	s_nop 0
	v_cndmask_b32_e64 v24, 0, v24, s[2:3]
	v_or_b32_e32 v32, v24, v26
.LBB267_453:                            ;   in Loop: Header=BB267_403 Depth=1
	s_or_b64 exec, exec, s[14:15]
	v_and_b32_e32 v24, 0xffff, v42
	v_lshl_or_b32 v47, v43, 16, v24
	v_and_b32_e32 v24, 0xffff, v44
	v_lshl_or_b32 v46, v45, 16, v24
	;; [unrolled: 2-line block ×3, first 2 shown]
	v_and_b32_e32 v24, 0xffff, v50
	;;#ASMSTART
	v_pk_mul_f16 v1, v47, v1;

	;;#ASMEND
	v_lshl_or_b32 v44, v51, 16, v24
	;;#ASMSTART
	v_pk_mul_f16 v12, v46, v12;

	;;#ASMEND
	;;#ASMSTART
	v_pk_mul_f16 v24, v45, v33;

	;;#ASMEND
	;;#ASMSTART
	v_pk_mul_f16 v25, v44, v32;

	;;#ASMEND
	s_nop 0
	;;#ASMSTART
	v_pk_add_f16 v1, v1, v12;

	;;#ASMEND
	s_nop 0
	;;#ASMSTART
	v_pk_add_f16 v1, v1, v24;

	;;#ASMEND
	;; [unrolled: 5-line block ×3, first 2 shown]
	v_mov_b32_e32 v25, 0
	v_lshrrev_b32_e32 v12, 16, v1
	v_and_b32_e32 v1, 0xffff, v1
	;;#ASMSTART
	v_cvt_f32_f16 v42, v1;
	;;#ASMEND
	;;#ASMSTART
	v_cvt_f32_f16 v43, v12;
	;;#ASMEND
	global_load_dwordx2 v[26:27], v[22:23], off offset:512
	v_mov_b32_e32 v1, 0
	global_load_dword v24, v1, s[10:11]
	s_waitcnt vmcnt(1)
	v_cmp_ne_u16_sdwa s[2:3], v26, v13 src0_sel:BYTE_0 src1_sel:DWORD
	s_and_saveexec_b64 s[14:15], s[2:3]
	s_cbranch_execz .LBB267_459
; %bb.454:                              ;   in Loop: Header=BB267_403 Depth=1
	v_cmp_ne_u16_sdwa s[2:3], v26, s31 src0_sel:BYTE_0 src1_sel:DWORD
	v_mov_b32_e32 v25, 0x8000
	s_and_saveexec_b64 s[22:23], s[2:3]
	s_cbranch_execz .LBB267_458
; %bb.455:                              ;   in Loop: Header=BB267_403 Depth=1
	v_and_b32_e32 v12, 0x7f, v26
	v_cmp_ne_u32_e64 s[2:3], s34, v12
	v_mov_b32_e32 v25, 0x7c01
	s_and_saveexec_b64 s[24:25], s[2:3]
	s_cbranch_execz .LBB267_457
; %bb.456:                              ;   in Loop: Header=BB267_403 Depth=1
	v_and_b32_e32 v25, 7, v26
	v_ffbh_u32_e32 v28, v25
	v_min_u32_e32 v31, 32, v28
	v_subrev_u32_e32 v28, 28, v31
	v_lshlrev_b64 v[28:29], v28, v[26:27]
	v_lshrrev_b32_e32 v30, 3, v12
	v_sub_u32_e32 v29, 29, v31
	v_cmp_gt_u32_e64 s[2:3], 8, v12
	v_and_b32_e32 v28, 7, v28
	s_nop 0
	v_cndmask_b32_e64 v12, v30, v29, s[2:3]
	v_lshl_add_u32 v12, v12, 10, v41
	v_lshlrev_b32_e32 v29, 8, v26
	v_and_b32_e32 v12, 0xfc00, v12
	v_cndmask_b32_e64 v25, v25, v28, s[2:3]
	v_and_or_b32 v12, v29, s35, v12
	v_lshl_or_b32 v25, v25, 7, v12
.LBB267_457:                            ;   in Loop: Header=BB267_403 Depth=1
	s_or_b64 exec, exec, s[24:25]
.LBB267_458:                            ;   in Loop: Header=BB267_403 Depth=1
	s_or_b64 exec, exec, s[22:23]
.LBB267_459:                            ;   in Loop: Header=BB267_403 Depth=1
	s_or_b64 exec, exec, s[14:15]
	v_lshrrev_b16_e32 v12, 8, v26
	v_cmp_ne_u16_e64 s[2:3], 0, v12
	s_and_saveexec_b64 s[14:15], s[2:3]
	s_cbranch_execz .LBB267_465
; %bb.460:                              ;   in Loop: Header=BB267_403 Depth=1
	v_cmp_ne_u16_e64 s[2:3], s31, v12
	v_bfrev_b32_e32 v1, 1
	s_and_saveexec_b64 s[22:23], s[2:3]
	s_cbranch_execz .LBB267_464
; %bb.461:                              ;   in Loop: Header=BB267_403 Depth=1
	v_and_b32_e32 v28, 0x7f, v12
	v_cmp_ne_u32_e64 s[2:3], s34, v28
	v_mov_b32_e32 v1, 0x7c010000
	s_and_saveexec_b64 s[24:25], s[2:3]
	s_cbranch_execz .LBB267_463
; %bb.462:                              ;   in Loop: Header=BB267_403 Depth=1
	v_and_b32_e32 v1, 7, v12
	v_ffbh_u32_e32 v30, v1
	v_min_u32_e32 v32, 32, v30
	v_subrev_u32_e32 v30, 28, v32
	v_lshlrev_b64 v[30:31], v30, v[12:13]
	v_lshrrev_b32_e32 v29, 3, v28
	v_sub_u32_e32 v31, 29, v32
	v_cmp_gt_u32_e64 s[2:3], 8, v28
	v_lshlrev_b32_e32 v12, 8, v12
	s_nop 0
	v_cndmask_b32_e64 v28, v29, v31, s[2:3]
	v_lshl_add_u32 v28, v28, 10, v41
	v_and_b32_e32 v29, 7, v30
	v_and_or_b32 v12, v12, s35, v28
	v_cndmask_b32_e64 v1, v1, v29, s[2:3]
	v_lshlrev_b32_e32 v12, 16, v12
	v_lshl_or_b32 v1, v1, 23, v12
.LBB267_463:                            ;   in Loop: Header=BB267_403 Depth=1
	s_or_b64 exec, exec, s[24:25]
.LBB267_464:                            ;   in Loop: Header=BB267_403 Depth=1
	s_or_b64 exec, exec, s[22:23]
.LBB267_465:                            ;   in Loop: Header=BB267_403 Depth=1
	s_or_b64 exec, exec, s[14:15]
	v_lshrrev_b32_e32 v12, 16, v26
	v_cmp_ne_u16_sdwa s[2:3], v12, v13 src0_sel:BYTE_0 src1_sel:DWORD
	v_mov_b32_e32 v29, 0
	v_mov_b32_e32 v28, 0
	s_and_saveexec_b64 s[14:15], s[2:3]
	s_cbranch_execz .LBB267_471
; %bb.466:                              ;   in Loop: Header=BB267_403 Depth=1
	v_cmp_ne_u16_sdwa s[2:3], v12, s31 src0_sel:BYTE_0 src1_sel:DWORD
	v_mov_b32_e32 v28, 0x8000
	s_and_saveexec_b64 s[22:23], s[2:3]
	s_cbranch_execz .LBB267_470
; %bb.467:                              ;   in Loop: Header=BB267_403 Depth=1
	v_bfe_u32 v30, v26, 16, 7
	v_cmp_ne_u32_e64 s[2:3], s34, v30
	v_mov_b32_e32 v28, 0x7c01
	s_and_saveexec_b64 s[24:25], s[2:3]
	s_cbranch_execz .LBB267_469
; %bb.468:                              ;   in Loop: Header=BB267_403 Depth=1
	v_and_b32_e32 v28, 7, v12
	v_ffbh_u32_e32 v32, v28
	v_min_u32_e32 v48, 32, v32
	v_subrev_u32_e32 v32, 28, v48
	v_lshlrev_b64 v[32:33], v32, v[12:13]
	v_lshrrev_b32_e32 v31, 3, v30
	v_sub_u32_e32 v33, 29, v48
	v_cmp_gt_u32_e64 s[2:3], 8, v30
	v_lshlrev_b32_e32 v12, 8, v12
	s_nop 0
	v_cndmask_b32_e64 v30, v31, v33, s[2:3]
	v_lshl_add_u32 v30, v30, 10, v41
	v_and_b32_e32 v31, 7, v32
	v_and_b32_e32 v30, 0xfc00, v30
	v_cndmask_b32_e64 v28, v28, v31, s[2:3]
	v_and_or_b32 v12, v12, s35, v30
	v_lshl_or_b32 v28, v28, 7, v12
.LBB267_469:                            ;   in Loop: Header=BB267_403 Depth=1
	s_or_b64 exec, exec, s[24:25]
.LBB267_470:                            ;   in Loop: Header=BB267_403 Depth=1
	s_or_b64 exec, exec, s[22:23]
.LBB267_471:                            ;   in Loop: Header=BB267_403 Depth=1
	s_or_b64 exec, exec, s[14:15]
	v_cmp_lt_u32_e64 s[2:3], s9, v26
	s_and_saveexec_b64 s[14:15], s[2:3]
	s_cbranch_execz .LBB267_477
; %bb.472:                              ;   in Loop: Header=BB267_403 Depth=1
	v_lshrrev_b32_e32 v12, 24, v26
	v_cmp_ne_u32_e64 s[2:3], s31, v12
	v_bfrev_b32_e32 v29, 1
	s_and_saveexec_b64 s[22:23], s[2:3]
	s_cbranch_execz .LBB267_476
; %bb.473:                              ;   in Loop: Header=BB267_403 Depth=1
	v_and_b32_e32 v30, 0x7f, v12
	v_cmp_ne_u32_e64 s[2:3], s34, v30
	v_mov_b32_e32 v29, 0x7c010000
	s_and_saveexec_b64 s[24:25], s[2:3]
	s_cbranch_execz .LBB267_475
; %bb.474:                              ;   in Loop: Header=BB267_403 Depth=1
	v_and_b32_e32 v29, 7, v12
	v_ffbh_u32_e32 v32, v29
	v_min_u32_e32 v48, 32, v32
	v_subrev_u32_e32 v32, 28, v48
	v_lshlrev_b64 v[32:33], v32, v[12:13]
	v_lshrrev_b32_e32 v31, 3, v30
	v_sub_u32_e32 v33, 29, v48
	v_cmp_gt_u32_e64 s[2:3], 8, v30
	v_lshlrev_b32_e32 v12, 8, v12
	s_nop 0
	v_cndmask_b32_e64 v30, v31, v33, s[2:3]
	v_lshl_add_u32 v30, v30, 10, v41
	v_and_b32_e32 v31, 7, v32
	v_and_or_b32 v12, v12, s35, v30
	v_cndmask_b32_e64 v29, v29, v31, s[2:3]
	v_lshlrev_b32_e32 v12, 16, v12
	v_lshl_or_b32 v29, v29, 23, v12
.LBB267_475:                            ;   in Loop: Header=BB267_403 Depth=1
	s_or_b64 exec, exec, s[24:25]
.LBB267_476:                            ;   in Loop: Header=BB267_403 Depth=1
	s_or_b64 exec, exec, s[22:23]
.LBB267_477:                            ;   in Loop: Header=BB267_403 Depth=1
	s_or_b64 exec, exec, s[14:15]
	v_mov_b32_e32 v12, v27
	v_cmp_ne_u16_sdwa s[2:3], v27, v13 src0_sel:BYTE_0 src1_sel:DWORD
	v_mov_b32_e32 v30, 0
	v_mov_b32_e32 v31, 0
	s_and_saveexec_b64 s[14:15], s[2:3]
	s_cbranch_execz .LBB267_483
; %bb.478:                              ;   in Loop: Header=BB267_403 Depth=1
	v_cmp_ne_u16_sdwa s[2:3], v27, s31 src0_sel:BYTE_0 src1_sel:DWORD
	v_mov_b32_e32 v31, 0x8000
	s_and_saveexec_b64 s[22:23], s[2:3]
	s_cbranch_execz .LBB267_482
; %bb.479:                              ;   in Loop: Header=BB267_403 Depth=1
	v_and_b32_e32 v32, 0x7f, v27
	v_cmp_ne_u32_e64 s[2:3], s34, v32
	v_mov_b32_e32 v31, 0x7c01
	s_and_saveexec_b64 s[24:25], s[2:3]
	s_cbranch_execz .LBB267_481
; %bb.480:                              ;   in Loop: Header=BB267_403 Depth=1
	v_and_b32_e32 v31, 7, v27
	v_ffbh_u32_e32 v48, v31
	v_min_u32_e32 v50, 32, v48
	v_subrev_u32_e32 v48, 28, v50
	v_lshlrev_b64 v[48:49], v48, v[12:13]
	v_lshrrev_b32_e32 v33, 3, v32
	v_sub_u32_e32 v49, 29, v50
	v_cmp_gt_u32_e64 s[2:3], 8, v32
	v_and_b32_e32 v48, 7, v48
	s_nop 0
	v_cndmask_b32_e64 v32, v33, v49, s[2:3]
	v_lshl_add_u32 v32, v32, 10, v41
	v_lshlrev_b32_e32 v33, 8, v27
	v_and_b32_e32 v32, 0xfc00, v32
	v_cndmask_b32_e64 v31, v31, v48, s[2:3]
	v_and_or_b32 v32, v33, s35, v32
	v_lshl_or_b32 v31, v31, 7, v32
.LBB267_481:                            ;   in Loop: Header=BB267_403 Depth=1
	s_or_b64 exec, exec, s[24:25]
.LBB267_482:                            ;   in Loop: Header=BB267_403 Depth=1
	s_or_b64 exec, exec, s[22:23]
.LBB267_483:                            ;   in Loop: Header=BB267_403 Depth=1
	s_or_b64 exec, exec, s[14:15]
	v_lshrrev_b16_e32 v12, 8, v12
	v_cmp_ne_u16_e64 s[2:3], 0, v12
	v_mov_b32_e32 v32, 0
	s_and_saveexec_b64 s[14:15], s[2:3]
	s_cbranch_execz .LBB267_489
; %bb.484:                              ;   in Loop: Header=BB267_403 Depth=1
	v_cmp_ne_u16_e64 s[2:3], s31, v12
	v_bfrev_b32_e32 v32, 1
	s_and_saveexec_b64 s[22:23], s[2:3]
	s_cbranch_execz .LBB267_488
; %bb.485:                              ;   in Loop: Header=BB267_403 Depth=1
	v_and_b32_e32 v33, 0x7f, v12
	v_cmp_ne_u32_e64 s[2:3], s34, v33
	v_mov_b32_e32 v32, 0x7c010000
	s_and_saveexec_b64 s[24:25], s[2:3]
	s_cbranch_execz .LBB267_487
; %bb.486:                              ;   in Loop: Header=BB267_403 Depth=1
	v_and_b32_e32 v32, 7, v12
	v_ffbh_u32_e32 v48, v32
	v_min_u32_e32 v51, 32, v48
	v_subrev_u32_e32 v48, 28, v51
	v_lshlrev_b64 v[48:49], v48, v[12:13]
	v_lshrrev_b32_e32 v50, 3, v33
	v_sub_u32_e32 v49, 29, v51
	v_cmp_gt_u32_e64 s[2:3], 8, v33
	v_lshlrev_b32_e32 v12, 8, v12
	v_and_b32_e32 v48, 7, v48
	v_cndmask_b32_e64 v33, v50, v49, s[2:3]
	v_lshl_add_u32 v33, v33, 10, v41
	v_and_or_b32 v12, v12, s35, v33
	v_cndmask_b32_e64 v32, v32, v48, s[2:3]
	v_lshlrev_b32_e32 v12, 16, v12
	v_lshl_or_b32 v32, v32, 23, v12
.LBB267_487:                            ;   in Loop: Header=BB267_403 Depth=1
	s_or_b64 exec, exec, s[24:25]
.LBB267_488:                            ;   in Loop: Header=BB267_403 Depth=1
	s_or_b64 exec, exec, s[22:23]
.LBB267_489:                            ;   in Loop: Header=BB267_403 Depth=1
	s_or_b64 exec, exec, s[14:15]
	v_lshrrev_b32_e32 v12, 16, v27
	v_cmp_ne_u16_sdwa s[2:3], v12, v13 src0_sel:BYTE_0 src1_sel:DWORD
	s_and_saveexec_b64 s[14:15], s[2:3]
	s_cbranch_execz .LBB267_495
; %bb.490:                              ;   in Loop: Header=BB267_403 Depth=1
	v_cmp_ne_u16_sdwa s[2:3], v12, s31 src0_sel:BYTE_0 src1_sel:DWORD
	v_mov_b32_e32 v30, 0x8000
	s_and_saveexec_b64 s[22:23], s[2:3]
	s_cbranch_execz .LBB267_494
; %bb.491:                              ;   in Loop: Header=BB267_403 Depth=1
	v_bfe_u32 v33, v27, 16, 7
	v_cmp_ne_u32_e64 s[2:3], s34, v33
	v_mov_b32_e32 v30, 0x7c01
	s_and_saveexec_b64 s[24:25], s[2:3]
	s_cbranch_execz .LBB267_493
; %bb.492:                              ;   in Loop: Header=BB267_403 Depth=1
	v_and_b32_e32 v30, 7, v12
	v_ffbh_u32_e32 v48, v30
	v_min_u32_e32 v51, 32, v48
	v_subrev_u32_e32 v48, 28, v51
	v_lshlrev_b64 v[48:49], v48, v[12:13]
	v_lshrrev_b32_e32 v50, 3, v33
	v_sub_u32_e32 v49, 29, v51
	v_cmp_gt_u32_e64 s[2:3], 8, v33
	v_lshlrev_b32_e32 v12, 8, v12
	v_and_b32_e32 v48, 7, v48
	v_cndmask_b32_e64 v33, v50, v49, s[2:3]
	v_lshl_add_u32 v33, v33, 10, v41
	v_and_b32_e32 v33, 0xfc00, v33
	v_cndmask_b32_e64 v30, v30, v48, s[2:3]
	v_and_or_b32 v12, v12, s35, v33
	v_lshl_or_b32 v30, v30, 7, v12
.LBB267_493:                            ;   in Loop: Header=BB267_403 Depth=1
	s_or_b64 exec, exec, s[24:25]
.LBB267_494:                            ;   in Loop: Header=BB267_403 Depth=1
	s_or_b64 exec, exec, s[22:23]
.LBB267_495:                            ;   in Loop: Header=BB267_403 Depth=1
	s_or_b64 exec, exec, s[14:15]
	v_cmp_lt_u64_e64 s[2:3], s[8:9], v[26:27]
	v_mov_b32_e32 v26, 0
	s_and_saveexec_b64 s[14:15], s[2:3]
	s_cbranch_execz .LBB267_501
; %bb.496:                              ;   in Loop: Header=BB267_403 Depth=1
	v_lshrrev_b32_e32 v12, 24, v27
	v_cmp_ne_u32_e64 s[2:3], s31, v12
	v_bfrev_b32_e32 v26, 1
	s_and_saveexec_b64 s[22:23], s[2:3]
	s_cbranch_execz .LBB267_500
; %bb.497:                              ;   in Loop: Header=BB267_403 Depth=1
	v_and_b32_e32 v27, 0x7f, v12
	v_cmp_ne_u32_e64 s[2:3], s34, v27
	v_mov_b32_e32 v26, 0x7c010000
	s_and_saveexec_b64 s[24:25], s[2:3]
	s_cbranch_execz .LBB267_499
; %bb.498:                              ;   in Loop: Header=BB267_403 Depth=1
	v_and_b32_e32 v26, 7, v12
	v_ffbh_u32_e32 v48, v26
	v_min_u32_e32 v50, 32, v48
	v_subrev_u32_e32 v48, 28, v50
	v_lshlrev_b64 v[48:49], v48, v[12:13]
	v_lshrrev_b32_e32 v33, 3, v27
	v_sub_u32_e32 v49, 29, v50
	v_cmp_gt_u32_e64 s[2:3], 8, v27
	v_lshlrev_b32_e32 v12, 8, v12
	s_nop 0
	v_cndmask_b32_e64 v27, v33, v49, s[2:3]
	v_lshl_add_u32 v27, v27, 10, v41
	v_and_b32_e32 v33, 7, v48
	v_and_or_b32 v12, v12, s35, v27
	v_cndmask_b32_e64 v26, v26, v33, s[2:3]
	v_lshlrev_b32_e32 v12, 16, v12
	v_lshl_or_b32 v26, v26, 23, v12
.LBB267_499:                            ;   in Loop: Header=BB267_403 Depth=1
	s_or_b64 exec, exec, s[24:25]
.LBB267_500:                            ;   in Loop: Header=BB267_403 Depth=1
	s_or_b64 exec, exec, s[22:23]
.LBB267_501:                            ;   in Loop: Header=BB267_403 Depth=1
	s_or_b64 exec, exec, s[14:15]
	v_cvt_f32_f16_sdwa v49, v1 dst_sel:DWORD dst_unused:UNUSED_PAD src0_sel:WORD_1
	v_cvt_f32_f16_sdwa v48, v29 dst_sel:DWORD dst_unused:UNUSED_PAD src0_sel:WORD_1
	v_or_b32_e32 v1, v1, v25
	v_or_b32_e32 v12, v29, v28
	;; [unrolled: 1-line block ×3, first 2 shown]
	s_waitcnt vmcnt(0)
	v_pk_mul_f32 v[28:29], v[24:25], v[48:49] op_sel_hi:[0,1]
	v_cvt_f32_f16_e32 v48, v12
	v_cvt_f32_f16_e32 v49, v1
	v_cvt_pk_f16_f32 v1, v28, v29
	v_and_b32_e32 v25, 0xffff0000, v1
	v_lshlrev_b32_e32 v12, 16, v1
	v_pk_mul_f32 v[28:29], v[24:25], v[48:49] op_sel_hi:[0,1]
	v_cvt_pk_f16_f32 v1, v28, v29
	v_or_b32_e32 v29, v32, v31
	v_cvt_f32_f16_e32 v30, v30
	v_cvt_f32_f16_e32 v31, v29
	v_cvt_f32_f16_sdwa v33, v32 dst_sel:DWORD dst_unused:UNUSED_PAD src0_sel:WORD_1
	v_cvt_f32_f16_sdwa v32, v26 dst_sel:DWORD dst_unused:UNUSED_PAD src0_sel:WORD_1
	v_lshrrev_b32_e32 v27, 16, v1
	v_pk_mul_f32 v[30:31], v[24:25], v[30:31] op_sel_hi:[0,1]
	v_cvt_pk_f16_f32 v48, v30, v31
	v_pk_mul_f32 v[30:31], v[24:25], v[32:33] op_sel_hi:[0,1]
	v_cvt_pk_f16_f32 v24, v30, v31
	v_and_b32_e32 v28, 0xffff, v1
	v_and_b32_e32 v29, 0xffff0000, v24
	v_lshlrev_b32_e32 v24, 16, v24
	v_lshrrev_b32_e32 v31, 16, v48
	v_and_b32_e32 v30, 0xffff, v48
	v_or_b32_e32 v1, v25, v27
	v_or_b32_e32 v26, v12, v28
	v_or_b32_e32 v33, v29, v31
	v_or_b32_e32 v32, v24, v30
	s_and_saveexec_b64 s[14:15], s[0:1]
	s_cbranch_execz .LBB267_503
; %bb.502:                              ;   in Loop: Header=BB267_403 Depth=1
	v_add_u32_e32 v32, 2, v39
	v_cmp_gt_i32_e64 s[2:3], s30, v39
	v_or_b32_e32 v1, 1, v39
	v_or_b32_e32 v26, 3, v39
	v_cndmask_b32_e64 v27, 0, v27, s[2:3]
	v_cmp_gt_i32_e64 s[2:3], s33, v32
	s_nop 1
	v_cndmask_b32_e64 v28, 0, v28, s[2:3]
	v_cmp_gt_i32_e64 s[2:3], s30, v1
	s_nop 1
	v_cndmask_b32_e64 v1, 0, v25, s[2:3]
	v_cmp_gt_i32_e64 s[2:3], s33, v26
	v_or_b32_e32 v25, 6, v39
	v_or_b32_e32 v1, v1, v27
	v_cndmask_b32_e64 v12, 0, v12, s[2:3]
	v_or_b32_e32 v26, v12, v28
	v_or_b32_e32 v12, 4, v39
	v_cmp_gt_i32_e64 s[2:3], s30, v12
	v_or_b32_e32 v27, 5, v39
	v_or_b32_e32 v28, 7, v39
	v_cndmask_b32_e64 v12, 0, v31, s[2:3]
	v_cmp_gt_i32_e64 s[2:3], s33, v25
	s_nop 1
	v_cndmask_b32_e64 v25, 0, v30, s[2:3]
	v_cmp_gt_i32_e64 s[2:3], s30, v27
	s_nop 1
	v_cndmask_b32_e64 v27, 0, v29, s[2:3]
	v_cmp_gt_i32_e64 s[2:3], s33, v28
	v_or_b32_e32 v33, v27, v12
	s_nop 0
	v_cndmask_b32_e64 v24, 0, v24, s[2:3]
	v_or_b32_e32 v32, v24, v25
.LBB267_503:                            ;   in Loop: Header=BB267_403 Depth=1
	s_or_b64 exec, exec, s[14:15]
	;;#ASMSTART
	v_pk_mul_f16 v1, v47, v1;

	;;#ASMEND
	;;#ASMSTART
	v_pk_mul_f16 v12, v46, v26;

	;;#ASMEND
	;; [unrolled: 4-line block ×4, first 2 shown]
	s_nop 0
	;;#ASMSTART
	v_pk_add_f16 v1, v1, v12;

	;;#ASMEND
	s_nop 0
	;;#ASMSTART
	v_pk_add_f16 v1, v1, v24;

	;;#ASMEND
	;; [unrolled: 5-line block ×3, first 2 shown]
	v_mov_b32_e32 v25, 0
	v_lshrrev_b32_e32 v12, 16, v1
	v_and_b32_e32 v1, 0xffff, v1
	;;#ASMSTART
	v_cvt_f32_f16 v48, v1;
	;;#ASMEND
	;;#ASMSTART
	v_cvt_f32_f16 v49, v12;
	;;#ASMEND
	global_load_dwordx2 v[26:27], v[22:23], off offset:1024
	v_mov_b32_e32 v1, 0
	global_load_dword v24, v1, s[10:11]
	s_waitcnt vmcnt(1)
	v_cmp_ne_u16_sdwa s[2:3], v26, v13 src0_sel:BYTE_0 src1_sel:DWORD
	s_and_saveexec_b64 s[14:15], s[2:3]
	s_cbranch_execz .LBB267_509
; %bb.504:                              ;   in Loop: Header=BB267_403 Depth=1
	v_cmp_ne_u16_sdwa s[2:3], v26, s31 src0_sel:BYTE_0 src1_sel:DWORD
	v_mov_b32_e32 v25, 0x8000
	s_and_saveexec_b64 s[22:23], s[2:3]
	s_cbranch_execz .LBB267_508
; %bb.505:                              ;   in Loop: Header=BB267_403 Depth=1
	v_and_b32_e32 v12, 0x7f, v26
	v_cmp_ne_u32_e64 s[2:3], s34, v12
	v_mov_b32_e32 v25, 0x7c01
	s_and_saveexec_b64 s[24:25], s[2:3]
	s_cbranch_execz .LBB267_507
; %bb.506:                              ;   in Loop: Header=BB267_403 Depth=1
	v_and_b32_e32 v25, 7, v26
	v_ffbh_u32_e32 v28, v25
	v_min_u32_e32 v31, 32, v28
	v_subrev_u32_e32 v28, 28, v31
	v_lshlrev_b64 v[28:29], v28, v[26:27]
	v_lshrrev_b32_e32 v30, 3, v12
	v_sub_u32_e32 v29, 29, v31
	v_cmp_gt_u32_e64 s[2:3], 8, v12
	v_and_b32_e32 v28, 7, v28
	s_nop 0
	v_cndmask_b32_e64 v12, v30, v29, s[2:3]
	v_lshl_add_u32 v12, v12, 10, v41
	v_lshlrev_b32_e32 v29, 8, v26
	v_and_b32_e32 v12, 0xfc00, v12
	v_cndmask_b32_e64 v25, v25, v28, s[2:3]
	v_and_or_b32 v12, v29, s35, v12
	v_lshl_or_b32 v25, v25, 7, v12
.LBB267_507:                            ;   in Loop: Header=BB267_403 Depth=1
	s_or_b64 exec, exec, s[24:25]
.LBB267_508:                            ;   in Loop: Header=BB267_403 Depth=1
	s_or_b64 exec, exec, s[22:23]
.LBB267_509:                            ;   in Loop: Header=BB267_403 Depth=1
	s_or_b64 exec, exec, s[14:15]
	v_lshrrev_b16_e32 v12, 8, v26
	v_cmp_ne_u16_e64 s[2:3], 0, v12
	s_and_saveexec_b64 s[14:15], s[2:3]
	s_cbranch_execz .LBB267_515
; %bb.510:                              ;   in Loop: Header=BB267_403 Depth=1
	v_cmp_ne_u16_e64 s[2:3], s31, v12
	v_bfrev_b32_e32 v1, 1
	s_and_saveexec_b64 s[22:23], s[2:3]
	s_cbranch_execz .LBB267_514
; %bb.511:                              ;   in Loop: Header=BB267_403 Depth=1
	v_and_b32_e32 v28, 0x7f, v12
	v_cmp_ne_u32_e64 s[2:3], s34, v28
	v_mov_b32_e32 v1, 0x7c010000
	s_and_saveexec_b64 s[24:25], s[2:3]
	s_cbranch_execz .LBB267_513
; %bb.512:                              ;   in Loop: Header=BB267_403 Depth=1
	v_and_b32_e32 v1, 7, v12
	v_ffbh_u32_e32 v30, v1
	v_min_u32_e32 v32, 32, v30
	v_subrev_u32_e32 v30, 28, v32
	v_lshlrev_b64 v[30:31], v30, v[12:13]
	v_lshrrev_b32_e32 v29, 3, v28
	v_sub_u32_e32 v31, 29, v32
	v_cmp_gt_u32_e64 s[2:3], 8, v28
	v_lshlrev_b32_e32 v12, 8, v12
	s_nop 0
	v_cndmask_b32_e64 v28, v29, v31, s[2:3]
	v_lshl_add_u32 v28, v28, 10, v41
	v_and_b32_e32 v29, 7, v30
	v_and_or_b32 v12, v12, s35, v28
	v_cndmask_b32_e64 v1, v1, v29, s[2:3]
	v_lshlrev_b32_e32 v12, 16, v12
	v_lshl_or_b32 v1, v1, 23, v12
.LBB267_513:                            ;   in Loop: Header=BB267_403 Depth=1
	s_or_b64 exec, exec, s[24:25]
.LBB267_514:                            ;   in Loop: Header=BB267_403 Depth=1
	s_or_b64 exec, exec, s[22:23]
.LBB267_515:                            ;   in Loop: Header=BB267_403 Depth=1
	s_or_b64 exec, exec, s[14:15]
	v_lshrrev_b32_e32 v12, 16, v26
	v_cmp_ne_u16_sdwa s[2:3], v12, v13 src0_sel:BYTE_0 src1_sel:DWORD
	v_mov_b32_e32 v29, 0
	v_mov_b32_e32 v28, 0
	s_and_saveexec_b64 s[14:15], s[2:3]
	s_cbranch_execz .LBB267_521
; %bb.516:                              ;   in Loop: Header=BB267_403 Depth=1
	v_cmp_ne_u16_sdwa s[2:3], v12, s31 src0_sel:BYTE_0 src1_sel:DWORD
	v_mov_b32_e32 v28, 0x8000
	s_and_saveexec_b64 s[22:23], s[2:3]
	s_cbranch_execz .LBB267_520
; %bb.517:                              ;   in Loop: Header=BB267_403 Depth=1
	v_bfe_u32 v30, v26, 16, 7
	v_cmp_ne_u32_e64 s[2:3], s34, v30
	v_mov_b32_e32 v28, 0x7c01
	s_and_saveexec_b64 s[24:25], s[2:3]
	s_cbranch_execz .LBB267_519
; %bb.518:                              ;   in Loop: Header=BB267_403 Depth=1
	v_and_b32_e32 v28, 7, v12
	v_ffbh_u32_e32 v32, v28
	v_min_u32_e32 v50, 32, v32
	v_subrev_u32_e32 v32, 28, v50
	v_lshlrev_b64 v[32:33], v32, v[12:13]
	v_lshrrev_b32_e32 v31, 3, v30
	v_sub_u32_e32 v33, 29, v50
	v_cmp_gt_u32_e64 s[2:3], 8, v30
	v_lshlrev_b32_e32 v12, 8, v12
	s_nop 0
	v_cndmask_b32_e64 v30, v31, v33, s[2:3]
	v_lshl_add_u32 v30, v30, 10, v41
	v_and_b32_e32 v31, 7, v32
	v_and_b32_e32 v30, 0xfc00, v30
	v_cndmask_b32_e64 v28, v28, v31, s[2:3]
	v_and_or_b32 v12, v12, s35, v30
	v_lshl_or_b32 v28, v28, 7, v12
.LBB267_519:                            ;   in Loop: Header=BB267_403 Depth=1
	s_or_b64 exec, exec, s[24:25]
.LBB267_520:                            ;   in Loop: Header=BB267_403 Depth=1
	s_or_b64 exec, exec, s[22:23]
.LBB267_521:                            ;   in Loop: Header=BB267_403 Depth=1
	s_or_b64 exec, exec, s[14:15]
	v_cmp_lt_u32_e64 s[2:3], s9, v26
	s_and_saveexec_b64 s[14:15], s[2:3]
	s_cbranch_execz .LBB267_527
; %bb.522:                              ;   in Loop: Header=BB267_403 Depth=1
	v_lshrrev_b32_e32 v12, 24, v26
	v_cmp_ne_u32_e64 s[2:3], s31, v12
	v_bfrev_b32_e32 v29, 1
	s_and_saveexec_b64 s[22:23], s[2:3]
	s_cbranch_execz .LBB267_526
; %bb.523:                              ;   in Loop: Header=BB267_403 Depth=1
	v_and_b32_e32 v30, 0x7f, v12
	v_cmp_ne_u32_e64 s[2:3], s34, v30
	v_mov_b32_e32 v29, 0x7c010000
	s_and_saveexec_b64 s[24:25], s[2:3]
	s_cbranch_execz .LBB267_525
; %bb.524:                              ;   in Loop: Header=BB267_403 Depth=1
	v_and_b32_e32 v29, 7, v12
	v_ffbh_u32_e32 v32, v29
	v_min_u32_e32 v50, 32, v32
	v_subrev_u32_e32 v32, 28, v50
	v_lshlrev_b64 v[32:33], v32, v[12:13]
	v_lshrrev_b32_e32 v31, 3, v30
	v_sub_u32_e32 v33, 29, v50
	v_cmp_gt_u32_e64 s[2:3], 8, v30
	v_lshlrev_b32_e32 v12, 8, v12
	s_nop 0
	v_cndmask_b32_e64 v30, v31, v33, s[2:3]
	v_lshl_add_u32 v30, v30, 10, v41
	v_and_b32_e32 v31, 7, v32
	v_and_or_b32 v12, v12, s35, v30
	v_cndmask_b32_e64 v29, v29, v31, s[2:3]
	v_lshlrev_b32_e32 v12, 16, v12
	v_lshl_or_b32 v29, v29, 23, v12
.LBB267_525:                            ;   in Loop: Header=BB267_403 Depth=1
	s_or_b64 exec, exec, s[24:25]
.LBB267_526:                            ;   in Loop: Header=BB267_403 Depth=1
	s_or_b64 exec, exec, s[22:23]
.LBB267_527:                            ;   in Loop: Header=BB267_403 Depth=1
	s_or_b64 exec, exec, s[14:15]
	v_mov_b32_e32 v12, v27
	v_cmp_ne_u16_sdwa s[2:3], v27, v13 src0_sel:BYTE_0 src1_sel:DWORD
	v_mov_b32_e32 v30, 0
	v_mov_b32_e32 v31, 0
	s_and_saveexec_b64 s[14:15], s[2:3]
	s_cbranch_execz .LBB267_533
; %bb.528:                              ;   in Loop: Header=BB267_403 Depth=1
	v_cmp_ne_u16_sdwa s[2:3], v27, s31 src0_sel:BYTE_0 src1_sel:DWORD
	v_mov_b32_e32 v31, 0x8000
	s_and_saveexec_b64 s[22:23], s[2:3]
	s_cbranch_execz .LBB267_532
; %bb.529:                              ;   in Loop: Header=BB267_403 Depth=1
	v_and_b32_e32 v32, 0x7f, v27
	v_cmp_ne_u32_e64 s[2:3], s34, v32
	v_mov_b32_e32 v31, 0x7c01
	s_and_saveexec_b64 s[24:25], s[2:3]
	s_cbranch_execz .LBB267_531
; %bb.530:                              ;   in Loop: Header=BB267_403 Depth=1
	v_and_b32_e32 v31, 7, v27
	v_ffbh_u32_e32 v50, v31
	v_min_u32_e32 v52, 32, v50
	v_subrev_u32_e32 v50, 28, v52
	v_lshlrev_b64 v[50:51], v50, v[12:13]
	v_lshrrev_b32_e32 v33, 3, v32
	v_sub_u32_e32 v51, 29, v52
	v_cmp_gt_u32_e64 s[2:3], 8, v32
	v_and_b32_e32 v50, 7, v50
	s_nop 0
	v_cndmask_b32_e64 v32, v33, v51, s[2:3]
	v_lshl_add_u32 v32, v32, 10, v41
	v_lshlrev_b32_e32 v33, 8, v27
	v_and_b32_e32 v32, 0xfc00, v32
	v_cndmask_b32_e64 v31, v31, v50, s[2:3]
	v_and_or_b32 v32, v33, s35, v32
	v_lshl_or_b32 v31, v31, 7, v32
.LBB267_531:                            ;   in Loop: Header=BB267_403 Depth=1
	s_or_b64 exec, exec, s[24:25]
.LBB267_532:                            ;   in Loop: Header=BB267_403 Depth=1
	s_or_b64 exec, exec, s[22:23]
.LBB267_533:                            ;   in Loop: Header=BB267_403 Depth=1
	s_or_b64 exec, exec, s[14:15]
	v_lshrrev_b16_e32 v12, 8, v12
	v_cmp_ne_u16_e64 s[2:3], 0, v12
	v_mov_b32_e32 v32, 0
	s_and_saveexec_b64 s[14:15], s[2:3]
	s_cbranch_execz .LBB267_539
; %bb.534:                              ;   in Loop: Header=BB267_403 Depth=1
	v_cmp_ne_u16_e64 s[2:3], s31, v12
	v_bfrev_b32_e32 v32, 1
	s_and_saveexec_b64 s[22:23], s[2:3]
	s_cbranch_execz .LBB267_538
; %bb.535:                              ;   in Loop: Header=BB267_403 Depth=1
	v_and_b32_e32 v33, 0x7f, v12
	v_cmp_ne_u32_e64 s[2:3], s34, v33
	v_mov_b32_e32 v32, 0x7c010000
	s_and_saveexec_b64 s[24:25], s[2:3]
	s_cbranch_execz .LBB267_537
; %bb.536:                              ;   in Loop: Header=BB267_403 Depth=1
	v_and_b32_e32 v32, 7, v12
	v_ffbh_u32_e32 v50, v32
	v_min_u32_e32 v53, 32, v50
	v_subrev_u32_e32 v50, 28, v53
	v_lshlrev_b64 v[50:51], v50, v[12:13]
	v_lshrrev_b32_e32 v52, 3, v33
	v_sub_u32_e32 v51, 29, v53
	v_cmp_gt_u32_e64 s[2:3], 8, v33
	v_lshlrev_b32_e32 v12, 8, v12
	v_and_b32_e32 v50, 7, v50
	v_cndmask_b32_e64 v33, v52, v51, s[2:3]
	v_lshl_add_u32 v33, v33, 10, v41
	v_and_or_b32 v12, v12, s35, v33
	v_cndmask_b32_e64 v32, v32, v50, s[2:3]
	v_lshlrev_b32_e32 v12, 16, v12
	v_lshl_or_b32 v32, v32, 23, v12
.LBB267_537:                            ;   in Loop: Header=BB267_403 Depth=1
	s_or_b64 exec, exec, s[24:25]
.LBB267_538:                            ;   in Loop: Header=BB267_403 Depth=1
	s_or_b64 exec, exec, s[22:23]
.LBB267_539:                            ;   in Loop: Header=BB267_403 Depth=1
	s_or_b64 exec, exec, s[14:15]
	v_lshrrev_b32_e32 v12, 16, v27
	v_cmp_ne_u16_sdwa s[2:3], v12, v13 src0_sel:BYTE_0 src1_sel:DWORD
	s_and_saveexec_b64 s[14:15], s[2:3]
	s_cbranch_execz .LBB267_545
; %bb.540:                              ;   in Loop: Header=BB267_403 Depth=1
	v_cmp_ne_u16_sdwa s[2:3], v12, s31 src0_sel:BYTE_0 src1_sel:DWORD
	v_mov_b32_e32 v30, 0x8000
	s_and_saveexec_b64 s[22:23], s[2:3]
	s_cbranch_execz .LBB267_544
; %bb.541:                              ;   in Loop: Header=BB267_403 Depth=1
	v_bfe_u32 v33, v27, 16, 7
	v_cmp_ne_u32_e64 s[2:3], s34, v33
	v_mov_b32_e32 v30, 0x7c01
	s_and_saveexec_b64 s[24:25], s[2:3]
	s_cbranch_execz .LBB267_543
; %bb.542:                              ;   in Loop: Header=BB267_403 Depth=1
	v_and_b32_e32 v30, 7, v12
	v_ffbh_u32_e32 v50, v30
	v_min_u32_e32 v53, 32, v50
	v_subrev_u32_e32 v50, 28, v53
	v_lshlrev_b64 v[50:51], v50, v[12:13]
	v_lshrrev_b32_e32 v52, 3, v33
	v_sub_u32_e32 v51, 29, v53
	v_cmp_gt_u32_e64 s[2:3], 8, v33
	v_lshlrev_b32_e32 v12, 8, v12
	v_and_b32_e32 v50, 7, v50
	v_cndmask_b32_e64 v33, v52, v51, s[2:3]
	v_lshl_add_u32 v33, v33, 10, v41
	v_and_b32_e32 v33, 0xfc00, v33
	v_cndmask_b32_e64 v30, v30, v50, s[2:3]
	v_and_or_b32 v12, v12, s35, v33
	v_lshl_or_b32 v30, v30, 7, v12
.LBB267_543:                            ;   in Loop: Header=BB267_403 Depth=1
	s_or_b64 exec, exec, s[24:25]
.LBB267_544:                            ;   in Loop: Header=BB267_403 Depth=1
	s_or_b64 exec, exec, s[22:23]
.LBB267_545:                            ;   in Loop: Header=BB267_403 Depth=1
	s_or_b64 exec, exec, s[14:15]
	v_cmp_lt_u64_e64 s[2:3], s[8:9], v[26:27]
	v_mov_b32_e32 v26, 0
	s_and_saveexec_b64 s[14:15], s[2:3]
	s_cbranch_execz .LBB267_551
; %bb.546:                              ;   in Loop: Header=BB267_403 Depth=1
	v_lshrrev_b32_e32 v12, 24, v27
	v_cmp_ne_u32_e64 s[2:3], s31, v12
	v_bfrev_b32_e32 v26, 1
	s_and_saveexec_b64 s[22:23], s[2:3]
	s_cbranch_execz .LBB267_550
; %bb.547:                              ;   in Loop: Header=BB267_403 Depth=1
	v_and_b32_e32 v27, 0x7f, v12
	v_cmp_ne_u32_e64 s[2:3], s34, v27
	v_mov_b32_e32 v26, 0x7c010000
	s_and_saveexec_b64 s[24:25], s[2:3]
	s_cbranch_execz .LBB267_549
; %bb.548:                              ;   in Loop: Header=BB267_403 Depth=1
	v_and_b32_e32 v26, 7, v12
	v_ffbh_u32_e32 v50, v26
	v_min_u32_e32 v52, 32, v50
	v_subrev_u32_e32 v50, 28, v52
	v_lshlrev_b64 v[50:51], v50, v[12:13]
	v_lshrrev_b32_e32 v33, 3, v27
	v_sub_u32_e32 v51, 29, v52
	v_cmp_gt_u32_e64 s[2:3], 8, v27
	v_lshlrev_b32_e32 v12, 8, v12
	s_nop 0
	v_cndmask_b32_e64 v27, v33, v51, s[2:3]
	v_lshl_add_u32 v27, v27, 10, v41
	v_and_b32_e32 v33, 7, v50
	v_and_or_b32 v12, v12, s35, v27
	v_cndmask_b32_e64 v26, v26, v33, s[2:3]
	v_lshlrev_b32_e32 v12, 16, v12
	v_lshl_or_b32 v26, v26, 23, v12
.LBB267_549:                            ;   in Loop: Header=BB267_403 Depth=1
	s_or_b64 exec, exec, s[24:25]
.LBB267_550:                            ;   in Loop: Header=BB267_403 Depth=1
	s_or_b64 exec, exec, s[22:23]
.LBB267_551:                            ;   in Loop: Header=BB267_403 Depth=1
	s_or_b64 exec, exec, s[14:15]
	v_cvt_f32_f16_sdwa v51, v1 dst_sel:DWORD dst_unused:UNUSED_PAD src0_sel:WORD_1
	v_cvt_f32_f16_sdwa v50, v29 dst_sel:DWORD dst_unused:UNUSED_PAD src0_sel:WORD_1
	v_or_b32_e32 v1, v1, v25
	v_or_b32_e32 v12, v29, v28
	v_or_b32_e32 v30, v26, v30
	s_waitcnt vmcnt(0)
	v_pk_mul_f32 v[28:29], v[24:25], v[50:51] op_sel_hi:[0,1]
	v_cvt_f32_f16_e32 v50, v12
	v_cvt_f32_f16_e32 v51, v1
	v_cvt_pk_f16_f32 v1, v28, v29
	v_and_b32_e32 v25, 0xffff0000, v1
	v_lshlrev_b32_e32 v12, 16, v1
	v_pk_mul_f32 v[28:29], v[24:25], v[50:51] op_sel_hi:[0,1]
	v_cvt_pk_f16_f32 v1, v28, v29
	v_or_b32_e32 v29, v32, v31
	v_cvt_f32_f16_e32 v30, v30
	v_cvt_f32_f16_e32 v31, v29
	v_cvt_f32_f16_sdwa v33, v32 dst_sel:DWORD dst_unused:UNUSED_PAD src0_sel:WORD_1
	v_cvt_f32_f16_sdwa v32, v26 dst_sel:DWORD dst_unused:UNUSED_PAD src0_sel:WORD_1
	v_lshrrev_b32_e32 v27, 16, v1
	v_pk_mul_f32 v[30:31], v[24:25], v[30:31] op_sel_hi:[0,1]
	v_cvt_pk_f16_f32 v50, v30, v31
	v_pk_mul_f32 v[30:31], v[24:25], v[32:33] op_sel_hi:[0,1]
	v_cvt_pk_f16_f32 v24, v30, v31
	v_and_b32_e32 v28, 0xffff, v1
	v_and_b32_e32 v29, 0xffff0000, v24
	v_lshlrev_b32_e32 v24, 16, v24
	v_lshrrev_b32_e32 v31, 16, v50
	v_and_b32_e32 v30, 0xffff, v50
	v_or_b32_e32 v1, v25, v27
	v_or_b32_e32 v26, v12, v28
	;; [unrolled: 1-line block ×4, first 2 shown]
	s_and_saveexec_b64 s[14:15], s[0:1]
	s_cbranch_execz .LBB267_553
; %bb.552:                              ;   in Loop: Header=BB267_403 Depth=1
	v_add_u32_e32 v32, 2, v39
	v_cmp_gt_i32_e64 s[2:3], s30, v39
	v_or_b32_e32 v1, 1, v39
	v_or_b32_e32 v26, 3, v39
	v_cndmask_b32_e64 v27, 0, v27, s[2:3]
	v_cmp_gt_i32_e64 s[2:3], s33, v32
	s_nop 1
	v_cndmask_b32_e64 v28, 0, v28, s[2:3]
	v_cmp_gt_i32_e64 s[2:3], s30, v1
	s_nop 1
	v_cndmask_b32_e64 v1, 0, v25, s[2:3]
	v_cmp_gt_i32_e64 s[2:3], s33, v26
	v_or_b32_e32 v25, 6, v39
	v_or_b32_e32 v1, v1, v27
	v_cndmask_b32_e64 v12, 0, v12, s[2:3]
	v_or_b32_e32 v26, v12, v28
	v_or_b32_e32 v12, 4, v39
	v_cmp_gt_i32_e64 s[2:3], s30, v12
	v_or_b32_e32 v27, 5, v39
	v_or_b32_e32 v28, 7, v39
	v_cndmask_b32_e64 v12, 0, v31, s[2:3]
	v_cmp_gt_i32_e64 s[2:3], s33, v25
	s_nop 1
	v_cndmask_b32_e64 v25, 0, v30, s[2:3]
	v_cmp_gt_i32_e64 s[2:3], s30, v27
	s_nop 1
	v_cndmask_b32_e64 v27, 0, v29, s[2:3]
	v_cmp_gt_i32_e64 s[2:3], s33, v28
	v_or_b32_e32 v33, v27, v12
	s_nop 0
	v_cndmask_b32_e64 v24, 0, v24, s[2:3]
	v_or_b32_e32 v32, v24, v25
.LBB267_553:                            ;   in Loop: Header=BB267_403 Depth=1
	s_or_b64 exec, exec, s[14:15]
	;;#ASMSTART
	v_pk_mul_f16 v1, v47, v1;

	;;#ASMEND
	;;#ASMSTART
	v_pk_mul_f16 v12, v46, v26;

	;;#ASMEND
	;; [unrolled: 4-line block ×4, first 2 shown]
	s_nop 0
	;;#ASMSTART
	v_pk_add_f16 v1, v1, v12;

	;;#ASMEND
	s_nop 0
	;;#ASMSTART
	v_pk_add_f16 v1, v1, v24;

	;;#ASMEND
	;; [unrolled: 5-line block ×3, first 2 shown]
	v_mov_b32_e32 v25, 0
	v_lshrrev_b32_e32 v12, 16, v1
	v_and_b32_e32 v1, 0xffff, v1
	;;#ASMSTART
	v_cvt_f32_f16 v50, v1;
	;;#ASMEND
	;;#ASMSTART
	v_cvt_f32_f16 v51, v12;
	;;#ASMEND
	global_load_dwordx2 v[26:27], v[22:23], off offset:1536
	v_mov_b32_e32 v1, 0
	global_load_dword v24, v1, s[10:11]
	s_waitcnt vmcnt(1)
	v_cmp_ne_u16_sdwa s[2:3], v26, v13 src0_sel:BYTE_0 src1_sel:DWORD
	s_and_saveexec_b64 s[14:15], s[2:3]
	s_cbranch_execz .LBB267_559
; %bb.554:                              ;   in Loop: Header=BB267_403 Depth=1
	v_cmp_ne_u16_sdwa s[2:3], v26, s31 src0_sel:BYTE_0 src1_sel:DWORD
	v_mov_b32_e32 v25, 0x8000
	s_and_saveexec_b64 s[22:23], s[2:3]
	s_cbranch_execz .LBB267_558
; %bb.555:                              ;   in Loop: Header=BB267_403 Depth=1
	v_and_b32_e32 v12, 0x7f, v26
	v_cmp_ne_u32_e64 s[2:3], s34, v12
	v_mov_b32_e32 v25, 0x7c01
	s_and_saveexec_b64 s[24:25], s[2:3]
	s_cbranch_execz .LBB267_557
; %bb.556:                              ;   in Loop: Header=BB267_403 Depth=1
	v_and_b32_e32 v25, 7, v26
	v_ffbh_u32_e32 v28, v25
	v_min_u32_e32 v31, 32, v28
	v_subrev_u32_e32 v28, 28, v31
	v_lshlrev_b64 v[28:29], v28, v[26:27]
	v_lshrrev_b32_e32 v30, 3, v12
	v_sub_u32_e32 v29, 29, v31
	v_cmp_gt_u32_e64 s[2:3], 8, v12
	v_and_b32_e32 v28, 7, v28
	s_nop 0
	v_cndmask_b32_e64 v12, v30, v29, s[2:3]
	v_lshl_add_u32 v12, v12, 10, v41
	v_lshlrev_b32_e32 v29, 8, v26
	v_and_b32_e32 v12, 0xfc00, v12
	v_cndmask_b32_e64 v25, v25, v28, s[2:3]
	v_and_or_b32 v12, v29, s35, v12
	v_lshl_or_b32 v25, v25, 7, v12
.LBB267_557:                            ;   in Loop: Header=BB267_403 Depth=1
	s_or_b64 exec, exec, s[24:25]
.LBB267_558:                            ;   in Loop: Header=BB267_403 Depth=1
	s_or_b64 exec, exec, s[22:23]
.LBB267_559:                            ;   in Loop: Header=BB267_403 Depth=1
	s_or_b64 exec, exec, s[14:15]
	v_lshrrev_b16_e32 v12, 8, v26
	v_cmp_ne_u16_e64 s[2:3], 0, v12
	s_and_saveexec_b64 s[14:15], s[2:3]
	s_cbranch_execz .LBB267_565
; %bb.560:                              ;   in Loop: Header=BB267_403 Depth=1
	v_cmp_ne_u16_e64 s[2:3], s31, v12
	v_bfrev_b32_e32 v1, 1
	s_and_saveexec_b64 s[22:23], s[2:3]
	s_cbranch_execz .LBB267_564
; %bb.561:                              ;   in Loop: Header=BB267_403 Depth=1
	v_and_b32_e32 v28, 0x7f, v12
	v_cmp_ne_u32_e64 s[2:3], s34, v28
	v_mov_b32_e32 v1, 0x7c010000
	s_and_saveexec_b64 s[24:25], s[2:3]
	s_cbranch_execz .LBB267_563
; %bb.562:                              ;   in Loop: Header=BB267_403 Depth=1
	v_and_b32_e32 v1, 7, v12
	v_ffbh_u32_e32 v30, v1
	v_min_u32_e32 v32, 32, v30
	v_subrev_u32_e32 v30, 28, v32
	v_lshlrev_b64 v[30:31], v30, v[12:13]
	v_lshrrev_b32_e32 v29, 3, v28
	v_sub_u32_e32 v31, 29, v32
	v_cmp_gt_u32_e64 s[2:3], 8, v28
	v_lshlrev_b32_e32 v12, 8, v12
	s_nop 0
	v_cndmask_b32_e64 v28, v29, v31, s[2:3]
	v_lshl_add_u32 v28, v28, 10, v41
	v_and_b32_e32 v29, 7, v30
	v_and_or_b32 v12, v12, s35, v28
	v_cndmask_b32_e64 v1, v1, v29, s[2:3]
	v_lshlrev_b32_e32 v12, 16, v12
	v_lshl_or_b32 v1, v1, 23, v12
.LBB267_563:                            ;   in Loop: Header=BB267_403 Depth=1
	s_or_b64 exec, exec, s[24:25]
.LBB267_564:                            ;   in Loop: Header=BB267_403 Depth=1
	s_or_b64 exec, exec, s[22:23]
.LBB267_565:                            ;   in Loop: Header=BB267_403 Depth=1
	s_or_b64 exec, exec, s[14:15]
	v_lshrrev_b32_e32 v12, 16, v26
	v_cmp_ne_u16_sdwa s[2:3], v12, v13 src0_sel:BYTE_0 src1_sel:DWORD
	v_mov_b32_e32 v29, 0
	v_mov_b32_e32 v28, 0
	s_and_saveexec_b64 s[14:15], s[2:3]
	s_cbranch_execz .LBB267_571
; %bb.566:                              ;   in Loop: Header=BB267_403 Depth=1
	v_cmp_ne_u16_sdwa s[2:3], v12, s31 src0_sel:BYTE_0 src1_sel:DWORD
	v_mov_b32_e32 v28, 0x8000
	s_and_saveexec_b64 s[22:23], s[2:3]
	s_cbranch_execz .LBB267_570
; %bb.567:                              ;   in Loop: Header=BB267_403 Depth=1
	v_bfe_u32 v30, v26, 16, 7
	v_cmp_ne_u32_e64 s[2:3], s34, v30
	v_mov_b32_e32 v28, 0x7c01
	s_and_saveexec_b64 s[24:25], s[2:3]
	s_cbranch_execz .LBB267_569
; %bb.568:                              ;   in Loop: Header=BB267_403 Depth=1
	v_and_b32_e32 v28, 7, v12
	v_ffbh_u32_e32 v32, v28
	v_min_u32_e32 v52, 32, v32
	v_subrev_u32_e32 v32, 28, v52
	v_lshlrev_b64 v[32:33], v32, v[12:13]
	v_lshrrev_b32_e32 v31, 3, v30
	v_sub_u32_e32 v33, 29, v52
	v_cmp_gt_u32_e64 s[2:3], 8, v30
	v_lshlrev_b32_e32 v12, 8, v12
	s_nop 0
	v_cndmask_b32_e64 v30, v31, v33, s[2:3]
	v_lshl_add_u32 v30, v30, 10, v41
	v_and_b32_e32 v31, 7, v32
	v_and_b32_e32 v30, 0xfc00, v30
	v_cndmask_b32_e64 v28, v28, v31, s[2:3]
	v_and_or_b32 v12, v12, s35, v30
	v_lshl_or_b32 v28, v28, 7, v12
.LBB267_569:                            ;   in Loop: Header=BB267_403 Depth=1
	s_or_b64 exec, exec, s[24:25]
.LBB267_570:                            ;   in Loop: Header=BB267_403 Depth=1
	s_or_b64 exec, exec, s[22:23]
.LBB267_571:                            ;   in Loop: Header=BB267_403 Depth=1
	s_or_b64 exec, exec, s[14:15]
	v_cmp_lt_u32_e64 s[2:3], s9, v26
	s_and_saveexec_b64 s[14:15], s[2:3]
	s_cbranch_execz .LBB267_577
; %bb.572:                              ;   in Loop: Header=BB267_403 Depth=1
	v_lshrrev_b32_e32 v12, 24, v26
	v_cmp_ne_u32_e64 s[2:3], s31, v12
	v_bfrev_b32_e32 v29, 1
	s_and_saveexec_b64 s[22:23], s[2:3]
	s_cbranch_execz .LBB267_576
; %bb.573:                              ;   in Loop: Header=BB267_403 Depth=1
	v_and_b32_e32 v30, 0x7f, v12
	v_cmp_ne_u32_e64 s[2:3], s34, v30
	v_mov_b32_e32 v29, 0x7c010000
	s_and_saveexec_b64 s[24:25], s[2:3]
	s_cbranch_execz .LBB267_575
; %bb.574:                              ;   in Loop: Header=BB267_403 Depth=1
	v_and_b32_e32 v29, 7, v12
	v_ffbh_u32_e32 v32, v29
	v_min_u32_e32 v52, 32, v32
	v_subrev_u32_e32 v32, 28, v52
	v_lshlrev_b64 v[32:33], v32, v[12:13]
	v_lshrrev_b32_e32 v31, 3, v30
	v_sub_u32_e32 v33, 29, v52
	v_cmp_gt_u32_e64 s[2:3], 8, v30
	v_lshlrev_b32_e32 v12, 8, v12
	s_nop 0
	v_cndmask_b32_e64 v30, v31, v33, s[2:3]
	v_lshl_add_u32 v30, v30, 10, v41
	v_and_b32_e32 v31, 7, v32
	v_and_or_b32 v12, v12, s35, v30
	v_cndmask_b32_e64 v29, v29, v31, s[2:3]
	v_lshlrev_b32_e32 v12, 16, v12
	v_lshl_or_b32 v29, v29, 23, v12
.LBB267_575:                            ;   in Loop: Header=BB267_403 Depth=1
	s_or_b64 exec, exec, s[24:25]
.LBB267_576:                            ;   in Loop: Header=BB267_403 Depth=1
	s_or_b64 exec, exec, s[22:23]
.LBB267_577:                            ;   in Loop: Header=BB267_403 Depth=1
	s_or_b64 exec, exec, s[14:15]
	v_mov_b32_e32 v12, v27
	v_cmp_ne_u16_sdwa s[2:3], v27, v13 src0_sel:BYTE_0 src1_sel:DWORD
	v_mov_b32_e32 v30, 0
	v_mov_b32_e32 v31, 0
	s_and_saveexec_b64 s[14:15], s[2:3]
	s_cbranch_execz .LBB267_583
; %bb.578:                              ;   in Loop: Header=BB267_403 Depth=1
	v_cmp_ne_u16_sdwa s[2:3], v27, s31 src0_sel:BYTE_0 src1_sel:DWORD
	v_mov_b32_e32 v31, 0x8000
	s_and_saveexec_b64 s[22:23], s[2:3]
	s_cbranch_execz .LBB267_582
; %bb.579:                              ;   in Loop: Header=BB267_403 Depth=1
	v_and_b32_e32 v32, 0x7f, v27
	v_cmp_ne_u32_e64 s[2:3], s34, v32
	v_mov_b32_e32 v31, 0x7c01
	s_and_saveexec_b64 s[24:25], s[2:3]
	s_cbranch_execz .LBB267_581
; %bb.580:                              ;   in Loop: Header=BB267_403 Depth=1
	v_and_b32_e32 v31, 7, v27
	v_ffbh_u32_e32 v52, v31
	v_min_u32_e32 v54, 32, v52
	v_subrev_u32_e32 v52, 28, v54
	v_lshlrev_b64 v[52:53], v52, v[12:13]
	v_lshrrev_b32_e32 v33, 3, v32
	v_sub_u32_e32 v53, 29, v54
	v_cmp_gt_u32_e64 s[2:3], 8, v32
	v_and_b32_e32 v52, 7, v52
	s_nop 0
	v_cndmask_b32_e64 v32, v33, v53, s[2:3]
	v_lshl_add_u32 v32, v32, 10, v41
	v_lshlrev_b32_e32 v33, 8, v27
	v_and_b32_e32 v32, 0xfc00, v32
	v_cndmask_b32_e64 v31, v31, v52, s[2:3]
	v_and_or_b32 v32, v33, s35, v32
	v_lshl_or_b32 v31, v31, 7, v32
.LBB267_581:                            ;   in Loop: Header=BB267_403 Depth=1
	s_or_b64 exec, exec, s[24:25]
.LBB267_582:                            ;   in Loop: Header=BB267_403 Depth=1
	s_or_b64 exec, exec, s[22:23]
.LBB267_583:                            ;   in Loop: Header=BB267_403 Depth=1
	s_or_b64 exec, exec, s[14:15]
	v_lshrrev_b16_e32 v12, 8, v12
	v_cmp_ne_u16_e64 s[2:3], 0, v12
	v_mov_b32_e32 v32, 0
	s_and_saveexec_b64 s[14:15], s[2:3]
	s_cbranch_execz .LBB267_589
; %bb.584:                              ;   in Loop: Header=BB267_403 Depth=1
	v_cmp_ne_u16_e64 s[2:3], s31, v12
	v_bfrev_b32_e32 v32, 1
	s_and_saveexec_b64 s[22:23], s[2:3]
	s_cbranch_execz .LBB267_588
; %bb.585:                              ;   in Loop: Header=BB267_403 Depth=1
	v_and_b32_e32 v33, 0x7f, v12
	v_cmp_ne_u32_e64 s[2:3], s34, v33
	v_mov_b32_e32 v32, 0x7c010000
	s_and_saveexec_b64 s[24:25], s[2:3]
	s_cbranch_execz .LBB267_587
; %bb.586:                              ;   in Loop: Header=BB267_403 Depth=1
	v_and_b32_e32 v32, 7, v12
	v_ffbh_u32_e32 v52, v32
	v_min_u32_e32 v55, 32, v52
	v_subrev_u32_e32 v52, 28, v55
	v_lshlrev_b64 v[52:53], v52, v[12:13]
	v_lshrrev_b32_e32 v54, 3, v33
	v_sub_u32_e32 v53, 29, v55
	v_cmp_gt_u32_e64 s[2:3], 8, v33
	v_lshlrev_b32_e32 v12, 8, v12
	v_and_b32_e32 v52, 7, v52
	v_cndmask_b32_e64 v33, v54, v53, s[2:3]
	v_lshl_add_u32 v33, v33, 10, v41
	v_and_or_b32 v12, v12, s35, v33
	v_cndmask_b32_e64 v32, v32, v52, s[2:3]
	v_lshlrev_b32_e32 v12, 16, v12
	v_lshl_or_b32 v32, v32, 23, v12
.LBB267_587:                            ;   in Loop: Header=BB267_403 Depth=1
	s_or_b64 exec, exec, s[24:25]
.LBB267_588:                            ;   in Loop: Header=BB267_403 Depth=1
	s_or_b64 exec, exec, s[22:23]
.LBB267_589:                            ;   in Loop: Header=BB267_403 Depth=1
	s_or_b64 exec, exec, s[14:15]
	v_lshrrev_b32_e32 v12, 16, v27
	v_cmp_ne_u16_sdwa s[2:3], v12, v13 src0_sel:BYTE_0 src1_sel:DWORD
	s_and_saveexec_b64 s[14:15], s[2:3]
	s_cbranch_execz .LBB267_595
; %bb.590:                              ;   in Loop: Header=BB267_403 Depth=1
	v_cmp_ne_u16_sdwa s[2:3], v12, s31 src0_sel:BYTE_0 src1_sel:DWORD
	v_mov_b32_e32 v30, 0x8000
	s_and_saveexec_b64 s[22:23], s[2:3]
	s_cbranch_execz .LBB267_594
; %bb.591:                              ;   in Loop: Header=BB267_403 Depth=1
	v_bfe_u32 v33, v27, 16, 7
	v_cmp_ne_u32_e64 s[2:3], s34, v33
	v_mov_b32_e32 v30, 0x7c01
	s_and_saveexec_b64 s[24:25], s[2:3]
	s_cbranch_execz .LBB267_593
; %bb.592:                              ;   in Loop: Header=BB267_403 Depth=1
	v_and_b32_e32 v30, 7, v12
	v_ffbh_u32_e32 v52, v30
	v_min_u32_e32 v55, 32, v52
	v_subrev_u32_e32 v52, 28, v55
	v_lshlrev_b64 v[52:53], v52, v[12:13]
	v_lshrrev_b32_e32 v54, 3, v33
	v_sub_u32_e32 v53, 29, v55
	v_cmp_gt_u32_e64 s[2:3], 8, v33
	v_lshlrev_b32_e32 v12, 8, v12
	v_and_b32_e32 v52, 7, v52
	v_cndmask_b32_e64 v33, v54, v53, s[2:3]
	v_lshl_add_u32 v33, v33, 10, v41
	v_and_b32_e32 v33, 0xfc00, v33
	v_cndmask_b32_e64 v30, v30, v52, s[2:3]
	v_and_or_b32 v12, v12, s35, v33
	v_lshl_or_b32 v30, v30, 7, v12
.LBB267_593:                            ;   in Loop: Header=BB267_403 Depth=1
	s_or_b64 exec, exec, s[24:25]
.LBB267_594:                            ;   in Loop: Header=BB267_403 Depth=1
	s_or_b64 exec, exec, s[22:23]
.LBB267_595:                            ;   in Loop: Header=BB267_403 Depth=1
	s_or_b64 exec, exec, s[14:15]
	v_cmp_lt_u64_e64 s[2:3], s[8:9], v[26:27]
	v_mov_b32_e32 v26, 0
	s_and_saveexec_b64 s[14:15], s[2:3]
	s_cbranch_execz .LBB267_601
; %bb.596:                              ;   in Loop: Header=BB267_403 Depth=1
	v_lshrrev_b32_e32 v12, 24, v27
	v_cmp_ne_u32_e64 s[2:3], s31, v12
	v_bfrev_b32_e32 v26, 1
	s_and_saveexec_b64 s[22:23], s[2:3]
	s_cbranch_execz .LBB267_600
; %bb.597:                              ;   in Loop: Header=BB267_403 Depth=1
	v_and_b32_e32 v27, 0x7f, v12
	v_cmp_ne_u32_e64 s[2:3], s34, v27
	v_mov_b32_e32 v26, 0x7c010000
	s_and_saveexec_b64 s[24:25], s[2:3]
	s_cbranch_execz .LBB267_599
; %bb.598:                              ;   in Loop: Header=BB267_403 Depth=1
	v_and_b32_e32 v26, 7, v12
	v_ffbh_u32_e32 v52, v26
	v_min_u32_e32 v54, 32, v52
	v_subrev_u32_e32 v52, 28, v54
	v_lshlrev_b64 v[52:53], v52, v[12:13]
	v_lshrrev_b32_e32 v33, 3, v27
	v_sub_u32_e32 v53, 29, v54
	v_cmp_gt_u32_e64 s[2:3], 8, v27
	v_lshlrev_b32_e32 v12, 8, v12
	s_nop 0
	v_cndmask_b32_e64 v27, v33, v53, s[2:3]
	v_lshl_add_u32 v27, v27, 10, v41
	v_and_b32_e32 v33, 7, v52
	v_and_or_b32 v12, v12, s35, v27
	v_cndmask_b32_e64 v26, v26, v33, s[2:3]
	v_lshlrev_b32_e32 v12, 16, v12
	v_lshl_or_b32 v26, v26, 23, v12
.LBB267_599:                            ;   in Loop: Header=BB267_403 Depth=1
	s_or_b64 exec, exec, s[24:25]
.LBB267_600:                            ;   in Loop: Header=BB267_403 Depth=1
	s_or_b64 exec, exec, s[22:23]
.LBB267_601:                            ;   in Loop: Header=BB267_403 Depth=1
	s_or_b64 exec, exec, s[14:15]
	v_cvt_f32_f16_sdwa v53, v1 dst_sel:DWORD dst_unused:UNUSED_PAD src0_sel:WORD_1
	v_cvt_f32_f16_sdwa v52, v29 dst_sel:DWORD dst_unused:UNUSED_PAD src0_sel:WORD_1
	v_or_b32_e32 v1, v1, v25
	v_or_b32_e32 v12, v29, v28
	;; [unrolled: 1-line block ×3, first 2 shown]
	s_waitcnt vmcnt(0)
	v_pk_mul_f32 v[28:29], v[24:25], v[52:53] op_sel_hi:[0,1]
	v_cvt_f32_f16_e32 v52, v12
	v_cvt_f32_f16_e32 v53, v1
	v_cvt_pk_f16_f32 v1, v28, v29
	v_and_b32_e32 v25, 0xffff0000, v1
	v_lshlrev_b32_e32 v12, 16, v1
	v_pk_mul_f32 v[28:29], v[24:25], v[52:53] op_sel_hi:[0,1]
	v_cvt_pk_f16_f32 v1, v28, v29
	v_or_b32_e32 v29, v32, v31
	v_cvt_f32_f16_e32 v30, v30
	v_cvt_f32_f16_e32 v31, v29
	v_cvt_f32_f16_sdwa v33, v32 dst_sel:DWORD dst_unused:UNUSED_PAD src0_sel:WORD_1
	v_cvt_f32_f16_sdwa v32, v26 dst_sel:DWORD dst_unused:UNUSED_PAD src0_sel:WORD_1
	v_lshrrev_b32_e32 v27, 16, v1
	v_pk_mul_f32 v[30:31], v[24:25], v[30:31] op_sel_hi:[0,1]
	v_cvt_pk_f16_f32 v52, v30, v31
	v_pk_mul_f32 v[30:31], v[24:25], v[32:33] op_sel_hi:[0,1]
	v_cvt_pk_f16_f32 v24, v30, v31
	v_and_b32_e32 v28, 0xffff, v1
	v_and_b32_e32 v29, 0xffff0000, v24
	v_lshlrev_b32_e32 v24, 16, v24
	v_lshrrev_b32_e32 v31, 16, v52
	v_and_b32_e32 v30, 0xffff, v52
	v_or_b32_e32 v1, v25, v27
	v_or_b32_e32 v26, v12, v28
	;; [unrolled: 1-line block ×4, first 2 shown]
	s_and_saveexec_b64 s[14:15], s[0:1]
	s_cbranch_execz .LBB267_603
; %bb.602:                              ;   in Loop: Header=BB267_403 Depth=1
	v_add_u32_e32 v32, 2, v39
	v_cmp_gt_i32_e64 s[2:3], s30, v39
	v_or_b32_e32 v1, 1, v39
	v_or_b32_e32 v26, 3, v39
	v_cndmask_b32_e64 v27, 0, v27, s[2:3]
	v_cmp_gt_i32_e64 s[2:3], s33, v32
	s_nop 1
	v_cndmask_b32_e64 v28, 0, v28, s[2:3]
	v_cmp_gt_i32_e64 s[2:3], s30, v1
	s_nop 1
	v_cndmask_b32_e64 v1, 0, v25, s[2:3]
	v_cmp_gt_i32_e64 s[2:3], s33, v26
	v_or_b32_e32 v25, 6, v39
	v_or_b32_e32 v1, v1, v27
	v_cndmask_b32_e64 v12, 0, v12, s[2:3]
	v_or_b32_e32 v26, v12, v28
	v_or_b32_e32 v12, 4, v39
	v_cmp_gt_i32_e64 s[2:3], s30, v12
	v_or_b32_e32 v27, 5, v39
	v_or_b32_e32 v28, 7, v39
	v_cndmask_b32_e64 v12, 0, v31, s[2:3]
	v_cmp_gt_i32_e64 s[2:3], s33, v25
	s_nop 1
	v_cndmask_b32_e64 v25, 0, v30, s[2:3]
	v_cmp_gt_i32_e64 s[2:3], s30, v27
	s_nop 1
	v_cndmask_b32_e64 v27, 0, v29, s[2:3]
	v_cmp_gt_i32_e64 s[2:3], s33, v28
	v_or_b32_e32 v33, v27, v12
	s_nop 0
	v_cndmask_b32_e64 v24, 0, v24, s[2:3]
	v_or_b32_e32 v32, v24, v25
.LBB267_603:                            ;   in Loop: Header=BB267_403 Depth=1
	s_or_b64 exec, exec, s[14:15]
	;;#ASMSTART
	v_pk_mul_f16 v1, v47, v1;

	;;#ASMEND
	;;#ASMSTART
	v_pk_mul_f16 v12, v46, v26;

	;;#ASMEND
	;; [unrolled: 4-line block ×4, first 2 shown]
	s_nop 0
	;;#ASMSTART
	v_pk_add_f16 v1, v1, v12;

	;;#ASMEND
	s_nop 0
	;;#ASMSTART
	v_pk_add_f16 v1, v1, v24;

	;;#ASMEND
	;; [unrolled: 5-line block ×3, first 2 shown]
	v_mov_b32_e32 v25, 0
	v_lshrrev_b32_e32 v12, 16, v1
	v_and_b32_e32 v1, 0xffff, v1
	;;#ASMSTART
	v_cvt_f32_f16 v52, v1;
	;;#ASMEND
	;;#ASMSTART
	v_cvt_f32_f16 v53, v12;
	;;#ASMEND
	global_load_dwordx2 v[26:27], v[22:23], off offset:2048
	v_mov_b32_e32 v1, 0
	global_load_dword v24, v1, s[10:11]
	s_waitcnt vmcnt(1)
	v_cmp_ne_u16_sdwa s[2:3], v26, v13 src0_sel:BYTE_0 src1_sel:DWORD
	s_and_saveexec_b64 s[14:15], s[2:3]
	s_cbranch_execz .LBB267_609
; %bb.604:                              ;   in Loop: Header=BB267_403 Depth=1
	v_cmp_ne_u16_sdwa s[2:3], v26, s31 src0_sel:BYTE_0 src1_sel:DWORD
	v_mov_b32_e32 v25, 0x8000
	s_and_saveexec_b64 s[22:23], s[2:3]
	s_cbranch_execz .LBB267_608
; %bb.605:                              ;   in Loop: Header=BB267_403 Depth=1
	v_and_b32_e32 v12, 0x7f, v26
	v_cmp_ne_u32_e64 s[2:3], s34, v12
	v_mov_b32_e32 v25, 0x7c01
	s_and_saveexec_b64 s[24:25], s[2:3]
	s_cbranch_execz .LBB267_607
; %bb.606:                              ;   in Loop: Header=BB267_403 Depth=1
	v_and_b32_e32 v25, 7, v26
	v_ffbh_u32_e32 v28, v25
	v_min_u32_e32 v31, 32, v28
	v_subrev_u32_e32 v28, 28, v31
	v_lshlrev_b64 v[28:29], v28, v[26:27]
	v_lshrrev_b32_e32 v30, 3, v12
	v_sub_u32_e32 v29, 29, v31
	v_cmp_gt_u32_e64 s[2:3], 8, v12
	v_and_b32_e32 v28, 7, v28
	s_nop 0
	v_cndmask_b32_e64 v12, v30, v29, s[2:3]
	v_lshl_add_u32 v12, v12, 10, v41
	v_lshlrev_b32_e32 v29, 8, v26
	v_and_b32_e32 v12, 0xfc00, v12
	v_cndmask_b32_e64 v25, v25, v28, s[2:3]
	v_and_or_b32 v12, v29, s35, v12
	v_lshl_or_b32 v25, v25, 7, v12
.LBB267_607:                            ;   in Loop: Header=BB267_403 Depth=1
	s_or_b64 exec, exec, s[24:25]
.LBB267_608:                            ;   in Loop: Header=BB267_403 Depth=1
	s_or_b64 exec, exec, s[22:23]
.LBB267_609:                            ;   in Loop: Header=BB267_403 Depth=1
	s_or_b64 exec, exec, s[14:15]
	v_lshrrev_b16_e32 v12, 8, v26
	v_cmp_ne_u16_e64 s[2:3], 0, v12
	s_and_saveexec_b64 s[14:15], s[2:3]
	s_cbranch_execz .LBB267_615
; %bb.610:                              ;   in Loop: Header=BB267_403 Depth=1
	v_cmp_ne_u16_e64 s[2:3], s31, v12
	v_bfrev_b32_e32 v1, 1
	s_and_saveexec_b64 s[22:23], s[2:3]
	s_cbranch_execz .LBB267_614
; %bb.611:                              ;   in Loop: Header=BB267_403 Depth=1
	v_and_b32_e32 v28, 0x7f, v12
	v_cmp_ne_u32_e64 s[2:3], s34, v28
	v_mov_b32_e32 v1, 0x7c010000
	s_and_saveexec_b64 s[24:25], s[2:3]
	s_cbranch_execz .LBB267_613
; %bb.612:                              ;   in Loop: Header=BB267_403 Depth=1
	v_and_b32_e32 v1, 7, v12
	v_ffbh_u32_e32 v30, v1
	v_min_u32_e32 v32, 32, v30
	v_subrev_u32_e32 v30, 28, v32
	v_lshlrev_b64 v[30:31], v30, v[12:13]
	v_lshrrev_b32_e32 v29, 3, v28
	v_sub_u32_e32 v31, 29, v32
	v_cmp_gt_u32_e64 s[2:3], 8, v28
	v_lshlrev_b32_e32 v12, 8, v12
	s_nop 0
	v_cndmask_b32_e64 v28, v29, v31, s[2:3]
	v_lshl_add_u32 v28, v28, 10, v41
	v_and_b32_e32 v29, 7, v30
	v_and_or_b32 v12, v12, s35, v28
	v_cndmask_b32_e64 v1, v1, v29, s[2:3]
	v_lshlrev_b32_e32 v12, 16, v12
	v_lshl_or_b32 v1, v1, 23, v12
.LBB267_613:                            ;   in Loop: Header=BB267_403 Depth=1
	s_or_b64 exec, exec, s[24:25]
.LBB267_614:                            ;   in Loop: Header=BB267_403 Depth=1
	s_or_b64 exec, exec, s[22:23]
.LBB267_615:                            ;   in Loop: Header=BB267_403 Depth=1
	s_or_b64 exec, exec, s[14:15]
	v_lshrrev_b32_e32 v12, 16, v26
	v_cmp_ne_u16_sdwa s[2:3], v12, v13 src0_sel:BYTE_0 src1_sel:DWORD
	v_mov_b32_e32 v29, 0
	v_mov_b32_e32 v28, 0
	s_and_saveexec_b64 s[14:15], s[2:3]
	s_cbranch_execz .LBB267_621
; %bb.616:                              ;   in Loop: Header=BB267_403 Depth=1
	v_cmp_ne_u16_sdwa s[2:3], v12, s31 src0_sel:BYTE_0 src1_sel:DWORD
	v_mov_b32_e32 v28, 0x8000
	s_and_saveexec_b64 s[22:23], s[2:3]
	s_cbranch_execz .LBB267_620
; %bb.617:                              ;   in Loop: Header=BB267_403 Depth=1
	v_bfe_u32 v30, v26, 16, 7
	v_cmp_ne_u32_e64 s[2:3], s34, v30
	v_mov_b32_e32 v28, 0x7c01
	s_and_saveexec_b64 s[24:25], s[2:3]
	s_cbranch_execz .LBB267_619
; %bb.618:                              ;   in Loop: Header=BB267_403 Depth=1
	v_and_b32_e32 v28, 7, v12
	v_ffbh_u32_e32 v32, v28
	v_min_u32_e32 v54, 32, v32
	v_subrev_u32_e32 v32, 28, v54
	v_lshlrev_b64 v[32:33], v32, v[12:13]
	v_lshrrev_b32_e32 v31, 3, v30
	v_sub_u32_e32 v33, 29, v54
	v_cmp_gt_u32_e64 s[2:3], 8, v30
	v_lshlrev_b32_e32 v12, 8, v12
	s_nop 0
	v_cndmask_b32_e64 v30, v31, v33, s[2:3]
	v_lshl_add_u32 v30, v30, 10, v41
	v_and_b32_e32 v31, 7, v32
	v_and_b32_e32 v30, 0xfc00, v30
	v_cndmask_b32_e64 v28, v28, v31, s[2:3]
	v_and_or_b32 v12, v12, s35, v30
	v_lshl_or_b32 v28, v28, 7, v12
.LBB267_619:                            ;   in Loop: Header=BB267_403 Depth=1
	s_or_b64 exec, exec, s[24:25]
.LBB267_620:                            ;   in Loop: Header=BB267_403 Depth=1
	s_or_b64 exec, exec, s[22:23]
.LBB267_621:                            ;   in Loop: Header=BB267_403 Depth=1
	s_or_b64 exec, exec, s[14:15]
	v_cmp_lt_u32_e64 s[2:3], s9, v26
	s_and_saveexec_b64 s[14:15], s[2:3]
	s_cbranch_execz .LBB267_627
; %bb.622:                              ;   in Loop: Header=BB267_403 Depth=1
	v_lshrrev_b32_e32 v12, 24, v26
	v_cmp_ne_u32_e64 s[2:3], s31, v12
	v_bfrev_b32_e32 v29, 1
	s_and_saveexec_b64 s[22:23], s[2:3]
	s_cbranch_execz .LBB267_626
; %bb.623:                              ;   in Loop: Header=BB267_403 Depth=1
	v_and_b32_e32 v30, 0x7f, v12
	v_cmp_ne_u32_e64 s[2:3], s34, v30
	v_mov_b32_e32 v29, 0x7c010000
	s_and_saveexec_b64 s[24:25], s[2:3]
	s_cbranch_execz .LBB267_625
; %bb.624:                              ;   in Loop: Header=BB267_403 Depth=1
	v_and_b32_e32 v29, 7, v12
	v_ffbh_u32_e32 v32, v29
	v_min_u32_e32 v54, 32, v32
	v_subrev_u32_e32 v32, 28, v54
	v_lshlrev_b64 v[32:33], v32, v[12:13]
	v_lshrrev_b32_e32 v31, 3, v30
	v_sub_u32_e32 v33, 29, v54
	v_cmp_gt_u32_e64 s[2:3], 8, v30
	v_lshlrev_b32_e32 v12, 8, v12
	s_nop 0
	v_cndmask_b32_e64 v30, v31, v33, s[2:3]
	v_lshl_add_u32 v30, v30, 10, v41
	v_and_b32_e32 v31, 7, v32
	v_and_or_b32 v12, v12, s35, v30
	v_cndmask_b32_e64 v29, v29, v31, s[2:3]
	v_lshlrev_b32_e32 v12, 16, v12
	v_lshl_or_b32 v29, v29, 23, v12
.LBB267_625:                            ;   in Loop: Header=BB267_403 Depth=1
	s_or_b64 exec, exec, s[24:25]
.LBB267_626:                            ;   in Loop: Header=BB267_403 Depth=1
	s_or_b64 exec, exec, s[22:23]
.LBB267_627:                            ;   in Loop: Header=BB267_403 Depth=1
	s_or_b64 exec, exec, s[14:15]
	v_mov_b32_e32 v12, v27
	v_cmp_ne_u16_sdwa s[2:3], v27, v13 src0_sel:BYTE_0 src1_sel:DWORD
	v_mov_b32_e32 v30, 0
	v_mov_b32_e32 v31, 0
	s_and_saveexec_b64 s[14:15], s[2:3]
	s_cbranch_execz .LBB267_633
; %bb.628:                              ;   in Loop: Header=BB267_403 Depth=1
	v_cmp_ne_u16_sdwa s[2:3], v27, s31 src0_sel:BYTE_0 src1_sel:DWORD
	v_mov_b32_e32 v31, 0x8000
	s_and_saveexec_b64 s[22:23], s[2:3]
	s_cbranch_execz .LBB267_632
; %bb.629:                              ;   in Loop: Header=BB267_403 Depth=1
	v_and_b32_e32 v32, 0x7f, v27
	v_cmp_ne_u32_e64 s[2:3], s34, v32
	v_mov_b32_e32 v31, 0x7c01
	s_and_saveexec_b64 s[24:25], s[2:3]
	s_cbranch_execz .LBB267_631
; %bb.630:                              ;   in Loop: Header=BB267_403 Depth=1
	v_and_b32_e32 v31, 7, v27
	v_ffbh_u32_e32 v54, v31
	v_min_u32_e32 v56, 32, v54
	v_subrev_u32_e32 v54, 28, v56
	v_lshlrev_b64 v[54:55], v54, v[12:13]
	v_lshrrev_b32_e32 v33, 3, v32
	v_sub_u32_e32 v55, 29, v56
	v_cmp_gt_u32_e64 s[2:3], 8, v32
	v_and_b32_e32 v54, 7, v54
	s_nop 0
	v_cndmask_b32_e64 v32, v33, v55, s[2:3]
	v_lshl_add_u32 v32, v32, 10, v41
	v_lshlrev_b32_e32 v33, 8, v27
	v_and_b32_e32 v32, 0xfc00, v32
	v_cndmask_b32_e64 v31, v31, v54, s[2:3]
	v_and_or_b32 v32, v33, s35, v32
	v_lshl_or_b32 v31, v31, 7, v32
.LBB267_631:                            ;   in Loop: Header=BB267_403 Depth=1
	s_or_b64 exec, exec, s[24:25]
.LBB267_632:                            ;   in Loop: Header=BB267_403 Depth=1
	s_or_b64 exec, exec, s[22:23]
.LBB267_633:                            ;   in Loop: Header=BB267_403 Depth=1
	s_or_b64 exec, exec, s[14:15]
	v_lshrrev_b16_e32 v12, 8, v12
	v_cmp_ne_u16_e64 s[2:3], 0, v12
	v_mov_b32_e32 v32, 0
	s_and_saveexec_b64 s[14:15], s[2:3]
	s_cbranch_execz .LBB267_639
; %bb.634:                              ;   in Loop: Header=BB267_403 Depth=1
	v_cmp_ne_u16_e64 s[2:3], s31, v12
	v_bfrev_b32_e32 v32, 1
	s_and_saveexec_b64 s[22:23], s[2:3]
	s_cbranch_execz .LBB267_638
; %bb.635:                              ;   in Loop: Header=BB267_403 Depth=1
	v_and_b32_e32 v33, 0x7f, v12
	v_cmp_ne_u32_e64 s[2:3], s34, v33
	v_mov_b32_e32 v32, 0x7c010000
	s_and_saveexec_b64 s[24:25], s[2:3]
	s_cbranch_execz .LBB267_637
; %bb.636:                              ;   in Loop: Header=BB267_403 Depth=1
	v_and_b32_e32 v32, 7, v12
	v_ffbh_u32_e32 v54, v32
	v_min_u32_e32 v57, 32, v54
	v_subrev_u32_e32 v54, 28, v57
	v_lshlrev_b64 v[54:55], v54, v[12:13]
	v_lshrrev_b32_e32 v56, 3, v33
	v_sub_u32_e32 v55, 29, v57
	v_cmp_gt_u32_e64 s[2:3], 8, v33
	v_lshlrev_b32_e32 v12, 8, v12
	v_and_b32_e32 v54, 7, v54
	v_cndmask_b32_e64 v33, v56, v55, s[2:3]
	v_lshl_add_u32 v33, v33, 10, v41
	v_and_or_b32 v12, v12, s35, v33
	v_cndmask_b32_e64 v32, v32, v54, s[2:3]
	v_lshlrev_b32_e32 v12, 16, v12
	v_lshl_or_b32 v32, v32, 23, v12
.LBB267_637:                            ;   in Loop: Header=BB267_403 Depth=1
	s_or_b64 exec, exec, s[24:25]
.LBB267_638:                            ;   in Loop: Header=BB267_403 Depth=1
	s_or_b64 exec, exec, s[22:23]
.LBB267_639:                            ;   in Loop: Header=BB267_403 Depth=1
	s_or_b64 exec, exec, s[14:15]
	v_lshrrev_b32_e32 v12, 16, v27
	v_cmp_ne_u16_sdwa s[2:3], v12, v13 src0_sel:BYTE_0 src1_sel:DWORD
	s_and_saveexec_b64 s[14:15], s[2:3]
	s_cbranch_execz .LBB267_645
; %bb.640:                              ;   in Loop: Header=BB267_403 Depth=1
	v_cmp_ne_u16_sdwa s[2:3], v12, s31 src0_sel:BYTE_0 src1_sel:DWORD
	v_mov_b32_e32 v30, 0x8000
	s_and_saveexec_b64 s[22:23], s[2:3]
	s_cbranch_execz .LBB267_644
; %bb.641:                              ;   in Loop: Header=BB267_403 Depth=1
	v_bfe_u32 v33, v27, 16, 7
	v_cmp_ne_u32_e64 s[2:3], s34, v33
	v_mov_b32_e32 v30, 0x7c01
	s_and_saveexec_b64 s[24:25], s[2:3]
	s_cbranch_execz .LBB267_643
; %bb.642:                              ;   in Loop: Header=BB267_403 Depth=1
	v_and_b32_e32 v30, 7, v12
	v_ffbh_u32_e32 v54, v30
	v_min_u32_e32 v57, 32, v54
	v_subrev_u32_e32 v54, 28, v57
	v_lshlrev_b64 v[54:55], v54, v[12:13]
	v_lshrrev_b32_e32 v56, 3, v33
	v_sub_u32_e32 v55, 29, v57
	v_cmp_gt_u32_e64 s[2:3], 8, v33
	v_lshlrev_b32_e32 v12, 8, v12
	v_and_b32_e32 v54, 7, v54
	v_cndmask_b32_e64 v33, v56, v55, s[2:3]
	v_lshl_add_u32 v33, v33, 10, v41
	v_and_b32_e32 v33, 0xfc00, v33
	v_cndmask_b32_e64 v30, v30, v54, s[2:3]
	v_and_or_b32 v12, v12, s35, v33
	v_lshl_or_b32 v30, v30, 7, v12
.LBB267_643:                            ;   in Loop: Header=BB267_403 Depth=1
	s_or_b64 exec, exec, s[24:25]
.LBB267_644:                            ;   in Loop: Header=BB267_403 Depth=1
	s_or_b64 exec, exec, s[22:23]
.LBB267_645:                            ;   in Loop: Header=BB267_403 Depth=1
	s_or_b64 exec, exec, s[14:15]
	v_cmp_lt_u64_e64 s[2:3], s[8:9], v[26:27]
	v_mov_b32_e32 v26, 0
	s_and_saveexec_b64 s[14:15], s[2:3]
	s_cbranch_execz .LBB267_651
; %bb.646:                              ;   in Loop: Header=BB267_403 Depth=1
	v_lshrrev_b32_e32 v12, 24, v27
	v_cmp_ne_u32_e64 s[2:3], s31, v12
	v_bfrev_b32_e32 v26, 1
	s_and_saveexec_b64 s[22:23], s[2:3]
	s_cbranch_execz .LBB267_650
; %bb.647:                              ;   in Loop: Header=BB267_403 Depth=1
	v_and_b32_e32 v27, 0x7f, v12
	v_cmp_ne_u32_e64 s[2:3], s34, v27
	v_mov_b32_e32 v26, 0x7c010000
	s_and_saveexec_b64 s[24:25], s[2:3]
	s_cbranch_execz .LBB267_649
; %bb.648:                              ;   in Loop: Header=BB267_403 Depth=1
	v_and_b32_e32 v26, 7, v12
	v_ffbh_u32_e32 v54, v26
	v_min_u32_e32 v56, 32, v54
	v_subrev_u32_e32 v54, 28, v56
	v_lshlrev_b64 v[54:55], v54, v[12:13]
	v_lshrrev_b32_e32 v33, 3, v27
	v_sub_u32_e32 v55, 29, v56
	v_cmp_gt_u32_e64 s[2:3], 8, v27
	v_lshlrev_b32_e32 v12, 8, v12
	s_nop 0
	v_cndmask_b32_e64 v27, v33, v55, s[2:3]
	v_lshl_add_u32 v27, v27, 10, v41
	v_and_b32_e32 v33, 7, v54
	v_and_or_b32 v12, v12, s35, v27
	v_cndmask_b32_e64 v26, v26, v33, s[2:3]
	v_lshlrev_b32_e32 v12, 16, v12
	v_lshl_or_b32 v26, v26, 23, v12
.LBB267_649:                            ;   in Loop: Header=BB267_403 Depth=1
	s_or_b64 exec, exec, s[24:25]
.LBB267_650:                            ;   in Loop: Header=BB267_403 Depth=1
	s_or_b64 exec, exec, s[22:23]
.LBB267_651:                            ;   in Loop: Header=BB267_403 Depth=1
	s_or_b64 exec, exec, s[14:15]
	v_cvt_f32_f16_sdwa v55, v1 dst_sel:DWORD dst_unused:UNUSED_PAD src0_sel:WORD_1
	v_cvt_f32_f16_sdwa v54, v29 dst_sel:DWORD dst_unused:UNUSED_PAD src0_sel:WORD_1
	v_or_b32_e32 v1, v1, v25
	v_or_b32_e32 v12, v29, v28
	;; [unrolled: 1-line block ×3, first 2 shown]
	s_waitcnt vmcnt(0)
	v_pk_mul_f32 v[28:29], v[24:25], v[54:55] op_sel_hi:[0,1]
	v_cvt_f32_f16_e32 v54, v12
	v_cvt_f32_f16_e32 v55, v1
	v_cvt_pk_f16_f32 v1, v28, v29
	v_and_b32_e32 v25, 0xffff0000, v1
	v_lshlrev_b32_e32 v12, 16, v1
	v_pk_mul_f32 v[28:29], v[24:25], v[54:55] op_sel_hi:[0,1]
	v_cvt_pk_f16_f32 v1, v28, v29
	v_or_b32_e32 v29, v32, v31
	v_cvt_f32_f16_e32 v30, v30
	v_cvt_f32_f16_e32 v31, v29
	v_cvt_f32_f16_sdwa v33, v32 dst_sel:DWORD dst_unused:UNUSED_PAD src0_sel:WORD_1
	v_cvt_f32_f16_sdwa v32, v26 dst_sel:DWORD dst_unused:UNUSED_PAD src0_sel:WORD_1
	v_lshrrev_b32_e32 v27, 16, v1
	v_pk_mul_f32 v[30:31], v[24:25], v[30:31] op_sel_hi:[0,1]
	v_cvt_pk_f16_f32 v54, v30, v31
	v_pk_mul_f32 v[30:31], v[24:25], v[32:33] op_sel_hi:[0,1]
	v_cvt_pk_f16_f32 v24, v30, v31
	v_and_b32_e32 v28, 0xffff, v1
	v_and_b32_e32 v29, 0xffff0000, v24
	v_lshlrev_b32_e32 v24, 16, v24
	v_lshrrev_b32_e32 v31, 16, v54
	v_and_b32_e32 v30, 0xffff, v54
	v_or_b32_e32 v1, v25, v27
	v_or_b32_e32 v26, v12, v28
	v_or_b32_e32 v33, v29, v31
	v_or_b32_e32 v32, v24, v30
	s_and_saveexec_b64 s[14:15], s[0:1]
	s_cbranch_execz .LBB267_653
; %bb.652:                              ;   in Loop: Header=BB267_403 Depth=1
	v_add_u32_e32 v32, 2, v39
	v_cmp_gt_i32_e64 s[2:3], s30, v39
	v_or_b32_e32 v1, 1, v39
	v_or_b32_e32 v26, 3, v39
	v_cndmask_b32_e64 v27, 0, v27, s[2:3]
	v_cmp_gt_i32_e64 s[2:3], s33, v32
	s_nop 1
	v_cndmask_b32_e64 v28, 0, v28, s[2:3]
	v_cmp_gt_i32_e64 s[2:3], s30, v1
	s_nop 1
	v_cndmask_b32_e64 v1, 0, v25, s[2:3]
	v_cmp_gt_i32_e64 s[2:3], s33, v26
	v_or_b32_e32 v25, 6, v39
	v_or_b32_e32 v1, v1, v27
	v_cndmask_b32_e64 v12, 0, v12, s[2:3]
	v_or_b32_e32 v26, v12, v28
	v_or_b32_e32 v12, 4, v39
	v_cmp_gt_i32_e64 s[2:3], s30, v12
	v_or_b32_e32 v27, 5, v39
	v_or_b32_e32 v28, 7, v39
	v_cndmask_b32_e64 v12, 0, v31, s[2:3]
	v_cmp_gt_i32_e64 s[2:3], s33, v25
	s_nop 1
	v_cndmask_b32_e64 v25, 0, v30, s[2:3]
	v_cmp_gt_i32_e64 s[2:3], s30, v27
	s_nop 1
	v_cndmask_b32_e64 v27, 0, v29, s[2:3]
	v_cmp_gt_i32_e64 s[2:3], s33, v28
	v_or_b32_e32 v33, v27, v12
	s_nop 0
	v_cndmask_b32_e64 v24, 0, v24, s[2:3]
	v_or_b32_e32 v32, v24, v25
.LBB267_653:                            ;   in Loop: Header=BB267_403 Depth=1
	s_or_b64 exec, exec, s[14:15]
	;;#ASMSTART
	v_pk_mul_f16 v1, v47, v1;

	;;#ASMEND
	;;#ASMSTART
	v_pk_mul_f16 v12, v46, v26;

	;;#ASMEND
	;; [unrolled: 4-line block ×4, first 2 shown]
	s_nop 0
	;;#ASMSTART
	v_pk_add_f16 v1, v1, v12;

	;;#ASMEND
	s_nop 0
	;;#ASMSTART
	v_pk_add_f16 v1, v1, v24;

	;;#ASMEND
	;; [unrolled: 5-line block ×3, first 2 shown]
	v_mov_b32_e32 v25, 0
	v_lshrrev_b32_e32 v12, 16, v1
	v_and_b32_e32 v1, 0xffff, v1
	;;#ASMSTART
	v_cvt_f32_f16 v54, v1;
	;;#ASMEND
	;;#ASMSTART
	v_cvt_f32_f16 v55, v12;
	;;#ASMEND
	global_load_dwordx2 v[26:27], v[22:23], off offset:2560
	v_mov_b32_e32 v1, 0
	global_load_dword v24, v1, s[10:11]
	s_waitcnt vmcnt(1)
	v_cmp_ne_u16_sdwa s[2:3], v26, v13 src0_sel:BYTE_0 src1_sel:DWORD
	s_and_saveexec_b64 s[14:15], s[2:3]
	s_cbranch_execz .LBB267_659
; %bb.654:                              ;   in Loop: Header=BB267_403 Depth=1
	v_cmp_ne_u16_sdwa s[2:3], v26, s31 src0_sel:BYTE_0 src1_sel:DWORD
	v_mov_b32_e32 v25, 0x8000
	s_and_saveexec_b64 s[22:23], s[2:3]
	s_cbranch_execz .LBB267_658
; %bb.655:                              ;   in Loop: Header=BB267_403 Depth=1
	v_and_b32_e32 v12, 0x7f, v26
	v_cmp_ne_u32_e64 s[2:3], s34, v12
	v_mov_b32_e32 v25, 0x7c01
	s_and_saveexec_b64 s[24:25], s[2:3]
	s_cbranch_execz .LBB267_657
; %bb.656:                              ;   in Loop: Header=BB267_403 Depth=1
	v_and_b32_e32 v25, 7, v26
	v_ffbh_u32_e32 v28, v25
	v_min_u32_e32 v31, 32, v28
	v_subrev_u32_e32 v28, 28, v31
	v_lshlrev_b64 v[28:29], v28, v[26:27]
	v_lshrrev_b32_e32 v30, 3, v12
	v_sub_u32_e32 v29, 29, v31
	v_cmp_gt_u32_e64 s[2:3], 8, v12
	v_and_b32_e32 v28, 7, v28
	s_nop 0
	v_cndmask_b32_e64 v12, v30, v29, s[2:3]
	v_lshl_add_u32 v12, v12, 10, v41
	v_lshlrev_b32_e32 v29, 8, v26
	v_and_b32_e32 v12, 0xfc00, v12
	v_cndmask_b32_e64 v25, v25, v28, s[2:3]
	v_and_or_b32 v12, v29, s35, v12
	v_lshl_or_b32 v25, v25, 7, v12
.LBB267_657:                            ;   in Loop: Header=BB267_403 Depth=1
	s_or_b64 exec, exec, s[24:25]
.LBB267_658:                            ;   in Loop: Header=BB267_403 Depth=1
	s_or_b64 exec, exec, s[22:23]
.LBB267_659:                            ;   in Loop: Header=BB267_403 Depth=1
	s_or_b64 exec, exec, s[14:15]
	v_lshrrev_b16_e32 v12, 8, v26
	v_cmp_ne_u16_e64 s[2:3], 0, v12
	s_and_saveexec_b64 s[14:15], s[2:3]
	s_cbranch_execz .LBB267_665
; %bb.660:                              ;   in Loop: Header=BB267_403 Depth=1
	v_cmp_ne_u16_e64 s[2:3], s31, v12
	v_bfrev_b32_e32 v1, 1
	s_and_saveexec_b64 s[22:23], s[2:3]
	s_cbranch_execz .LBB267_664
; %bb.661:                              ;   in Loop: Header=BB267_403 Depth=1
	v_and_b32_e32 v28, 0x7f, v12
	v_cmp_ne_u32_e64 s[2:3], s34, v28
	v_mov_b32_e32 v1, 0x7c010000
	s_and_saveexec_b64 s[24:25], s[2:3]
	s_cbranch_execz .LBB267_663
; %bb.662:                              ;   in Loop: Header=BB267_403 Depth=1
	v_and_b32_e32 v1, 7, v12
	v_ffbh_u32_e32 v30, v1
	v_min_u32_e32 v32, 32, v30
	v_subrev_u32_e32 v30, 28, v32
	v_lshlrev_b64 v[30:31], v30, v[12:13]
	v_lshrrev_b32_e32 v29, 3, v28
	v_sub_u32_e32 v31, 29, v32
	v_cmp_gt_u32_e64 s[2:3], 8, v28
	v_lshlrev_b32_e32 v12, 8, v12
	s_nop 0
	v_cndmask_b32_e64 v28, v29, v31, s[2:3]
	v_lshl_add_u32 v28, v28, 10, v41
	v_and_b32_e32 v29, 7, v30
	v_and_or_b32 v12, v12, s35, v28
	v_cndmask_b32_e64 v1, v1, v29, s[2:3]
	v_lshlrev_b32_e32 v12, 16, v12
	v_lshl_or_b32 v1, v1, 23, v12
.LBB267_663:                            ;   in Loop: Header=BB267_403 Depth=1
	s_or_b64 exec, exec, s[24:25]
.LBB267_664:                            ;   in Loop: Header=BB267_403 Depth=1
	s_or_b64 exec, exec, s[22:23]
.LBB267_665:                            ;   in Loop: Header=BB267_403 Depth=1
	s_or_b64 exec, exec, s[14:15]
	v_lshrrev_b32_e32 v12, 16, v26
	v_cmp_ne_u16_sdwa s[2:3], v12, v13 src0_sel:BYTE_0 src1_sel:DWORD
	v_mov_b32_e32 v29, 0
	v_mov_b32_e32 v28, 0
	s_and_saveexec_b64 s[14:15], s[2:3]
	s_cbranch_execz .LBB267_671
; %bb.666:                              ;   in Loop: Header=BB267_403 Depth=1
	v_cmp_ne_u16_sdwa s[2:3], v12, s31 src0_sel:BYTE_0 src1_sel:DWORD
	v_mov_b32_e32 v28, 0x8000
	s_and_saveexec_b64 s[22:23], s[2:3]
	s_cbranch_execz .LBB267_670
; %bb.667:                              ;   in Loop: Header=BB267_403 Depth=1
	v_bfe_u32 v30, v26, 16, 7
	v_cmp_ne_u32_e64 s[2:3], s34, v30
	v_mov_b32_e32 v28, 0x7c01
	s_and_saveexec_b64 s[24:25], s[2:3]
	s_cbranch_execz .LBB267_669
; %bb.668:                              ;   in Loop: Header=BB267_403 Depth=1
	v_and_b32_e32 v28, 7, v12
	v_ffbh_u32_e32 v32, v28
	v_min_u32_e32 v56, 32, v32
	v_subrev_u32_e32 v32, 28, v56
	v_lshlrev_b64 v[32:33], v32, v[12:13]
	v_lshrrev_b32_e32 v31, 3, v30
	v_sub_u32_e32 v33, 29, v56
	v_cmp_gt_u32_e64 s[2:3], 8, v30
	v_lshlrev_b32_e32 v12, 8, v12
	s_nop 0
	v_cndmask_b32_e64 v30, v31, v33, s[2:3]
	v_lshl_add_u32 v30, v30, 10, v41
	v_and_b32_e32 v31, 7, v32
	v_and_b32_e32 v30, 0xfc00, v30
	v_cndmask_b32_e64 v28, v28, v31, s[2:3]
	v_and_or_b32 v12, v12, s35, v30
	v_lshl_or_b32 v28, v28, 7, v12
.LBB267_669:                            ;   in Loop: Header=BB267_403 Depth=1
	s_or_b64 exec, exec, s[24:25]
.LBB267_670:                            ;   in Loop: Header=BB267_403 Depth=1
	s_or_b64 exec, exec, s[22:23]
.LBB267_671:                            ;   in Loop: Header=BB267_403 Depth=1
	s_or_b64 exec, exec, s[14:15]
	v_cmp_lt_u32_e64 s[2:3], s9, v26
	s_and_saveexec_b64 s[14:15], s[2:3]
	s_cbranch_execz .LBB267_677
; %bb.672:                              ;   in Loop: Header=BB267_403 Depth=1
	v_lshrrev_b32_e32 v12, 24, v26
	v_cmp_ne_u32_e64 s[2:3], s31, v12
	v_bfrev_b32_e32 v29, 1
	s_and_saveexec_b64 s[22:23], s[2:3]
	s_cbranch_execz .LBB267_676
; %bb.673:                              ;   in Loop: Header=BB267_403 Depth=1
	v_and_b32_e32 v30, 0x7f, v12
	v_cmp_ne_u32_e64 s[2:3], s34, v30
	v_mov_b32_e32 v29, 0x7c010000
	s_and_saveexec_b64 s[24:25], s[2:3]
	s_cbranch_execz .LBB267_675
; %bb.674:                              ;   in Loop: Header=BB267_403 Depth=1
	v_and_b32_e32 v29, 7, v12
	v_ffbh_u32_e32 v32, v29
	v_min_u32_e32 v56, 32, v32
	v_subrev_u32_e32 v32, 28, v56
	v_lshlrev_b64 v[32:33], v32, v[12:13]
	v_lshrrev_b32_e32 v31, 3, v30
	v_sub_u32_e32 v33, 29, v56
	v_cmp_gt_u32_e64 s[2:3], 8, v30
	v_lshlrev_b32_e32 v12, 8, v12
	s_nop 0
	v_cndmask_b32_e64 v30, v31, v33, s[2:3]
	v_lshl_add_u32 v30, v30, 10, v41
	v_and_b32_e32 v31, 7, v32
	v_and_or_b32 v12, v12, s35, v30
	v_cndmask_b32_e64 v29, v29, v31, s[2:3]
	v_lshlrev_b32_e32 v12, 16, v12
	v_lshl_or_b32 v29, v29, 23, v12
.LBB267_675:                            ;   in Loop: Header=BB267_403 Depth=1
	s_or_b64 exec, exec, s[24:25]
.LBB267_676:                            ;   in Loop: Header=BB267_403 Depth=1
	s_or_b64 exec, exec, s[22:23]
.LBB267_677:                            ;   in Loop: Header=BB267_403 Depth=1
	s_or_b64 exec, exec, s[14:15]
	v_mov_b32_e32 v12, v27
	v_cmp_ne_u16_sdwa s[2:3], v27, v13 src0_sel:BYTE_0 src1_sel:DWORD
	v_mov_b32_e32 v30, 0
	v_mov_b32_e32 v31, 0
	s_and_saveexec_b64 s[14:15], s[2:3]
	s_cbranch_execz .LBB267_683
; %bb.678:                              ;   in Loop: Header=BB267_403 Depth=1
	v_cmp_ne_u16_sdwa s[2:3], v27, s31 src0_sel:BYTE_0 src1_sel:DWORD
	v_mov_b32_e32 v31, 0x8000
	s_and_saveexec_b64 s[22:23], s[2:3]
	s_cbranch_execz .LBB267_682
; %bb.679:                              ;   in Loop: Header=BB267_403 Depth=1
	v_and_b32_e32 v32, 0x7f, v27
	v_cmp_ne_u32_e64 s[2:3], s34, v32
	v_mov_b32_e32 v31, 0x7c01
	s_and_saveexec_b64 s[24:25], s[2:3]
	s_cbranch_execz .LBB267_681
; %bb.680:                              ;   in Loop: Header=BB267_403 Depth=1
	v_and_b32_e32 v31, 7, v27
	v_ffbh_u32_e32 v56, v31
	v_min_u32_e32 v58, 32, v56
	v_subrev_u32_e32 v56, 28, v58
	v_lshlrev_b64 v[56:57], v56, v[12:13]
	v_lshrrev_b32_e32 v33, 3, v32
	v_sub_u32_e32 v57, 29, v58
	v_cmp_gt_u32_e64 s[2:3], 8, v32
	v_and_b32_e32 v56, 7, v56
	s_nop 0
	v_cndmask_b32_e64 v32, v33, v57, s[2:3]
	v_lshl_add_u32 v32, v32, 10, v41
	v_lshlrev_b32_e32 v33, 8, v27
	v_and_b32_e32 v32, 0xfc00, v32
	v_cndmask_b32_e64 v31, v31, v56, s[2:3]
	v_and_or_b32 v32, v33, s35, v32
	v_lshl_or_b32 v31, v31, 7, v32
.LBB267_681:                            ;   in Loop: Header=BB267_403 Depth=1
	s_or_b64 exec, exec, s[24:25]
.LBB267_682:                            ;   in Loop: Header=BB267_403 Depth=1
	s_or_b64 exec, exec, s[22:23]
.LBB267_683:                            ;   in Loop: Header=BB267_403 Depth=1
	s_or_b64 exec, exec, s[14:15]
	v_lshrrev_b16_e32 v12, 8, v12
	v_cmp_ne_u16_e64 s[2:3], 0, v12
	v_mov_b32_e32 v32, 0
	s_and_saveexec_b64 s[14:15], s[2:3]
	s_cbranch_execz .LBB267_689
; %bb.684:                              ;   in Loop: Header=BB267_403 Depth=1
	v_cmp_ne_u16_e64 s[2:3], s31, v12
	v_bfrev_b32_e32 v32, 1
	s_and_saveexec_b64 s[22:23], s[2:3]
	s_cbranch_execz .LBB267_688
; %bb.685:                              ;   in Loop: Header=BB267_403 Depth=1
	v_and_b32_e32 v33, 0x7f, v12
	v_cmp_ne_u32_e64 s[2:3], s34, v33
	v_mov_b32_e32 v32, 0x7c010000
	s_and_saveexec_b64 s[24:25], s[2:3]
	s_cbranch_execz .LBB267_687
; %bb.686:                              ;   in Loop: Header=BB267_403 Depth=1
	v_and_b32_e32 v32, 7, v12
	v_ffbh_u32_e32 v56, v32
	v_min_u32_e32 v59, 32, v56
	v_subrev_u32_e32 v56, 28, v59
	v_lshlrev_b64 v[56:57], v56, v[12:13]
	v_lshrrev_b32_e32 v58, 3, v33
	v_sub_u32_e32 v57, 29, v59
	v_cmp_gt_u32_e64 s[2:3], 8, v33
	v_lshlrev_b32_e32 v12, 8, v12
	v_and_b32_e32 v56, 7, v56
	v_cndmask_b32_e64 v33, v58, v57, s[2:3]
	v_lshl_add_u32 v33, v33, 10, v41
	v_and_or_b32 v12, v12, s35, v33
	v_cndmask_b32_e64 v32, v32, v56, s[2:3]
	v_lshlrev_b32_e32 v12, 16, v12
	v_lshl_or_b32 v32, v32, 23, v12
.LBB267_687:                            ;   in Loop: Header=BB267_403 Depth=1
	s_or_b64 exec, exec, s[24:25]
.LBB267_688:                            ;   in Loop: Header=BB267_403 Depth=1
	s_or_b64 exec, exec, s[22:23]
.LBB267_689:                            ;   in Loop: Header=BB267_403 Depth=1
	s_or_b64 exec, exec, s[14:15]
	v_lshrrev_b32_e32 v12, 16, v27
	v_cmp_ne_u16_sdwa s[2:3], v12, v13 src0_sel:BYTE_0 src1_sel:DWORD
	s_and_saveexec_b64 s[14:15], s[2:3]
	s_cbranch_execz .LBB267_695
; %bb.690:                              ;   in Loop: Header=BB267_403 Depth=1
	v_cmp_ne_u16_sdwa s[2:3], v12, s31 src0_sel:BYTE_0 src1_sel:DWORD
	v_mov_b32_e32 v30, 0x8000
	s_and_saveexec_b64 s[22:23], s[2:3]
	s_cbranch_execz .LBB267_694
; %bb.691:                              ;   in Loop: Header=BB267_403 Depth=1
	v_bfe_u32 v33, v27, 16, 7
	v_cmp_ne_u32_e64 s[2:3], s34, v33
	v_mov_b32_e32 v30, 0x7c01
	s_and_saveexec_b64 s[24:25], s[2:3]
	s_cbranch_execz .LBB267_693
; %bb.692:                              ;   in Loop: Header=BB267_403 Depth=1
	v_and_b32_e32 v30, 7, v12
	v_ffbh_u32_e32 v56, v30
	v_min_u32_e32 v59, 32, v56
	v_subrev_u32_e32 v56, 28, v59
	v_lshlrev_b64 v[56:57], v56, v[12:13]
	v_lshrrev_b32_e32 v58, 3, v33
	v_sub_u32_e32 v57, 29, v59
	v_cmp_gt_u32_e64 s[2:3], 8, v33
	v_lshlrev_b32_e32 v12, 8, v12
	v_and_b32_e32 v56, 7, v56
	v_cndmask_b32_e64 v33, v58, v57, s[2:3]
	v_lshl_add_u32 v33, v33, 10, v41
	v_and_b32_e32 v33, 0xfc00, v33
	v_cndmask_b32_e64 v30, v30, v56, s[2:3]
	v_and_or_b32 v12, v12, s35, v33
	v_lshl_or_b32 v30, v30, 7, v12
.LBB267_693:                            ;   in Loop: Header=BB267_403 Depth=1
	s_or_b64 exec, exec, s[24:25]
.LBB267_694:                            ;   in Loop: Header=BB267_403 Depth=1
	s_or_b64 exec, exec, s[22:23]
.LBB267_695:                            ;   in Loop: Header=BB267_403 Depth=1
	s_or_b64 exec, exec, s[14:15]
	v_cmp_lt_u64_e64 s[2:3], s[8:9], v[26:27]
	v_mov_b32_e32 v26, 0
	s_and_saveexec_b64 s[14:15], s[2:3]
	s_cbranch_execz .LBB267_701
; %bb.696:                              ;   in Loop: Header=BB267_403 Depth=1
	v_lshrrev_b32_e32 v12, 24, v27
	v_cmp_ne_u32_e64 s[2:3], s31, v12
	v_bfrev_b32_e32 v26, 1
	s_and_saveexec_b64 s[22:23], s[2:3]
	s_cbranch_execz .LBB267_700
; %bb.697:                              ;   in Loop: Header=BB267_403 Depth=1
	v_and_b32_e32 v27, 0x7f, v12
	v_cmp_ne_u32_e64 s[2:3], s34, v27
	v_mov_b32_e32 v26, 0x7c010000
	s_and_saveexec_b64 s[24:25], s[2:3]
	s_cbranch_execz .LBB267_699
; %bb.698:                              ;   in Loop: Header=BB267_403 Depth=1
	v_and_b32_e32 v26, 7, v12
	v_ffbh_u32_e32 v56, v26
	v_min_u32_e32 v58, 32, v56
	v_subrev_u32_e32 v56, 28, v58
	v_lshlrev_b64 v[56:57], v56, v[12:13]
	v_lshrrev_b32_e32 v33, 3, v27
	v_sub_u32_e32 v57, 29, v58
	v_cmp_gt_u32_e64 s[2:3], 8, v27
	v_lshlrev_b32_e32 v12, 8, v12
	s_nop 0
	v_cndmask_b32_e64 v27, v33, v57, s[2:3]
	v_lshl_add_u32 v27, v27, 10, v41
	v_and_b32_e32 v33, 7, v56
	v_and_or_b32 v12, v12, s35, v27
	v_cndmask_b32_e64 v26, v26, v33, s[2:3]
	v_lshlrev_b32_e32 v12, 16, v12
	v_lshl_or_b32 v26, v26, 23, v12
.LBB267_699:                            ;   in Loop: Header=BB267_403 Depth=1
	s_or_b64 exec, exec, s[24:25]
.LBB267_700:                            ;   in Loop: Header=BB267_403 Depth=1
	s_or_b64 exec, exec, s[22:23]
.LBB267_701:                            ;   in Loop: Header=BB267_403 Depth=1
	s_or_b64 exec, exec, s[14:15]
	v_cvt_f32_f16_sdwa v57, v1 dst_sel:DWORD dst_unused:UNUSED_PAD src0_sel:WORD_1
	v_cvt_f32_f16_sdwa v56, v29 dst_sel:DWORD dst_unused:UNUSED_PAD src0_sel:WORD_1
	v_or_b32_e32 v1, v1, v25
	v_or_b32_e32 v12, v29, v28
	;; [unrolled: 1-line block ×3, first 2 shown]
	s_waitcnt vmcnt(0)
	v_pk_mul_f32 v[28:29], v[24:25], v[56:57] op_sel_hi:[0,1]
	v_cvt_f32_f16_e32 v56, v12
	v_cvt_f32_f16_e32 v57, v1
	v_cvt_pk_f16_f32 v1, v28, v29
	v_and_b32_e32 v25, 0xffff0000, v1
	v_lshlrev_b32_e32 v12, 16, v1
	v_pk_mul_f32 v[28:29], v[24:25], v[56:57] op_sel_hi:[0,1]
	v_cvt_pk_f16_f32 v1, v28, v29
	v_or_b32_e32 v29, v32, v31
	v_cvt_f32_f16_e32 v30, v30
	v_cvt_f32_f16_e32 v31, v29
	v_cvt_f32_f16_sdwa v33, v32 dst_sel:DWORD dst_unused:UNUSED_PAD src0_sel:WORD_1
	v_cvt_f32_f16_sdwa v32, v26 dst_sel:DWORD dst_unused:UNUSED_PAD src0_sel:WORD_1
	v_lshrrev_b32_e32 v27, 16, v1
	v_pk_mul_f32 v[30:31], v[24:25], v[30:31] op_sel_hi:[0,1]
	v_cvt_pk_f16_f32 v56, v30, v31
	v_pk_mul_f32 v[30:31], v[24:25], v[32:33] op_sel_hi:[0,1]
	v_cvt_pk_f16_f32 v24, v30, v31
	v_and_b32_e32 v28, 0xffff, v1
	v_and_b32_e32 v29, 0xffff0000, v24
	v_lshlrev_b32_e32 v24, 16, v24
	v_lshrrev_b32_e32 v31, 16, v56
	v_and_b32_e32 v30, 0xffff, v56
	v_or_b32_e32 v1, v25, v27
	v_or_b32_e32 v26, v12, v28
	v_or_b32_e32 v33, v29, v31
	v_or_b32_e32 v32, v24, v30
	s_and_saveexec_b64 s[14:15], s[0:1]
	s_cbranch_execz .LBB267_703
; %bb.702:                              ;   in Loop: Header=BB267_403 Depth=1
	v_add_u32_e32 v32, 2, v39
	v_cmp_gt_i32_e64 s[2:3], s30, v39
	v_or_b32_e32 v1, 1, v39
	v_or_b32_e32 v26, 3, v39
	v_cndmask_b32_e64 v27, 0, v27, s[2:3]
	v_cmp_gt_i32_e64 s[2:3], s33, v32
	s_nop 1
	v_cndmask_b32_e64 v28, 0, v28, s[2:3]
	v_cmp_gt_i32_e64 s[2:3], s30, v1
	s_nop 1
	v_cndmask_b32_e64 v1, 0, v25, s[2:3]
	v_cmp_gt_i32_e64 s[2:3], s33, v26
	v_or_b32_e32 v25, 6, v39
	v_or_b32_e32 v1, v1, v27
	v_cndmask_b32_e64 v12, 0, v12, s[2:3]
	v_or_b32_e32 v26, v12, v28
	v_or_b32_e32 v12, 4, v39
	v_cmp_gt_i32_e64 s[2:3], s30, v12
	v_or_b32_e32 v27, 5, v39
	v_or_b32_e32 v28, 7, v39
	v_cndmask_b32_e64 v12, 0, v31, s[2:3]
	v_cmp_gt_i32_e64 s[2:3], s33, v25
	s_nop 1
	v_cndmask_b32_e64 v25, 0, v30, s[2:3]
	v_cmp_gt_i32_e64 s[2:3], s30, v27
	s_nop 1
	v_cndmask_b32_e64 v27, 0, v29, s[2:3]
	v_cmp_gt_i32_e64 s[2:3], s33, v28
	v_or_b32_e32 v33, v27, v12
	s_nop 0
	v_cndmask_b32_e64 v24, 0, v24, s[2:3]
	v_or_b32_e32 v32, v24, v25
.LBB267_703:                            ;   in Loop: Header=BB267_403 Depth=1
	s_or_b64 exec, exec, s[14:15]
	;;#ASMSTART
	v_pk_mul_f16 v1, v47, v1;

	;;#ASMEND
	;;#ASMSTART
	v_pk_mul_f16 v12, v46, v26;

	;;#ASMEND
	;; [unrolled: 4-line block ×4, first 2 shown]
	s_nop 0
	;;#ASMSTART
	v_pk_add_f16 v1, v1, v12;

	;;#ASMEND
	s_nop 0
	;;#ASMSTART
	v_pk_add_f16 v1, v1, v24;

	;;#ASMEND
	s_nop 0
	;;#ASMSTART
	v_pk_add_f16 v1, v1, v25;

	;;#ASMEND
	s_nop 0
	v_lshrrev_b32_e32 v12, 16, v1
	v_and_b32_e32 v1, 0xffff, v1
	;;#ASMSTART
	v_cvt_f32_f16 v32, v1;
	;;#ASMEND
	;;#ASMSTART
	v_cvt_f32_f16 v33, v12;
	;;#ASMEND
	global_load_dwordx2 v[24:25], v[22:23], off offset:3072
	v_mov_b32_e32 v1, 0
	global_load_dword v22, v1, s[10:11]
	v_mov_b32_e32 v23, 0
	s_waitcnt vmcnt(1)
	v_cmp_ne_u16_sdwa s[2:3], v24, v13 src0_sel:BYTE_0 src1_sel:DWORD
	s_and_saveexec_b64 s[14:15], s[2:3]
	s_cbranch_execz .LBB267_709
; %bb.704:                              ;   in Loop: Header=BB267_403 Depth=1
	v_cmp_ne_u16_sdwa s[2:3], v24, s31 src0_sel:BYTE_0 src1_sel:DWORD
	v_mov_b32_e32 v23, 0x8000
	s_and_saveexec_b64 s[22:23], s[2:3]
	s_cbranch_execz .LBB267_708
; %bb.705:                              ;   in Loop: Header=BB267_403 Depth=1
	v_and_b32_e32 v12, 0x7f, v24
	v_cmp_ne_u32_e64 s[2:3], s34, v12
	v_mov_b32_e32 v23, 0x7c01
	s_and_saveexec_b64 s[24:25], s[2:3]
	s_cbranch_execz .LBB267_707
; %bb.706:                              ;   in Loop: Header=BB267_403 Depth=1
	v_and_b32_e32 v23, 7, v24
	v_ffbh_u32_e32 v26, v23
	v_min_u32_e32 v29, 32, v26
	v_subrev_u32_e32 v26, 28, v29
	v_lshlrev_b64 v[26:27], v26, v[24:25]
	v_lshrrev_b32_e32 v28, 3, v12
	v_sub_u32_e32 v27, 29, v29
	v_cmp_gt_u32_e64 s[2:3], 8, v12
	v_and_b32_e32 v26, 7, v26
	s_nop 0
	v_cndmask_b32_e64 v12, v28, v27, s[2:3]
	v_lshl_add_u32 v12, v12, 10, v41
	v_lshlrev_b32_e32 v27, 8, v24
	v_and_b32_e32 v12, 0xfc00, v12
	v_cndmask_b32_e64 v23, v23, v26, s[2:3]
	v_and_or_b32 v12, v27, s35, v12
	v_lshl_or_b32 v23, v23, 7, v12
.LBB267_707:                            ;   in Loop: Header=BB267_403 Depth=1
	s_or_b64 exec, exec, s[24:25]
.LBB267_708:                            ;   in Loop: Header=BB267_403 Depth=1
	s_or_b64 exec, exec, s[22:23]
.LBB267_709:                            ;   in Loop: Header=BB267_403 Depth=1
	s_or_b64 exec, exec, s[14:15]
	v_lshrrev_b16_e32 v12, 8, v24
	v_cmp_ne_u16_e64 s[2:3], 0, v12
	s_and_saveexec_b64 s[14:15], s[2:3]
	s_cbranch_execz .LBB267_715
; %bb.710:                              ;   in Loop: Header=BB267_403 Depth=1
	v_cmp_ne_u16_e64 s[2:3], s31, v12
	v_bfrev_b32_e32 v1, 1
	s_and_saveexec_b64 s[22:23], s[2:3]
	s_cbranch_execz .LBB267_714
; %bb.711:                              ;   in Loop: Header=BB267_403 Depth=1
	v_and_b32_e32 v26, 0x7f, v12
	v_cmp_ne_u32_e64 s[2:3], s34, v26
	v_mov_b32_e32 v1, 0x7c010000
	s_and_saveexec_b64 s[24:25], s[2:3]
	s_cbranch_execz .LBB267_713
; %bb.712:                              ;   in Loop: Header=BB267_403 Depth=1
	v_and_b32_e32 v1, 7, v12
	v_ffbh_u32_e32 v28, v1
	v_min_u32_e32 v30, 32, v28
	v_subrev_u32_e32 v28, 28, v30
	v_lshlrev_b64 v[28:29], v28, v[12:13]
	v_lshrrev_b32_e32 v27, 3, v26
	v_sub_u32_e32 v29, 29, v30
	v_cmp_gt_u32_e64 s[2:3], 8, v26
	v_lshlrev_b32_e32 v12, 8, v12
	s_nop 0
	v_cndmask_b32_e64 v26, v27, v29, s[2:3]
	v_lshl_add_u32 v26, v26, 10, v41
	v_and_b32_e32 v27, 7, v28
	v_and_or_b32 v12, v12, s35, v26
	v_cndmask_b32_e64 v1, v1, v27, s[2:3]
	v_lshlrev_b32_e32 v12, 16, v12
	v_lshl_or_b32 v1, v1, 23, v12
.LBB267_713:                            ;   in Loop: Header=BB267_403 Depth=1
	s_or_b64 exec, exec, s[24:25]
.LBB267_714:                            ;   in Loop: Header=BB267_403 Depth=1
	s_or_b64 exec, exec, s[22:23]
.LBB267_715:                            ;   in Loop: Header=BB267_403 Depth=1
	s_or_b64 exec, exec, s[14:15]
	v_lshrrev_b32_e32 v12, 16, v24
	v_cmp_ne_u16_sdwa s[2:3], v12, v13 src0_sel:BYTE_0 src1_sel:DWORD
	v_mov_b32_e32 v27, 0
	v_mov_b32_e32 v26, 0
	s_and_saveexec_b64 s[14:15], s[2:3]
	s_cbranch_execz .LBB267_721
; %bb.716:                              ;   in Loop: Header=BB267_403 Depth=1
	v_cmp_ne_u16_sdwa s[2:3], v12, s31 src0_sel:BYTE_0 src1_sel:DWORD
	v_mov_b32_e32 v26, 0x8000
	s_and_saveexec_b64 s[22:23], s[2:3]
	s_cbranch_execz .LBB267_720
; %bb.717:                              ;   in Loop: Header=BB267_403 Depth=1
	v_bfe_u32 v28, v24, 16, 7
	v_cmp_ne_u32_e64 s[2:3], s34, v28
	v_mov_b32_e32 v26, 0x7c01
	s_and_saveexec_b64 s[24:25], s[2:3]
	s_cbranch_execz .LBB267_719
; %bb.718:                              ;   in Loop: Header=BB267_403 Depth=1
	v_and_b32_e32 v26, 7, v12
	v_ffbh_u32_e32 v30, v26
	v_min_u32_e32 v56, 32, v30
	v_subrev_u32_e32 v30, 28, v56
	v_lshlrev_b64 v[30:31], v30, v[12:13]
	v_lshrrev_b32_e32 v29, 3, v28
	v_sub_u32_e32 v31, 29, v56
	v_cmp_gt_u32_e64 s[2:3], 8, v28
	v_lshlrev_b32_e32 v12, 8, v12
	s_nop 0
	v_cndmask_b32_e64 v28, v29, v31, s[2:3]
	v_lshl_add_u32 v28, v28, 10, v41
	v_and_b32_e32 v29, 7, v30
	v_and_b32_e32 v28, 0xfc00, v28
	v_cndmask_b32_e64 v26, v26, v29, s[2:3]
	v_and_or_b32 v12, v12, s35, v28
	v_lshl_or_b32 v26, v26, 7, v12
.LBB267_719:                            ;   in Loop: Header=BB267_403 Depth=1
	s_or_b64 exec, exec, s[24:25]
.LBB267_720:                            ;   in Loop: Header=BB267_403 Depth=1
	s_or_b64 exec, exec, s[22:23]
.LBB267_721:                            ;   in Loop: Header=BB267_403 Depth=1
	s_or_b64 exec, exec, s[14:15]
	v_cmp_lt_u32_e64 s[2:3], s9, v24
	s_and_saveexec_b64 s[14:15], s[2:3]
	s_cbranch_execz .LBB267_727
; %bb.722:                              ;   in Loop: Header=BB267_403 Depth=1
	v_lshrrev_b32_e32 v12, 24, v24
	v_cmp_ne_u32_e64 s[2:3], s31, v12
	v_bfrev_b32_e32 v27, 1
	s_and_saveexec_b64 s[22:23], s[2:3]
	s_cbranch_execz .LBB267_726
; %bb.723:                              ;   in Loop: Header=BB267_403 Depth=1
	v_and_b32_e32 v28, 0x7f, v12
	v_cmp_ne_u32_e64 s[2:3], s34, v28
	v_mov_b32_e32 v27, 0x7c010000
	s_and_saveexec_b64 s[24:25], s[2:3]
	s_cbranch_execz .LBB267_725
; %bb.724:                              ;   in Loop: Header=BB267_403 Depth=1
	v_and_b32_e32 v27, 7, v12
	v_ffbh_u32_e32 v30, v27
	v_min_u32_e32 v56, 32, v30
	v_subrev_u32_e32 v30, 28, v56
	v_lshlrev_b64 v[30:31], v30, v[12:13]
	v_lshrrev_b32_e32 v29, 3, v28
	v_sub_u32_e32 v31, 29, v56
	v_cmp_gt_u32_e64 s[2:3], 8, v28
	v_lshlrev_b32_e32 v12, 8, v12
	s_nop 0
	v_cndmask_b32_e64 v28, v29, v31, s[2:3]
	v_lshl_add_u32 v28, v28, 10, v41
	v_and_b32_e32 v29, 7, v30
	v_and_or_b32 v12, v12, s35, v28
	v_cndmask_b32_e64 v27, v27, v29, s[2:3]
	v_lshlrev_b32_e32 v12, 16, v12
	v_lshl_or_b32 v27, v27, 23, v12
.LBB267_725:                            ;   in Loop: Header=BB267_403 Depth=1
	s_or_b64 exec, exec, s[24:25]
.LBB267_726:                            ;   in Loop: Header=BB267_403 Depth=1
	s_or_b64 exec, exec, s[22:23]
.LBB267_727:                            ;   in Loop: Header=BB267_403 Depth=1
	s_or_b64 exec, exec, s[14:15]
	v_mov_b32_e32 v12, v25
	v_cmp_ne_u16_sdwa s[2:3], v25, v13 src0_sel:BYTE_0 src1_sel:DWORD
	v_mov_b32_e32 v28, 0
	v_mov_b32_e32 v29, 0
	s_and_saveexec_b64 s[14:15], s[2:3]
	s_cbranch_execz .LBB267_733
; %bb.728:                              ;   in Loop: Header=BB267_403 Depth=1
	v_cmp_ne_u16_sdwa s[2:3], v25, s31 src0_sel:BYTE_0 src1_sel:DWORD
	v_mov_b32_e32 v29, 0x8000
	s_and_saveexec_b64 s[22:23], s[2:3]
	s_cbranch_execz .LBB267_732
; %bb.729:                              ;   in Loop: Header=BB267_403 Depth=1
	v_and_b32_e32 v30, 0x7f, v25
	v_cmp_ne_u32_e64 s[2:3], s34, v30
	v_mov_b32_e32 v29, 0x7c01
	s_and_saveexec_b64 s[24:25], s[2:3]
	s_cbranch_execz .LBB267_731
; %bb.730:                              ;   in Loop: Header=BB267_403 Depth=1
	v_and_b32_e32 v29, 7, v25
	v_ffbh_u32_e32 v56, v29
	v_min_u32_e32 v58, 32, v56
	v_subrev_u32_e32 v56, 28, v58
	v_lshlrev_b64 v[56:57], v56, v[12:13]
	v_lshrrev_b32_e32 v31, 3, v30
	v_sub_u32_e32 v57, 29, v58
	v_cmp_gt_u32_e64 s[2:3], 8, v30
	v_and_b32_e32 v56, 7, v56
	s_nop 0
	v_cndmask_b32_e64 v30, v31, v57, s[2:3]
	v_lshl_add_u32 v30, v30, 10, v41
	v_lshlrev_b32_e32 v31, 8, v25
	v_and_b32_e32 v30, 0xfc00, v30
	v_cndmask_b32_e64 v29, v29, v56, s[2:3]
	v_and_or_b32 v30, v31, s35, v30
	v_lshl_or_b32 v29, v29, 7, v30
.LBB267_731:                            ;   in Loop: Header=BB267_403 Depth=1
	s_or_b64 exec, exec, s[24:25]
.LBB267_732:                            ;   in Loop: Header=BB267_403 Depth=1
	s_or_b64 exec, exec, s[22:23]
.LBB267_733:                            ;   in Loop: Header=BB267_403 Depth=1
	s_or_b64 exec, exec, s[14:15]
	v_lshrrev_b16_e32 v12, 8, v12
	v_cmp_ne_u16_e64 s[2:3], 0, v12
	v_mov_b32_e32 v30, 0
	s_and_saveexec_b64 s[14:15], s[2:3]
	s_cbranch_execz .LBB267_739
; %bb.734:                              ;   in Loop: Header=BB267_403 Depth=1
	v_cmp_ne_u16_e64 s[2:3], s31, v12
	v_bfrev_b32_e32 v30, 1
	s_and_saveexec_b64 s[22:23], s[2:3]
	s_cbranch_execz .LBB267_738
; %bb.735:                              ;   in Loop: Header=BB267_403 Depth=1
	v_and_b32_e32 v31, 0x7f, v12
	v_cmp_ne_u32_e64 s[2:3], s34, v31
	v_mov_b32_e32 v30, 0x7c010000
	s_and_saveexec_b64 s[24:25], s[2:3]
	s_cbranch_execz .LBB267_737
; %bb.736:                              ;   in Loop: Header=BB267_403 Depth=1
	v_and_b32_e32 v30, 7, v12
	v_ffbh_u32_e32 v56, v30
	v_min_u32_e32 v59, 32, v56
	v_subrev_u32_e32 v56, 28, v59
	v_lshlrev_b64 v[56:57], v56, v[12:13]
	v_lshrrev_b32_e32 v58, 3, v31
	v_sub_u32_e32 v57, 29, v59
	v_cmp_gt_u32_e64 s[2:3], 8, v31
	v_lshlrev_b32_e32 v12, 8, v12
	v_and_b32_e32 v56, 7, v56
	v_cndmask_b32_e64 v31, v58, v57, s[2:3]
	v_lshl_add_u32 v31, v31, 10, v41
	v_and_or_b32 v12, v12, s35, v31
	v_cndmask_b32_e64 v30, v30, v56, s[2:3]
	v_lshlrev_b32_e32 v12, 16, v12
	v_lshl_or_b32 v30, v30, 23, v12
.LBB267_737:                            ;   in Loop: Header=BB267_403 Depth=1
	s_or_b64 exec, exec, s[24:25]
.LBB267_738:                            ;   in Loop: Header=BB267_403 Depth=1
	s_or_b64 exec, exec, s[22:23]
.LBB267_739:                            ;   in Loop: Header=BB267_403 Depth=1
	s_or_b64 exec, exec, s[14:15]
	v_lshrrev_b32_e32 v12, 16, v25
	v_cmp_ne_u16_sdwa s[2:3], v12, v13 src0_sel:BYTE_0 src1_sel:DWORD
	s_and_saveexec_b64 s[14:15], s[2:3]
	s_cbranch_execz .LBB267_745
; %bb.740:                              ;   in Loop: Header=BB267_403 Depth=1
	v_cmp_ne_u16_sdwa s[2:3], v12, s31 src0_sel:BYTE_0 src1_sel:DWORD
	v_mov_b32_e32 v28, 0x8000
	s_and_saveexec_b64 s[22:23], s[2:3]
	s_cbranch_execz .LBB267_744
; %bb.741:                              ;   in Loop: Header=BB267_403 Depth=1
	v_bfe_u32 v31, v25, 16, 7
	v_cmp_ne_u32_e64 s[2:3], s34, v31
	v_mov_b32_e32 v28, 0x7c01
	s_and_saveexec_b64 s[24:25], s[2:3]
	s_cbranch_execz .LBB267_743
; %bb.742:                              ;   in Loop: Header=BB267_403 Depth=1
	v_and_b32_e32 v28, 7, v12
	v_ffbh_u32_e32 v56, v28
	v_min_u32_e32 v59, 32, v56
	v_subrev_u32_e32 v56, 28, v59
	v_lshlrev_b64 v[56:57], v56, v[12:13]
	v_lshrrev_b32_e32 v58, 3, v31
	v_sub_u32_e32 v57, 29, v59
	v_cmp_gt_u32_e64 s[2:3], 8, v31
	v_lshlrev_b32_e32 v12, 8, v12
	v_and_b32_e32 v56, 7, v56
	v_cndmask_b32_e64 v31, v58, v57, s[2:3]
	v_lshl_add_u32 v31, v31, 10, v41
	v_and_b32_e32 v31, 0xfc00, v31
	v_cndmask_b32_e64 v28, v28, v56, s[2:3]
	v_and_or_b32 v12, v12, s35, v31
	v_lshl_or_b32 v28, v28, 7, v12
.LBB267_743:                            ;   in Loop: Header=BB267_403 Depth=1
	s_or_b64 exec, exec, s[24:25]
.LBB267_744:                            ;   in Loop: Header=BB267_403 Depth=1
	s_or_b64 exec, exec, s[22:23]
.LBB267_745:                            ;   in Loop: Header=BB267_403 Depth=1
	s_or_b64 exec, exec, s[14:15]
	v_cmp_lt_u64_e64 s[2:3], s[8:9], v[24:25]
	v_mov_b32_e32 v24, 0
	s_and_saveexec_b64 s[14:15], s[2:3]
	s_cbranch_execz .LBB267_751
; %bb.746:                              ;   in Loop: Header=BB267_403 Depth=1
	v_lshrrev_b32_e32 v12, 24, v25
	v_cmp_ne_u32_e64 s[2:3], s31, v12
	v_bfrev_b32_e32 v24, 1
	s_and_saveexec_b64 s[22:23], s[2:3]
	s_cbranch_execz .LBB267_750
; %bb.747:                              ;   in Loop: Header=BB267_403 Depth=1
	v_and_b32_e32 v25, 0x7f, v12
	v_cmp_ne_u32_e64 s[2:3], s34, v25
	v_mov_b32_e32 v24, 0x7c010000
	s_and_saveexec_b64 s[24:25], s[2:3]
	s_cbranch_execz .LBB267_749
; %bb.748:                              ;   in Loop: Header=BB267_403 Depth=1
	v_and_b32_e32 v24, 7, v12
	v_ffbh_u32_e32 v56, v24
	v_min_u32_e32 v58, 32, v56
	v_subrev_u32_e32 v56, 28, v58
	v_lshlrev_b64 v[56:57], v56, v[12:13]
	v_lshrrev_b32_e32 v31, 3, v25
	v_sub_u32_e32 v57, 29, v58
	v_cmp_gt_u32_e64 s[2:3], 8, v25
	v_lshlrev_b32_e32 v12, 8, v12
	s_nop 0
	v_cndmask_b32_e64 v25, v31, v57, s[2:3]
	v_lshl_add_u32 v25, v25, 10, v41
	v_and_b32_e32 v31, 7, v56
	v_and_or_b32 v12, v12, s35, v25
	v_cndmask_b32_e64 v24, v24, v31, s[2:3]
	v_lshlrev_b32_e32 v12, 16, v12
	v_lshl_or_b32 v24, v24, 23, v12
.LBB267_749:                            ;   in Loop: Header=BB267_403 Depth=1
	s_or_b64 exec, exec, s[24:25]
.LBB267_750:                            ;   in Loop: Header=BB267_403 Depth=1
	s_or_b64 exec, exec, s[22:23]
.LBB267_751:                            ;   in Loop: Header=BB267_403 Depth=1
	s_or_b64 exec, exec, s[14:15]
	v_cvt_f32_f16_sdwa v57, v1 dst_sel:DWORD dst_unused:UNUSED_PAD src0_sel:WORD_1
	v_cvt_f32_f16_sdwa v56, v27 dst_sel:DWORD dst_unused:UNUSED_PAD src0_sel:WORD_1
	v_or_b32_e32 v1, v1, v23
	v_or_b32_e32 v12, v27, v26
	;; [unrolled: 1-line block ×3, first 2 shown]
	s_waitcnt vmcnt(0)
	v_pk_mul_f32 v[26:27], v[22:23], v[56:57] op_sel_hi:[0,1]
	v_cvt_f32_f16_e32 v56, v12
	v_cvt_f32_f16_e32 v57, v1
	v_cvt_pk_f16_f32 v1, v26, v27
	v_and_b32_e32 v23, 0xffff0000, v1
	v_lshlrev_b32_e32 v12, 16, v1
	v_pk_mul_f32 v[26:27], v[22:23], v[56:57] op_sel_hi:[0,1]
	v_cvt_pk_f16_f32 v1, v26, v27
	v_or_b32_e32 v27, v30, v29
	v_cvt_f32_f16_e32 v28, v28
	v_cvt_f32_f16_e32 v29, v27
	v_cvt_f32_f16_sdwa v31, v30 dst_sel:DWORD dst_unused:UNUSED_PAD src0_sel:WORD_1
	v_cvt_f32_f16_sdwa v30, v24 dst_sel:DWORD dst_unused:UNUSED_PAD src0_sel:WORD_1
	v_lshrrev_b32_e32 v25, 16, v1
	v_pk_mul_f32 v[28:29], v[22:23], v[28:29] op_sel_hi:[0,1]
	v_cvt_pk_f16_f32 v56, v28, v29
	v_pk_mul_f32 v[28:29], v[22:23], v[30:31] op_sel_hi:[0,1]
	v_cvt_pk_f16_f32 v22, v28, v29
	v_and_b32_e32 v26, 0xffff, v1
	v_and_b32_e32 v27, 0xffff0000, v22
	v_lshlrev_b32_e32 v22, 16, v22
	v_lshrrev_b32_e32 v29, 16, v56
	v_and_b32_e32 v28, 0xffff, v56
	v_or_b32_e32 v1, v23, v25
	v_or_b32_e32 v24, v12, v26
	;; [unrolled: 1-line block ×4, first 2 shown]
	s_and_saveexec_b64 s[14:15], s[0:1]
	s_cbranch_execz .LBB267_753
; %bb.752:                              ;   in Loop: Header=BB267_403 Depth=1
	v_add_u32_e32 v30, 2, v39
	v_cmp_gt_i32_e64 s[2:3], s30, v39
	v_or_b32_e32 v1, 1, v39
	v_or_b32_e32 v24, 3, v39
	v_cndmask_b32_e64 v25, 0, v25, s[2:3]
	v_cmp_gt_i32_e64 s[2:3], s33, v30
	s_nop 1
	v_cndmask_b32_e64 v26, 0, v26, s[2:3]
	v_cmp_gt_i32_e64 s[2:3], s30, v1
	s_nop 1
	v_cndmask_b32_e64 v1, 0, v23, s[2:3]
	v_cmp_gt_i32_e64 s[2:3], s33, v24
	v_or_b32_e32 v23, 6, v39
	v_or_b32_e32 v1, v1, v25
	v_cndmask_b32_e64 v12, 0, v12, s[2:3]
	v_or_b32_e32 v24, v12, v26
	v_or_b32_e32 v12, 4, v39
	v_cmp_gt_i32_e64 s[2:3], s30, v12
	v_or_b32_e32 v25, 5, v39
	v_or_b32_e32 v26, 7, v39
	v_cndmask_b32_e64 v12, 0, v29, s[2:3]
	v_cmp_gt_i32_e64 s[2:3], s33, v23
	s_nop 1
	v_cndmask_b32_e64 v23, 0, v28, s[2:3]
	v_cmp_gt_i32_e64 s[2:3], s30, v25
	s_nop 1
	v_cndmask_b32_e64 v25, 0, v27, s[2:3]
	v_cmp_gt_i32_e64 s[2:3], s33, v26
	v_or_b32_e32 v31, v25, v12
	s_nop 0
	v_cndmask_b32_e64 v22, 0, v22, s[2:3]
	v_or_b32_e32 v30, v22, v23
.LBB267_753:                            ;   in Loop: Header=BB267_403 Depth=1
	s_or_b64 exec, exec, s[14:15]
	;;#ASMSTART
	v_pk_mul_f16 v1, v47, v1;

	;;#ASMEND
	;;#ASMSTART
	v_pk_mul_f16 v12, v46, v24;

	;;#ASMEND
	;;#ASMSTART
	v_pk_mul_f16 v22, v45, v31;

	;;#ASMEND
	;;#ASMSTART
	v_pk_mul_f16 v23, v44, v30;

	;;#ASMEND
	s_nop 0
	;;#ASMSTART
	v_pk_add_f16 v1, v1, v12;

	;;#ASMEND
	s_nop 0
	;;#ASMSTART
	v_pk_add_f16 v1, v1, v22;

	;;#ASMEND
	;; [unrolled: 5-line block ×3, first 2 shown]
	s_nop 0
	v_lshrrev_b32_e32 v12, 16, v1
	v_and_b32_e32 v1, 0xffff, v1
	;;#ASMSTART
	v_cvt_f32_f16 v30, v1;
	;;#ASMEND
	;;#ASMSTART
	v_cvt_f32_f16 v31, v12;
	;;#ASMEND
	s_and_saveexec_b64 s[14:15], vcc
	s_cbranch_execz .LBB267_402
; %bb.754:                              ;   in Loop: Header=BB267_403 Depth=1
	v_lshl_add_u64 v[20:21], v[20:21], 0, v[14:15]
	global_load_dwordx2 v[22:23], v[20:21], off
	v_mov_b32_e32 v1, 0
	global_load_dword v20, v1, s[10:11]
	v_mov_b32_e32 v21, 0
	s_waitcnt vmcnt(1)
	v_cmp_ne_u16_sdwa s[2:3], v22, v13 src0_sel:BYTE_0 src1_sel:DWORD
	s_and_saveexec_b64 s[22:23], s[2:3]
	s_cbranch_execz .LBB267_760
; %bb.755:                              ;   in Loop: Header=BB267_403 Depth=1
	v_cmp_ne_u16_sdwa s[2:3], v22, s31 src0_sel:BYTE_0 src1_sel:DWORD
	v_mov_b32_e32 v21, 0x8000
	s_and_saveexec_b64 s[24:25], s[2:3]
	s_cbranch_execz .LBB267_759
; %bb.756:                              ;   in Loop: Header=BB267_403 Depth=1
	v_and_b32_e32 v12, 0x7f, v22
	v_cmp_ne_u32_e64 s[2:3], s34, v12
	v_mov_b32_e32 v21, 0x7c01
	s_and_saveexec_b64 s[26:27], s[2:3]
	s_cbranch_execz .LBB267_758
; %bb.757:                              ;   in Loop: Header=BB267_403 Depth=1
	v_and_b32_e32 v21, 7, v22
	v_ffbh_u32_e32 v24, v21
	v_min_u32_e32 v27, 32, v24
	v_subrev_u32_e32 v24, 28, v27
	v_lshlrev_b64 v[24:25], v24, v[22:23]
	v_lshrrev_b32_e32 v26, 3, v12
	v_sub_u32_e32 v25, 29, v27
	v_cmp_gt_u32_e64 s[2:3], 8, v12
	v_and_b32_e32 v24, 7, v24
	s_nop 0
	v_cndmask_b32_e64 v12, v26, v25, s[2:3]
	v_lshl_add_u32 v12, v12, 10, v41
	v_lshlrev_b32_e32 v25, 8, v22
	v_and_b32_e32 v12, 0xfc00, v12
	v_cndmask_b32_e64 v21, v21, v24, s[2:3]
	v_and_or_b32 v12, v25, s35, v12
	v_lshl_or_b32 v21, v21, 7, v12
.LBB267_758:                            ;   in Loop: Header=BB267_403 Depth=1
	s_or_b64 exec, exec, s[26:27]
.LBB267_759:                            ;   in Loop: Header=BB267_403 Depth=1
	s_or_b64 exec, exec, s[24:25]
.LBB267_760:                            ;   in Loop: Header=BB267_403 Depth=1
	s_or_b64 exec, exec, s[22:23]
	v_lshrrev_b16_e32 v12, 8, v22
	v_cmp_ne_u16_e64 s[2:3], 0, v12
	s_and_saveexec_b64 s[22:23], s[2:3]
	s_cbranch_execz .LBB267_766
; %bb.761:                              ;   in Loop: Header=BB267_403 Depth=1
	v_cmp_ne_u16_e64 s[2:3], s31, v12
	v_bfrev_b32_e32 v1, 1
	s_and_saveexec_b64 s[24:25], s[2:3]
	s_cbranch_execz .LBB267_765
; %bb.762:                              ;   in Loop: Header=BB267_403 Depth=1
	v_and_b32_e32 v24, 0x7f, v12
	v_cmp_ne_u32_e64 s[2:3], s34, v24
	v_mov_b32_e32 v1, 0x7c010000
	s_and_saveexec_b64 s[26:27], s[2:3]
	s_cbranch_execz .LBB267_764
; %bb.763:                              ;   in Loop: Header=BB267_403 Depth=1
	v_and_b32_e32 v1, 7, v12
	v_ffbh_u32_e32 v26, v1
	v_min_u32_e32 v28, 32, v26
	v_subrev_u32_e32 v26, 28, v28
	v_lshlrev_b64 v[26:27], v26, v[12:13]
	v_lshrrev_b32_e32 v25, 3, v24
	v_sub_u32_e32 v27, 29, v28
	v_cmp_gt_u32_e64 s[2:3], 8, v24
	v_lshlrev_b32_e32 v12, 8, v12
	s_nop 0
	v_cndmask_b32_e64 v24, v25, v27, s[2:3]
	v_lshl_add_u32 v24, v24, 10, v41
	v_and_b32_e32 v25, 7, v26
	v_and_or_b32 v12, v12, s35, v24
	v_cndmask_b32_e64 v1, v1, v25, s[2:3]
	v_lshlrev_b32_e32 v12, 16, v12
	v_lshl_or_b32 v1, v1, 23, v12
.LBB267_764:                            ;   in Loop: Header=BB267_403 Depth=1
	s_or_b64 exec, exec, s[26:27]
.LBB267_765:                            ;   in Loop: Header=BB267_403 Depth=1
	s_or_b64 exec, exec, s[24:25]
.LBB267_766:                            ;   in Loop: Header=BB267_403 Depth=1
	s_or_b64 exec, exec, s[22:23]
	v_lshrrev_b32_e32 v12, 16, v22
	v_cmp_ne_u16_sdwa s[2:3], v12, v13 src0_sel:BYTE_0 src1_sel:DWORD
	v_mov_b32_e32 v25, 0
	v_mov_b32_e32 v24, 0
	s_and_saveexec_b64 s[22:23], s[2:3]
	s_cbranch_execz .LBB267_772
; %bb.767:                              ;   in Loop: Header=BB267_403 Depth=1
	v_cmp_ne_u16_sdwa s[2:3], v12, s31 src0_sel:BYTE_0 src1_sel:DWORD
	v_mov_b32_e32 v24, 0x8000
	s_and_saveexec_b64 s[24:25], s[2:3]
	s_cbranch_execz .LBB267_771
; %bb.768:                              ;   in Loop: Header=BB267_403 Depth=1
	v_bfe_u32 v26, v22, 16, 7
	v_cmp_ne_u32_e64 s[2:3], s34, v26
	v_mov_b32_e32 v24, 0x7c01
	s_and_saveexec_b64 s[26:27], s[2:3]
	s_cbranch_execz .LBB267_770
; %bb.769:                              ;   in Loop: Header=BB267_403 Depth=1
	v_and_b32_e32 v24, 7, v12
	v_ffbh_u32_e32 v28, v24
	v_min_u32_e32 v56, 32, v28
	v_subrev_u32_e32 v28, 28, v56
	v_lshlrev_b64 v[28:29], v28, v[12:13]
	v_lshrrev_b32_e32 v27, 3, v26
	v_sub_u32_e32 v29, 29, v56
	v_cmp_gt_u32_e64 s[2:3], 8, v26
	v_lshlrev_b32_e32 v12, 8, v12
	s_nop 0
	v_cndmask_b32_e64 v26, v27, v29, s[2:3]
	v_lshl_add_u32 v26, v26, 10, v41
	v_and_b32_e32 v27, 7, v28
	v_and_b32_e32 v26, 0xfc00, v26
	v_cndmask_b32_e64 v24, v24, v27, s[2:3]
	v_and_or_b32 v12, v12, s35, v26
	v_lshl_or_b32 v24, v24, 7, v12
.LBB267_770:                            ;   in Loop: Header=BB267_403 Depth=1
	s_or_b64 exec, exec, s[26:27]
.LBB267_771:                            ;   in Loop: Header=BB267_403 Depth=1
	s_or_b64 exec, exec, s[24:25]
.LBB267_772:                            ;   in Loop: Header=BB267_403 Depth=1
	s_or_b64 exec, exec, s[22:23]
	v_cmp_lt_u32_e64 s[2:3], s9, v22
	s_and_saveexec_b64 s[22:23], s[2:3]
	s_cbranch_execz .LBB267_778
; %bb.773:                              ;   in Loop: Header=BB267_403 Depth=1
	v_lshrrev_b32_e32 v12, 24, v22
	v_cmp_ne_u32_e64 s[2:3], s31, v12
	v_bfrev_b32_e32 v25, 1
	s_and_saveexec_b64 s[24:25], s[2:3]
	s_cbranch_execz .LBB267_777
; %bb.774:                              ;   in Loop: Header=BB267_403 Depth=1
	v_and_b32_e32 v26, 0x7f, v12
	v_cmp_ne_u32_e64 s[2:3], s34, v26
	v_mov_b32_e32 v25, 0x7c010000
	s_and_saveexec_b64 s[26:27], s[2:3]
	s_cbranch_execz .LBB267_776
; %bb.775:                              ;   in Loop: Header=BB267_403 Depth=1
	v_and_b32_e32 v25, 7, v12
	v_ffbh_u32_e32 v28, v25
	v_min_u32_e32 v56, 32, v28
	v_subrev_u32_e32 v28, 28, v56
	v_lshlrev_b64 v[28:29], v28, v[12:13]
	v_lshrrev_b32_e32 v27, 3, v26
	v_sub_u32_e32 v29, 29, v56
	v_cmp_gt_u32_e64 s[2:3], 8, v26
	v_lshlrev_b32_e32 v12, 8, v12
	s_nop 0
	v_cndmask_b32_e64 v26, v27, v29, s[2:3]
	v_lshl_add_u32 v26, v26, 10, v41
	v_and_b32_e32 v27, 7, v28
	v_and_or_b32 v12, v12, s35, v26
	v_cndmask_b32_e64 v25, v25, v27, s[2:3]
	v_lshlrev_b32_e32 v12, 16, v12
	v_lshl_or_b32 v25, v25, 23, v12
.LBB267_776:                            ;   in Loop: Header=BB267_403 Depth=1
	s_or_b64 exec, exec, s[26:27]
.LBB267_777:                            ;   in Loop: Header=BB267_403 Depth=1
	s_or_b64 exec, exec, s[24:25]
.LBB267_778:                            ;   in Loop: Header=BB267_403 Depth=1
	s_or_b64 exec, exec, s[22:23]
	v_mov_b32_e32 v12, v23
	v_cmp_ne_u16_sdwa s[2:3], v23, v13 src0_sel:BYTE_0 src1_sel:DWORD
	v_mov_b32_e32 v26, 0
	v_mov_b32_e32 v27, 0
	s_and_saveexec_b64 s[22:23], s[2:3]
	s_cbranch_execz .LBB267_784
; %bb.779:                              ;   in Loop: Header=BB267_403 Depth=1
	v_cmp_ne_u16_sdwa s[2:3], v23, s31 src0_sel:BYTE_0 src1_sel:DWORD
	v_mov_b32_e32 v27, 0x8000
	s_and_saveexec_b64 s[24:25], s[2:3]
	s_cbranch_execz .LBB267_783
; %bb.780:                              ;   in Loop: Header=BB267_403 Depth=1
	v_and_b32_e32 v28, 0x7f, v23
	v_cmp_ne_u32_e64 s[2:3], s34, v28
	v_mov_b32_e32 v27, 0x7c01
	s_and_saveexec_b64 s[26:27], s[2:3]
	s_cbranch_execz .LBB267_782
; %bb.781:                              ;   in Loop: Header=BB267_403 Depth=1
	v_and_b32_e32 v27, 7, v23
	v_ffbh_u32_e32 v56, v27
	v_min_u32_e32 v58, 32, v56
	v_subrev_u32_e32 v56, 28, v58
	v_lshlrev_b64 v[56:57], v56, v[12:13]
	v_lshrrev_b32_e32 v29, 3, v28
	v_sub_u32_e32 v57, 29, v58
	v_cmp_gt_u32_e64 s[2:3], 8, v28
	v_and_b32_e32 v56, 7, v56
	s_nop 0
	v_cndmask_b32_e64 v28, v29, v57, s[2:3]
	v_lshl_add_u32 v28, v28, 10, v41
	v_lshlrev_b32_e32 v29, 8, v23
	v_and_b32_e32 v28, 0xfc00, v28
	v_cndmask_b32_e64 v27, v27, v56, s[2:3]
	v_and_or_b32 v28, v29, s35, v28
	v_lshl_or_b32 v27, v27, 7, v28
.LBB267_782:                            ;   in Loop: Header=BB267_403 Depth=1
	s_or_b64 exec, exec, s[26:27]
.LBB267_783:                            ;   in Loop: Header=BB267_403 Depth=1
	s_or_b64 exec, exec, s[24:25]
.LBB267_784:                            ;   in Loop: Header=BB267_403 Depth=1
	s_or_b64 exec, exec, s[22:23]
	v_lshrrev_b16_e32 v12, 8, v12
	v_cmp_ne_u16_e64 s[2:3], 0, v12
	v_mov_b32_e32 v28, 0
	s_and_saveexec_b64 s[22:23], s[2:3]
	s_cbranch_execz .LBB267_790
; %bb.785:                              ;   in Loop: Header=BB267_403 Depth=1
	v_cmp_ne_u16_e64 s[2:3], s31, v12
	v_bfrev_b32_e32 v28, 1
	s_and_saveexec_b64 s[24:25], s[2:3]
	s_cbranch_execz .LBB267_789
; %bb.786:                              ;   in Loop: Header=BB267_403 Depth=1
	v_and_b32_e32 v29, 0x7f, v12
	v_cmp_ne_u32_e64 s[2:3], s34, v29
	v_mov_b32_e32 v28, 0x7c010000
	s_and_saveexec_b64 s[26:27], s[2:3]
	s_cbranch_execz .LBB267_788
; %bb.787:                              ;   in Loop: Header=BB267_403 Depth=1
	v_and_b32_e32 v28, 7, v12
	v_ffbh_u32_e32 v56, v28
	v_min_u32_e32 v59, 32, v56
	v_subrev_u32_e32 v56, 28, v59
	v_lshlrev_b64 v[56:57], v56, v[12:13]
	v_lshrrev_b32_e32 v58, 3, v29
	v_sub_u32_e32 v57, 29, v59
	v_cmp_gt_u32_e64 s[2:3], 8, v29
	v_lshlrev_b32_e32 v12, 8, v12
	v_and_b32_e32 v56, 7, v56
	v_cndmask_b32_e64 v29, v58, v57, s[2:3]
	v_lshl_add_u32 v29, v29, 10, v41
	v_and_or_b32 v12, v12, s35, v29
	v_cndmask_b32_e64 v28, v28, v56, s[2:3]
	v_lshlrev_b32_e32 v12, 16, v12
	v_lshl_or_b32 v28, v28, 23, v12
.LBB267_788:                            ;   in Loop: Header=BB267_403 Depth=1
	s_or_b64 exec, exec, s[26:27]
.LBB267_789:                            ;   in Loop: Header=BB267_403 Depth=1
	s_or_b64 exec, exec, s[24:25]
.LBB267_790:                            ;   in Loop: Header=BB267_403 Depth=1
	s_or_b64 exec, exec, s[22:23]
	v_lshrrev_b32_e32 v12, 16, v23
	v_cmp_ne_u16_sdwa s[2:3], v12, v13 src0_sel:BYTE_0 src1_sel:DWORD
	s_and_saveexec_b64 s[22:23], s[2:3]
	s_cbranch_execz .LBB267_796
; %bb.791:                              ;   in Loop: Header=BB267_403 Depth=1
	v_cmp_ne_u16_sdwa s[2:3], v12, s31 src0_sel:BYTE_0 src1_sel:DWORD
	v_mov_b32_e32 v26, 0x8000
	s_and_saveexec_b64 s[24:25], s[2:3]
	s_cbranch_execz .LBB267_795
; %bb.792:                              ;   in Loop: Header=BB267_403 Depth=1
	v_bfe_u32 v29, v23, 16, 7
	v_cmp_ne_u32_e64 s[2:3], s34, v29
	v_mov_b32_e32 v26, 0x7c01
	s_and_saveexec_b64 s[26:27], s[2:3]
	s_cbranch_execz .LBB267_794
; %bb.793:                              ;   in Loop: Header=BB267_403 Depth=1
	v_and_b32_e32 v26, 7, v12
	v_ffbh_u32_e32 v56, v26
	v_min_u32_e32 v59, 32, v56
	v_subrev_u32_e32 v56, 28, v59
	v_lshlrev_b64 v[56:57], v56, v[12:13]
	v_lshrrev_b32_e32 v58, 3, v29
	v_sub_u32_e32 v57, 29, v59
	v_cmp_gt_u32_e64 s[2:3], 8, v29
	v_lshlrev_b32_e32 v12, 8, v12
	v_and_b32_e32 v56, 7, v56
	v_cndmask_b32_e64 v29, v58, v57, s[2:3]
	v_lshl_add_u32 v29, v29, 10, v41
	v_and_b32_e32 v29, 0xfc00, v29
	v_cndmask_b32_e64 v26, v26, v56, s[2:3]
	v_and_or_b32 v12, v12, s35, v29
	v_lshl_or_b32 v26, v26, 7, v12
.LBB267_794:                            ;   in Loop: Header=BB267_403 Depth=1
	s_or_b64 exec, exec, s[26:27]
.LBB267_795:                            ;   in Loop: Header=BB267_403 Depth=1
	s_or_b64 exec, exec, s[24:25]
.LBB267_796:                            ;   in Loop: Header=BB267_403 Depth=1
	s_or_b64 exec, exec, s[22:23]
	v_cmp_lt_u64_e64 s[2:3], s[8:9], v[22:23]
	v_mov_b32_e32 v22, 0
	s_and_saveexec_b64 s[22:23], s[2:3]
	s_cbranch_execz .LBB267_802
; %bb.797:                              ;   in Loop: Header=BB267_403 Depth=1
	v_lshrrev_b32_e32 v12, 24, v23
	v_cmp_ne_u32_e64 s[2:3], s31, v12
	v_bfrev_b32_e32 v22, 1
	s_and_saveexec_b64 s[24:25], s[2:3]
	s_cbranch_execz .LBB267_801
; %bb.798:                              ;   in Loop: Header=BB267_403 Depth=1
	v_and_b32_e32 v23, 0x7f, v12
	v_cmp_ne_u32_e64 s[2:3], s34, v23
	v_mov_b32_e32 v22, 0x7c010000
	s_and_saveexec_b64 s[26:27], s[2:3]
	s_cbranch_execz .LBB267_800
; %bb.799:                              ;   in Loop: Header=BB267_403 Depth=1
	v_and_b32_e32 v22, 7, v12
	v_ffbh_u32_e32 v56, v22
	v_min_u32_e32 v58, 32, v56
	v_subrev_u32_e32 v56, 28, v58
	v_lshlrev_b64 v[56:57], v56, v[12:13]
	v_lshrrev_b32_e32 v29, 3, v23
	v_sub_u32_e32 v57, 29, v58
	v_cmp_gt_u32_e64 s[2:3], 8, v23
	v_lshlrev_b32_e32 v12, 8, v12
	s_nop 0
	v_cndmask_b32_e64 v23, v29, v57, s[2:3]
	v_lshl_add_u32 v23, v23, 10, v41
	v_and_b32_e32 v29, 7, v56
	v_and_or_b32 v12, v12, s35, v23
	v_cndmask_b32_e64 v22, v22, v29, s[2:3]
	v_lshlrev_b32_e32 v12, 16, v12
	v_lshl_or_b32 v22, v22, 23, v12
.LBB267_800:                            ;   in Loop: Header=BB267_403 Depth=1
	s_or_b64 exec, exec, s[26:27]
.LBB267_801:                            ;   in Loop: Header=BB267_403 Depth=1
	s_or_b64 exec, exec, s[24:25]
.LBB267_802:                            ;   in Loop: Header=BB267_403 Depth=1
	s_or_b64 exec, exec, s[22:23]
	v_cvt_f32_f16_sdwa v57, v1 dst_sel:DWORD dst_unused:UNUSED_PAD src0_sel:WORD_1
	v_cvt_f32_f16_sdwa v56, v25 dst_sel:DWORD dst_unused:UNUSED_PAD src0_sel:WORD_1
	v_or_b32_e32 v1, v1, v21
	v_or_b32_e32 v12, v25, v24
	;; [unrolled: 1-line block ×3, first 2 shown]
	s_waitcnt vmcnt(0)
	v_pk_mul_f32 v[24:25], v[20:21], v[56:57] op_sel_hi:[0,1]
	v_cvt_f32_f16_e32 v56, v12
	v_cvt_f32_f16_e32 v57, v1
	v_cvt_pk_f16_f32 v1, v24, v25
	v_and_b32_e32 v21, 0xffff0000, v1
	v_lshlrev_b32_e32 v12, 16, v1
	v_pk_mul_f32 v[24:25], v[20:21], v[56:57] op_sel_hi:[0,1]
	v_cvt_pk_f16_f32 v1, v24, v25
	v_or_b32_e32 v25, v28, v27
	v_cvt_f32_f16_e32 v26, v26
	v_cvt_f32_f16_e32 v27, v25
	v_cvt_f32_f16_sdwa v29, v28 dst_sel:DWORD dst_unused:UNUSED_PAD src0_sel:WORD_1
	v_cvt_f32_f16_sdwa v28, v22 dst_sel:DWORD dst_unused:UNUSED_PAD src0_sel:WORD_1
	v_lshrrev_b32_e32 v23, 16, v1
	v_pk_mul_f32 v[26:27], v[20:21], v[26:27] op_sel_hi:[0,1]
	v_cvt_pk_f16_f32 v56, v26, v27
	v_pk_mul_f32 v[26:27], v[20:21], v[28:29] op_sel_hi:[0,1]
	v_cvt_pk_f16_f32 v20, v26, v27
	v_and_b32_e32 v24, 0xffff, v1
	v_and_b32_e32 v25, 0xffff0000, v20
	v_lshlrev_b32_e32 v20, 16, v20
	v_lshrrev_b32_e32 v27, 16, v56
	v_and_b32_e32 v26, 0xffff, v56
	v_or_b32_e32 v1, v21, v23
	v_or_b32_e32 v22, v12, v24
	;; [unrolled: 1-line block ×4, first 2 shown]
	s_and_saveexec_b64 s[2:3], s[0:1]
	s_cbranch_execz .LBB267_401
; %bb.803:                              ;   in Loop: Header=BB267_403 Depth=1
	v_add_u32_e32 v28, 2, v39
	v_cmp_gt_i32_e64 s[0:1], s30, v39
	v_or_b32_e32 v1, 1, v39
	v_or_b32_e32 v22, 3, v39
	v_cndmask_b32_e64 v23, 0, v23, s[0:1]
	v_cmp_gt_i32_e64 s[0:1], s33, v28
	s_nop 1
	v_cndmask_b32_e64 v24, 0, v24, s[0:1]
	v_cmp_gt_i32_e64 s[0:1], s30, v1
	s_nop 1
	v_cndmask_b32_e64 v1, 0, v21, s[0:1]
	v_cmp_gt_i32_e64 s[0:1], s33, v22
	v_or_b32_e32 v21, 6, v39
	v_or_b32_e32 v1, v1, v23
	v_cndmask_b32_e64 v12, 0, v12, s[0:1]
	v_or_b32_e32 v22, v12, v24
	v_or_b32_e32 v12, 4, v39
	v_cmp_gt_i32_e64 s[0:1], s30, v12
	v_or_b32_e32 v23, 5, v39
	v_or_b32_e32 v24, 7, v39
	v_cndmask_b32_e64 v12, 0, v27, s[0:1]
	v_cmp_gt_i32_e64 s[0:1], s33, v21
	s_nop 1
	v_cndmask_b32_e64 v21, 0, v26, s[0:1]
	v_cmp_gt_i32_e64 s[0:1], s30, v23
	s_nop 1
	v_cndmask_b32_e64 v23, 0, v25, s[0:1]
	v_cmp_gt_i32_e64 s[0:1], s33, v24
	v_or_b32_e32 v29, v23, v12
	s_nop 0
	v_cndmask_b32_e64 v20, 0, v20, s[0:1]
	v_or_b32_e32 v28, v20, v21
	s_branch .LBB267_401
.LBB267_804:
	s_or_b64 exec, exec, s[12:13]
.LBB267_805:
	s_or_b64 exec, exec, s[6:7]
	ds_bpermute_b32 v12, v35, v6
	ds_bpermute_b32 v13, v35, v7
	;; [unrolled: 1-line block ×6, first 2 shown]
	s_waitcnt lgkmcnt(4)
	v_pk_add_f32 v[6:7], v[6:7], v[12:13]
	ds_bpermute_b32 v12, v35, v4
	ds_bpermute_b32 v13, v35, v5
	s_waitcnt lgkmcnt(4)
	v_pk_add_f32 v[8:9], v[8:9], v[10:11]
	s_waitcnt lgkmcnt(2)
	v_pk_add_f32 v[2:3], v[2:3], v[16:17]
	ds_bpermute_b32 v10, v36, v8
	ds_bpermute_b32 v11, v36, v9
	s_waitcnt lgkmcnt(2)
	v_pk_add_f32 v[4:5], v[4:5], v[12:13]
	ds_bpermute_b32 v14, v36, v6
	ds_bpermute_b32 v15, v36, v7
	;; [unrolled: 1-line block ×6, first 2 shown]
	v_and_b32_e32 v1, 0x3c0, v0
	s_waitcnt lgkmcnt(6)
	v_pk_add_f32 v[8:9], v[8:9], v[10:11]
	s_waitcnt lgkmcnt(4)
	v_pk_add_f32 v[6:7], v[6:7], v[14:15]
	;; [unrolled: 2-line block ×4, first 2 shown]
	v_cmp_eq_u32_e64 s[0:1], 64, v1
	v_cmp_eq_u32_e32 vcc, 0, v38
	s_barrier
	s_and_saveexec_b64 s[2:3], s[0:1]
	s_cbranch_execz .LBB267_810
; %bb.806:
	s_and_saveexec_b64 s[0:1], vcc
	s_cbranch_execz .LBB267_808
; %bb.807:
	v_mov_b32_e32 v1, 0x100
	v_lshl_add_u32 v1, v37, 2, v1
	ds_write2_b32 v1, v8, v9 offset1:16
	ds_write2_b32 v1, v6, v7 offset0:32 offset1:48
	ds_write2_b32 v1, v4, v5 offset0:64 offset1:80
	ds_write_b32 v1, v2 offset:384
.LBB267_808:
	s_or_b64 exec, exec, s[0:1]
	v_or_b32_e32 v1, 0x70, v37
	s_movk_i32 s0, 0x78
	v_cmp_gt_u32_e64 s[0:1], s0, v1
	s_and_b64 s[0:1], vcc, s[0:1]
	s_and_b64 exec, exec, s[0:1]
; %bb.809:
	v_mov_b32_e32 v1, 0x100
	v_lshl_add_u32 v1, v37, 2, v1
	ds_write_b32 v1, v3 offset:448
.LBB267_810:
	s_or_b64 exec, exec, s[2:3]
	v_cmp_gt_u32_e64 s[0:1], 64, v0
	v_lshrrev_b32_e32 v0, 2, v0
	s_waitcnt lgkmcnt(0)
	s_barrier
	s_and_saveexec_b64 s[6:7], s[0:1]
	s_cbranch_execz .LBB267_828
; %bb.811:
	s_and_saveexec_b64 s[2:3], vcc
	s_cbranch_execz .LBB267_813
; %bb.812:
	v_mov_b32_e32 v1, 0x100
	v_lshl_add_u32 v1, v0, 2, v1
	ds_read_b32 v1, v1
	s_waitcnt lgkmcnt(0)
	v_add_f32_e32 v8, v8, v1
.LBB267_813:
	s_or_b64 exec, exec, s[2:3]
	v_or_b32_e32 v1, 16, v0
	s_movk_i32 s8, 0x78
	v_cmp_gt_u32_e64 s[2:3], s8, v1
	s_and_b64 s[10:11], vcc, s[2:3]
	s_and_saveexec_b64 s[2:3], s[10:11]
	s_cbranch_execz .LBB267_815
; %bb.814:
	v_mov_b32_e32 v1, 0x100
	v_lshl_add_u32 v1, v0, 2, v1
	ds_read_b32 v1, v1 offset:64
	s_waitcnt lgkmcnt(0)
	v_add_f32_e32 v9, v9, v1
.LBB267_815:
	s_or_b64 exec, exec, s[2:3]
	v_or_b32_e32 v1, 32, v0
	v_cmp_gt_u32_e64 s[2:3], s8, v1
	s_and_b64 s[8:9], vcc, s[2:3]
	s_and_saveexec_b64 s[2:3], s[8:9]
	s_cbranch_execz .LBB267_817
; %bb.816:
	v_mov_b32_e32 v1, 0x100
	v_lshl_add_u32 v1, v0, 2, v1
	ds_read_b32 v1, v1 offset:128
	s_waitcnt lgkmcnt(0)
	v_add_f32_e32 v6, v6, v1
.LBB267_817:
	s_or_b64 exec, exec, s[2:3]
	v_or_b32_e32 v1, 48, v0
	s_movk_i32 s8, 0x78
	v_cmp_gt_u32_e64 s[2:3], s8, v1
	s_and_b64 s[10:11], vcc, s[2:3]
	s_and_saveexec_b64 s[2:3], s[10:11]
	s_cbranch_execz .LBB267_819
; %bb.818:
	v_mov_b32_e32 v1, 0x100
	v_lshl_add_u32 v1, v0, 2, v1
	ds_read_b32 v1, v1 offset:192
	s_waitcnt lgkmcnt(0)
	v_add_f32_e32 v7, v7, v1
.LBB267_819:
	s_or_b64 exec, exec, s[2:3]
	v_or_b32_e32 v1, 64, v0
	v_cmp_gt_u32_e64 s[2:3], s8, v1
	s_and_b64 s[8:9], vcc, s[2:3]
	s_and_saveexec_b64 s[2:3], s[8:9]
	s_cbranch_execz .LBB267_821
; %bb.820:
	v_mov_b32_e32 v1, 0x100
	v_lshl_add_u32 v1, v0, 2, v1
	ds_read_b32 v1, v1 offset:256
	s_waitcnt lgkmcnt(0)
	v_add_f32_e32 v4, v4, v1
.LBB267_821:
	;; [unrolled: 27-line block ×3, first 2 shown]
	s_or_b64 exec, exec, s[2:3]
	v_or_b32_e32 v1, 0x70, v0
	s_movk_i32 s2, 0x78
	v_cmp_gt_u32_e64 s[2:3], s2, v1
	s_and_b64 s[8:9], vcc, s[2:3]
	s_and_saveexec_b64 s[2:3], s[8:9]
	s_cbranch_execz .LBB267_827
; %bb.826:
	v_mov_b32_e32 v1, 0x100
	v_lshl_add_u32 v1, v0, 2, v1
	ds_read_b32 v1, v1 offset:448
	s_waitcnt lgkmcnt(0)
	v_add_f32_e32 v3, v3, v1
.LBB267_827:
	s_or_b64 exec, exec, s[2:3]
.LBB267_828:
	s_or_b64 exec, exec, s[6:7]
	s_barrier
	s_and_saveexec_b64 s[2:3], s[0:1]
	s_cbranch_execz .LBB267_845
; %bb.829:
	s_mul_i32 s0, s16, s17
	s_mul_i32 s0, s0, s5
	s_mulk_i32 s0, 0x78
	s_ashr_i32 s1, s0, 31
	s_lshl_b64 s[0:1], s[0:1], 1
	s_add_u32 s2, s20, s0
	s_mul_i32 s0, s17, s18
	s_addc_u32 s3, s21, s1
	s_ashr_i32 s1, s0, 31
	s_lshl_b64 s[0:1], s[0:1], 1
	s_add_u32 s2, s2, s0
	s_mul_i32 s0, s4, 0x78
	s_addc_u32 s3, s3, s1
	s_ashr_i32 s1, s0, 31
	s_lshl_b64 s[0:1], s[0:1], 1
	s_add_u32 s2, s2, s0
	s_movk_i32 s5, 0x78
	s_addc_u32 s3, s3, s1
	v_lshlrev_b32_e32 v1, 1, v0
	s_and_saveexec_b64 s[0:1], vcc
	s_cbranch_execz .LBB267_831
; %bb.830:
	;;#ASMSTART
	v_cvt_f16_f32 v8, v8;

	;;#ASMEND
	global_store_short v1, v8, s[2:3]
.LBB267_831:
	s_or_b64 exec, exec, s[0:1]
	v_or_b32_e32 v8, 16, v0
	v_cmp_gt_u32_e64 s[0:1], s5, v8
	s_and_b64 s[4:5], vcc, s[0:1]
	s_and_saveexec_b64 s[0:1], s[4:5]
	s_cbranch_execz .LBB267_833
; %bb.832:
	;;#ASMSTART
	v_cvt_f16_f32 v8, v9;

	;;#ASMEND
	global_store_short v1, v8, s[2:3] offset:32
.LBB267_833:
	s_or_b64 exec, exec, s[0:1]
	v_or_b32_e32 v8, 32, v0
	s_movk_i32 s4, 0x78
	v_cmp_gt_u32_e64 s[0:1], s4, v8
	s_and_b64 s[6:7], vcc, s[0:1]
	s_and_saveexec_b64 s[0:1], s[6:7]
	s_cbranch_execz .LBB267_835
; %bb.834:
	;;#ASMSTART
	v_cvt_f16_f32 v6, v6;

	;;#ASMEND
	global_store_short v1, v6, s[2:3] offset:64
.LBB267_835:
	s_or_b64 exec, exec, s[0:1]
	v_or_b32_e32 v6, 48, v0
	v_cmp_gt_u32_e64 s[0:1], s4, v6
	s_and_b64 s[4:5], vcc, s[0:1]
	s_and_saveexec_b64 s[0:1], s[4:5]
	s_cbranch_execz .LBB267_837
; %bb.836:
	;;#ASMSTART
	v_cvt_f16_f32 v6, v7;

	;;#ASMEND
	global_store_short v1, v6, s[2:3] offset:96
.LBB267_837:
	s_or_b64 exec, exec, s[0:1]
	v_or_b32_e32 v6, 64, v0
	s_movk_i32 s4, 0x78
	v_cmp_gt_u32_e64 s[0:1], s4, v6
	s_and_b64 s[6:7], vcc, s[0:1]
	s_and_saveexec_b64 s[0:1], s[6:7]
	s_cbranch_execz .LBB267_839
; %bb.838:
	;;#ASMSTART
	v_cvt_f16_f32 v4, v4;

	;;#ASMEND
	global_store_short v1, v4, s[2:3] offset:128
.LBB267_839:
	;; [unrolled: 27-line block ×3, first 2 shown]
	s_or_b64 exec, exec, s[0:1]
	v_or_b32_e32 v0, 0x70, v0
	v_cmp_gt_u32_e64 s[0:1], s4, v0
	s_and_b64 s[0:1], vcc, s[0:1]
	s_and_b64 exec, exec, s[0:1]
	s_cbranch_execz .LBB267_845
; %bb.844:
	;;#ASMSTART
	v_cvt_f16_f32 v0, v3;

	;;#ASMEND
	global_store_short v1, v0, s[2:3] offset:224
.LBB267_845:
	s_endpgm
	.section	.rodata,"a",@progbits
	.p2align	6, 0x0
	.amdhsa_kernel _ZN4vllm25paged_attention_v1_kernelIthLi120ELi32ELi128ELNS_18Fp8KVCacheDataTypeE1ELb0EEEvPT_PKS2_PKT0_S8_ifPKiSA_iPKfiiiSC_SC_iiiii
		.amdhsa_group_segment_fixed_size 256
		.amdhsa_private_segment_fixed_size 0
		.amdhsa_kernarg_size 384
		.amdhsa_user_sgpr_count 2
		.amdhsa_user_sgpr_dispatch_ptr 0
		.amdhsa_user_sgpr_queue_ptr 0
		.amdhsa_user_sgpr_kernarg_segment_ptr 1
		.amdhsa_user_sgpr_dispatch_id 0
		.amdhsa_user_sgpr_kernarg_preload_length 0
		.amdhsa_user_sgpr_kernarg_preload_offset 0
		.amdhsa_user_sgpr_private_segment_size 0
		.amdhsa_uses_dynamic_stack 0
		.amdhsa_enable_private_segment 0
		.amdhsa_system_sgpr_workgroup_id_x 1
		.amdhsa_system_sgpr_workgroup_id_y 1
		.amdhsa_system_sgpr_workgroup_id_z 1
		.amdhsa_system_sgpr_workgroup_info 0
		.amdhsa_system_vgpr_workitem_id 0
		.amdhsa_next_free_vgpr 88
		.amdhsa_next_free_sgpr 46
		.amdhsa_accum_offset 88
		.amdhsa_reserve_vcc 1
		.amdhsa_float_round_mode_32 0
		.amdhsa_float_round_mode_16_64 0
		.amdhsa_float_denorm_mode_32 3
		.amdhsa_float_denorm_mode_16_64 3
		.amdhsa_dx10_clamp 1
		.amdhsa_ieee_mode 1
		.amdhsa_fp16_overflow 0
		.amdhsa_tg_split 0
		.amdhsa_exception_fp_ieee_invalid_op 0
		.amdhsa_exception_fp_denorm_src 0
		.amdhsa_exception_fp_ieee_div_zero 0
		.amdhsa_exception_fp_ieee_overflow 0
		.amdhsa_exception_fp_ieee_underflow 0
		.amdhsa_exception_fp_ieee_inexact 0
		.amdhsa_exception_int_div_zero 0
	.end_amdhsa_kernel
	.section	.text._ZN4vllm25paged_attention_v1_kernelIthLi120ELi32ELi128ELNS_18Fp8KVCacheDataTypeE1ELb0EEEvPT_PKS2_PKT0_S8_ifPKiSA_iPKfiiiSC_SC_iiiii,"axG",@progbits,_ZN4vllm25paged_attention_v1_kernelIthLi120ELi32ELi128ELNS_18Fp8KVCacheDataTypeE1ELb0EEEvPT_PKS2_PKT0_S8_ifPKiSA_iPKfiiiSC_SC_iiiii,comdat
.Lfunc_end267:
	.size	_ZN4vllm25paged_attention_v1_kernelIthLi120ELi32ELi128ELNS_18Fp8KVCacheDataTypeE1ELb0EEEvPT_PKS2_PKT0_S8_ifPKiSA_iPKfiiiSC_SC_iiiii, .Lfunc_end267-_ZN4vllm25paged_attention_v1_kernelIthLi120ELi32ELi128ELNS_18Fp8KVCacheDataTypeE1ELb0EEEvPT_PKS2_PKT0_S8_ifPKiSA_iPKfiiiSC_SC_iiiii
                                        ; -- End function
	.set _ZN4vllm25paged_attention_v1_kernelIthLi120ELi32ELi128ELNS_18Fp8KVCacheDataTypeE1ELb0EEEvPT_PKS2_PKT0_S8_ifPKiSA_iPKfiiiSC_SC_iiiii.num_vgpr, 88
	.set _ZN4vllm25paged_attention_v1_kernelIthLi120ELi32ELi128ELNS_18Fp8KVCacheDataTypeE1ELb0EEEvPT_PKS2_PKT0_S8_ifPKiSA_iPKfiiiSC_SC_iiiii.num_agpr, 0
	.set _ZN4vllm25paged_attention_v1_kernelIthLi120ELi32ELi128ELNS_18Fp8KVCacheDataTypeE1ELb0EEEvPT_PKS2_PKT0_S8_ifPKiSA_iPKfiiiSC_SC_iiiii.numbered_sgpr, 46
	.set _ZN4vllm25paged_attention_v1_kernelIthLi120ELi32ELi128ELNS_18Fp8KVCacheDataTypeE1ELb0EEEvPT_PKS2_PKT0_S8_ifPKiSA_iPKfiiiSC_SC_iiiii.num_named_barrier, 0
	.set _ZN4vllm25paged_attention_v1_kernelIthLi120ELi32ELi128ELNS_18Fp8KVCacheDataTypeE1ELb0EEEvPT_PKS2_PKT0_S8_ifPKiSA_iPKfiiiSC_SC_iiiii.private_seg_size, 0
	.set _ZN4vllm25paged_attention_v1_kernelIthLi120ELi32ELi128ELNS_18Fp8KVCacheDataTypeE1ELb0EEEvPT_PKS2_PKT0_S8_ifPKiSA_iPKfiiiSC_SC_iiiii.uses_vcc, 1
	.set _ZN4vllm25paged_attention_v1_kernelIthLi120ELi32ELi128ELNS_18Fp8KVCacheDataTypeE1ELb0EEEvPT_PKS2_PKT0_S8_ifPKiSA_iPKfiiiSC_SC_iiiii.uses_flat_scratch, 0
	.set _ZN4vllm25paged_attention_v1_kernelIthLi120ELi32ELi128ELNS_18Fp8KVCacheDataTypeE1ELb0EEEvPT_PKS2_PKT0_S8_ifPKiSA_iPKfiiiSC_SC_iiiii.has_dyn_sized_stack, 0
	.set _ZN4vllm25paged_attention_v1_kernelIthLi120ELi32ELi128ELNS_18Fp8KVCacheDataTypeE1ELb0EEEvPT_PKS2_PKT0_S8_ifPKiSA_iPKfiiiSC_SC_iiiii.has_recursion, 0
	.set _ZN4vllm25paged_attention_v1_kernelIthLi120ELi32ELi128ELNS_18Fp8KVCacheDataTypeE1ELb0EEEvPT_PKS2_PKT0_S8_ifPKiSA_iPKfiiiSC_SC_iiiii.has_indirect_call, 0
	.section	.AMDGPU.csdata,"",@progbits
; Kernel info:
; codeLenInByte = 36216
; TotalNumSgprs: 52
; NumVgprs: 88
; NumAgprs: 0
; TotalNumVgprs: 88
; ScratchSize: 0
; MemoryBound: 0
; FloatMode: 240
; IeeeMode: 1
; LDSByteSize: 256 bytes/workgroup (compile time only)
; SGPRBlocks: 6
; VGPRBlocks: 10
; NumSGPRsForWavesPerEU: 52
; NumVGPRsForWavesPerEU: 88
; AccumOffset: 88
; Occupancy: 5
; WaveLimiterHint : 1
; COMPUTE_PGM_RSRC2:SCRATCH_EN: 0
; COMPUTE_PGM_RSRC2:USER_SGPR: 2
; COMPUTE_PGM_RSRC2:TRAP_HANDLER: 0
; COMPUTE_PGM_RSRC2:TGID_X_EN: 1
; COMPUTE_PGM_RSRC2:TGID_Y_EN: 1
; COMPUTE_PGM_RSRC2:TGID_Z_EN: 1
; COMPUTE_PGM_RSRC2:TIDIG_COMP_CNT: 0
; COMPUTE_PGM_RSRC3_GFX90A:ACCUM_OFFSET: 21
; COMPUTE_PGM_RSRC3_GFX90A:TG_SPLIT: 0
	.section	.text._ZN4vllm25paged_attention_v1_kernelIthLi128ELi32ELi128ELNS_18Fp8KVCacheDataTypeE1ELb0EEEvPT_PKS2_PKT0_S8_ifPKiSA_iPKfiiiSC_SC_iiiii,"axG",@progbits,_ZN4vllm25paged_attention_v1_kernelIthLi128ELi32ELi128ELNS_18Fp8KVCacheDataTypeE1ELb0EEEvPT_PKS2_PKT0_S8_ifPKiSA_iPKfiiiSC_SC_iiiii,comdat
	.protected	_ZN4vllm25paged_attention_v1_kernelIthLi128ELi32ELi128ELNS_18Fp8KVCacheDataTypeE1ELb0EEEvPT_PKS2_PKT0_S8_ifPKiSA_iPKfiiiSC_SC_iiiii ; -- Begin function _ZN4vllm25paged_attention_v1_kernelIthLi128ELi32ELi128ELNS_18Fp8KVCacheDataTypeE1ELb0EEEvPT_PKS2_PKT0_S8_ifPKiSA_iPKfiiiSC_SC_iiiii
	.globl	_ZN4vllm25paged_attention_v1_kernelIthLi128ELi32ELi128ELNS_18Fp8KVCacheDataTypeE1ELb0EEEvPT_PKS2_PKT0_S8_ifPKiSA_iPKfiiiSC_SC_iiiii
	.p2align	8
	.type	_ZN4vllm25paged_attention_v1_kernelIthLi128ELi32ELi128ELNS_18Fp8KVCacheDataTypeE1ELb0EEEvPT_PKS2_PKT0_S8_ifPKiSA_iPKfiiiSC_SC_iiiii,@function
_ZN4vllm25paged_attention_v1_kernelIthLi128ELi32ELi128ELNS_18Fp8KVCacheDataTypeE1ELb0EEEvPT_PKS2_PKT0_S8_ifPKiSA_iPKfiiiSC_SC_iiiii: ; @_ZN4vllm25paged_attention_v1_kernelIthLi128ELi32ELi128ELNS_18Fp8KVCacheDataTypeE1ELb0EEEvPT_PKS2_PKT0_S8_ifPKiSA_iPKfiiiSC_SC_iiiii
; %bb.0:
	s_load_dword s5, s[0:1], 0x80
	s_load_dwordx2 s[6:7], s[0:1], 0x30
	s_load_dwordx2 s[28:29], s[0:1], 0x20
	s_mov_b32 s16, s3
	s_ashr_i32 s17, s3, 31
	s_lshl_b64 s[8:9], s[16:17], 2
	s_waitcnt lgkmcnt(0)
	s_add_u32 s6, s6, s8
	s_addc_u32 s7, s7, s9
	s_abs_i32 s3, s28
	v_cvt_f32_u32_e32 v1, s3
	s_sub_i32 s10, 0, s3
	s_abs_i32 s9, s5
	s_xor_b32 s8, s5, s28
	v_rcp_iflag_f32_e32 v1, v1
	s_ashr_i32 s8, s8, 31
	s_mov_b32 s28, 0
	v_mul_f32_e32 v1, 0x4f7ffffe, v1
	v_cvt_u32_f32_e32 v1, v1
	s_nop 0
	v_readfirstlane_b32 s11, v1
	s_mul_i32 s10, s10, s11
	s_mul_hi_u32 s10, s11, s10
	s_add_i32 s11, s11, s10
	s_mul_hi_u32 s10, s9, s11
	s_mul_i32 s11, s10, s3
	s_sub_i32 s9, s9, s11
	s_add_i32 s11, s10, 1
	s_sub_i32 s12, s9, s3
	s_cmp_ge_u32 s9, s3
	s_cselect_b32 s10, s11, s10
	s_cselect_b32 s9, s12, s9
	s_add_i32 s11, s10, 1
	s_cmp_ge_u32 s9, s3
	s_cselect_b32 s3, s11, s10
	s_xor_b32 s3, s3, s8
	s_sub_i32 s12, s3, s8
	s_abs_i32 s10, s12
	v_cvt_f32_u32_e32 v1, s10
	s_load_dwordx2 s[8:9], s[0:1], 0x40
	s_sub_i32 s3, 0, s10
	s_abs_i32 s11, s2
	v_rcp_iflag_f32_e32 v1, v1
	s_nop 0
	v_mul_f32_e32 v1, 0x4f7ffffe, v1
	v_cvt_u32_f32_e32 v1, v1
	s_nop 0
	v_readfirstlane_b32 s13, v1
	s_mul_i32 s3, s3, s13
	s_mul_hi_u32 s3, s13, s3
	s_add_i32 s13, s13, s3
	s_waitcnt lgkmcnt(0)
	s_cmp_eq_u64 s[8:9], 0
	s_mul_hi_u32 s17, s11, s13
	s_cbranch_scc1 .LBB268_2
; %bb.1:
	s_ashr_i32 s3, s2, 31
	s_lshl_b64 s[14:15], s[2:3], 2
	s_add_u32 s8, s8, s14
	s_addc_u32 s9, s9, s15
	s_load_dword s28, s[8:9], 0x0
.LBB268_2:
	s_load_dword s33, s[6:7], 0x0
	s_ashr_i32 s7, s12, 31
	s_load_dwordx4 s[12:15], s[0:1], 0x48
	s_ashr_i32 s6, s2, 31
	v_and_b32_e32 v4, 1, v0
	s_lshl_b32 s18, s2, 7
	v_cmp_gt_u32_e32 vcc, 32, v0
	v_lshlrev_b32_e32 v1, 3, v0
	s_and_saveexec_b64 s[2:3], vcc
	s_cbranch_execz .LBB268_4
; %bb.3:
	s_load_dwordx2 s[8:9], s[0:1], 0x8
	s_waitcnt lgkmcnt(0)
	s_mul_i32 s20, s12, s16
	s_ashr_i32 s21, s20, 31
	s_lshl_b64 s[20:21], s[20:21], 1
	v_lshlrev_b32_e32 v5, 2, v0
	s_add_u32 s12, s8, s20
	s_addc_u32 s15, s9, s21
	s_ashr_i32 s19, s18, 31
	s_lshl_b64 s[8:9], s[18:19], 1
	s_add_u32 s8, s12, s8
	s_addc_u32 s9, s15, s9
	global_load_dwordx2 v[2:3], v1, s[8:9]
	v_and_b32_e32 v5, 0xff8, v5
	v_lshl_add_u32 v5, v4, 7, v5
	s_waitcnt vmcnt(0)
	ds_write_b64 v5, v[2:3]
.LBB268_4:
	s_or_b64 exec, exec, s[2:3]
	s_waitcnt lgkmcnt(0)
	s_add_i32 s3, s33, 31
	s_ashr_i32 s8, s3, 31
	s_lshr_b32 s8, s8, 27
	s_add_i32 s3, s3, s8
	s_ashr_i32 s19, s3, 5
	s_xor_b32 s3, s6, s7
	s_mul_i32 s6, s17, s10
	s_sub_i32 s6, s11, s6
	s_add_i32 s7, s17, 1
	s_sub_i32 s8, s6, s10
	s_load_dwordx2 s[22:23], s[0:1], 0x28
	s_load_dword s2, s[0:1], 0x38
	s_cmp_ge_u32 s6, s10
	s_cselect_b32 s7, s7, s17
	s_cselect_b32 s6, s8, s6
	s_add_i32 s8, s7, 1
	s_cmp_ge_u32 s6, s10
	s_cselect_b32 s6, s8, s7
	v_lshrrev_b32_e32 v28, 6, v0
	s_xor_b32 s6, s6, s3
	s_waitcnt lgkmcnt(0)
	s_mul_i32 s24, s2, s16
	s_sub_i32 s12, s6, s3
	s_ashr_i32 s25, s24, 31
	v_cmp_gt_i32_e64 s[6:7], s19, v28
	v_cmp_le_i32_e32 vcc, s19, v28
	v_mbcnt_lo_u32_b32 v9, -1, 0
	s_barrier
                                        ; implicit-def: $vgpr11
                                        ; implicit-def: $vgpr2
                                        ; implicit-def: $vgpr8
	s_and_saveexec_b64 s[2:3], vcc
	s_xor_b64 s[2:3], exec, s[2:3]
; %bb.5:
	v_mbcnt_hi_u32_b32 v11, -1, v9
	v_and_b32_e32 v2, 64, v11
	v_add_u32_e32 v8, 64, v2
                                        ; implicit-def: $vgpr4
                                        ; implicit-def: $vgpr9
; %bb.6:
	s_or_saveexec_b64 s[30:31], s[2:3]
	s_load_dwordx2 s[20:21], s[0:1], 0x0
	s_load_dwordx2 s[26:27], s[0:1], 0x18
	s_load_dword s17, s[0:1], 0x88
	s_load_dwordx4 s[8:11], s[0:1], 0x58
	v_mov_b32_e32 v12, 0xff7fffff
	s_mul_i32 s12, s12, s14
	v_lshrrev_b32_e32 v14, 4, v0
	s_xor_b64 exec, exec, s[30:31]
	s_cbranch_execz .LBB268_396
; %bb.7:
	s_load_dwordx2 s[0:1], s[0:1], 0x10
	s_ashr_i32 s2, s12, 31
	v_bfe_u32 v8, v0, 1, 5
	v_lshlrev_b32_e32 v2, 4, v8
	v_mov_b32_e32 v3, 0
	s_waitcnt lgkmcnt(0)
	s_add_u32 s0, s0, s12
	s_addc_u32 s1, s1, s2
	v_lshl_add_u64 v[6:7], s[0:1], 0, v[2:3]
	v_lshlrev_b32_e32 v2, 2, v4
	v_lshlrev_b32_e32 v13, 7, v4
	v_cmp_eq_u32_e32 vcc, 0, v4
	v_lshl_add_u64 v[4:5], v[6:7], 0, v[2:3]
	s_sub_i32 s41, 1, s33
	v_lshlrev_b32_e32 v2, 2, v8
	s_lshl_b64 s[0:1], s[24:25], 2
	v_lshl_or_b32 v2, v28, 7, v2
	s_add_u32 s0, s22, s0
	v_add_u32_e32 v16, 0x110, v2
	v_and_b32_e32 v2, 60, v14
	s_addc_u32 s1, s23, s1
	s_mov_b32 s40, s13
	v_cmp_neq_f32_e64 s[2:3], s28, 0
	v_lshl_or_b32 v15, v28, 5, v8
	v_lshl_add_u64 v[6:7], s[0:1], 0, v[2:3]
	v_mov_b32_e32 v12, 0xff7fffff
	s_mov_b64 s[14:15], 0
	s_movk_i32 s42, 0x80
	s_movk_i32 s43, 0x7f
	s_mov_b32 s44, 0x8000
	s_mov_b32 s45, 0xffffff
	v_mbcnt_hi_u32_b32 v11, -1, v9
	v_mov_b32_e32 v17, 0x2000
	v_mov_b32_e32 v18, v28
	s_branch .LBB268_9
.LBB268_8:                              ;   in Loop: Header=BB268_9 Depth=1
	s_or_b64 exec, exec, s[34:35]
	v_add_u32_e32 v18, 2, v18
	v_cmp_le_i32_e64 s[0:1], s19, v18
	v_add_u32_e32 v15, 64, v15
	v_add_u32_e32 v16, 0x100, v16
	s_or_b64 s[14:15], s[0:1], s[14:15]
	v_lshl_add_u64 v[6:7], v[6:7], 0, 8
	s_andn2_b64 exec, exec, s[14:15]
	s_cbranch_execz .LBB268_395
.LBB268_9:                              ; =>This Inner Loop Header: Depth=1
	global_load_dword v2, v[6:7], off
	v_mov_b32_e32 v20, 0
	s_waitcnt vmcnt(0)
	v_mad_i64_i32 v[8:9], s[0:1], v2, s40, v[4:5]
	s_waitcnt lgkmcnt(0)
	global_load_dword v10, v[8:9], off
	global_load_dword v19, v3, s[8:9]
	s_waitcnt vmcnt(1)
	v_cmp_ne_u16_sdwa s[0:1], v10, v3 src0_sel:BYTE_0 src1_sel:DWORD
	s_and_saveexec_b64 s[34:35], s[0:1]
	s_cbranch_execz .LBB268_15
; %bb.10:                               ;   in Loop: Header=BB268_9 Depth=1
	v_cmp_ne_u16_sdwa s[0:1], v10, s42 src0_sel:BYTE_0 src1_sel:DWORD
	v_mov_b32_e32 v20, 0x8000
	s_and_saveexec_b64 s[36:37], s[0:1]
	s_cbranch_execz .LBB268_14
; %bb.11:                               ;   in Loop: Header=BB268_9 Depth=1
	v_and_b32_e32 v2, 0x7f, v10
	v_cmp_ne_u32_e64 s[0:1], s43, v2
	v_mov_b32_e32 v20, 0x7c01
	s_and_saveexec_b64 s[38:39], s[0:1]
	s_cbranch_execz .LBB268_13
; %bb.12:                               ;   in Loop: Header=BB268_9 Depth=1
	v_and_b32_e32 v22, 7, v10
	v_ffbh_u32_e32 v20, v22
	v_min_u32_e32 v24, 32, v20
	v_subrev_u32_e32 v20, 28, v24
	v_lshlrev_b64 v[20:21], v20, v[10:11]
	v_lshrrev_b32_e32 v23, 3, v2
	v_sub_u32_e32 v21, 29, v24
	v_cmp_gt_u32_e64 s[0:1], 8, v2
	v_and_b32_e32 v20, 7, v20
	s_nop 0
	v_cndmask_b32_e64 v2, v23, v21, s[0:1]
	v_lshl_add_u32 v2, v2, 10, v17
	v_lshlrev_b32_e32 v21, 8, v10
	v_and_b32_e32 v2, 0xfc00, v2
	v_cndmask_b32_e64 v20, v22, v20, s[0:1]
	v_and_or_b32 v2, v21, s44, v2
	v_lshl_or_b32 v20, v20, 7, v2
.LBB268_13:                             ;   in Loop: Header=BB268_9 Depth=1
	s_or_b64 exec, exec, s[38:39]
.LBB268_14:                             ;   in Loop: Header=BB268_9 Depth=1
	s_or_b64 exec, exec, s[36:37]
.LBB268_15:                             ;   in Loop: Header=BB268_9 Depth=1
	s_or_b64 exec, exec, s[34:35]
	v_lshrrev_b16_e32 v2, 8, v10
	v_cmp_ne_u16_e64 s[0:1], 0, v2
	v_mov_b32_e32 v21, 0
	v_mov_b32_e32 v22, 0
	s_and_saveexec_b64 s[34:35], s[0:1]
	s_cbranch_execz .LBB268_21
; %bb.16:                               ;   in Loop: Header=BB268_9 Depth=1
	v_cmp_ne_u16_e64 s[0:1], s42, v2
	v_bfrev_b32_e32 v22, 1
	s_and_saveexec_b64 s[36:37], s[0:1]
	s_cbranch_execz .LBB268_20
; %bb.17:                               ;   in Loop: Header=BB268_9 Depth=1
	v_and_b32_e32 v23, 0x7f, v2
	v_cmp_ne_u32_e64 s[0:1], s43, v23
	v_mov_b32_e32 v22, 0x7c010000
	s_and_saveexec_b64 s[38:39], s[0:1]
	s_cbranch_execz .LBB268_19
; %bb.18:                               ;   in Loop: Header=BB268_9 Depth=1
	v_and_b32_e32 v22, 7, v2
	v_ffbh_u32_e32 v24, v22
	v_min_u32_e32 v27, 32, v24
	v_subrev_u32_e32 v24, 28, v27
	v_lshlrev_b64 v[24:25], v24, v[2:3]
	v_lshrrev_b32_e32 v26, 3, v23
	v_sub_u32_e32 v25, 29, v27
	v_cmp_gt_u32_e64 s[0:1], 8, v23
	v_lshlrev_b32_e32 v2, 8, v2
	v_and_b32_e32 v24, 7, v24
	v_cndmask_b32_e64 v23, v26, v25, s[0:1]
	v_lshl_add_u32 v23, v23, 10, v17
	v_and_or_b32 v2, v2, s44, v23
	v_cndmask_b32_e64 v22, v22, v24, s[0:1]
	v_lshlrev_b32_e32 v2, 16, v2
	v_lshl_or_b32 v22, v22, 23, v2
.LBB268_19:                             ;   in Loop: Header=BB268_9 Depth=1
	s_or_b64 exec, exec, s[38:39]
.LBB268_20:                             ;   in Loop: Header=BB268_9 Depth=1
	s_or_b64 exec, exec, s[36:37]
.LBB268_21:                             ;   in Loop: Header=BB268_9 Depth=1
	s_or_b64 exec, exec, s[34:35]
	v_lshrrev_b32_e32 v2, 16, v10
	v_cmp_ne_u16_sdwa s[0:1], v2, v3 src0_sel:BYTE_0 src1_sel:DWORD
	s_and_saveexec_b64 s[34:35], s[0:1]
	s_cbranch_execz .LBB268_27
; %bb.22:                               ;   in Loop: Header=BB268_9 Depth=1
	v_cmp_ne_u16_sdwa s[0:1], v2, s42 src0_sel:BYTE_0 src1_sel:DWORD
	v_mov_b32_e32 v21, 0x8000
	s_and_saveexec_b64 s[36:37], s[0:1]
	s_cbranch_execz .LBB268_26
; %bb.23:                               ;   in Loop: Header=BB268_9 Depth=1
	v_bfe_u32 v23, v10, 16, 7
	v_cmp_ne_u32_e64 s[0:1], s43, v23
	v_mov_b32_e32 v21, 0x7c01
	s_and_saveexec_b64 s[38:39], s[0:1]
	s_cbranch_execz .LBB268_25
; %bb.24:                               ;   in Loop: Header=BB268_9 Depth=1
	v_and_b32_e32 v21, 7, v2
	v_ffbh_u32_e32 v24, v21
	v_min_u32_e32 v27, 32, v24
	v_subrev_u32_e32 v24, 28, v27
	v_lshlrev_b64 v[24:25], v24, v[2:3]
	v_lshrrev_b32_e32 v26, 3, v23
	v_sub_u32_e32 v25, 29, v27
	v_cmp_gt_u32_e64 s[0:1], 8, v23
	v_lshlrev_b32_e32 v2, 8, v2
	v_and_b32_e32 v24, 7, v24
	v_cndmask_b32_e64 v23, v26, v25, s[0:1]
	v_lshl_add_u32 v23, v23, 10, v17
	v_and_b32_e32 v23, 0xfc00, v23
	v_cndmask_b32_e64 v21, v21, v24, s[0:1]
	v_and_or_b32 v2, v2, s44, v23
	v_lshl_or_b32 v21, v21, 7, v2
.LBB268_25:                             ;   in Loop: Header=BB268_9 Depth=1
	s_or_b64 exec, exec, s[38:39]
.LBB268_26:                             ;   in Loop: Header=BB268_9 Depth=1
	s_or_b64 exec, exec, s[36:37]
.LBB268_27:                             ;   in Loop: Header=BB268_9 Depth=1
	s_or_b64 exec, exec, s[34:35]
	v_cmp_lt_u32_e64 s[0:1], s45, v10
	v_mov_b32_e32 v24, 0
	v_mov_b32_e32 v23, 0
	s_and_saveexec_b64 s[34:35], s[0:1]
	s_cbranch_execz .LBB268_33
; %bb.28:                               ;   in Loop: Header=BB268_9 Depth=1
	v_lshrrev_b32_e32 v2, 24, v10
	v_cmp_ne_u32_e64 s[0:1], s42, v2
	v_bfrev_b32_e32 v23, 1
	s_and_saveexec_b64 s[36:37], s[0:1]
	s_cbranch_execz .LBB268_32
; %bb.29:                               ;   in Loop: Header=BB268_9 Depth=1
	v_and_b32_e32 v10, 0x7f, v2
	v_cmp_ne_u32_e64 s[0:1], s43, v10
	v_mov_b32_e32 v23, 0x7c010000
	s_and_saveexec_b64 s[38:39], s[0:1]
	s_cbranch_execz .LBB268_31
; %bb.30:                               ;   in Loop: Header=BB268_9 Depth=1
	v_and_b32_e32 v23, 7, v2
	v_ffbh_u32_e32 v26, v23
	v_min_u32_e32 v29, 32, v26
	v_subrev_u32_e32 v26, 28, v29
	v_lshlrev_b64 v[26:27], v26, v[2:3]
	v_lshrrev_b32_e32 v25, 3, v10
	v_sub_u32_e32 v27, 29, v29
	v_cmp_gt_u32_e64 s[0:1], 8, v10
	v_lshlrev_b32_e32 v2, 8, v2
	s_nop 0
	v_cndmask_b32_e64 v10, v25, v27, s[0:1]
	v_lshl_add_u32 v10, v10, 10, v17
	v_and_b32_e32 v25, 7, v26
	v_and_or_b32 v2, v2, s44, v10
	v_cndmask_b32_e64 v23, v23, v25, s[0:1]
	v_lshlrev_b32_e32 v2, 16, v2
	v_lshl_or_b32 v23, v23, 23, v2
.LBB268_31:                             ;   in Loop: Header=BB268_9 Depth=1
	s_or_b64 exec, exec, s[38:39]
.LBB268_32:                             ;   in Loop: Header=BB268_9 Depth=1
	s_or_b64 exec, exec, s[36:37]
.LBB268_33:                             ;   in Loop: Header=BB268_9 Depth=1
	s_or_b64 exec, exec, s[34:35]
	global_load_dword v10, v[8:9], off offset:8
	s_waitcnt vmcnt(0)
	v_cmp_ne_u16_sdwa s[0:1], v10, v3 src0_sel:BYTE_0 src1_sel:DWORD
	s_and_saveexec_b64 s[34:35], s[0:1]
	s_cbranch_execz .LBB268_39
; %bb.34:                               ;   in Loop: Header=BB268_9 Depth=1
	v_cmp_ne_u16_sdwa s[0:1], v10, s42 src0_sel:BYTE_0 src1_sel:DWORD
	v_mov_b32_e32 v24, 0x8000
	s_and_saveexec_b64 s[36:37], s[0:1]
	s_cbranch_execz .LBB268_38
; %bb.35:                               ;   in Loop: Header=BB268_9 Depth=1
	v_and_b32_e32 v2, 0x7f, v10
	v_cmp_ne_u32_e64 s[0:1], s43, v2
	v_mov_b32_e32 v24, 0x7c01
	s_and_saveexec_b64 s[38:39], s[0:1]
	s_cbranch_execz .LBB268_37
; %bb.36:                               ;   in Loop: Header=BB268_9 Depth=1
	v_and_b32_e32 v26, 7, v10
	v_ffbh_u32_e32 v24, v26
	v_min_u32_e32 v29, 32, v24
	v_subrev_u32_e32 v24, 28, v29
	v_lshlrev_b64 v[24:25], v24, v[10:11]
	v_lshrrev_b32_e32 v27, 3, v2
	v_sub_u32_e32 v25, 29, v29
	v_cmp_gt_u32_e64 s[0:1], 8, v2
	v_and_b32_e32 v24, 7, v24
	s_nop 0
	v_cndmask_b32_e64 v2, v27, v25, s[0:1]
	v_lshl_add_u32 v2, v2, 10, v17
	v_lshlrev_b32_e32 v25, 8, v10
	v_and_b32_e32 v2, 0xfc00, v2
	v_cndmask_b32_e64 v24, v26, v24, s[0:1]
	v_and_or_b32 v2, v25, s44, v2
	v_lshl_or_b32 v24, v24, 7, v2
.LBB268_37:                             ;   in Loop: Header=BB268_9 Depth=1
	s_or_b64 exec, exec, s[38:39]
.LBB268_38:                             ;   in Loop: Header=BB268_9 Depth=1
	s_or_b64 exec, exec, s[36:37]
.LBB268_39:                             ;   in Loop: Header=BB268_9 Depth=1
	s_or_b64 exec, exec, s[34:35]
	v_lshrrev_b16_e32 v2, 8, v10
	v_cmp_ne_u16_e64 s[0:1], 0, v2
	v_mov_b32_e32 v25, 0
	v_mov_b32_e32 v26, 0
	s_and_saveexec_b64 s[34:35], s[0:1]
	s_cbranch_execz .LBB268_45
; %bb.40:                               ;   in Loop: Header=BB268_9 Depth=1
	v_cmp_ne_u16_e64 s[0:1], s42, v2
	v_bfrev_b32_e32 v26, 1
	s_and_saveexec_b64 s[36:37], s[0:1]
	s_cbranch_execz .LBB268_44
; %bb.41:                               ;   in Loop: Header=BB268_9 Depth=1
	v_and_b32_e32 v27, 0x7f, v2
	v_cmp_ne_u32_e64 s[0:1], s43, v27
	v_mov_b32_e32 v26, 0x7c010000
	s_and_saveexec_b64 s[38:39], s[0:1]
	s_cbranch_execz .LBB268_43
; %bb.42:                               ;   in Loop: Header=BB268_9 Depth=1
	v_and_b32_e32 v26, 7, v2
	v_ffbh_u32_e32 v30, v26
	v_min_u32_e32 v32, 32, v30
	v_subrev_u32_e32 v30, 28, v32
	v_lshlrev_b64 v[30:31], v30, v[2:3]
	v_lshrrev_b32_e32 v29, 3, v27
	v_sub_u32_e32 v31, 29, v32
	v_cmp_gt_u32_e64 s[0:1], 8, v27
	v_lshlrev_b32_e32 v2, 8, v2
	s_nop 0
	v_cndmask_b32_e64 v27, v29, v31, s[0:1]
	v_lshl_add_u32 v27, v27, 10, v17
	v_and_b32_e32 v29, 7, v30
	v_and_or_b32 v2, v2, s44, v27
	v_cndmask_b32_e64 v26, v26, v29, s[0:1]
	v_lshlrev_b32_e32 v2, 16, v2
	v_lshl_or_b32 v26, v26, 23, v2
.LBB268_43:                             ;   in Loop: Header=BB268_9 Depth=1
	s_or_b64 exec, exec, s[38:39]
.LBB268_44:                             ;   in Loop: Header=BB268_9 Depth=1
	s_or_b64 exec, exec, s[36:37]
.LBB268_45:                             ;   in Loop: Header=BB268_9 Depth=1
	s_or_b64 exec, exec, s[34:35]
	v_lshrrev_b32_e32 v2, 16, v10
	v_cmp_ne_u16_sdwa s[0:1], v2, v3 src0_sel:BYTE_0 src1_sel:DWORD
	s_and_saveexec_b64 s[34:35], s[0:1]
	s_cbranch_execz .LBB268_51
; %bb.46:                               ;   in Loop: Header=BB268_9 Depth=1
	v_cmp_ne_u16_sdwa s[0:1], v2, s42 src0_sel:BYTE_0 src1_sel:DWORD
	v_mov_b32_e32 v25, 0x8000
	s_and_saveexec_b64 s[36:37], s[0:1]
	s_cbranch_execz .LBB268_50
; %bb.47:                               ;   in Loop: Header=BB268_9 Depth=1
	v_bfe_u32 v27, v10, 16, 7
	v_cmp_ne_u32_e64 s[0:1], s43, v27
	v_mov_b32_e32 v25, 0x7c01
	s_and_saveexec_b64 s[38:39], s[0:1]
	s_cbranch_execz .LBB268_49
; %bb.48:                               ;   in Loop: Header=BB268_9 Depth=1
	v_and_b32_e32 v25, 7, v2
	v_ffbh_u32_e32 v30, v25
	v_min_u32_e32 v32, 32, v30
	v_subrev_u32_e32 v30, 28, v32
	v_lshlrev_b64 v[30:31], v30, v[2:3]
	v_lshrrev_b32_e32 v29, 3, v27
	v_sub_u32_e32 v31, 29, v32
	v_cmp_gt_u32_e64 s[0:1], 8, v27
	v_lshlrev_b32_e32 v2, 8, v2
	s_nop 0
	v_cndmask_b32_e64 v27, v29, v31, s[0:1]
	v_lshl_add_u32 v27, v27, 10, v17
	v_and_b32_e32 v29, 7, v30
	v_and_b32_e32 v27, 0xfc00, v27
	v_cndmask_b32_e64 v25, v25, v29, s[0:1]
	v_and_or_b32 v2, v2, s44, v27
	v_lshl_or_b32 v25, v25, 7, v2
.LBB268_49:                             ;   in Loop: Header=BB268_9 Depth=1
	s_or_b64 exec, exec, s[38:39]
.LBB268_50:                             ;   in Loop: Header=BB268_9 Depth=1
	s_or_b64 exec, exec, s[36:37]
.LBB268_51:                             ;   in Loop: Header=BB268_9 Depth=1
	s_or_b64 exec, exec, s[34:35]
	v_cmp_lt_u32_e64 s[0:1], s45, v10
	v_mov_b32_e32 v29, 0
	v_mov_b32_e32 v27, 0
	s_and_saveexec_b64 s[34:35], s[0:1]
	s_cbranch_execz .LBB268_57
; %bb.52:                               ;   in Loop: Header=BB268_9 Depth=1
	v_lshrrev_b32_e32 v2, 24, v10
	v_cmp_ne_u32_e64 s[0:1], s42, v2
	v_bfrev_b32_e32 v27, 1
	s_and_saveexec_b64 s[36:37], s[0:1]
	s_cbranch_execz .LBB268_56
; %bb.53:                               ;   in Loop: Header=BB268_9 Depth=1
	v_and_b32_e32 v10, 0x7f, v2
	v_cmp_ne_u32_e64 s[0:1], s43, v10
	v_mov_b32_e32 v27, 0x7c010000
	s_and_saveexec_b64 s[38:39], s[0:1]
	s_cbranch_execz .LBB268_55
; %bb.54:                               ;   in Loop: Header=BB268_9 Depth=1
	v_and_b32_e32 v27, 7, v2
	v_ffbh_u32_e32 v30, v27
	v_min_u32_e32 v33, 32, v30
	v_subrev_u32_e32 v30, 28, v33
	v_lshlrev_b64 v[30:31], v30, v[2:3]
	v_lshrrev_b32_e32 v32, 3, v10
	v_sub_u32_e32 v31, 29, v33
	v_cmp_gt_u32_e64 s[0:1], 8, v10
	v_lshlrev_b32_e32 v2, 8, v2
	v_and_b32_e32 v30, 7, v30
	v_cndmask_b32_e64 v10, v32, v31, s[0:1]
	v_lshl_add_u32 v10, v10, 10, v17
	v_and_or_b32 v2, v2, s44, v10
	v_cndmask_b32_e64 v27, v27, v30, s[0:1]
	v_lshlrev_b32_e32 v2, 16, v2
	v_lshl_or_b32 v27, v27, 23, v2
.LBB268_55:                             ;   in Loop: Header=BB268_9 Depth=1
	s_or_b64 exec, exec, s[38:39]
.LBB268_56:                             ;   in Loop: Header=BB268_9 Depth=1
	s_or_b64 exec, exec, s[36:37]
.LBB268_57:                             ;   in Loop: Header=BB268_9 Depth=1
	s_or_b64 exec, exec, s[34:35]
	global_load_dword v10, v[8:9], off offset:512
	s_waitcnt vmcnt(0)
	v_cmp_ne_u16_sdwa s[0:1], v10, v3 src0_sel:BYTE_0 src1_sel:DWORD
	s_and_saveexec_b64 s[34:35], s[0:1]
	s_cbranch_execz .LBB268_63
; %bb.58:                               ;   in Loop: Header=BB268_9 Depth=1
	v_cmp_ne_u16_sdwa s[0:1], v10, s42 src0_sel:BYTE_0 src1_sel:DWORD
	v_mov_b32_e32 v29, 0x8000
	s_and_saveexec_b64 s[36:37], s[0:1]
	s_cbranch_execz .LBB268_62
; %bb.59:                               ;   in Loop: Header=BB268_9 Depth=1
	v_and_b32_e32 v2, 0x7f, v10
	v_cmp_ne_u32_e64 s[0:1], s43, v2
	v_mov_b32_e32 v29, 0x7c01
	s_and_saveexec_b64 s[38:39], s[0:1]
	s_cbranch_execz .LBB268_61
; %bb.60:                               ;   in Loop: Header=BB268_9 Depth=1
	v_and_b32_e32 v29, 7, v10
	v_ffbh_u32_e32 v30, v29
	v_min_u32_e32 v33, 32, v30
	v_subrev_u32_e32 v30, 28, v33
	v_lshlrev_b64 v[30:31], v30, v[10:11]
	v_lshrrev_b32_e32 v32, 3, v2
	v_sub_u32_e32 v31, 29, v33
	v_cmp_gt_u32_e64 s[0:1], 8, v2
	v_and_b32_e32 v30, 7, v30
	s_nop 0
	v_cndmask_b32_e64 v2, v32, v31, s[0:1]
	v_lshl_add_u32 v2, v2, 10, v17
	v_lshlrev_b32_e32 v31, 8, v10
	v_and_b32_e32 v2, 0xfc00, v2
	v_cndmask_b32_e64 v29, v29, v30, s[0:1]
	v_and_or_b32 v2, v31, s44, v2
	v_lshl_or_b32 v29, v29, 7, v2
.LBB268_61:                             ;   in Loop: Header=BB268_9 Depth=1
	s_or_b64 exec, exec, s[38:39]
.LBB268_62:                             ;   in Loop: Header=BB268_9 Depth=1
	s_or_b64 exec, exec, s[36:37]
.LBB268_63:                             ;   in Loop: Header=BB268_9 Depth=1
	s_or_b64 exec, exec, s[34:35]
	v_lshrrev_b16_e32 v2, 8, v10
	v_cmp_ne_u16_e64 s[0:1], 0, v2
	v_mov_b32_e32 v30, 0
	v_mov_b32_e32 v31, 0
	s_and_saveexec_b64 s[34:35], s[0:1]
	s_cbranch_execz .LBB268_69
; %bb.64:                               ;   in Loop: Header=BB268_9 Depth=1
	v_cmp_ne_u16_e64 s[0:1], s42, v2
	v_bfrev_b32_e32 v31, 1
	s_and_saveexec_b64 s[36:37], s[0:1]
	s_cbranch_execz .LBB268_68
; %bb.65:                               ;   in Loop: Header=BB268_9 Depth=1
	v_and_b32_e32 v32, 0x7f, v2
	v_cmp_ne_u32_e64 s[0:1], s43, v32
	v_mov_b32_e32 v31, 0x7c010000
	s_and_saveexec_b64 s[38:39], s[0:1]
	s_cbranch_execz .LBB268_67
; %bb.66:                               ;   in Loop: Header=BB268_9 Depth=1
	v_and_b32_e32 v31, 7, v2
	v_ffbh_u32_e32 v34, v31
	v_min_u32_e32 v36, 32, v34
	v_subrev_u32_e32 v34, 28, v36
	v_lshlrev_b64 v[34:35], v34, v[2:3]
	v_lshrrev_b32_e32 v33, 3, v32
	v_sub_u32_e32 v35, 29, v36
	v_cmp_gt_u32_e64 s[0:1], 8, v32
	v_lshlrev_b32_e32 v2, 8, v2
	s_nop 0
	v_cndmask_b32_e64 v32, v33, v35, s[0:1]
	v_lshl_add_u32 v32, v32, 10, v17
	v_and_b32_e32 v33, 7, v34
	v_and_or_b32 v2, v2, s44, v32
	v_cndmask_b32_e64 v31, v31, v33, s[0:1]
	v_lshlrev_b32_e32 v2, 16, v2
	v_lshl_or_b32 v31, v31, 23, v2
.LBB268_67:                             ;   in Loop: Header=BB268_9 Depth=1
	s_or_b64 exec, exec, s[38:39]
.LBB268_68:                             ;   in Loop: Header=BB268_9 Depth=1
	s_or_b64 exec, exec, s[36:37]
.LBB268_69:                             ;   in Loop: Header=BB268_9 Depth=1
	s_or_b64 exec, exec, s[34:35]
	v_lshrrev_b32_e32 v2, 16, v10
	v_cmp_ne_u16_sdwa s[0:1], v2, v3 src0_sel:BYTE_0 src1_sel:DWORD
	s_and_saveexec_b64 s[34:35], s[0:1]
	s_cbranch_execz .LBB268_75
; %bb.70:                               ;   in Loop: Header=BB268_9 Depth=1
	v_cmp_ne_u16_sdwa s[0:1], v2, s42 src0_sel:BYTE_0 src1_sel:DWORD
	v_mov_b32_e32 v30, 0x8000
	s_and_saveexec_b64 s[36:37], s[0:1]
	s_cbranch_execz .LBB268_74
; %bb.71:                               ;   in Loop: Header=BB268_9 Depth=1
	v_bfe_u32 v32, v10, 16, 7
	v_cmp_ne_u32_e64 s[0:1], s43, v32
	v_mov_b32_e32 v30, 0x7c01
	s_and_saveexec_b64 s[38:39], s[0:1]
	s_cbranch_execz .LBB268_73
; %bb.72:                               ;   in Loop: Header=BB268_9 Depth=1
	v_and_b32_e32 v30, 7, v2
	v_ffbh_u32_e32 v34, v30
	v_min_u32_e32 v36, 32, v34
	v_subrev_u32_e32 v34, 28, v36
	v_lshlrev_b64 v[34:35], v34, v[2:3]
	v_lshrrev_b32_e32 v33, 3, v32
	v_sub_u32_e32 v35, 29, v36
	v_cmp_gt_u32_e64 s[0:1], 8, v32
	v_lshlrev_b32_e32 v2, 8, v2
	s_nop 0
	v_cndmask_b32_e64 v32, v33, v35, s[0:1]
	v_lshl_add_u32 v32, v32, 10, v17
	v_and_b32_e32 v33, 7, v34
	v_and_b32_e32 v32, 0xfc00, v32
	v_cndmask_b32_e64 v30, v30, v33, s[0:1]
	v_and_or_b32 v2, v2, s44, v32
	v_lshl_or_b32 v30, v30, 7, v2
.LBB268_73:                             ;   in Loop: Header=BB268_9 Depth=1
	s_or_b64 exec, exec, s[38:39]
.LBB268_74:                             ;   in Loop: Header=BB268_9 Depth=1
	s_or_b64 exec, exec, s[36:37]
.LBB268_75:                             ;   in Loop: Header=BB268_9 Depth=1
	s_or_b64 exec, exec, s[34:35]
	v_cmp_lt_u32_e64 s[0:1], s45, v10
	v_mov_b32_e32 v33, 0
	v_mov_b32_e32 v32, 0
	s_and_saveexec_b64 s[34:35], s[0:1]
	s_cbranch_execz .LBB268_81
; %bb.76:                               ;   in Loop: Header=BB268_9 Depth=1
	v_lshrrev_b32_e32 v2, 24, v10
	v_cmp_ne_u32_e64 s[0:1], s42, v2
	v_bfrev_b32_e32 v32, 1
	s_and_saveexec_b64 s[36:37], s[0:1]
	s_cbranch_execz .LBB268_80
; %bb.77:                               ;   in Loop: Header=BB268_9 Depth=1
	v_and_b32_e32 v10, 0x7f, v2
	v_cmp_ne_u32_e64 s[0:1], s43, v10
	v_mov_b32_e32 v32, 0x7c010000
	s_and_saveexec_b64 s[38:39], s[0:1]
	s_cbranch_execz .LBB268_79
; %bb.78:                               ;   in Loop: Header=BB268_9 Depth=1
	v_and_b32_e32 v32, 7, v2
	v_ffbh_u32_e32 v34, v32
	v_min_u32_e32 v37, 32, v34
	v_subrev_u32_e32 v34, 28, v37
	v_lshlrev_b64 v[34:35], v34, v[2:3]
	v_lshrrev_b32_e32 v36, 3, v10
	v_sub_u32_e32 v35, 29, v37
	v_cmp_gt_u32_e64 s[0:1], 8, v10
	v_lshlrev_b32_e32 v2, 8, v2
	v_and_b32_e32 v34, 7, v34
	v_cndmask_b32_e64 v10, v36, v35, s[0:1]
	v_lshl_add_u32 v10, v10, 10, v17
	v_and_or_b32 v2, v2, s44, v10
	v_cndmask_b32_e64 v32, v32, v34, s[0:1]
	v_lshlrev_b32_e32 v2, 16, v2
	v_lshl_or_b32 v32, v32, 23, v2
.LBB268_79:                             ;   in Loop: Header=BB268_9 Depth=1
	s_or_b64 exec, exec, s[38:39]
.LBB268_80:                             ;   in Loop: Header=BB268_9 Depth=1
	s_or_b64 exec, exec, s[36:37]
.LBB268_81:                             ;   in Loop: Header=BB268_9 Depth=1
	s_or_b64 exec, exec, s[34:35]
	global_load_dword v10, v[8:9], off offset:520
	s_waitcnt vmcnt(0)
	v_cmp_ne_u16_sdwa s[0:1], v10, v3 src0_sel:BYTE_0 src1_sel:DWORD
	s_and_saveexec_b64 s[34:35], s[0:1]
	s_cbranch_execz .LBB268_87
; %bb.82:                               ;   in Loop: Header=BB268_9 Depth=1
	v_cmp_ne_u16_sdwa s[0:1], v10, s42 src0_sel:BYTE_0 src1_sel:DWORD
	v_mov_b32_e32 v33, 0x8000
	s_and_saveexec_b64 s[36:37], s[0:1]
	s_cbranch_execz .LBB268_86
; %bb.83:                               ;   in Loop: Header=BB268_9 Depth=1
	v_and_b32_e32 v2, 0x7f, v10
	v_cmp_ne_u32_e64 s[0:1], s43, v2
	v_mov_b32_e32 v33, 0x7c01
	s_and_saveexec_b64 s[38:39], s[0:1]
	s_cbranch_execz .LBB268_85
; %bb.84:                               ;   in Loop: Header=BB268_9 Depth=1
	v_and_b32_e32 v33, 7, v10
	v_ffbh_u32_e32 v34, v33
	v_min_u32_e32 v37, 32, v34
	v_subrev_u32_e32 v34, 28, v37
	v_lshlrev_b64 v[34:35], v34, v[10:11]
	v_lshrrev_b32_e32 v36, 3, v2
	v_sub_u32_e32 v35, 29, v37
	v_cmp_gt_u32_e64 s[0:1], 8, v2
	v_and_b32_e32 v34, 7, v34
	s_nop 0
	v_cndmask_b32_e64 v2, v36, v35, s[0:1]
	v_lshl_add_u32 v2, v2, 10, v17
	v_lshlrev_b32_e32 v35, 8, v10
	v_and_b32_e32 v2, 0xfc00, v2
	v_cndmask_b32_e64 v33, v33, v34, s[0:1]
	v_and_or_b32 v2, v35, s44, v2
	v_lshl_or_b32 v33, v33, 7, v2
.LBB268_85:                             ;   in Loop: Header=BB268_9 Depth=1
	s_or_b64 exec, exec, s[38:39]
.LBB268_86:                             ;   in Loop: Header=BB268_9 Depth=1
	s_or_b64 exec, exec, s[36:37]
.LBB268_87:                             ;   in Loop: Header=BB268_9 Depth=1
	s_or_b64 exec, exec, s[34:35]
	v_lshrrev_b16_e32 v2, 8, v10
	v_cmp_ne_u16_e64 s[0:1], 0, v2
	v_mov_b32_e32 v34, 0
	v_mov_b32_e32 v35, 0
	s_and_saveexec_b64 s[34:35], s[0:1]
	s_cbranch_execz .LBB268_93
; %bb.88:                               ;   in Loop: Header=BB268_9 Depth=1
	v_cmp_ne_u16_e64 s[0:1], s42, v2
	v_bfrev_b32_e32 v35, 1
	s_and_saveexec_b64 s[36:37], s[0:1]
	s_cbranch_execz .LBB268_92
; %bb.89:                               ;   in Loop: Header=BB268_9 Depth=1
	v_and_b32_e32 v36, 0x7f, v2
	v_cmp_ne_u32_e64 s[0:1], s43, v36
	v_mov_b32_e32 v35, 0x7c010000
	s_and_saveexec_b64 s[38:39], s[0:1]
	s_cbranch_execz .LBB268_91
; %bb.90:                               ;   in Loop: Header=BB268_9 Depth=1
	v_and_b32_e32 v35, 7, v2
	v_ffbh_u32_e32 v38, v35
	v_min_u32_e32 v40, 32, v38
	v_subrev_u32_e32 v38, 28, v40
	v_lshlrev_b64 v[38:39], v38, v[2:3]
	v_lshrrev_b32_e32 v37, 3, v36
	v_sub_u32_e32 v39, 29, v40
	v_cmp_gt_u32_e64 s[0:1], 8, v36
	v_lshlrev_b32_e32 v2, 8, v2
	s_nop 0
	v_cndmask_b32_e64 v36, v37, v39, s[0:1]
	v_lshl_add_u32 v36, v36, 10, v17
	v_and_b32_e32 v37, 7, v38
	v_and_or_b32 v2, v2, s44, v36
	v_cndmask_b32_e64 v35, v35, v37, s[0:1]
	v_lshlrev_b32_e32 v2, 16, v2
	v_lshl_or_b32 v35, v35, 23, v2
.LBB268_91:                             ;   in Loop: Header=BB268_9 Depth=1
	s_or_b64 exec, exec, s[38:39]
.LBB268_92:                             ;   in Loop: Header=BB268_9 Depth=1
	s_or_b64 exec, exec, s[36:37]
.LBB268_93:                             ;   in Loop: Header=BB268_9 Depth=1
	s_or_b64 exec, exec, s[34:35]
	v_lshrrev_b32_e32 v2, 16, v10
	v_cmp_ne_u16_sdwa s[0:1], v2, v3 src0_sel:BYTE_0 src1_sel:DWORD
	s_and_saveexec_b64 s[34:35], s[0:1]
	s_cbranch_execz .LBB268_99
; %bb.94:                               ;   in Loop: Header=BB268_9 Depth=1
	v_cmp_ne_u16_sdwa s[0:1], v2, s42 src0_sel:BYTE_0 src1_sel:DWORD
	v_mov_b32_e32 v34, 0x8000
	s_and_saveexec_b64 s[36:37], s[0:1]
	s_cbranch_execz .LBB268_98
; %bb.95:                               ;   in Loop: Header=BB268_9 Depth=1
	v_bfe_u32 v36, v10, 16, 7
	v_cmp_ne_u32_e64 s[0:1], s43, v36
	v_mov_b32_e32 v34, 0x7c01
	s_and_saveexec_b64 s[38:39], s[0:1]
	s_cbranch_execz .LBB268_97
; %bb.96:                               ;   in Loop: Header=BB268_9 Depth=1
	v_and_b32_e32 v34, 7, v2
	v_ffbh_u32_e32 v38, v34
	v_min_u32_e32 v40, 32, v38
	v_subrev_u32_e32 v38, 28, v40
	v_lshlrev_b64 v[38:39], v38, v[2:3]
	v_lshrrev_b32_e32 v37, 3, v36
	v_sub_u32_e32 v39, 29, v40
	v_cmp_gt_u32_e64 s[0:1], 8, v36
	v_lshlrev_b32_e32 v2, 8, v2
	s_nop 0
	v_cndmask_b32_e64 v36, v37, v39, s[0:1]
	v_lshl_add_u32 v36, v36, 10, v17
	v_and_b32_e32 v37, 7, v38
	v_and_b32_e32 v36, 0xfc00, v36
	v_cndmask_b32_e64 v34, v34, v37, s[0:1]
	v_and_or_b32 v2, v2, s44, v36
	v_lshl_or_b32 v34, v34, 7, v2
.LBB268_97:                             ;   in Loop: Header=BB268_9 Depth=1
	s_or_b64 exec, exec, s[38:39]
.LBB268_98:                             ;   in Loop: Header=BB268_9 Depth=1
	s_or_b64 exec, exec, s[36:37]
.LBB268_99:                             ;   in Loop: Header=BB268_9 Depth=1
	s_or_b64 exec, exec, s[34:35]
	v_cmp_lt_u32_e64 s[0:1], s45, v10
	v_mov_b32_e32 v37, 0
	v_mov_b32_e32 v36, 0
	s_and_saveexec_b64 s[34:35], s[0:1]
	s_cbranch_execz .LBB268_105
; %bb.100:                              ;   in Loop: Header=BB268_9 Depth=1
	v_lshrrev_b32_e32 v2, 24, v10
	v_cmp_ne_u32_e64 s[0:1], s42, v2
	v_bfrev_b32_e32 v36, 1
	s_and_saveexec_b64 s[36:37], s[0:1]
	s_cbranch_execz .LBB268_104
; %bb.101:                              ;   in Loop: Header=BB268_9 Depth=1
	v_and_b32_e32 v10, 0x7f, v2
	v_cmp_ne_u32_e64 s[0:1], s43, v10
	v_mov_b32_e32 v36, 0x7c010000
	s_and_saveexec_b64 s[38:39], s[0:1]
	s_cbranch_execz .LBB268_103
; %bb.102:                              ;   in Loop: Header=BB268_9 Depth=1
	v_and_b32_e32 v36, 7, v2
	v_ffbh_u32_e32 v38, v36
	v_min_u32_e32 v41, 32, v38
	v_subrev_u32_e32 v38, 28, v41
	v_lshlrev_b64 v[38:39], v38, v[2:3]
	v_lshrrev_b32_e32 v40, 3, v10
	v_sub_u32_e32 v39, 29, v41
	v_cmp_gt_u32_e64 s[0:1], 8, v10
	v_lshlrev_b32_e32 v2, 8, v2
	v_and_b32_e32 v38, 7, v38
	v_cndmask_b32_e64 v10, v40, v39, s[0:1]
	v_lshl_add_u32 v10, v10, 10, v17
	v_and_or_b32 v2, v2, s44, v10
	v_cndmask_b32_e64 v36, v36, v38, s[0:1]
	v_lshlrev_b32_e32 v2, 16, v2
	v_lshl_or_b32 v36, v36, 23, v2
.LBB268_103:                            ;   in Loop: Header=BB268_9 Depth=1
	s_or_b64 exec, exec, s[38:39]
.LBB268_104:                            ;   in Loop: Header=BB268_9 Depth=1
	s_or_b64 exec, exec, s[36:37]
.LBB268_105:                            ;   in Loop: Header=BB268_9 Depth=1
	s_or_b64 exec, exec, s[34:35]
	global_load_dword v10, v[8:9], off offset:1024
	s_waitcnt vmcnt(0)
	v_cmp_ne_u16_sdwa s[0:1], v10, v3 src0_sel:BYTE_0 src1_sel:DWORD
	s_and_saveexec_b64 s[34:35], s[0:1]
	s_cbranch_execz .LBB268_111
; %bb.106:                              ;   in Loop: Header=BB268_9 Depth=1
	v_cmp_ne_u16_sdwa s[0:1], v10, s42 src0_sel:BYTE_0 src1_sel:DWORD
	v_mov_b32_e32 v37, 0x8000
	s_and_saveexec_b64 s[36:37], s[0:1]
	s_cbranch_execz .LBB268_110
; %bb.107:                              ;   in Loop: Header=BB268_9 Depth=1
	v_and_b32_e32 v2, 0x7f, v10
	v_cmp_ne_u32_e64 s[0:1], s43, v2
	v_mov_b32_e32 v37, 0x7c01
	s_and_saveexec_b64 s[38:39], s[0:1]
	s_cbranch_execz .LBB268_109
; %bb.108:                              ;   in Loop: Header=BB268_9 Depth=1
	v_and_b32_e32 v37, 7, v10
	v_ffbh_u32_e32 v38, v37
	v_min_u32_e32 v41, 32, v38
	v_subrev_u32_e32 v38, 28, v41
	v_lshlrev_b64 v[38:39], v38, v[10:11]
	v_lshrrev_b32_e32 v40, 3, v2
	v_sub_u32_e32 v39, 29, v41
	v_cmp_gt_u32_e64 s[0:1], 8, v2
	v_and_b32_e32 v38, 7, v38
	s_nop 0
	v_cndmask_b32_e64 v2, v40, v39, s[0:1]
	v_lshl_add_u32 v2, v2, 10, v17
	v_lshlrev_b32_e32 v39, 8, v10
	v_and_b32_e32 v2, 0xfc00, v2
	v_cndmask_b32_e64 v37, v37, v38, s[0:1]
	v_and_or_b32 v2, v39, s44, v2
	v_lshl_or_b32 v37, v37, 7, v2
.LBB268_109:                            ;   in Loop: Header=BB268_9 Depth=1
	s_or_b64 exec, exec, s[38:39]
.LBB268_110:                            ;   in Loop: Header=BB268_9 Depth=1
	s_or_b64 exec, exec, s[36:37]
.LBB268_111:                            ;   in Loop: Header=BB268_9 Depth=1
	s_or_b64 exec, exec, s[34:35]
	v_lshrrev_b16_e32 v2, 8, v10
	v_cmp_ne_u16_e64 s[0:1], 0, v2
	v_mov_b32_e32 v38, 0
	v_mov_b32_e32 v39, 0
	s_and_saveexec_b64 s[34:35], s[0:1]
	s_cbranch_execz .LBB268_117
; %bb.112:                              ;   in Loop: Header=BB268_9 Depth=1
	v_cmp_ne_u16_e64 s[0:1], s42, v2
	v_bfrev_b32_e32 v39, 1
	s_and_saveexec_b64 s[36:37], s[0:1]
	s_cbranch_execz .LBB268_116
; %bb.113:                              ;   in Loop: Header=BB268_9 Depth=1
	v_and_b32_e32 v40, 0x7f, v2
	v_cmp_ne_u32_e64 s[0:1], s43, v40
	v_mov_b32_e32 v39, 0x7c010000
	s_and_saveexec_b64 s[38:39], s[0:1]
	s_cbranch_execz .LBB268_115
; %bb.114:                              ;   in Loop: Header=BB268_9 Depth=1
	v_and_b32_e32 v39, 7, v2
	v_ffbh_u32_e32 v42, v39
	v_min_u32_e32 v44, 32, v42
	v_subrev_u32_e32 v42, 28, v44
	v_lshlrev_b64 v[42:43], v42, v[2:3]
	v_lshrrev_b32_e32 v41, 3, v40
	v_sub_u32_e32 v43, 29, v44
	v_cmp_gt_u32_e64 s[0:1], 8, v40
	v_lshlrev_b32_e32 v2, 8, v2
	s_nop 0
	v_cndmask_b32_e64 v40, v41, v43, s[0:1]
	v_lshl_add_u32 v40, v40, 10, v17
	v_and_b32_e32 v41, 7, v42
	v_and_or_b32 v2, v2, s44, v40
	v_cndmask_b32_e64 v39, v39, v41, s[0:1]
	v_lshlrev_b32_e32 v2, 16, v2
	v_lshl_or_b32 v39, v39, 23, v2
.LBB268_115:                            ;   in Loop: Header=BB268_9 Depth=1
	s_or_b64 exec, exec, s[38:39]
.LBB268_116:                            ;   in Loop: Header=BB268_9 Depth=1
	s_or_b64 exec, exec, s[36:37]
.LBB268_117:                            ;   in Loop: Header=BB268_9 Depth=1
	s_or_b64 exec, exec, s[34:35]
	v_lshrrev_b32_e32 v2, 16, v10
	v_cmp_ne_u16_sdwa s[0:1], v2, v3 src0_sel:BYTE_0 src1_sel:DWORD
	s_and_saveexec_b64 s[34:35], s[0:1]
	s_cbranch_execz .LBB268_123
; %bb.118:                              ;   in Loop: Header=BB268_9 Depth=1
	v_cmp_ne_u16_sdwa s[0:1], v2, s42 src0_sel:BYTE_0 src1_sel:DWORD
	v_mov_b32_e32 v38, 0x8000
	s_and_saveexec_b64 s[36:37], s[0:1]
	s_cbranch_execz .LBB268_122
; %bb.119:                              ;   in Loop: Header=BB268_9 Depth=1
	v_bfe_u32 v40, v10, 16, 7
	v_cmp_ne_u32_e64 s[0:1], s43, v40
	v_mov_b32_e32 v38, 0x7c01
	s_and_saveexec_b64 s[38:39], s[0:1]
	s_cbranch_execz .LBB268_121
; %bb.120:                              ;   in Loop: Header=BB268_9 Depth=1
	v_and_b32_e32 v38, 7, v2
	v_ffbh_u32_e32 v42, v38
	v_min_u32_e32 v44, 32, v42
	v_subrev_u32_e32 v42, 28, v44
	v_lshlrev_b64 v[42:43], v42, v[2:3]
	v_lshrrev_b32_e32 v41, 3, v40
	v_sub_u32_e32 v43, 29, v44
	v_cmp_gt_u32_e64 s[0:1], 8, v40
	v_lshlrev_b32_e32 v2, 8, v2
	s_nop 0
	v_cndmask_b32_e64 v40, v41, v43, s[0:1]
	v_lshl_add_u32 v40, v40, 10, v17
	v_and_b32_e32 v41, 7, v42
	v_and_b32_e32 v40, 0xfc00, v40
	v_cndmask_b32_e64 v38, v38, v41, s[0:1]
	v_and_or_b32 v2, v2, s44, v40
	v_lshl_or_b32 v38, v38, 7, v2
.LBB268_121:                            ;   in Loop: Header=BB268_9 Depth=1
	s_or_b64 exec, exec, s[38:39]
.LBB268_122:                            ;   in Loop: Header=BB268_9 Depth=1
	s_or_b64 exec, exec, s[36:37]
.LBB268_123:                            ;   in Loop: Header=BB268_9 Depth=1
	s_or_b64 exec, exec, s[34:35]
	v_cmp_lt_u32_e64 s[0:1], s45, v10
	v_mov_b32_e32 v41, 0
	v_mov_b32_e32 v40, 0
	s_and_saveexec_b64 s[34:35], s[0:1]
	s_cbranch_execz .LBB268_129
; %bb.124:                              ;   in Loop: Header=BB268_9 Depth=1
	v_lshrrev_b32_e32 v2, 24, v10
	v_cmp_ne_u32_e64 s[0:1], s42, v2
	v_bfrev_b32_e32 v40, 1
	s_and_saveexec_b64 s[36:37], s[0:1]
	s_cbranch_execz .LBB268_128
; %bb.125:                              ;   in Loop: Header=BB268_9 Depth=1
	v_and_b32_e32 v10, 0x7f, v2
	v_cmp_ne_u32_e64 s[0:1], s43, v10
	v_mov_b32_e32 v40, 0x7c010000
	s_and_saveexec_b64 s[38:39], s[0:1]
	s_cbranch_execz .LBB268_127
; %bb.126:                              ;   in Loop: Header=BB268_9 Depth=1
	v_and_b32_e32 v40, 7, v2
	v_ffbh_u32_e32 v42, v40
	v_min_u32_e32 v45, 32, v42
	v_subrev_u32_e32 v42, 28, v45
	v_lshlrev_b64 v[42:43], v42, v[2:3]
	v_lshrrev_b32_e32 v44, 3, v10
	v_sub_u32_e32 v43, 29, v45
	v_cmp_gt_u32_e64 s[0:1], 8, v10
	v_lshlrev_b32_e32 v2, 8, v2
	v_and_b32_e32 v42, 7, v42
	v_cndmask_b32_e64 v10, v44, v43, s[0:1]
	v_lshl_add_u32 v10, v10, 10, v17
	v_and_or_b32 v2, v2, s44, v10
	v_cndmask_b32_e64 v40, v40, v42, s[0:1]
	v_lshlrev_b32_e32 v2, 16, v2
	v_lshl_or_b32 v40, v40, 23, v2
.LBB268_127:                            ;   in Loop: Header=BB268_9 Depth=1
	s_or_b64 exec, exec, s[38:39]
.LBB268_128:                            ;   in Loop: Header=BB268_9 Depth=1
	s_or_b64 exec, exec, s[36:37]
.LBB268_129:                            ;   in Loop: Header=BB268_9 Depth=1
	s_or_b64 exec, exec, s[34:35]
	global_load_dword v10, v[8:9], off offset:1032
	s_waitcnt vmcnt(0)
	v_cmp_ne_u16_sdwa s[0:1], v10, v3 src0_sel:BYTE_0 src1_sel:DWORD
	s_and_saveexec_b64 s[34:35], s[0:1]
	s_cbranch_execz .LBB268_135
; %bb.130:                              ;   in Loop: Header=BB268_9 Depth=1
	v_cmp_ne_u16_sdwa s[0:1], v10, s42 src0_sel:BYTE_0 src1_sel:DWORD
	v_mov_b32_e32 v41, 0x8000
	s_and_saveexec_b64 s[36:37], s[0:1]
	s_cbranch_execz .LBB268_134
; %bb.131:                              ;   in Loop: Header=BB268_9 Depth=1
	v_and_b32_e32 v2, 0x7f, v10
	v_cmp_ne_u32_e64 s[0:1], s43, v2
	v_mov_b32_e32 v41, 0x7c01
	s_and_saveexec_b64 s[38:39], s[0:1]
	s_cbranch_execz .LBB268_133
; %bb.132:                              ;   in Loop: Header=BB268_9 Depth=1
	v_and_b32_e32 v41, 7, v10
	v_ffbh_u32_e32 v42, v41
	v_min_u32_e32 v45, 32, v42
	v_subrev_u32_e32 v42, 28, v45
	v_lshlrev_b64 v[42:43], v42, v[10:11]
	v_lshrrev_b32_e32 v44, 3, v2
	v_sub_u32_e32 v43, 29, v45
	v_cmp_gt_u32_e64 s[0:1], 8, v2
	v_and_b32_e32 v42, 7, v42
	s_nop 0
	v_cndmask_b32_e64 v2, v44, v43, s[0:1]
	v_lshl_add_u32 v2, v2, 10, v17
	v_lshlrev_b32_e32 v43, 8, v10
	v_and_b32_e32 v2, 0xfc00, v2
	v_cndmask_b32_e64 v41, v41, v42, s[0:1]
	v_and_or_b32 v2, v43, s44, v2
	v_lshl_or_b32 v41, v41, 7, v2
.LBB268_133:                            ;   in Loop: Header=BB268_9 Depth=1
	s_or_b64 exec, exec, s[38:39]
.LBB268_134:                            ;   in Loop: Header=BB268_9 Depth=1
	s_or_b64 exec, exec, s[36:37]
.LBB268_135:                            ;   in Loop: Header=BB268_9 Depth=1
	s_or_b64 exec, exec, s[34:35]
	v_lshrrev_b16_e32 v2, 8, v10
	v_cmp_ne_u16_e64 s[0:1], 0, v2
	v_mov_b32_e32 v42, 0
	v_mov_b32_e32 v43, 0
	s_and_saveexec_b64 s[34:35], s[0:1]
	s_cbranch_execz .LBB268_141
; %bb.136:                              ;   in Loop: Header=BB268_9 Depth=1
	v_cmp_ne_u16_e64 s[0:1], s42, v2
	v_bfrev_b32_e32 v43, 1
	s_and_saveexec_b64 s[36:37], s[0:1]
	s_cbranch_execz .LBB268_140
; %bb.137:                              ;   in Loop: Header=BB268_9 Depth=1
	v_and_b32_e32 v44, 0x7f, v2
	v_cmp_ne_u32_e64 s[0:1], s43, v44
	v_mov_b32_e32 v43, 0x7c010000
	s_and_saveexec_b64 s[38:39], s[0:1]
	s_cbranch_execz .LBB268_139
; %bb.138:                              ;   in Loop: Header=BB268_9 Depth=1
	v_and_b32_e32 v43, 7, v2
	v_ffbh_u32_e32 v46, v43
	v_min_u32_e32 v48, 32, v46
	v_subrev_u32_e32 v46, 28, v48
	v_lshlrev_b64 v[46:47], v46, v[2:3]
	v_lshrrev_b32_e32 v45, 3, v44
	v_sub_u32_e32 v47, 29, v48
	v_cmp_gt_u32_e64 s[0:1], 8, v44
	v_lshlrev_b32_e32 v2, 8, v2
	s_nop 0
	v_cndmask_b32_e64 v44, v45, v47, s[0:1]
	v_lshl_add_u32 v44, v44, 10, v17
	v_and_b32_e32 v45, 7, v46
	v_and_or_b32 v2, v2, s44, v44
	v_cndmask_b32_e64 v43, v43, v45, s[0:1]
	v_lshlrev_b32_e32 v2, 16, v2
	v_lshl_or_b32 v43, v43, 23, v2
.LBB268_139:                            ;   in Loop: Header=BB268_9 Depth=1
	s_or_b64 exec, exec, s[38:39]
.LBB268_140:                            ;   in Loop: Header=BB268_9 Depth=1
	s_or_b64 exec, exec, s[36:37]
.LBB268_141:                            ;   in Loop: Header=BB268_9 Depth=1
	s_or_b64 exec, exec, s[34:35]
	v_lshrrev_b32_e32 v2, 16, v10
	v_cmp_ne_u16_sdwa s[0:1], v2, v3 src0_sel:BYTE_0 src1_sel:DWORD
	s_and_saveexec_b64 s[34:35], s[0:1]
	s_cbranch_execz .LBB268_147
; %bb.142:                              ;   in Loop: Header=BB268_9 Depth=1
	v_cmp_ne_u16_sdwa s[0:1], v2, s42 src0_sel:BYTE_0 src1_sel:DWORD
	v_mov_b32_e32 v42, 0x8000
	s_and_saveexec_b64 s[36:37], s[0:1]
	s_cbranch_execz .LBB268_146
; %bb.143:                              ;   in Loop: Header=BB268_9 Depth=1
	v_bfe_u32 v44, v10, 16, 7
	v_cmp_ne_u32_e64 s[0:1], s43, v44
	v_mov_b32_e32 v42, 0x7c01
	s_and_saveexec_b64 s[38:39], s[0:1]
	s_cbranch_execz .LBB268_145
; %bb.144:                              ;   in Loop: Header=BB268_9 Depth=1
	v_and_b32_e32 v42, 7, v2
	v_ffbh_u32_e32 v46, v42
	v_min_u32_e32 v48, 32, v46
	v_subrev_u32_e32 v46, 28, v48
	v_lshlrev_b64 v[46:47], v46, v[2:3]
	v_lshrrev_b32_e32 v45, 3, v44
	v_sub_u32_e32 v47, 29, v48
	v_cmp_gt_u32_e64 s[0:1], 8, v44
	v_lshlrev_b32_e32 v2, 8, v2
	s_nop 0
	v_cndmask_b32_e64 v44, v45, v47, s[0:1]
	v_lshl_add_u32 v44, v44, 10, v17
	v_and_b32_e32 v45, 7, v46
	v_and_b32_e32 v44, 0xfc00, v44
	v_cndmask_b32_e64 v42, v42, v45, s[0:1]
	v_and_or_b32 v2, v2, s44, v44
	v_lshl_or_b32 v42, v42, 7, v2
.LBB268_145:                            ;   in Loop: Header=BB268_9 Depth=1
	s_or_b64 exec, exec, s[38:39]
.LBB268_146:                            ;   in Loop: Header=BB268_9 Depth=1
	s_or_b64 exec, exec, s[36:37]
.LBB268_147:                            ;   in Loop: Header=BB268_9 Depth=1
	s_or_b64 exec, exec, s[34:35]
	v_cmp_lt_u32_e64 s[0:1], s45, v10
	v_mov_b32_e32 v45, 0
	v_mov_b32_e32 v44, 0
	s_and_saveexec_b64 s[34:35], s[0:1]
	s_cbranch_execz .LBB268_153
; %bb.148:                              ;   in Loop: Header=BB268_9 Depth=1
	v_lshrrev_b32_e32 v2, 24, v10
	v_cmp_ne_u32_e64 s[0:1], s42, v2
	v_bfrev_b32_e32 v44, 1
	s_and_saveexec_b64 s[36:37], s[0:1]
	s_cbranch_execz .LBB268_152
; %bb.149:                              ;   in Loop: Header=BB268_9 Depth=1
	v_and_b32_e32 v10, 0x7f, v2
	v_cmp_ne_u32_e64 s[0:1], s43, v10
	v_mov_b32_e32 v44, 0x7c010000
	s_and_saveexec_b64 s[38:39], s[0:1]
	s_cbranch_execz .LBB268_151
; %bb.150:                              ;   in Loop: Header=BB268_9 Depth=1
	v_and_b32_e32 v44, 7, v2
	v_ffbh_u32_e32 v46, v44
	v_min_u32_e32 v49, 32, v46
	v_subrev_u32_e32 v46, 28, v49
	v_lshlrev_b64 v[46:47], v46, v[2:3]
	v_lshrrev_b32_e32 v48, 3, v10
	v_sub_u32_e32 v47, 29, v49
	v_cmp_gt_u32_e64 s[0:1], 8, v10
	v_lshlrev_b32_e32 v2, 8, v2
	v_and_b32_e32 v46, 7, v46
	v_cndmask_b32_e64 v10, v48, v47, s[0:1]
	v_lshl_add_u32 v10, v10, 10, v17
	v_and_or_b32 v2, v2, s44, v10
	v_cndmask_b32_e64 v44, v44, v46, s[0:1]
	v_lshlrev_b32_e32 v2, 16, v2
	v_lshl_or_b32 v44, v44, 23, v2
.LBB268_151:                            ;   in Loop: Header=BB268_9 Depth=1
	s_or_b64 exec, exec, s[38:39]
.LBB268_152:                            ;   in Loop: Header=BB268_9 Depth=1
	s_or_b64 exec, exec, s[36:37]
.LBB268_153:                            ;   in Loop: Header=BB268_9 Depth=1
	s_or_b64 exec, exec, s[34:35]
	global_load_dword v10, v[8:9], off offset:1536
	s_waitcnt vmcnt(0)
	v_cmp_ne_u16_sdwa s[0:1], v10, v3 src0_sel:BYTE_0 src1_sel:DWORD
	s_and_saveexec_b64 s[34:35], s[0:1]
	s_cbranch_execz .LBB268_159
; %bb.154:                              ;   in Loop: Header=BB268_9 Depth=1
	v_cmp_ne_u16_sdwa s[0:1], v10, s42 src0_sel:BYTE_0 src1_sel:DWORD
	v_mov_b32_e32 v45, 0x8000
	s_and_saveexec_b64 s[36:37], s[0:1]
	s_cbranch_execz .LBB268_158
; %bb.155:                              ;   in Loop: Header=BB268_9 Depth=1
	v_and_b32_e32 v2, 0x7f, v10
	v_cmp_ne_u32_e64 s[0:1], s43, v2
	v_mov_b32_e32 v45, 0x7c01
	s_and_saveexec_b64 s[38:39], s[0:1]
	s_cbranch_execz .LBB268_157
; %bb.156:                              ;   in Loop: Header=BB268_9 Depth=1
	v_and_b32_e32 v45, 7, v10
	v_ffbh_u32_e32 v46, v45
	v_min_u32_e32 v49, 32, v46
	v_subrev_u32_e32 v46, 28, v49
	v_lshlrev_b64 v[46:47], v46, v[10:11]
	v_lshrrev_b32_e32 v48, 3, v2
	v_sub_u32_e32 v47, 29, v49
	v_cmp_gt_u32_e64 s[0:1], 8, v2
	v_and_b32_e32 v46, 7, v46
	s_nop 0
	v_cndmask_b32_e64 v2, v48, v47, s[0:1]
	v_lshl_add_u32 v2, v2, 10, v17
	v_lshlrev_b32_e32 v47, 8, v10
	v_and_b32_e32 v2, 0xfc00, v2
	v_cndmask_b32_e64 v45, v45, v46, s[0:1]
	v_and_or_b32 v2, v47, s44, v2
	v_lshl_or_b32 v45, v45, 7, v2
.LBB268_157:                            ;   in Loop: Header=BB268_9 Depth=1
	s_or_b64 exec, exec, s[38:39]
.LBB268_158:                            ;   in Loop: Header=BB268_9 Depth=1
	s_or_b64 exec, exec, s[36:37]
.LBB268_159:                            ;   in Loop: Header=BB268_9 Depth=1
	s_or_b64 exec, exec, s[34:35]
	v_lshrrev_b16_e32 v2, 8, v10
	v_cmp_ne_u16_e64 s[0:1], 0, v2
	v_mov_b32_e32 v46, 0
	v_mov_b32_e32 v47, 0
	s_and_saveexec_b64 s[34:35], s[0:1]
	s_cbranch_execz .LBB268_165
; %bb.160:                              ;   in Loop: Header=BB268_9 Depth=1
	v_cmp_ne_u16_e64 s[0:1], s42, v2
	v_bfrev_b32_e32 v47, 1
	s_and_saveexec_b64 s[36:37], s[0:1]
	s_cbranch_execz .LBB268_164
; %bb.161:                              ;   in Loop: Header=BB268_9 Depth=1
	v_and_b32_e32 v48, 0x7f, v2
	v_cmp_ne_u32_e64 s[0:1], s43, v48
	v_mov_b32_e32 v47, 0x7c010000
	s_and_saveexec_b64 s[38:39], s[0:1]
	s_cbranch_execz .LBB268_163
; %bb.162:                              ;   in Loop: Header=BB268_9 Depth=1
	v_and_b32_e32 v47, 7, v2
	v_ffbh_u32_e32 v50, v47
	v_min_u32_e32 v52, 32, v50
	v_subrev_u32_e32 v50, 28, v52
	v_lshlrev_b64 v[50:51], v50, v[2:3]
	v_lshrrev_b32_e32 v49, 3, v48
	v_sub_u32_e32 v51, 29, v52
	v_cmp_gt_u32_e64 s[0:1], 8, v48
	v_lshlrev_b32_e32 v2, 8, v2
	s_nop 0
	v_cndmask_b32_e64 v48, v49, v51, s[0:1]
	v_lshl_add_u32 v48, v48, 10, v17
	v_and_b32_e32 v49, 7, v50
	v_and_or_b32 v2, v2, s44, v48
	v_cndmask_b32_e64 v47, v47, v49, s[0:1]
	v_lshlrev_b32_e32 v2, 16, v2
	v_lshl_or_b32 v47, v47, 23, v2
.LBB268_163:                            ;   in Loop: Header=BB268_9 Depth=1
	s_or_b64 exec, exec, s[38:39]
.LBB268_164:                            ;   in Loop: Header=BB268_9 Depth=1
	s_or_b64 exec, exec, s[36:37]
.LBB268_165:                            ;   in Loop: Header=BB268_9 Depth=1
	s_or_b64 exec, exec, s[34:35]
	v_lshrrev_b32_e32 v2, 16, v10
	v_cmp_ne_u16_sdwa s[0:1], v2, v3 src0_sel:BYTE_0 src1_sel:DWORD
	s_and_saveexec_b64 s[34:35], s[0:1]
	s_cbranch_execz .LBB268_171
; %bb.166:                              ;   in Loop: Header=BB268_9 Depth=1
	v_cmp_ne_u16_sdwa s[0:1], v2, s42 src0_sel:BYTE_0 src1_sel:DWORD
	v_mov_b32_e32 v46, 0x8000
	s_and_saveexec_b64 s[36:37], s[0:1]
	s_cbranch_execz .LBB268_170
; %bb.167:                              ;   in Loop: Header=BB268_9 Depth=1
	v_bfe_u32 v48, v10, 16, 7
	v_cmp_ne_u32_e64 s[0:1], s43, v48
	v_mov_b32_e32 v46, 0x7c01
	s_and_saveexec_b64 s[38:39], s[0:1]
	s_cbranch_execz .LBB268_169
; %bb.168:                              ;   in Loop: Header=BB268_9 Depth=1
	v_and_b32_e32 v46, 7, v2
	v_ffbh_u32_e32 v50, v46
	v_min_u32_e32 v52, 32, v50
	v_subrev_u32_e32 v50, 28, v52
	v_lshlrev_b64 v[50:51], v50, v[2:3]
	v_lshrrev_b32_e32 v49, 3, v48
	v_sub_u32_e32 v51, 29, v52
	v_cmp_gt_u32_e64 s[0:1], 8, v48
	v_lshlrev_b32_e32 v2, 8, v2
	s_nop 0
	v_cndmask_b32_e64 v48, v49, v51, s[0:1]
	v_lshl_add_u32 v48, v48, 10, v17
	v_and_b32_e32 v49, 7, v50
	v_and_b32_e32 v48, 0xfc00, v48
	v_cndmask_b32_e64 v46, v46, v49, s[0:1]
	v_and_or_b32 v2, v2, s44, v48
	v_lshl_or_b32 v46, v46, 7, v2
.LBB268_169:                            ;   in Loop: Header=BB268_9 Depth=1
	s_or_b64 exec, exec, s[38:39]
.LBB268_170:                            ;   in Loop: Header=BB268_9 Depth=1
	s_or_b64 exec, exec, s[36:37]
.LBB268_171:                            ;   in Loop: Header=BB268_9 Depth=1
	s_or_b64 exec, exec, s[34:35]
	v_cmp_lt_u32_e64 s[0:1], s45, v10
	v_mov_b32_e32 v49, 0
	v_mov_b32_e32 v48, 0
	s_and_saveexec_b64 s[34:35], s[0:1]
	s_cbranch_execz .LBB268_177
; %bb.172:                              ;   in Loop: Header=BB268_9 Depth=1
	v_lshrrev_b32_e32 v2, 24, v10
	v_cmp_ne_u32_e64 s[0:1], s42, v2
	v_bfrev_b32_e32 v48, 1
	s_and_saveexec_b64 s[36:37], s[0:1]
	s_cbranch_execz .LBB268_176
; %bb.173:                              ;   in Loop: Header=BB268_9 Depth=1
	v_and_b32_e32 v10, 0x7f, v2
	v_cmp_ne_u32_e64 s[0:1], s43, v10
	v_mov_b32_e32 v48, 0x7c010000
	s_and_saveexec_b64 s[38:39], s[0:1]
	s_cbranch_execz .LBB268_175
; %bb.174:                              ;   in Loop: Header=BB268_9 Depth=1
	v_and_b32_e32 v48, 7, v2
	v_ffbh_u32_e32 v50, v48
	v_min_u32_e32 v53, 32, v50
	v_subrev_u32_e32 v50, 28, v53
	v_lshlrev_b64 v[50:51], v50, v[2:3]
	v_lshrrev_b32_e32 v52, 3, v10
	v_sub_u32_e32 v51, 29, v53
	v_cmp_gt_u32_e64 s[0:1], 8, v10
	v_lshlrev_b32_e32 v2, 8, v2
	v_and_b32_e32 v50, 7, v50
	v_cndmask_b32_e64 v10, v52, v51, s[0:1]
	v_lshl_add_u32 v10, v10, 10, v17
	v_and_or_b32 v2, v2, s44, v10
	v_cndmask_b32_e64 v48, v48, v50, s[0:1]
	v_lshlrev_b32_e32 v2, 16, v2
	v_lshl_or_b32 v48, v48, 23, v2
.LBB268_175:                            ;   in Loop: Header=BB268_9 Depth=1
	s_or_b64 exec, exec, s[38:39]
.LBB268_176:                            ;   in Loop: Header=BB268_9 Depth=1
	s_or_b64 exec, exec, s[36:37]
.LBB268_177:                            ;   in Loop: Header=BB268_9 Depth=1
	s_or_b64 exec, exec, s[34:35]
	global_load_dword v10, v[8:9], off offset:1544
	s_waitcnt vmcnt(0)
	v_cmp_ne_u16_sdwa s[0:1], v10, v3 src0_sel:BYTE_0 src1_sel:DWORD
	s_and_saveexec_b64 s[34:35], s[0:1]
	s_cbranch_execz .LBB268_183
; %bb.178:                              ;   in Loop: Header=BB268_9 Depth=1
	v_cmp_ne_u16_sdwa s[0:1], v10, s42 src0_sel:BYTE_0 src1_sel:DWORD
	v_mov_b32_e32 v49, 0x8000
	s_and_saveexec_b64 s[36:37], s[0:1]
	s_cbranch_execz .LBB268_182
; %bb.179:                              ;   in Loop: Header=BB268_9 Depth=1
	v_and_b32_e32 v2, 0x7f, v10
	v_cmp_ne_u32_e64 s[0:1], s43, v2
	v_mov_b32_e32 v49, 0x7c01
	s_and_saveexec_b64 s[38:39], s[0:1]
	s_cbranch_execz .LBB268_181
; %bb.180:                              ;   in Loop: Header=BB268_9 Depth=1
	v_and_b32_e32 v49, 7, v10
	v_ffbh_u32_e32 v50, v49
	v_min_u32_e32 v53, 32, v50
	v_subrev_u32_e32 v50, 28, v53
	v_lshlrev_b64 v[50:51], v50, v[10:11]
	v_lshrrev_b32_e32 v52, 3, v2
	v_sub_u32_e32 v51, 29, v53
	v_cmp_gt_u32_e64 s[0:1], 8, v2
	v_and_b32_e32 v50, 7, v50
	s_nop 0
	v_cndmask_b32_e64 v2, v52, v51, s[0:1]
	v_lshl_add_u32 v2, v2, 10, v17
	v_lshlrev_b32_e32 v51, 8, v10
	v_and_b32_e32 v2, 0xfc00, v2
	v_cndmask_b32_e64 v49, v49, v50, s[0:1]
	v_and_or_b32 v2, v51, s44, v2
	v_lshl_or_b32 v49, v49, 7, v2
.LBB268_181:                            ;   in Loop: Header=BB268_9 Depth=1
	s_or_b64 exec, exec, s[38:39]
.LBB268_182:                            ;   in Loop: Header=BB268_9 Depth=1
	s_or_b64 exec, exec, s[36:37]
.LBB268_183:                            ;   in Loop: Header=BB268_9 Depth=1
	s_or_b64 exec, exec, s[34:35]
	v_lshrrev_b16_e32 v2, 8, v10
	v_cmp_ne_u16_e64 s[0:1], 0, v2
	v_mov_b32_e32 v50, 0
	v_mov_b32_e32 v51, 0
	s_and_saveexec_b64 s[34:35], s[0:1]
	s_cbranch_execz .LBB268_189
; %bb.184:                              ;   in Loop: Header=BB268_9 Depth=1
	v_cmp_ne_u16_e64 s[0:1], s42, v2
	v_bfrev_b32_e32 v51, 1
	s_and_saveexec_b64 s[36:37], s[0:1]
	s_cbranch_execz .LBB268_188
; %bb.185:                              ;   in Loop: Header=BB268_9 Depth=1
	v_and_b32_e32 v52, 0x7f, v2
	v_cmp_ne_u32_e64 s[0:1], s43, v52
	v_mov_b32_e32 v51, 0x7c010000
	s_and_saveexec_b64 s[38:39], s[0:1]
	s_cbranch_execz .LBB268_187
; %bb.186:                              ;   in Loop: Header=BB268_9 Depth=1
	v_and_b32_e32 v51, 7, v2
	v_ffbh_u32_e32 v54, v51
	v_min_u32_e32 v56, 32, v54
	v_subrev_u32_e32 v54, 28, v56
	v_lshlrev_b64 v[54:55], v54, v[2:3]
	v_lshrrev_b32_e32 v53, 3, v52
	v_sub_u32_e32 v55, 29, v56
	v_cmp_gt_u32_e64 s[0:1], 8, v52
	v_lshlrev_b32_e32 v2, 8, v2
	s_nop 0
	v_cndmask_b32_e64 v52, v53, v55, s[0:1]
	v_lshl_add_u32 v52, v52, 10, v17
	v_and_b32_e32 v53, 7, v54
	v_and_or_b32 v2, v2, s44, v52
	v_cndmask_b32_e64 v51, v51, v53, s[0:1]
	v_lshlrev_b32_e32 v2, 16, v2
	v_lshl_or_b32 v51, v51, 23, v2
.LBB268_187:                            ;   in Loop: Header=BB268_9 Depth=1
	s_or_b64 exec, exec, s[38:39]
.LBB268_188:                            ;   in Loop: Header=BB268_9 Depth=1
	s_or_b64 exec, exec, s[36:37]
.LBB268_189:                            ;   in Loop: Header=BB268_9 Depth=1
	s_or_b64 exec, exec, s[34:35]
	v_lshrrev_b32_e32 v2, 16, v10
	v_cmp_ne_u16_sdwa s[0:1], v2, v3 src0_sel:BYTE_0 src1_sel:DWORD
	s_and_saveexec_b64 s[34:35], s[0:1]
	s_cbranch_execz .LBB268_195
; %bb.190:                              ;   in Loop: Header=BB268_9 Depth=1
	v_cmp_ne_u16_sdwa s[0:1], v2, s42 src0_sel:BYTE_0 src1_sel:DWORD
	v_mov_b32_e32 v50, 0x8000
	s_and_saveexec_b64 s[36:37], s[0:1]
	s_cbranch_execz .LBB268_194
; %bb.191:                              ;   in Loop: Header=BB268_9 Depth=1
	v_bfe_u32 v52, v10, 16, 7
	v_cmp_ne_u32_e64 s[0:1], s43, v52
	v_mov_b32_e32 v50, 0x7c01
	s_and_saveexec_b64 s[38:39], s[0:1]
	s_cbranch_execz .LBB268_193
; %bb.192:                              ;   in Loop: Header=BB268_9 Depth=1
	v_and_b32_e32 v50, 7, v2
	v_ffbh_u32_e32 v54, v50
	v_min_u32_e32 v56, 32, v54
	v_subrev_u32_e32 v54, 28, v56
	v_lshlrev_b64 v[54:55], v54, v[2:3]
	v_lshrrev_b32_e32 v53, 3, v52
	v_sub_u32_e32 v55, 29, v56
	v_cmp_gt_u32_e64 s[0:1], 8, v52
	v_lshlrev_b32_e32 v2, 8, v2
	s_nop 0
	v_cndmask_b32_e64 v52, v53, v55, s[0:1]
	v_lshl_add_u32 v52, v52, 10, v17
	v_and_b32_e32 v53, 7, v54
	v_and_b32_e32 v52, 0xfc00, v52
	v_cndmask_b32_e64 v50, v50, v53, s[0:1]
	v_and_or_b32 v2, v2, s44, v52
	v_lshl_or_b32 v50, v50, 7, v2
.LBB268_193:                            ;   in Loop: Header=BB268_9 Depth=1
	s_or_b64 exec, exec, s[38:39]
.LBB268_194:                            ;   in Loop: Header=BB268_9 Depth=1
	s_or_b64 exec, exec, s[36:37]
.LBB268_195:                            ;   in Loop: Header=BB268_9 Depth=1
	s_or_b64 exec, exec, s[34:35]
	v_cmp_lt_u32_e64 s[0:1], s45, v10
	v_mov_b32_e32 v53, 0
	v_mov_b32_e32 v52, 0
	s_and_saveexec_b64 s[34:35], s[0:1]
	s_cbranch_execz .LBB268_201
; %bb.196:                              ;   in Loop: Header=BB268_9 Depth=1
	v_lshrrev_b32_e32 v2, 24, v10
	v_cmp_ne_u32_e64 s[0:1], s42, v2
	v_bfrev_b32_e32 v52, 1
	s_and_saveexec_b64 s[36:37], s[0:1]
	s_cbranch_execz .LBB268_200
; %bb.197:                              ;   in Loop: Header=BB268_9 Depth=1
	v_and_b32_e32 v10, 0x7f, v2
	v_cmp_ne_u32_e64 s[0:1], s43, v10
	v_mov_b32_e32 v52, 0x7c010000
	s_and_saveexec_b64 s[38:39], s[0:1]
	s_cbranch_execz .LBB268_199
; %bb.198:                              ;   in Loop: Header=BB268_9 Depth=1
	v_and_b32_e32 v52, 7, v2
	v_ffbh_u32_e32 v54, v52
	v_min_u32_e32 v57, 32, v54
	v_subrev_u32_e32 v54, 28, v57
	v_lshlrev_b64 v[54:55], v54, v[2:3]
	v_lshrrev_b32_e32 v56, 3, v10
	v_sub_u32_e32 v55, 29, v57
	v_cmp_gt_u32_e64 s[0:1], 8, v10
	v_lshlrev_b32_e32 v2, 8, v2
	v_and_b32_e32 v54, 7, v54
	v_cndmask_b32_e64 v10, v56, v55, s[0:1]
	v_lshl_add_u32 v10, v10, 10, v17
	v_and_or_b32 v2, v2, s44, v10
	v_cndmask_b32_e64 v52, v52, v54, s[0:1]
	v_lshlrev_b32_e32 v2, 16, v2
	v_lshl_or_b32 v52, v52, 23, v2
.LBB268_199:                            ;   in Loop: Header=BB268_9 Depth=1
	s_or_b64 exec, exec, s[38:39]
.LBB268_200:                            ;   in Loop: Header=BB268_9 Depth=1
	s_or_b64 exec, exec, s[36:37]
.LBB268_201:                            ;   in Loop: Header=BB268_9 Depth=1
	s_or_b64 exec, exec, s[34:35]
	global_load_dword v10, v[8:9], off offset:2048
	s_waitcnt vmcnt(0)
	v_cmp_ne_u16_sdwa s[0:1], v10, v3 src0_sel:BYTE_0 src1_sel:DWORD
	s_and_saveexec_b64 s[34:35], s[0:1]
	s_cbranch_execz .LBB268_207
; %bb.202:                              ;   in Loop: Header=BB268_9 Depth=1
	v_cmp_ne_u16_sdwa s[0:1], v10, s42 src0_sel:BYTE_0 src1_sel:DWORD
	v_mov_b32_e32 v53, 0x8000
	s_and_saveexec_b64 s[36:37], s[0:1]
	s_cbranch_execz .LBB268_206
; %bb.203:                              ;   in Loop: Header=BB268_9 Depth=1
	v_and_b32_e32 v2, 0x7f, v10
	v_cmp_ne_u32_e64 s[0:1], s43, v2
	v_mov_b32_e32 v53, 0x7c01
	s_and_saveexec_b64 s[38:39], s[0:1]
	s_cbranch_execz .LBB268_205
; %bb.204:                              ;   in Loop: Header=BB268_9 Depth=1
	v_and_b32_e32 v53, 7, v10
	v_ffbh_u32_e32 v54, v53
	v_min_u32_e32 v57, 32, v54
	v_subrev_u32_e32 v54, 28, v57
	v_lshlrev_b64 v[54:55], v54, v[10:11]
	v_lshrrev_b32_e32 v56, 3, v2
	v_sub_u32_e32 v55, 29, v57
	v_cmp_gt_u32_e64 s[0:1], 8, v2
	v_and_b32_e32 v54, 7, v54
	s_nop 0
	v_cndmask_b32_e64 v2, v56, v55, s[0:1]
	v_lshl_add_u32 v2, v2, 10, v17
	v_lshlrev_b32_e32 v55, 8, v10
	v_and_b32_e32 v2, 0xfc00, v2
	v_cndmask_b32_e64 v53, v53, v54, s[0:1]
	v_and_or_b32 v2, v55, s44, v2
	v_lshl_or_b32 v53, v53, 7, v2
.LBB268_205:                            ;   in Loop: Header=BB268_9 Depth=1
	s_or_b64 exec, exec, s[38:39]
.LBB268_206:                            ;   in Loop: Header=BB268_9 Depth=1
	s_or_b64 exec, exec, s[36:37]
.LBB268_207:                            ;   in Loop: Header=BB268_9 Depth=1
	s_or_b64 exec, exec, s[34:35]
	v_lshrrev_b16_e32 v2, 8, v10
	v_cmp_ne_u16_e64 s[0:1], 0, v2
	v_mov_b32_e32 v54, 0
	v_mov_b32_e32 v55, 0
	s_and_saveexec_b64 s[34:35], s[0:1]
	s_cbranch_execz .LBB268_213
; %bb.208:                              ;   in Loop: Header=BB268_9 Depth=1
	v_cmp_ne_u16_e64 s[0:1], s42, v2
	v_bfrev_b32_e32 v55, 1
	s_and_saveexec_b64 s[36:37], s[0:1]
	s_cbranch_execz .LBB268_212
; %bb.209:                              ;   in Loop: Header=BB268_9 Depth=1
	v_and_b32_e32 v56, 0x7f, v2
	v_cmp_ne_u32_e64 s[0:1], s43, v56
	v_mov_b32_e32 v55, 0x7c010000
	s_and_saveexec_b64 s[38:39], s[0:1]
	s_cbranch_execz .LBB268_211
; %bb.210:                              ;   in Loop: Header=BB268_9 Depth=1
	v_and_b32_e32 v55, 7, v2
	v_ffbh_u32_e32 v58, v55
	v_min_u32_e32 v60, 32, v58
	v_subrev_u32_e32 v58, 28, v60
	v_lshlrev_b64 v[58:59], v58, v[2:3]
	v_lshrrev_b32_e32 v57, 3, v56
	v_sub_u32_e32 v59, 29, v60
	v_cmp_gt_u32_e64 s[0:1], 8, v56
	v_lshlrev_b32_e32 v2, 8, v2
	s_nop 0
	v_cndmask_b32_e64 v56, v57, v59, s[0:1]
	v_lshl_add_u32 v56, v56, 10, v17
	v_and_b32_e32 v57, 7, v58
	v_and_or_b32 v2, v2, s44, v56
	v_cndmask_b32_e64 v55, v55, v57, s[0:1]
	v_lshlrev_b32_e32 v2, 16, v2
	v_lshl_or_b32 v55, v55, 23, v2
.LBB268_211:                            ;   in Loop: Header=BB268_9 Depth=1
	s_or_b64 exec, exec, s[38:39]
.LBB268_212:                            ;   in Loop: Header=BB268_9 Depth=1
	s_or_b64 exec, exec, s[36:37]
.LBB268_213:                            ;   in Loop: Header=BB268_9 Depth=1
	s_or_b64 exec, exec, s[34:35]
	v_lshrrev_b32_e32 v2, 16, v10
	v_cmp_ne_u16_sdwa s[0:1], v2, v3 src0_sel:BYTE_0 src1_sel:DWORD
	s_and_saveexec_b64 s[34:35], s[0:1]
	s_cbranch_execz .LBB268_219
; %bb.214:                              ;   in Loop: Header=BB268_9 Depth=1
	v_cmp_ne_u16_sdwa s[0:1], v2, s42 src0_sel:BYTE_0 src1_sel:DWORD
	v_mov_b32_e32 v54, 0x8000
	s_and_saveexec_b64 s[36:37], s[0:1]
	s_cbranch_execz .LBB268_218
; %bb.215:                              ;   in Loop: Header=BB268_9 Depth=1
	v_bfe_u32 v56, v10, 16, 7
	v_cmp_ne_u32_e64 s[0:1], s43, v56
	v_mov_b32_e32 v54, 0x7c01
	s_and_saveexec_b64 s[38:39], s[0:1]
	s_cbranch_execz .LBB268_217
; %bb.216:                              ;   in Loop: Header=BB268_9 Depth=1
	v_and_b32_e32 v54, 7, v2
	v_ffbh_u32_e32 v58, v54
	v_min_u32_e32 v60, 32, v58
	v_subrev_u32_e32 v58, 28, v60
	v_lshlrev_b64 v[58:59], v58, v[2:3]
	v_lshrrev_b32_e32 v57, 3, v56
	v_sub_u32_e32 v59, 29, v60
	v_cmp_gt_u32_e64 s[0:1], 8, v56
	v_lshlrev_b32_e32 v2, 8, v2
	s_nop 0
	v_cndmask_b32_e64 v56, v57, v59, s[0:1]
	v_lshl_add_u32 v56, v56, 10, v17
	v_and_b32_e32 v57, 7, v58
	v_and_b32_e32 v56, 0xfc00, v56
	v_cndmask_b32_e64 v54, v54, v57, s[0:1]
	v_and_or_b32 v2, v2, s44, v56
	v_lshl_or_b32 v54, v54, 7, v2
.LBB268_217:                            ;   in Loop: Header=BB268_9 Depth=1
	s_or_b64 exec, exec, s[38:39]
.LBB268_218:                            ;   in Loop: Header=BB268_9 Depth=1
	s_or_b64 exec, exec, s[36:37]
.LBB268_219:                            ;   in Loop: Header=BB268_9 Depth=1
	s_or_b64 exec, exec, s[34:35]
	v_cmp_lt_u32_e64 s[0:1], s45, v10
	v_mov_b32_e32 v57, 0
	v_mov_b32_e32 v56, 0
	s_and_saveexec_b64 s[34:35], s[0:1]
	s_cbranch_execz .LBB268_225
; %bb.220:                              ;   in Loop: Header=BB268_9 Depth=1
	v_lshrrev_b32_e32 v2, 24, v10
	v_cmp_ne_u32_e64 s[0:1], s42, v2
	v_bfrev_b32_e32 v56, 1
	s_and_saveexec_b64 s[36:37], s[0:1]
	s_cbranch_execz .LBB268_224
; %bb.221:                              ;   in Loop: Header=BB268_9 Depth=1
	v_and_b32_e32 v10, 0x7f, v2
	v_cmp_ne_u32_e64 s[0:1], s43, v10
	v_mov_b32_e32 v56, 0x7c010000
	s_and_saveexec_b64 s[38:39], s[0:1]
	s_cbranch_execz .LBB268_223
; %bb.222:                              ;   in Loop: Header=BB268_9 Depth=1
	v_and_b32_e32 v56, 7, v2
	v_ffbh_u32_e32 v58, v56
	v_min_u32_e32 v61, 32, v58
	v_subrev_u32_e32 v58, 28, v61
	v_lshlrev_b64 v[58:59], v58, v[2:3]
	v_lshrrev_b32_e32 v60, 3, v10
	v_sub_u32_e32 v59, 29, v61
	v_cmp_gt_u32_e64 s[0:1], 8, v10
	v_lshlrev_b32_e32 v2, 8, v2
	v_and_b32_e32 v58, 7, v58
	v_cndmask_b32_e64 v10, v60, v59, s[0:1]
	v_lshl_add_u32 v10, v10, 10, v17
	v_and_or_b32 v2, v2, s44, v10
	v_cndmask_b32_e64 v56, v56, v58, s[0:1]
	v_lshlrev_b32_e32 v2, 16, v2
	v_lshl_or_b32 v56, v56, 23, v2
.LBB268_223:                            ;   in Loop: Header=BB268_9 Depth=1
	s_or_b64 exec, exec, s[38:39]
.LBB268_224:                            ;   in Loop: Header=BB268_9 Depth=1
	s_or_b64 exec, exec, s[36:37]
.LBB268_225:                            ;   in Loop: Header=BB268_9 Depth=1
	s_or_b64 exec, exec, s[34:35]
	global_load_dword v10, v[8:9], off offset:2056
	s_waitcnt vmcnt(0)
	v_cmp_ne_u16_sdwa s[0:1], v10, v3 src0_sel:BYTE_0 src1_sel:DWORD
	s_and_saveexec_b64 s[34:35], s[0:1]
	s_cbranch_execz .LBB268_231
; %bb.226:                              ;   in Loop: Header=BB268_9 Depth=1
	v_cmp_ne_u16_sdwa s[0:1], v10, s42 src0_sel:BYTE_0 src1_sel:DWORD
	v_mov_b32_e32 v57, 0x8000
	s_and_saveexec_b64 s[36:37], s[0:1]
	s_cbranch_execz .LBB268_230
; %bb.227:                              ;   in Loop: Header=BB268_9 Depth=1
	v_and_b32_e32 v2, 0x7f, v10
	v_cmp_ne_u32_e64 s[0:1], s43, v2
	v_mov_b32_e32 v57, 0x7c01
	s_and_saveexec_b64 s[38:39], s[0:1]
	s_cbranch_execz .LBB268_229
; %bb.228:                              ;   in Loop: Header=BB268_9 Depth=1
	v_and_b32_e32 v57, 7, v10
	v_ffbh_u32_e32 v58, v57
	v_min_u32_e32 v61, 32, v58
	v_subrev_u32_e32 v58, 28, v61
	v_lshlrev_b64 v[58:59], v58, v[10:11]
	v_lshrrev_b32_e32 v60, 3, v2
	v_sub_u32_e32 v59, 29, v61
	v_cmp_gt_u32_e64 s[0:1], 8, v2
	v_and_b32_e32 v58, 7, v58
	s_nop 0
	v_cndmask_b32_e64 v2, v60, v59, s[0:1]
	v_lshl_add_u32 v2, v2, 10, v17
	v_lshlrev_b32_e32 v59, 8, v10
	v_and_b32_e32 v2, 0xfc00, v2
	v_cndmask_b32_e64 v57, v57, v58, s[0:1]
	v_and_or_b32 v2, v59, s44, v2
	v_lshl_or_b32 v57, v57, 7, v2
.LBB268_229:                            ;   in Loop: Header=BB268_9 Depth=1
	s_or_b64 exec, exec, s[38:39]
.LBB268_230:                            ;   in Loop: Header=BB268_9 Depth=1
	s_or_b64 exec, exec, s[36:37]
.LBB268_231:                            ;   in Loop: Header=BB268_9 Depth=1
	s_or_b64 exec, exec, s[34:35]
	v_lshrrev_b16_e32 v2, 8, v10
	v_cmp_ne_u16_e64 s[0:1], 0, v2
	v_mov_b32_e32 v58, 0
	v_mov_b32_e32 v59, 0
	s_and_saveexec_b64 s[34:35], s[0:1]
	s_cbranch_execz .LBB268_237
; %bb.232:                              ;   in Loop: Header=BB268_9 Depth=1
	v_cmp_ne_u16_e64 s[0:1], s42, v2
	v_bfrev_b32_e32 v59, 1
	s_and_saveexec_b64 s[36:37], s[0:1]
	s_cbranch_execz .LBB268_236
; %bb.233:                              ;   in Loop: Header=BB268_9 Depth=1
	v_and_b32_e32 v60, 0x7f, v2
	v_cmp_ne_u32_e64 s[0:1], s43, v60
	v_mov_b32_e32 v59, 0x7c010000
	s_and_saveexec_b64 s[38:39], s[0:1]
	s_cbranch_execz .LBB268_235
; %bb.234:                              ;   in Loop: Header=BB268_9 Depth=1
	v_and_b32_e32 v59, 7, v2
	v_ffbh_u32_e32 v62, v59
	v_min_u32_e32 v64, 32, v62
	v_subrev_u32_e32 v62, 28, v64
	v_lshlrev_b64 v[62:63], v62, v[2:3]
	v_lshrrev_b32_e32 v61, 3, v60
	v_sub_u32_e32 v63, 29, v64
	v_cmp_gt_u32_e64 s[0:1], 8, v60
	v_lshlrev_b32_e32 v2, 8, v2
	s_nop 0
	v_cndmask_b32_e64 v60, v61, v63, s[0:1]
	v_lshl_add_u32 v60, v60, 10, v17
	v_and_b32_e32 v61, 7, v62
	v_and_or_b32 v2, v2, s44, v60
	v_cndmask_b32_e64 v59, v59, v61, s[0:1]
	v_lshlrev_b32_e32 v2, 16, v2
	v_lshl_or_b32 v59, v59, 23, v2
.LBB268_235:                            ;   in Loop: Header=BB268_9 Depth=1
	s_or_b64 exec, exec, s[38:39]
.LBB268_236:                            ;   in Loop: Header=BB268_9 Depth=1
	s_or_b64 exec, exec, s[36:37]
.LBB268_237:                            ;   in Loop: Header=BB268_9 Depth=1
	s_or_b64 exec, exec, s[34:35]
	v_lshrrev_b32_e32 v2, 16, v10
	v_cmp_ne_u16_sdwa s[0:1], v2, v3 src0_sel:BYTE_0 src1_sel:DWORD
	s_and_saveexec_b64 s[34:35], s[0:1]
	s_cbranch_execz .LBB268_243
; %bb.238:                              ;   in Loop: Header=BB268_9 Depth=1
	v_cmp_ne_u16_sdwa s[0:1], v2, s42 src0_sel:BYTE_0 src1_sel:DWORD
	v_mov_b32_e32 v58, 0x8000
	s_and_saveexec_b64 s[36:37], s[0:1]
	s_cbranch_execz .LBB268_242
; %bb.239:                              ;   in Loop: Header=BB268_9 Depth=1
	v_bfe_u32 v60, v10, 16, 7
	v_cmp_ne_u32_e64 s[0:1], s43, v60
	v_mov_b32_e32 v58, 0x7c01
	s_and_saveexec_b64 s[38:39], s[0:1]
	s_cbranch_execz .LBB268_241
; %bb.240:                              ;   in Loop: Header=BB268_9 Depth=1
	v_and_b32_e32 v58, 7, v2
	v_ffbh_u32_e32 v62, v58
	v_min_u32_e32 v64, 32, v62
	v_subrev_u32_e32 v62, 28, v64
	v_lshlrev_b64 v[62:63], v62, v[2:3]
	v_lshrrev_b32_e32 v61, 3, v60
	v_sub_u32_e32 v63, 29, v64
	v_cmp_gt_u32_e64 s[0:1], 8, v60
	v_lshlrev_b32_e32 v2, 8, v2
	s_nop 0
	v_cndmask_b32_e64 v60, v61, v63, s[0:1]
	v_lshl_add_u32 v60, v60, 10, v17
	v_and_b32_e32 v61, 7, v62
	v_and_b32_e32 v60, 0xfc00, v60
	v_cndmask_b32_e64 v58, v58, v61, s[0:1]
	v_and_or_b32 v2, v2, s44, v60
	v_lshl_or_b32 v58, v58, 7, v2
.LBB268_241:                            ;   in Loop: Header=BB268_9 Depth=1
	s_or_b64 exec, exec, s[38:39]
.LBB268_242:                            ;   in Loop: Header=BB268_9 Depth=1
	s_or_b64 exec, exec, s[36:37]
.LBB268_243:                            ;   in Loop: Header=BB268_9 Depth=1
	s_or_b64 exec, exec, s[34:35]
	v_cmp_lt_u32_e64 s[0:1], s45, v10
	v_mov_b32_e32 v61, 0
	v_mov_b32_e32 v60, 0
	s_and_saveexec_b64 s[34:35], s[0:1]
	s_cbranch_execz .LBB268_249
; %bb.244:                              ;   in Loop: Header=BB268_9 Depth=1
	v_lshrrev_b32_e32 v2, 24, v10
	v_cmp_ne_u32_e64 s[0:1], s42, v2
	v_bfrev_b32_e32 v60, 1
	s_and_saveexec_b64 s[36:37], s[0:1]
	s_cbranch_execz .LBB268_248
; %bb.245:                              ;   in Loop: Header=BB268_9 Depth=1
	v_and_b32_e32 v10, 0x7f, v2
	v_cmp_ne_u32_e64 s[0:1], s43, v10
	v_mov_b32_e32 v60, 0x7c010000
	s_and_saveexec_b64 s[38:39], s[0:1]
	s_cbranch_execz .LBB268_247
; %bb.246:                              ;   in Loop: Header=BB268_9 Depth=1
	v_and_b32_e32 v60, 7, v2
	v_ffbh_u32_e32 v62, v60
	v_min_u32_e32 v65, 32, v62
	v_subrev_u32_e32 v62, 28, v65
	v_lshlrev_b64 v[62:63], v62, v[2:3]
	v_lshrrev_b32_e32 v64, 3, v10
	v_sub_u32_e32 v63, 29, v65
	v_cmp_gt_u32_e64 s[0:1], 8, v10
	v_lshlrev_b32_e32 v2, 8, v2
	v_and_b32_e32 v62, 7, v62
	v_cndmask_b32_e64 v10, v64, v63, s[0:1]
	v_lshl_add_u32 v10, v10, 10, v17
	v_and_or_b32 v2, v2, s44, v10
	v_cndmask_b32_e64 v60, v60, v62, s[0:1]
	v_lshlrev_b32_e32 v2, 16, v2
	v_lshl_or_b32 v60, v60, 23, v2
.LBB268_247:                            ;   in Loop: Header=BB268_9 Depth=1
	s_or_b64 exec, exec, s[38:39]
.LBB268_248:                            ;   in Loop: Header=BB268_9 Depth=1
	s_or_b64 exec, exec, s[36:37]
.LBB268_249:                            ;   in Loop: Header=BB268_9 Depth=1
	s_or_b64 exec, exec, s[34:35]
	global_load_dword v10, v[8:9], off offset:2560
	s_waitcnt vmcnt(0)
	v_cmp_ne_u16_sdwa s[0:1], v10, v3 src0_sel:BYTE_0 src1_sel:DWORD
	s_and_saveexec_b64 s[34:35], s[0:1]
	s_cbranch_execz .LBB268_255
; %bb.250:                              ;   in Loop: Header=BB268_9 Depth=1
	v_cmp_ne_u16_sdwa s[0:1], v10, s42 src0_sel:BYTE_0 src1_sel:DWORD
	v_mov_b32_e32 v61, 0x8000
	s_and_saveexec_b64 s[36:37], s[0:1]
	s_cbranch_execz .LBB268_254
; %bb.251:                              ;   in Loop: Header=BB268_9 Depth=1
	v_and_b32_e32 v2, 0x7f, v10
	v_cmp_ne_u32_e64 s[0:1], s43, v2
	v_mov_b32_e32 v61, 0x7c01
	s_and_saveexec_b64 s[38:39], s[0:1]
	s_cbranch_execz .LBB268_253
; %bb.252:                              ;   in Loop: Header=BB268_9 Depth=1
	v_and_b32_e32 v61, 7, v10
	v_ffbh_u32_e32 v62, v61
	v_min_u32_e32 v65, 32, v62
	v_subrev_u32_e32 v62, 28, v65
	v_lshlrev_b64 v[62:63], v62, v[10:11]
	v_lshrrev_b32_e32 v64, 3, v2
	v_sub_u32_e32 v63, 29, v65
	v_cmp_gt_u32_e64 s[0:1], 8, v2
	v_and_b32_e32 v62, 7, v62
	s_nop 0
	v_cndmask_b32_e64 v2, v64, v63, s[0:1]
	v_lshl_add_u32 v2, v2, 10, v17
	v_lshlrev_b32_e32 v63, 8, v10
	v_and_b32_e32 v2, 0xfc00, v2
	v_cndmask_b32_e64 v61, v61, v62, s[0:1]
	v_and_or_b32 v2, v63, s44, v2
	v_lshl_or_b32 v61, v61, 7, v2
.LBB268_253:                            ;   in Loop: Header=BB268_9 Depth=1
	s_or_b64 exec, exec, s[38:39]
.LBB268_254:                            ;   in Loop: Header=BB268_9 Depth=1
	s_or_b64 exec, exec, s[36:37]
.LBB268_255:                            ;   in Loop: Header=BB268_9 Depth=1
	s_or_b64 exec, exec, s[34:35]
	v_lshrrev_b16_e32 v2, 8, v10
	v_cmp_ne_u16_e64 s[0:1], 0, v2
	v_mov_b32_e32 v62, 0
	v_mov_b32_e32 v63, 0
	s_and_saveexec_b64 s[34:35], s[0:1]
	s_cbranch_execz .LBB268_261
; %bb.256:                              ;   in Loop: Header=BB268_9 Depth=1
	v_cmp_ne_u16_e64 s[0:1], s42, v2
	v_bfrev_b32_e32 v63, 1
	s_and_saveexec_b64 s[36:37], s[0:1]
	s_cbranch_execz .LBB268_260
; %bb.257:                              ;   in Loop: Header=BB268_9 Depth=1
	v_and_b32_e32 v64, 0x7f, v2
	v_cmp_ne_u32_e64 s[0:1], s43, v64
	v_mov_b32_e32 v63, 0x7c010000
	s_and_saveexec_b64 s[38:39], s[0:1]
	s_cbranch_execz .LBB268_259
; %bb.258:                              ;   in Loop: Header=BB268_9 Depth=1
	v_and_b32_e32 v63, 7, v2
	v_ffbh_u32_e32 v66, v63
	v_min_u32_e32 v68, 32, v66
	v_subrev_u32_e32 v66, 28, v68
	v_lshlrev_b64 v[66:67], v66, v[2:3]
	v_lshrrev_b32_e32 v65, 3, v64
	v_sub_u32_e32 v67, 29, v68
	v_cmp_gt_u32_e64 s[0:1], 8, v64
	v_lshlrev_b32_e32 v2, 8, v2
	s_nop 0
	v_cndmask_b32_e64 v64, v65, v67, s[0:1]
	v_lshl_add_u32 v64, v64, 10, v17
	v_and_b32_e32 v65, 7, v66
	v_and_or_b32 v2, v2, s44, v64
	v_cndmask_b32_e64 v63, v63, v65, s[0:1]
	v_lshlrev_b32_e32 v2, 16, v2
	v_lshl_or_b32 v63, v63, 23, v2
.LBB268_259:                            ;   in Loop: Header=BB268_9 Depth=1
	s_or_b64 exec, exec, s[38:39]
.LBB268_260:                            ;   in Loop: Header=BB268_9 Depth=1
	s_or_b64 exec, exec, s[36:37]
.LBB268_261:                            ;   in Loop: Header=BB268_9 Depth=1
	s_or_b64 exec, exec, s[34:35]
	v_lshrrev_b32_e32 v2, 16, v10
	v_cmp_ne_u16_sdwa s[0:1], v2, v3 src0_sel:BYTE_0 src1_sel:DWORD
	s_and_saveexec_b64 s[34:35], s[0:1]
	s_cbranch_execz .LBB268_267
; %bb.262:                              ;   in Loop: Header=BB268_9 Depth=1
	v_cmp_ne_u16_sdwa s[0:1], v2, s42 src0_sel:BYTE_0 src1_sel:DWORD
	v_mov_b32_e32 v62, 0x8000
	s_and_saveexec_b64 s[36:37], s[0:1]
	s_cbranch_execz .LBB268_266
; %bb.263:                              ;   in Loop: Header=BB268_9 Depth=1
	v_bfe_u32 v64, v10, 16, 7
	v_cmp_ne_u32_e64 s[0:1], s43, v64
	v_mov_b32_e32 v62, 0x7c01
	s_and_saveexec_b64 s[38:39], s[0:1]
	s_cbranch_execz .LBB268_265
; %bb.264:                              ;   in Loop: Header=BB268_9 Depth=1
	v_and_b32_e32 v62, 7, v2
	v_ffbh_u32_e32 v66, v62
	v_min_u32_e32 v68, 32, v66
	v_subrev_u32_e32 v66, 28, v68
	v_lshlrev_b64 v[66:67], v66, v[2:3]
	v_lshrrev_b32_e32 v65, 3, v64
	v_sub_u32_e32 v67, 29, v68
	v_cmp_gt_u32_e64 s[0:1], 8, v64
	v_lshlrev_b32_e32 v2, 8, v2
	s_nop 0
	v_cndmask_b32_e64 v64, v65, v67, s[0:1]
	v_lshl_add_u32 v64, v64, 10, v17
	v_and_b32_e32 v65, 7, v66
	v_and_b32_e32 v64, 0xfc00, v64
	v_cndmask_b32_e64 v62, v62, v65, s[0:1]
	v_and_or_b32 v2, v2, s44, v64
	v_lshl_or_b32 v62, v62, 7, v2
.LBB268_265:                            ;   in Loop: Header=BB268_9 Depth=1
	s_or_b64 exec, exec, s[38:39]
.LBB268_266:                            ;   in Loop: Header=BB268_9 Depth=1
	s_or_b64 exec, exec, s[36:37]
.LBB268_267:                            ;   in Loop: Header=BB268_9 Depth=1
	s_or_b64 exec, exec, s[34:35]
	v_cmp_lt_u32_e64 s[0:1], s45, v10
	v_mov_b32_e32 v65, 0
	v_mov_b32_e32 v64, 0
	s_and_saveexec_b64 s[34:35], s[0:1]
	s_cbranch_execz .LBB268_273
; %bb.268:                              ;   in Loop: Header=BB268_9 Depth=1
	v_lshrrev_b32_e32 v2, 24, v10
	v_cmp_ne_u32_e64 s[0:1], s42, v2
	v_bfrev_b32_e32 v64, 1
	s_and_saveexec_b64 s[36:37], s[0:1]
	s_cbranch_execz .LBB268_272
; %bb.269:                              ;   in Loop: Header=BB268_9 Depth=1
	v_and_b32_e32 v10, 0x7f, v2
	v_cmp_ne_u32_e64 s[0:1], s43, v10
	v_mov_b32_e32 v64, 0x7c010000
	s_and_saveexec_b64 s[38:39], s[0:1]
	s_cbranch_execz .LBB268_271
; %bb.270:                              ;   in Loop: Header=BB268_9 Depth=1
	v_and_b32_e32 v64, 7, v2
	v_ffbh_u32_e32 v66, v64
	v_min_u32_e32 v69, 32, v66
	v_subrev_u32_e32 v66, 28, v69
	v_lshlrev_b64 v[66:67], v66, v[2:3]
	v_lshrrev_b32_e32 v68, 3, v10
	v_sub_u32_e32 v67, 29, v69
	v_cmp_gt_u32_e64 s[0:1], 8, v10
	v_lshlrev_b32_e32 v2, 8, v2
	v_and_b32_e32 v66, 7, v66
	v_cndmask_b32_e64 v10, v68, v67, s[0:1]
	v_lshl_add_u32 v10, v10, 10, v17
	v_and_or_b32 v2, v2, s44, v10
	v_cndmask_b32_e64 v64, v64, v66, s[0:1]
	v_lshlrev_b32_e32 v2, 16, v2
	v_lshl_or_b32 v64, v64, 23, v2
.LBB268_271:                            ;   in Loop: Header=BB268_9 Depth=1
	s_or_b64 exec, exec, s[38:39]
.LBB268_272:                            ;   in Loop: Header=BB268_9 Depth=1
	s_or_b64 exec, exec, s[36:37]
.LBB268_273:                            ;   in Loop: Header=BB268_9 Depth=1
	s_or_b64 exec, exec, s[34:35]
	global_load_dword v10, v[8:9], off offset:2568
	s_waitcnt vmcnt(0)
	v_cmp_ne_u16_sdwa s[0:1], v10, v3 src0_sel:BYTE_0 src1_sel:DWORD
	s_and_saveexec_b64 s[34:35], s[0:1]
	s_cbranch_execz .LBB268_279
; %bb.274:                              ;   in Loop: Header=BB268_9 Depth=1
	v_cmp_ne_u16_sdwa s[0:1], v10, s42 src0_sel:BYTE_0 src1_sel:DWORD
	v_mov_b32_e32 v65, 0x8000
	s_and_saveexec_b64 s[36:37], s[0:1]
	s_cbranch_execz .LBB268_278
; %bb.275:                              ;   in Loop: Header=BB268_9 Depth=1
	v_and_b32_e32 v2, 0x7f, v10
	v_cmp_ne_u32_e64 s[0:1], s43, v2
	v_mov_b32_e32 v65, 0x7c01
	s_and_saveexec_b64 s[38:39], s[0:1]
	s_cbranch_execz .LBB268_277
; %bb.276:                              ;   in Loop: Header=BB268_9 Depth=1
	v_and_b32_e32 v65, 7, v10
	v_ffbh_u32_e32 v66, v65
	v_min_u32_e32 v69, 32, v66
	v_subrev_u32_e32 v66, 28, v69
	v_lshlrev_b64 v[66:67], v66, v[10:11]
	v_lshrrev_b32_e32 v68, 3, v2
	v_sub_u32_e32 v67, 29, v69
	v_cmp_gt_u32_e64 s[0:1], 8, v2
	v_and_b32_e32 v66, 7, v66
	s_nop 0
	v_cndmask_b32_e64 v2, v68, v67, s[0:1]
	v_lshl_add_u32 v2, v2, 10, v17
	v_lshlrev_b32_e32 v67, 8, v10
	v_and_b32_e32 v2, 0xfc00, v2
	v_cndmask_b32_e64 v65, v65, v66, s[0:1]
	v_and_or_b32 v2, v67, s44, v2
	v_lshl_or_b32 v65, v65, 7, v2
.LBB268_277:                            ;   in Loop: Header=BB268_9 Depth=1
	s_or_b64 exec, exec, s[38:39]
.LBB268_278:                            ;   in Loop: Header=BB268_9 Depth=1
	s_or_b64 exec, exec, s[36:37]
.LBB268_279:                            ;   in Loop: Header=BB268_9 Depth=1
	s_or_b64 exec, exec, s[34:35]
	v_lshrrev_b16_e32 v2, 8, v10
	v_cmp_ne_u16_e64 s[0:1], 0, v2
	v_mov_b32_e32 v66, 0
	v_mov_b32_e32 v67, 0
	s_and_saveexec_b64 s[34:35], s[0:1]
	s_cbranch_execz .LBB268_285
; %bb.280:                              ;   in Loop: Header=BB268_9 Depth=1
	v_cmp_ne_u16_e64 s[0:1], s42, v2
	v_bfrev_b32_e32 v67, 1
	s_and_saveexec_b64 s[36:37], s[0:1]
	s_cbranch_execz .LBB268_284
; %bb.281:                              ;   in Loop: Header=BB268_9 Depth=1
	v_and_b32_e32 v68, 0x7f, v2
	v_cmp_ne_u32_e64 s[0:1], s43, v68
	v_mov_b32_e32 v67, 0x7c010000
	s_and_saveexec_b64 s[38:39], s[0:1]
	s_cbranch_execz .LBB268_283
; %bb.282:                              ;   in Loop: Header=BB268_9 Depth=1
	v_and_b32_e32 v67, 7, v2
	v_ffbh_u32_e32 v70, v67
	v_min_u32_e32 v72, 32, v70
	v_subrev_u32_e32 v70, 28, v72
	v_lshlrev_b64 v[70:71], v70, v[2:3]
	v_lshrrev_b32_e32 v69, 3, v68
	v_sub_u32_e32 v71, 29, v72
	v_cmp_gt_u32_e64 s[0:1], 8, v68
	v_lshlrev_b32_e32 v2, 8, v2
	s_nop 0
	v_cndmask_b32_e64 v68, v69, v71, s[0:1]
	v_lshl_add_u32 v68, v68, 10, v17
	v_and_b32_e32 v69, 7, v70
	v_and_or_b32 v2, v2, s44, v68
	v_cndmask_b32_e64 v67, v67, v69, s[0:1]
	v_lshlrev_b32_e32 v2, 16, v2
	v_lshl_or_b32 v67, v67, 23, v2
.LBB268_283:                            ;   in Loop: Header=BB268_9 Depth=1
	s_or_b64 exec, exec, s[38:39]
.LBB268_284:                            ;   in Loop: Header=BB268_9 Depth=1
	s_or_b64 exec, exec, s[36:37]
.LBB268_285:                            ;   in Loop: Header=BB268_9 Depth=1
	s_or_b64 exec, exec, s[34:35]
	v_lshrrev_b32_e32 v2, 16, v10
	v_cmp_ne_u16_sdwa s[0:1], v2, v3 src0_sel:BYTE_0 src1_sel:DWORD
	s_and_saveexec_b64 s[34:35], s[0:1]
	s_cbranch_execz .LBB268_291
; %bb.286:                              ;   in Loop: Header=BB268_9 Depth=1
	v_cmp_ne_u16_sdwa s[0:1], v2, s42 src0_sel:BYTE_0 src1_sel:DWORD
	v_mov_b32_e32 v66, 0x8000
	s_and_saveexec_b64 s[36:37], s[0:1]
	s_cbranch_execz .LBB268_290
; %bb.287:                              ;   in Loop: Header=BB268_9 Depth=1
	v_bfe_u32 v68, v10, 16, 7
	v_cmp_ne_u32_e64 s[0:1], s43, v68
	v_mov_b32_e32 v66, 0x7c01
	s_and_saveexec_b64 s[38:39], s[0:1]
	s_cbranch_execz .LBB268_289
; %bb.288:                              ;   in Loop: Header=BB268_9 Depth=1
	v_and_b32_e32 v66, 7, v2
	v_ffbh_u32_e32 v70, v66
	v_min_u32_e32 v72, 32, v70
	v_subrev_u32_e32 v70, 28, v72
	v_lshlrev_b64 v[70:71], v70, v[2:3]
	v_lshrrev_b32_e32 v69, 3, v68
	v_sub_u32_e32 v71, 29, v72
	v_cmp_gt_u32_e64 s[0:1], 8, v68
	v_lshlrev_b32_e32 v2, 8, v2
	s_nop 0
	v_cndmask_b32_e64 v68, v69, v71, s[0:1]
	v_lshl_add_u32 v68, v68, 10, v17
	v_and_b32_e32 v69, 7, v70
	v_and_b32_e32 v68, 0xfc00, v68
	v_cndmask_b32_e64 v66, v66, v69, s[0:1]
	v_and_or_b32 v2, v2, s44, v68
	v_lshl_or_b32 v66, v66, 7, v2
.LBB268_289:                            ;   in Loop: Header=BB268_9 Depth=1
	s_or_b64 exec, exec, s[38:39]
.LBB268_290:                            ;   in Loop: Header=BB268_9 Depth=1
	s_or_b64 exec, exec, s[36:37]
.LBB268_291:                            ;   in Loop: Header=BB268_9 Depth=1
	s_or_b64 exec, exec, s[34:35]
	v_cmp_lt_u32_e64 s[0:1], s45, v10
	v_mov_b32_e32 v69, 0
	v_mov_b32_e32 v68, 0
	s_and_saveexec_b64 s[34:35], s[0:1]
	s_cbranch_execz .LBB268_297
; %bb.292:                              ;   in Loop: Header=BB268_9 Depth=1
	v_lshrrev_b32_e32 v2, 24, v10
	v_cmp_ne_u32_e64 s[0:1], s42, v2
	v_bfrev_b32_e32 v68, 1
	s_and_saveexec_b64 s[36:37], s[0:1]
	s_cbranch_execz .LBB268_296
; %bb.293:                              ;   in Loop: Header=BB268_9 Depth=1
	v_and_b32_e32 v10, 0x7f, v2
	v_cmp_ne_u32_e64 s[0:1], s43, v10
	v_mov_b32_e32 v68, 0x7c010000
	s_and_saveexec_b64 s[38:39], s[0:1]
	s_cbranch_execz .LBB268_295
; %bb.294:                              ;   in Loop: Header=BB268_9 Depth=1
	v_and_b32_e32 v68, 7, v2
	v_ffbh_u32_e32 v70, v68
	v_min_u32_e32 v73, 32, v70
	v_subrev_u32_e32 v70, 28, v73
	v_lshlrev_b64 v[70:71], v70, v[2:3]
	v_lshrrev_b32_e32 v72, 3, v10
	v_sub_u32_e32 v71, 29, v73
	v_cmp_gt_u32_e64 s[0:1], 8, v10
	v_lshlrev_b32_e32 v2, 8, v2
	v_and_b32_e32 v70, 7, v70
	v_cndmask_b32_e64 v10, v72, v71, s[0:1]
	v_lshl_add_u32 v10, v10, 10, v17
	v_and_or_b32 v2, v2, s44, v10
	v_cndmask_b32_e64 v68, v68, v70, s[0:1]
	v_lshlrev_b32_e32 v2, 16, v2
	v_lshl_or_b32 v68, v68, 23, v2
.LBB268_295:                            ;   in Loop: Header=BB268_9 Depth=1
	s_or_b64 exec, exec, s[38:39]
.LBB268_296:                            ;   in Loop: Header=BB268_9 Depth=1
	s_or_b64 exec, exec, s[36:37]
.LBB268_297:                            ;   in Loop: Header=BB268_9 Depth=1
	s_or_b64 exec, exec, s[34:35]
	global_load_dword v10, v[8:9], off offset:3072
	s_waitcnt vmcnt(0)
	v_cmp_ne_u16_sdwa s[0:1], v10, v3 src0_sel:BYTE_0 src1_sel:DWORD
	s_and_saveexec_b64 s[34:35], s[0:1]
	s_cbranch_execz .LBB268_303
; %bb.298:                              ;   in Loop: Header=BB268_9 Depth=1
	v_cmp_ne_u16_sdwa s[0:1], v10, s42 src0_sel:BYTE_0 src1_sel:DWORD
	v_mov_b32_e32 v69, 0x8000
	s_and_saveexec_b64 s[36:37], s[0:1]
	s_cbranch_execz .LBB268_302
; %bb.299:                              ;   in Loop: Header=BB268_9 Depth=1
	v_and_b32_e32 v2, 0x7f, v10
	v_cmp_ne_u32_e64 s[0:1], s43, v2
	v_mov_b32_e32 v69, 0x7c01
	s_and_saveexec_b64 s[38:39], s[0:1]
	s_cbranch_execz .LBB268_301
; %bb.300:                              ;   in Loop: Header=BB268_9 Depth=1
	v_and_b32_e32 v69, 7, v10
	v_ffbh_u32_e32 v70, v69
	v_min_u32_e32 v73, 32, v70
	v_subrev_u32_e32 v70, 28, v73
	v_lshlrev_b64 v[70:71], v70, v[10:11]
	v_lshrrev_b32_e32 v72, 3, v2
	v_sub_u32_e32 v71, 29, v73
	v_cmp_gt_u32_e64 s[0:1], 8, v2
	v_and_b32_e32 v70, 7, v70
	s_nop 0
	v_cndmask_b32_e64 v2, v72, v71, s[0:1]
	v_lshl_add_u32 v2, v2, 10, v17
	v_lshlrev_b32_e32 v71, 8, v10
	v_and_b32_e32 v2, 0xfc00, v2
	v_cndmask_b32_e64 v69, v69, v70, s[0:1]
	v_and_or_b32 v2, v71, s44, v2
	v_lshl_or_b32 v69, v69, 7, v2
.LBB268_301:                            ;   in Loop: Header=BB268_9 Depth=1
	s_or_b64 exec, exec, s[38:39]
.LBB268_302:                            ;   in Loop: Header=BB268_9 Depth=1
	s_or_b64 exec, exec, s[36:37]
.LBB268_303:                            ;   in Loop: Header=BB268_9 Depth=1
	s_or_b64 exec, exec, s[34:35]
	v_lshrrev_b16_e32 v2, 8, v10
	v_cmp_ne_u16_e64 s[0:1], 0, v2
	v_mov_b32_e32 v70, 0
	v_mov_b32_e32 v71, 0
	s_and_saveexec_b64 s[34:35], s[0:1]
	s_cbranch_execz .LBB268_309
; %bb.304:                              ;   in Loop: Header=BB268_9 Depth=1
	v_cmp_ne_u16_e64 s[0:1], s42, v2
	v_bfrev_b32_e32 v71, 1
	s_and_saveexec_b64 s[36:37], s[0:1]
	s_cbranch_execz .LBB268_308
; %bb.305:                              ;   in Loop: Header=BB268_9 Depth=1
	v_and_b32_e32 v72, 0x7f, v2
	v_cmp_ne_u32_e64 s[0:1], s43, v72
	v_mov_b32_e32 v71, 0x7c010000
	s_and_saveexec_b64 s[38:39], s[0:1]
	s_cbranch_execz .LBB268_307
; %bb.306:                              ;   in Loop: Header=BB268_9 Depth=1
	v_and_b32_e32 v71, 7, v2
	v_ffbh_u32_e32 v74, v71
	v_min_u32_e32 v76, 32, v74
	v_subrev_u32_e32 v74, 28, v76
	v_lshlrev_b64 v[74:75], v74, v[2:3]
	v_lshrrev_b32_e32 v73, 3, v72
	v_sub_u32_e32 v75, 29, v76
	v_cmp_gt_u32_e64 s[0:1], 8, v72
	v_lshlrev_b32_e32 v2, 8, v2
	s_nop 0
	v_cndmask_b32_e64 v72, v73, v75, s[0:1]
	v_lshl_add_u32 v72, v72, 10, v17
	v_and_b32_e32 v73, 7, v74
	v_and_or_b32 v2, v2, s44, v72
	v_cndmask_b32_e64 v71, v71, v73, s[0:1]
	v_lshlrev_b32_e32 v2, 16, v2
	v_lshl_or_b32 v71, v71, 23, v2
.LBB268_307:                            ;   in Loop: Header=BB268_9 Depth=1
	s_or_b64 exec, exec, s[38:39]
.LBB268_308:                            ;   in Loop: Header=BB268_9 Depth=1
	s_or_b64 exec, exec, s[36:37]
.LBB268_309:                            ;   in Loop: Header=BB268_9 Depth=1
	s_or_b64 exec, exec, s[34:35]
	v_lshrrev_b32_e32 v2, 16, v10
	v_cmp_ne_u16_sdwa s[0:1], v2, v3 src0_sel:BYTE_0 src1_sel:DWORD
	s_and_saveexec_b64 s[34:35], s[0:1]
	s_cbranch_execz .LBB268_315
; %bb.310:                              ;   in Loop: Header=BB268_9 Depth=1
	v_cmp_ne_u16_sdwa s[0:1], v2, s42 src0_sel:BYTE_0 src1_sel:DWORD
	v_mov_b32_e32 v70, 0x8000
	s_and_saveexec_b64 s[36:37], s[0:1]
	s_cbranch_execz .LBB268_314
; %bb.311:                              ;   in Loop: Header=BB268_9 Depth=1
	v_bfe_u32 v72, v10, 16, 7
	v_cmp_ne_u32_e64 s[0:1], s43, v72
	v_mov_b32_e32 v70, 0x7c01
	s_and_saveexec_b64 s[38:39], s[0:1]
	s_cbranch_execz .LBB268_313
; %bb.312:                              ;   in Loop: Header=BB268_9 Depth=1
	v_and_b32_e32 v70, 7, v2
	v_ffbh_u32_e32 v74, v70
	v_min_u32_e32 v76, 32, v74
	v_subrev_u32_e32 v74, 28, v76
	v_lshlrev_b64 v[74:75], v74, v[2:3]
	v_lshrrev_b32_e32 v73, 3, v72
	v_sub_u32_e32 v75, 29, v76
	v_cmp_gt_u32_e64 s[0:1], 8, v72
	v_lshlrev_b32_e32 v2, 8, v2
	s_nop 0
	v_cndmask_b32_e64 v72, v73, v75, s[0:1]
	v_lshl_add_u32 v72, v72, 10, v17
	v_and_b32_e32 v73, 7, v74
	v_and_b32_e32 v72, 0xfc00, v72
	v_cndmask_b32_e64 v70, v70, v73, s[0:1]
	v_and_or_b32 v2, v2, s44, v72
	v_lshl_or_b32 v70, v70, 7, v2
.LBB268_313:                            ;   in Loop: Header=BB268_9 Depth=1
	s_or_b64 exec, exec, s[38:39]
.LBB268_314:                            ;   in Loop: Header=BB268_9 Depth=1
	s_or_b64 exec, exec, s[36:37]
.LBB268_315:                            ;   in Loop: Header=BB268_9 Depth=1
	s_or_b64 exec, exec, s[34:35]
	v_cmp_lt_u32_e64 s[0:1], s45, v10
	v_mov_b32_e32 v73, 0
	v_mov_b32_e32 v72, 0
	s_and_saveexec_b64 s[34:35], s[0:1]
	s_cbranch_execz .LBB268_321
; %bb.316:                              ;   in Loop: Header=BB268_9 Depth=1
	v_lshrrev_b32_e32 v2, 24, v10
	v_cmp_ne_u32_e64 s[0:1], s42, v2
	v_bfrev_b32_e32 v72, 1
	s_and_saveexec_b64 s[36:37], s[0:1]
	s_cbranch_execz .LBB268_320
; %bb.317:                              ;   in Loop: Header=BB268_9 Depth=1
	v_and_b32_e32 v10, 0x7f, v2
	v_cmp_ne_u32_e64 s[0:1], s43, v10
	v_mov_b32_e32 v72, 0x7c010000
	s_and_saveexec_b64 s[38:39], s[0:1]
	s_cbranch_execz .LBB268_319
; %bb.318:                              ;   in Loop: Header=BB268_9 Depth=1
	v_and_b32_e32 v72, 7, v2
	v_ffbh_u32_e32 v74, v72
	v_min_u32_e32 v77, 32, v74
	v_subrev_u32_e32 v74, 28, v77
	v_lshlrev_b64 v[74:75], v74, v[2:3]
	v_lshrrev_b32_e32 v76, 3, v10
	v_sub_u32_e32 v75, 29, v77
	v_cmp_gt_u32_e64 s[0:1], 8, v10
	v_lshlrev_b32_e32 v2, 8, v2
	v_and_b32_e32 v74, 7, v74
	v_cndmask_b32_e64 v10, v76, v75, s[0:1]
	v_lshl_add_u32 v10, v10, 10, v17
	v_and_or_b32 v2, v2, s44, v10
	v_cndmask_b32_e64 v72, v72, v74, s[0:1]
	v_lshlrev_b32_e32 v2, 16, v2
	v_lshl_or_b32 v72, v72, 23, v2
.LBB268_319:                            ;   in Loop: Header=BB268_9 Depth=1
	s_or_b64 exec, exec, s[38:39]
.LBB268_320:                            ;   in Loop: Header=BB268_9 Depth=1
	s_or_b64 exec, exec, s[36:37]
.LBB268_321:                            ;   in Loop: Header=BB268_9 Depth=1
	s_or_b64 exec, exec, s[34:35]
	global_load_dword v10, v[8:9], off offset:3080
	s_waitcnt vmcnt(0)
	v_cmp_ne_u16_sdwa s[0:1], v10, v3 src0_sel:BYTE_0 src1_sel:DWORD
	s_and_saveexec_b64 s[34:35], s[0:1]
	s_cbranch_execz .LBB268_327
; %bb.322:                              ;   in Loop: Header=BB268_9 Depth=1
	v_cmp_ne_u16_sdwa s[0:1], v10, s42 src0_sel:BYTE_0 src1_sel:DWORD
	v_mov_b32_e32 v73, 0x8000
	s_and_saveexec_b64 s[36:37], s[0:1]
	s_cbranch_execz .LBB268_326
; %bb.323:                              ;   in Loop: Header=BB268_9 Depth=1
	v_and_b32_e32 v2, 0x7f, v10
	v_cmp_ne_u32_e64 s[0:1], s43, v2
	v_mov_b32_e32 v73, 0x7c01
	s_and_saveexec_b64 s[38:39], s[0:1]
	s_cbranch_execz .LBB268_325
; %bb.324:                              ;   in Loop: Header=BB268_9 Depth=1
	v_and_b32_e32 v73, 7, v10
	v_ffbh_u32_e32 v74, v73
	v_min_u32_e32 v77, 32, v74
	v_subrev_u32_e32 v74, 28, v77
	v_lshlrev_b64 v[74:75], v74, v[10:11]
	v_lshrrev_b32_e32 v76, 3, v2
	v_sub_u32_e32 v75, 29, v77
	v_cmp_gt_u32_e64 s[0:1], 8, v2
	v_and_b32_e32 v74, 7, v74
	s_nop 0
	v_cndmask_b32_e64 v2, v76, v75, s[0:1]
	v_lshl_add_u32 v2, v2, 10, v17
	v_lshlrev_b32_e32 v75, 8, v10
	v_and_b32_e32 v2, 0xfc00, v2
	v_cndmask_b32_e64 v73, v73, v74, s[0:1]
	v_and_or_b32 v2, v75, s44, v2
	v_lshl_or_b32 v73, v73, 7, v2
.LBB268_325:                            ;   in Loop: Header=BB268_9 Depth=1
	s_or_b64 exec, exec, s[38:39]
.LBB268_326:                            ;   in Loop: Header=BB268_9 Depth=1
	s_or_b64 exec, exec, s[36:37]
.LBB268_327:                            ;   in Loop: Header=BB268_9 Depth=1
	s_or_b64 exec, exec, s[34:35]
	v_lshrrev_b16_e32 v2, 8, v10
	v_cmp_ne_u16_e64 s[0:1], 0, v2
	v_mov_b32_e32 v74, 0
	v_mov_b32_e32 v75, 0
	s_and_saveexec_b64 s[34:35], s[0:1]
	s_cbranch_execz .LBB268_333
; %bb.328:                              ;   in Loop: Header=BB268_9 Depth=1
	v_cmp_ne_u16_e64 s[0:1], s42, v2
	v_bfrev_b32_e32 v75, 1
	s_and_saveexec_b64 s[36:37], s[0:1]
	s_cbranch_execz .LBB268_332
; %bb.329:                              ;   in Loop: Header=BB268_9 Depth=1
	v_and_b32_e32 v76, 0x7f, v2
	v_cmp_ne_u32_e64 s[0:1], s43, v76
	v_mov_b32_e32 v75, 0x7c010000
	s_and_saveexec_b64 s[38:39], s[0:1]
	s_cbranch_execz .LBB268_331
; %bb.330:                              ;   in Loop: Header=BB268_9 Depth=1
	v_and_b32_e32 v75, 7, v2
	v_ffbh_u32_e32 v78, v75
	v_min_u32_e32 v80, 32, v78
	v_subrev_u32_e32 v78, 28, v80
	v_lshlrev_b64 v[78:79], v78, v[2:3]
	v_lshrrev_b32_e32 v77, 3, v76
	v_sub_u32_e32 v79, 29, v80
	v_cmp_gt_u32_e64 s[0:1], 8, v76
	v_lshlrev_b32_e32 v2, 8, v2
	s_nop 0
	v_cndmask_b32_e64 v76, v77, v79, s[0:1]
	v_lshl_add_u32 v76, v76, 10, v17
	v_and_b32_e32 v77, 7, v78
	v_and_or_b32 v2, v2, s44, v76
	v_cndmask_b32_e64 v75, v75, v77, s[0:1]
	v_lshlrev_b32_e32 v2, 16, v2
	v_lshl_or_b32 v75, v75, 23, v2
.LBB268_331:                            ;   in Loop: Header=BB268_9 Depth=1
	s_or_b64 exec, exec, s[38:39]
.LBB268_332:                            ;   in Loop: Header=BB268_9 Depth=1
	s_or_b64 exec, exec, s[36:37]
.LBB268_333:                            ;   in Loop: Header=BB268_9 Depth=1
	s_or_b64 exec, exec, s[34:35]
	v_lshrrev_b32_e32 v2, 16, v10
	v_cmp_ne_u16_sdwa s[0:1], v2, v3 src0_sel:BYTE_0 src1_sel:DWORD
	s_and_saveexec_b64 s[34:35], s[0:1]
	s_cbranch_execz .LBB268_339
; %bb.334:                              ;   in Loop: Header=BB268_9 Depth=1
	v_cmp_ne_u16_sdwa s[0:1], v2, s42 src0_sel:BYTE_0 src1_sel:DWORD
	v_mov_b32_e32 v74, 0x8000
	s_and_saveexec_b64 s[36:37], s[0:1]
	s_cbranch_execz .LBB268_338
; %bb.335:                              ;   in Loop: Header=BB268_9 Depth=1
	v_bfe_u32 v76, v10, 16, 7
	v_cmp_ne_u32_e64 s[0:1], s43, v76
	v_mov_b32_e32 v74, 0x7c01
	s_and_saveexec_b64 s[38:39], s[0:1]
	s_cbranch_execz .LBB268_337
; %bb.336:                              ;   in Loop: Header=BB268_9 Depth=1
	v_and_b32_e32 v74, 7, v2
	v_ffbh_u32_e32 v78, v74
	v_min_u32_e32 v80, 32, v78
	v_subrev_u32_e32 v78, 28, v80
	v_lshlrev_b64 v[78:79], v78, v[2:3]
	v_lshrrev_b32_e32 v77, 3, v76
	v_sub_u32_e32 v79, 29, v80
	v_cmp_gt_u32_e64 s[0:1], 8, v76
	v_lshlrev_b32_e32 v2, 8, v2
	s_nop 0
	v_cndmask_b32_e64 v76, v77, v79, s[0:1]
	v_lshl_add_u32 v76, v76, 10, v17
	v_and_b32_e32 v77, 7, v78
	v_and_b32_e32 v76, 0xfc00, v76
	v_cndmask_b32_e64 v74, v74, v77, s[0:1]
	v_and_or_b32 v2, v2, s44, v76
	v_lshl_or_b32 v74, v74, 7, v2
.LBB268_337:                            ;   in Loop: Header=BB268_9 Depth=1
	s_or_b64 exec, exec, s[38:39]
.LBB268_338:                            ;   in Loop: Header=BB268_9 Depth=1
	s_or_b64 exec, exec, s[36:37]
.LBB268_339:                            ;   in Loop: Header=BB268_9 Depth=1
	s_or_b64 exec, exec, s[34:35]
	v_cmp_lt_u32_e64 s[0:1], s45, v10
	v_mov_b32_e32 v76, 0
	v_mov_b32_e32 v77, 0
	s_and_saveexec_b64 s[34:35], s[0:1]
	s_cbranch_execz .LBB268_345
; %bb.340:                              ;   in Loop: Header=BB268_9 Depth=1
	v_lshrrev_b32_e32 v2, 24, v10
	v_cmp_ne_u32_e64 s[0:1], s42, v2
	v_bfrev_b32_e32 v77, 1
	s_and_saveexec_b64 s[36:37], s[0:1]
	s_cbranch_execz .LBB268_344
; %bb.341:                              ;   in Loop: Header=BB268_9 Depth=1
	v_and_b32_e32 v10, 0x7f, v2
	v_cmp_ne_u32_e64 s[0:1], s43, v10
	v_mov_b32_e32 v77, 0x7c010000
	s_and_saveexec_b64 s[38:39], s[0:1]
	s_cbranch_execz .LBB268_343
; %bb.342:                              ;   in Loop: Header=BB268_9 Depth=1
	v_and_b32_e32 v77, 7, v2
	v_ffbh_u32_e32 v78, v77
	v_min_u32_e32 v81, 32, v78
	v_subrev_u32_e32 v78, 28, v81
	v_lshlrev_b64 v[78:79], v78, v[2:3]
	v_lshrrev_b32_e32 v80, 3, v10
	v_sub_u32_e32 v79, 29, v81
	v_cmp_gt_u32_e64 s[0:1], 8, v10
	v_lshlrev_b32_e32 v2, 8, v2
	v_and_b32_e32 v78, 7, v78
	v_cndmask_b32_e64 v10, v80, v79, s[0:1]
	v_lshl_add_u32 v10, v10, 10, v17
	v_and_or_b32 v2, v2, s44, v10
	v_cndmask_b32_e64 v77, v77, v78, s[0:1]
	v_lshlrev_b32_e32 v2, 16, v2
	v_lshl_or_b32 v77, v77, 23, v2
.LBB268_343:                            ;   in Loop: Header=BB268_9 Depth=1
	s_or_b64 exec, exec, s[38:39]
.LBB268_344:                            ;   in Loop: Header=BB268_9 Depth=1
	s_or_b64 exec, exec, s[36:37]
.LBB268_345:                            ;   in Loop: Header=BB268_9 Depth=1
	s_or_b64 exec, exec, s[34:35]
	global_load_dword v10, v[8:9], off offset:3584
	s_waitcnt vmcnt(0)
	v_cmp_ne_u16_sdwa s[0:1], v10, v3 src0_sel:BYTE_0 src1_sel:DWORD
	s_and_saveexec_b64 s[34:35], s[0:1]
	s_cbranch_execz .LBB268_351
; %bb.346:                              ;   in Loop: Header=BB268_9 Depth=1
	v_cmp_ne_u16_sdwa s[0:1], v10, s42 src0_sel:BYTE_0 src1_sel:DWORD
	v_mov_b32_e32 v76, 0x8000
	s_and_saveexec_b64 s[36:37], s[0:1]
	s_cbranch_execz .LBB268_350
; %bb.347:                              ;   in Loop: Header=BB268_9 Depth=1
	v_and_b32_e32 v2, 0x7f, v10
	v_cmp_ne_u32_e64 s[0:1], s43, v2
	v_mov_b32_e32 v76, 0x7c01
	s_and_saveexec_b64 s[38:39], s[0:1]
	s_cbranch_execz .LBB268_349
; %bb.348:                              ;   in Loop: Header=BB268_9 Depth=1
	v_and_b32_e32 v76, 7, v10
	v_ffbh_u32_e32 v78, v76
	v_min_u32_e32 v81, 32, v78
	v_subrev_u32_e32 v78, 28, v81
	v_lshlrev_b64 v[78:79], v78, v[10:11]
	v_lshrrev_b32_e32 v80, 3, v2
	v_sub_u32_e32 v79, 29, v81
	v_cmp_gt_u32_e64 s[0:1], 8, v2
	v_and_b32_e32 v78, 7, v78
	s_nop 0
	v_cndmask_b32_e64 v2, v80, v79, s[0:1]
	v_lshl_add_u32 v2, v2, 10, v17
	v_lshlrev_b32_e32 v79, 8, v10
	v_and_b32_e32 v2, 0xfc00, v2
	v_cndmask_b32_e64 v76, v76, v78, s[0:1]
	v_and_or_b32 v2, v79, s44, v2
	v_lshl_or_b32 v76, v76, 7, v2
.LBB268_349:                            ;   in Loop: Header=BB268_9 Depth=1
	s_or_b64 exec, exec, s[38:39]
.LBB268_350:                            ;   in Loop: Header=BB268_9 Depth=1
	s_or_b64 exec, exec, s[36:37]
.LBB268_351:                            ;   in Loop: Header=BB268_9 Depth=1
	s_or_b64 exec, exec, s[34:35]
	v_lshrrev_b16_e32 v2, 8, v10
	v_cmp_ne_u16_e64 s[0:1], 0, v2
	v_mov_b32_e32 v78, 0
	v_mov_b32_e32 v79, 0
	s_and_saveexec_b64 s[34:35], s[0:1]
	s_cbranch_execz .LBB268_357
; %bb.352:                              ;   in Loop: Header=BB268_9 Depth=1
	v_cmp_ne_u16_e64 s[0:1], s42, v2
	v_bfrev_b32_e32 v79, 1
	s_and_saveexec_b64 s[36:37], s[0:1]
	s_cbranch_execz .LBB268_356
; %bb.353:                              ;   in Loop: Header=BB268_9 Depth=1
	v_and_b32_e32 v80, 0x7f, v2
	v_cmp_ne_u32_e64 s[0:1], s43, v80
	v_mov_b32_e32 v79, 0x7c010000
	s_and_saveexec_b64 s[38:39], s[0:1]
	s_cbranch_execz .LBB268_355
; %bb.354:                              ;   in Loop: Header=BB268_9 Depth=1
	v_and_b32_e32 v79, 7, v2
	v_ffbh_u32_e32 v82, v79
	v_min_u32_e32 v84, 32, v82
	v_subrev_u32_e32 v82, 28, v84
	v_lshlrev_b64 v[82:83], v82, v[2:3]
	v_lshrrev_b32_e32 v81, 3, v80
	v_sub_u32_e32 v83, 29, v84
	v_cmp_gt_u32_e64 s[0:1], 8, v80
	v_lshlrev_b32_e32 v2, 8, v2
	s_nop 0
	v_cndmask_b32_e64 v80, v81, v83, s[0:1]
	v_lshl_add_u32 v80, v80, 10, v17
	v_and_b32_e32 v81, 7, v82
	v_and_or_b32 v2, v2, s44, v80
	v_cndmask_b32_e64 v79, v79, v81, s[0:1]
	v_lshlrev_b32_e32 v2, 16, v2
	v_lshl_or_b32 v79, v79, 23, v2
.LBB268_355:                            ;   in Loop: Header=BB268_9 Depth=1
	s_or_b64 exec, exec, s[38:39]
.LBB268_356:                            ;   in Loop: Header=BB268_9 Depth=1
	s_or_b64 exec, exec, s[36:37]
.LBB268_357:                            ;   in Loop: Header=BB268_9 Depth=1
	s_or_b64 exec, exec, s[34:35]
	v_lshrrev_b32_e32 v2, 16, v10
	v_cmp_ne_u16_sdwa s[0:1], v2, v3 src0_sel:BYTE_0 src1_sel:DWORD
	s_and_saveexec_b64 s[34:35], s[0:1]
	s_cbranch_execz .LBB268_363
; %bb.358:                              ;   in Loop: Header=BB268_9 Depth=1
	v_cmp_ne_u16_sdwa s[0:1], v2, s42 src0_sel:BYTE_0 src1_sel:DWORD
	v_mov_b32_e32 v78, 0x8000
	s_and_saveexec_b64 s[36:37], s[0:1]
	s_cbranch_execz .LBB268_362
; %bb.359:                              ;   in Loop: Header=BB268_9 Depth=1
	v_bfe_u32 v80, v10, 16, 7
	v_cmp_ne_u32_e64 s[0:1], s43, v80
	v_mov_b32_e32 v78, 0x7c01
	s_and_saveexec_b64 s[38:39], s[0:1]
	s_cbranch_execz .LBB268_361
; %bb.360:                              ;   in Loop: Header=BB268_9 Depth=1
	v_and_b32_e32 v78, 7, v2
	v_ffbh_u32_e32 v82, v78
	v_min_u32_e32 v84, 32, v82
	v_subrev_u32_e32 v82, 28, v84
	v_lshlrev_b64 v[82:83], v82, v[2:3]
	v_lshrrev_b32_e32 v81, 3, v80
	v_sub_u32_e32 v83, 29, v84
	v_cmp_gt_u32_e64 s[0:1], 8, v80
	v_lshlrev_b32_e32 v2, 8, v2
	s_nop 0
	v_cndmask_b32_e64 v80, v81, v83, s[0:1]
	v_lshl_add_u32 v80, v80, 10, v17
	v_and_b32_e32 v81, 7, v82
	v_and_b32_e32 v80, 0xfc00, v80
	v_cndmask_b32_e64 v78, v78, v81, s[0:1]
	v_and_or_b32 v2, v2, s44, v80
	v_lshl_or_b32 v78, v78, 7, v2
.LBB268_361:                            ;   in Loop: Header=BB268_9 Depth=1
	s_or_b64 exec, exec, s[38:39]
.LBB268_362:                            ;   in Loop: Header=BB268_9 Depth=1
	s_or_b64 exec, exec, s[36:37]
.LBB268_363:                            ;   in Loop: Header=BB268_9 Depth=1
	s_or_b64 exec, exec, s[34:35]
	v_cmp_lt_u32_e64 s[0:1], s45, v10
	v_mov_b32_e32 v80, 0
	v_mov_b32_e32 v82, 0
	s_and_saveexec_b64 s[34:35], s[0:1]
	s_cbranch_execz .LBB268_369
; %bb.364:                              ;   in Loop: Header=BB268_9 Depth=1
	v_lshrrev_b32_e32 v2, 24, v10
	v_cmp_ne_u32_e64 s[0:1], s42, v2
	v_bfrev_b32_e32 v82, 1
	s_and_saveexec_b64 s[36:37], s[0:1]
	s_cbranch_execz .LBB268_368
; %bb.365:                              ;   in Loop: Header=BB268_9 Depth=1
	v_and_b32_e32 v10, 0x7f, v2
	v_cmp_ne_u32_e64 s[0:1], s43, v10
	v_mov_b32_e32 v82, 0x7c010000
	s_and_saveexec_b64 s[38:39], s[0:1]
	s_cbranch_execz .LBB268_367
; %bb.366:                              ;   in Loop: Header=BB268_9 Depth=1
	v_and_b32_e32 v81, 7, v2
	v_ffbh_u32_e32 v82, v81
	v_min_u32_e32 v85, 32, v82
	v_subrev_u32_e32 v82, 28, v85
	v_lshlrev_b64 v[82:83], v82, v[2:3]
	v_lshrrev_b32_e32 v84, 3, v10
	v_sub_u32_e32 v83, 29, v85
	v_cmp_gt_u32_e64 s[0:1], 8, v10
	v_lshlrev_b32_e32 v2, 8, v2
	v_and_b32_e32 v82, 7, v82
	v_cndmask_b32_e64 v10, v84, v83, s[0:1]
	v_lshl_add_u32 v10, v10, 10, v17
	v_and_or_b32 v2, v2, s44, v10
	v_cndmask_b32_e64 v81, v81, v82, s[0:1]
	v_lshlrev_b32_e32 v2, 16, v2
	v_lshl_or_b32 v82, v81, 23, v2
.LBB268_367:                            ;   in Loop: Header=BB268_9 Depth=1
	s_or_b64 exec, exec, s[38:39]
.LBB268_368:                            ;   in Loop: Header=BB268_9 Depth=1
	s_or_b64 exec, exec, s[36:37]
.LBB268_369:                            ;   in Loop: Header=BB268_9 Depth=1
	s_or_b64 exec, exec, s[34:35]
	global_load_dword v8, v[8:9], off offset:3592
	s_waitcnt vmcnt(0)
	v_cmp_ne_u16_sdwa s[0:1], v8, v3 src0_sel:BYTE_0 src1_sel:DWORD
	s_and_saveexec_b64 s[34:35], s[0:1]
	s_cbranch_execz .LBB268_375
; %bb.370:                              ;   in Loop: Header=BB268_9 Depth=1
	v_cmp_ne_u16_sdwa s[0:1], v8, s42 src0_sel:BYTE_0 src1_sel:DWORD
	v_mov_b32_e32 v80, 0x8000
	s_and_saveexec_b64 s[36:37], s[0:1]
	s_cbranch_execz .LBB268_374
; %bb.371:                              ;   in Loop: Header=BB268_9 Depth=1
	v_and_b32_e32 v2, 0x7f, v8
	v_cmp_ne_u32_e64 s[0:1], s43, v2
	v_mov_b32_e32 v80, 0x7c01
	s_and_saveexec_b64 s[38:39], s[0:1]
	s_cbranch_execz .LBB268_373
; %bb.372:                              ;   in Loop: Header=BB268_9 Depth=1
	v_and_b32_e32 v9, 7, v8
	v_ffbh_u32_e32 v80, v9
	v_min_u32_e32 v83, 32, v80
	v_subrev_u32_e32 v80, 28, v83
	v_lshlrev_b64 v[80:81], v80, v[8:9]
	v_lshrrev_b32_e32 v10, 3, v2
	v_sub_u32_e32 v81, 29, v83
	v_cmp_gt_u32_e64 s[0:1], 8, v2
	v_and_b32_e32 v80, 7, v80
	s_nop 0
	v_cndmask_b32_e64 v2, v10, v81, s[0:1]
	v_lshl_add_u32 v2, v2, 10, v17
	v_lshlrev_b32_e32 v10, 8, v8
	v_and_b32_e32 v2, 0xfc00, v2
	v_cndmask_b32_e64 v9, v9, v80, s[0:1]
	v_and_or_b32 v2, v10, s44, v2
	v_lshl_or_b32 v80, v9, 7, v2
.LBB268_373:                            ;   in Loop: Header=BB268_9 Depth=1
	s_or_b64 exec, exec, s[38:39]
.LBB268_374:                            ;   in Loop: Header=BB268_9 Depth=1
	s_or_b64 exec, exec, s[36:37]
.LBB268_375:                            ;   in Loop: Header=BB268_9 Depth=1
	s_or_b64 exec, exec, s[34:35]
	v_lshrrev_b16_e32 v2, 8, v8
	v_cmp_ne_u16_e64 s[0:1], 0, v2
	v_mov_b32_e32 v81, 0
	v_mov_b32_e32 v83, 0
	s_and_saveexec_b64 s[34:35], s[0:1]
	s_cbranch_execz .LBB268_381
; %bb.376:                              ;   in Loop: Header=BB268_9 Depth=1
	v_cmp_ne_u16_e64 s[0:1], s42, v2
	v_bfrev_b32_e32 v83, 1
	s_and_saveexec_b64 s[36:37], s[0:1]
	s_cbranch_execz .LBB268_380
; %bb.377:                              ;   in Loop: Header=BB268_9 Depth=1
	v_and_b32_e32 v9, 0x7f, v2
	v_cmp_ne_u32_e64 s[0:1], s43, v9
	v_mov_b32_e32 v83, 0x7c010000
	s_and_saveexec_b64 s[38:39], s[0:1]
	s_cbranch_execz .LBB268_379
; %bb.378:                              ;   in Loop: Header=BB268_9 Depth=1
	v_and_b32_e32 v10, 7, v2
	v_ffbh_u32_e32 v84, v10
	v_min_u32_e32 v86, 32, v84
	v_subrev_u32_e32 v84, 28, v86
	v_lshlrev_b64 v[84:85], v84, v[2:3]
	v_lshrrev_b32_e32 v83, 3, v9
	v_sub_u32_e32 v85, 29, v86
	v_cmp_gt_u32_e64 s[0:1], 8, v9
	v_lshlrev_b32_e32 v2, 8, v2
	s_nop 0
	v_cndmask_b32_e64 v9, v83, v85, s[0:1]
	v_lshl_add_u32 v9, v9, 10, v17
	v_and_b32_e32 v83, 7, v84
	v_and_or_b32 v2, v2, s44, v9
	v_cndmask_b32_e64 v10, v10, v83, s[0:1]
	v_lshlrev_b32_e32 v2, 16, v2
	v_lshl_or_b32 v83, v10, 23, v2
.LBB268_379:                            ;   in Loop: Header=BB268_9 Depth=1
	s_or_b64 exec, exec, s[38:39]
.LBB268_380:                            ;   in Loop: Header=BB268_9 Depth=1
	s_or_b64 exec, exec, s[36:37]
.LBB268_381:                            ;   in Loop: Header=BB268_9 Depth=1
	s_or_b64 exec, exec, s[34:35]
	v_lshrrev_b32_e32 v2, 16, v8
	v_cmp_ne_u16_sdwa s[0:1], v2, v3 src0_sel:BYTE_0 src1_sel:DWORD
	s_and_saveexec_b64 s[34:35], s[0:1]
	s_cbranch_execz .LBB268_387
; %bb.382:                              ;   in Loop: Header=BB268_9 Depth=1
	v_cmp_ne_u16_sdwa s[0:1], v2, s42 src0_sel:BYTE_0 src1_sel:DWORD
	v_mov_b32_e32 v81, 0x8000
	s_and_saveexec_b64 s[36:37], s[0:1]
	s_cbranch_execz .LBB268_386
; %bb.383:                              ;   in Loop: Header=BB268_9 Depth=1
	v_bfe_u32 v9, v8, 16, 7
	v_cmp_ne_u32_e64 s[0:1], s43, v9
	v_mov_b32_e32 v81, 0x7c01
	s_and_saveexec_b64 s[38:39], s[0:1]
	s_cbranch_execz .LBB268_385
; %bb.384:                              ;   in Loop: Header=BB268_9 Depth=1
	v_and_b32_e32 v10, 7, v2
	v_ffbh_u32_e32 v84, v10
	v_min_u32_e32 v86, 32, v84
	v_subrev_u32_e32 v84, 28, v86
	v_lshlrev_b64 v[84:85], v84, v[2:3]
	v_lshrrev_b32_e32 v81, 3, v9
	v_sub_u32_e32 v85, 29, v86
	v_cmp_gt_u32_e64 s[0:1], 8, v9
	v_lshlrev_b32_e32 v2, 8, v2
	s_nop 0
	v_cndmask_b32_e64 v9, v81, v85, s[0:1]
	v_lshl_add_u32 v9, v9, 10, v17
	v_and_b32_e32 v81, 7, v84
	v_and_b32_e32 v9, 0xfc00, v9
	v_cndmask_b32_e64 v10, v10, v81, s[0:1]
	v_and_or_b32 v2, v2, s44, v9
	v_lshl_or_b32 v81, v10, 7, v2
.LBB268_385:                            ;   in Loop: Header=BB268_9 Depth=1
	s_or_b64 exec, exec, s[38:39]
.LBB268_386:                            ;   in Loop: Header=BB268_9 Depth=1
	s_or_b64 exec, exec, s[36:37]
.LBB268_387:                            ;   in Loop: Header=BB268_9 Depth=1
	s_or_b64 exec, exec, s[34:35]
	v_cmp_lt_u32_e64 s[0:1], s45, v8
	v_mov_b32_e32 v84, 0
	s_and_saveexec_b64 s[34:35], s[0:1]
	s_cbranch_execz .LBB268_393
; %bb.388:                              ;   in Loop: Header=BB268_9 Depth=1
	v_lshrrev_b32_e32 v2, 24, v8
	v_cmp_ne_u32_e64 s[0:1], s42, v2
	v_bfrev_b32_e32 v84, 1
	s_and_saveexec_b64 s[36:37], s[0:1]
	s_cbranch_execz .LBB268_392
; %bb.389:                              ;   in Loop: Header=BB268_9 Depth=1
	v_and_b32_e32 v8, 0x7f, v2
	v_cmp_ne_u32_e64 s[0:1], s43, v8
	v_mov_b32_e32 v84, 0x7c010000
	s_and_saveexec_b64 s[38:39], s[0:1]
	s_cbranch_execz .LBB268_391
; %bb.390:                              ;   in Loop: Header=BB268_9 Depth=1
	v_and_b32_e32 v9, 7, v2
	v_ffbh_u32_e32 v84, v9
	v_min_u32_e32 v86, 32, v84
	v_subrev_u32_e32 v84, 28, v86
	v_lshlrev_b64 v[84:85], v84, v[2:3]
	v_lshrrev_b32_e32 v10, 3, v8
	v_sub_u32_e32 v85, 29, v86
	v_cmp_gt_u32_e64 s[0:1], 8, v8
	v_lshlrev_b32_e32 v2, 8, v2
	s_nop 0
	v_cndmask_b32_e64 v8, v10, v85, s[0:1]
	v_lshl_add_u32 v8, v8, 10, v17
	v_and_b32_e32 v10, 7, v84
	v_and_or_b32 v2, v2, s44, v8
	v_cndmask_b32_e64 v9, v9, v10, s[0:1]
	v_lshlrev_b32_e32 v2, 16, v2
	v_lshl_or_b32 v84, v9, 23, v2
.LBB268_391:                            ;   in Loop: Header=BB268_9 Depth=1
	s_or_b64 exec, exec, s[38:39]
.LBB268_392:                            ;   in Loop: Header=BB268_9 Depth=1
	s_or_b64 exec, exec, s[36:37]
.LBB268_393:                            ;   in Loop: Header=BB268_9 Depth=1
	s_or_b64 exec, exec, s[34:35]
	v_or_b32_e32 v73, v75, v73
	v_or_b32_e32 v2, v79, v76
	v_fma_mixlo_f16 v76, v19, v73, 0 op_sel_hi:[0,1,0]
	v_or_b32_e32 v73, v77, v74
	v_or_b32_e32 v69, v71, v69
	v_fma_mixlo_f16 v74, v19, v73, 0 op_sel_hi:[0,1,0]
	v_fma_mixlo_f16 v73, v19, v77, 0 op_sel:[0,1,0] op_sel_hi:[0,1,0]
	v_fma_mixlo_f16 v77, v19, v69, 0 op_sel_hi:[0,1,0]
	v_or_b32_e32 v69, v72, v70
	v_or_b32_e32 v65, v67, v65
	v_fma_mixlo_f16 v70, v19, v69, 0 op_sel_hi:[0,1,0]
	v_fma_mixlo_f16 v69, v19, v72, 0 op_sel:[0,1,0] op_sel_hi:[0,1,0]
	;; [unrolled: 5-line block ×8, first 2 shown]
	v_or_b32_e32 v29, v31, v29
	v_fma_mixlo_f16 v48, v19, v31, 0 op_sel:[0,1,0] op_sel_hi:[0,1,0]
	v_fma_mixlo_f16 v31, v19, v24, 0 op_sel_hi:[0,1,0]
	v_or_b32_e32 v24, v27, v25
	v_fma_mixlo_f16 v9, v19, v79, 0 op_sel:[0,1,0] op_sel_hi:[0,1,0]
	v_fma_mixlo_f16 v79, v19, v24, 0 op_sel_hi:[0,1,0]
	ds_read_b64 v[24:25], v13
	v_or_b32_e32 v30, v32, v30
	v_or_b32_e32 v20, v22, v20
	v_fma_mixlo_f16 v10, v19, v2, 0 op_sel_hi:[0,1,0]
	v_or_b32_e32 v2, v82, v78
	v_fma_mixlo_f16 v78, v19, v30, 0 op_sel_hi:[0,1,0]
	v_fma_mixlo_f16 v30, v19, v26, 0 op_sel:[0,1,0] op_sel_hi:[0,1,0]
	v_fma_mixlo_f16 v26, v19, v20, 0 op_sel_hi:[0,1,0]
	v_or_b32_e32 v20, v23, v21
	v_fma_mixlo_f16 v8, v19, v2, 0 op_sel_hi:[0,1,0]
	v_fma_mixlo_f16 v2, v19, v82, 0 op_sel:[0,1,0] op_sel_hi:[0,1,0]
	v_fma_mixlo_f16 v82, v19, v27, 0 op_sel:[0,1,0] op_sel_hi:[0,1,0]
	;; [unrolled: 1-line block ×3, first 2 shown]
	v_fma_mixlo_f16 v21, v19, v20, 0 op_sel_hi:[0,1,0]
	s_waitcnt lgkmcnt(0)
	v_lshrrev_b32_e32 v27, 16, v24
	v_and_b32_e32 v24, 0xffff, v24
	v_fma_mixlo_f16 v23, v19, v23, 0 op_sel:[0,1,0] op_sel_hi:[0,1,0]
	v_or_b32_e32 v80, v83, v80
	v_fma_mixlo_f16 v20, v19, v83, 0 op_sel:[0,1,0] op_sel_hi:[0,1,0]
	;;#ASMSTART
	v_cvt_f32_f16 v83, v24;
	;;#ASMEND
	v_and_b32_e32 v24, 0xffff, v26
	v_and_b32_e32 v22, 0xffff, v22
	;; [unrolled: 1-line block ×3, first 2 shown]
	;;#ASMSTART
	v_cvt_f32_f16 v85, v27;
	;;#ASMEND
	;;#ASMSTART
	v_cvt_f32_f16 v86, v24;
	;;#ASMEND
	;; [unrolled: 3-line block ×3, first 2 shown]
	v_lshrrev_b32_e32 v22, 16, v25
	v_and_b32_e32 v24, 0xffff, v25
	;;#ASMSTART
	v_cvt_f32_f16 v88, v24;
	;;#ASMEND
	;;#ASMSTART
	v_cvt_f32_f16 v89, v22;
	;;#ASMEND
	;;#ASMSTART
	v_cvt_f32_f16 v90, v21;
	;;#ASMEND
	v_and_b32_e32 v21, 0xffff, v23
	;;#ASMSTART
	v_cvt_f32_f16 v91, v21;
	;;#ASMEND
	ds_read_b64 v[26:27], v13 offset:8
	v_and_b32_e32 v25, 0xffff, v31
	v_fma_mixlo_f16 v29, v19, v29, 0 op_sel_hi:[0,1,0]
	v_and_b32_e32 v29, 0xffff, v29
	v_fma_mixlo_f16 v32, v19, v32, 0 op_sel:[0,1,0] op_sel_hi:[0,1,0]
	s_waitcnt lgkmcnt(0)
	v_lshrrev_b32_e32 v23, 16, v26
	v_and_b32_e32 v22, 0xffff, v26
	v_and_b32_e32 v26, 0xffff, v30
	;;#ASMSTART
	v_cvt_f32_f16 v22, v22;
	;;#ASMEND
	;;#ASMSTART
	v_cvt_f32_f16 v23, v23;
	;;#ASMEND
	;; [unrolled: 3-line block ×4, first 2 shown]
	v_and_b32_e32 v30, 0xffff, v82
	v_mul_f32_e32 v22, v22, v25
	v_mul_f32_e32 v23, v23, v26
	v_lshrrev_b32_e32 v26, 16, v27
	v_and_b32_e32 v25, 0xffff, v27
	v_and_b32_e32 v27, 0xffff, v79
	;;#ASMSTART
	v_cvt_f32_f16 v25, v25;
	;;#ASMEND
	;;#ASMSTART
	v_cvt_f32_f16 v26, v26;
	;;#ASMEND
	;; [unrolled: 3-line block ×4, first 2 shown]
	ds_read_b64 v[30:31], v13 offset:16
	v_mul_f32_e32 v25, v25, v27
	v_mul_f32_e32 v26, v26, v79
	v_fma_mixlo_f16 v24, v19, v80, 0 op_sel_hi:[0,1,0]
	v_or_b32_e32 v21, v84, v81
	s_waitcnt lgkmcnt(0)
	v_lshrrev_b32_e32 v79, 16, v30
	v_and_b32_e32 v27, 0xffff, v30
	v_and_b32_e32 v30, 0xffff, v48
	;;#ASMSTART
	v_cvt_f32_f16 v27, v27;
	;;#ASMEND
	;;#ASMSTART
	v_cvt_f32_f16 v79, v79;
	;;#ASMEND
	;; [unrolled: 3-line block ×4, first 2 shown]
	v_lshrrev_b32_e32 v30, 16, v31
	v_and_b32_e32 v31, 0xffff, v31
	;;#ASMSTART
	v_cvt_f32_f16 v80, v31;
	;;#ASMEND
	;;#ASMSTART
	v_cvt_f32_f16 v81, v30;
	;;#ASMEND
	v_and_b32_e32 v30, 0xffff, v78
	;;#ASMSTART
	v_cvt_f32_f16 v78, v30;
	;;#ASMEND
	v_and_b32_e32 v30, 0xffff, v32
	;;#ASMSTART
	v_cvt_f32_f16 v32, v30;
	;;#ASMEND
	ds_read_b64 v[30:31], v13 offset:24
	v_or_b32_e32 v33, v35, v33
	v_fma_mixlo_f16 v33, v19, v33, 0 op_sel_hi:[0,1,0]
	v_fmac_f32_e32 v22, v83, v86
	v_fma_mixlo_f16 v35, v19, v35, 0 op_sel:[0,1,0] op_sel_hi:[0,1,0]
	v_fmac_f32_e32 v26, v89, v91
	v_fmac_f32_e32 v22, v27, v29
	s_waitcnt lgkmcnt(0)
	v_lshrrev_b32_e32 v29, 16, v30
	v_and_b32_e32 v27, 0xffff, v30
	v_and_b32_e32 v30, 0xffff, v33
	v_or_b32_e32 v34, v36, v34
	v_fmac_f32_e32 v26, v81, v32
	;;#ASMSTART
	v_cvt_f32_f16 v27, v27;
	;;#ASMEND
	;;#ASMSTART
	v_cvt_f32_f16 v29, v29;
	;;#ASMEND
	;; [unrolled: 3-line block ×3, first 2 shown]
	v_and_b32_e32 v30, 0xffff, v35
	v_fma_mixlo_f16 v34, v19, v34, 0 op_sel_hi:[0,1,0]
	v_fmac_f32_e32 v23, v85, v87
	;;#ASMSTART
	v_cvt_f32_f16 v33, v30;
	;;#ASMEND
	v_lshrrev_b32_e32 v30, 16, v31
	v_fma_mixlo_f16 v36, v19, v36, 0 op_sel:[0,1,0] op_sel_hi:[0,1,0]
	v_fmac_f32_e32 v23, v79, v48
	v_and_b32_e32 v31, 0xffff, v31
	;;#ASMSTART
	v_cvt_f32_f16 v35, v31;
	;;#ASMEND
	;;#ASMSTART
	v_cvt_f32_f16 v48, v30;
	;;#ASMEND
	v_and_b32_e32 v30, 0xffff, v34
	;;#ASMSTART
	v_cvt_f32_f16 v34, v30;
	;;#ASMEND
	v_and_b32_e32 v30, 0xffff, v36
	;;#ASMSTART
	v_cvt_f32_f16 v36, v30;
	;;#ASMEND
	ds_read_b64 v[30:31], v13 offset:32
	v_or_b32_e32 v37, v39, v37
	v_fma_mixlo_f16 v37, v19, v37, 0 op_sel_hi:[0,1,0]
	v_fma_mixlo_f16 v39, v19, v39, 0 op_sel:[0,1,0] op_sel_hi:[0,1,0]
	v_fmac_f32_e32 v22, v27, v32
	v_fmac_f32_e32 v23, v29, v33
	s_waitcnt lgkmcnt(0)
	v_lshrrev_b32_e32 v29, 16, v30
	v_and_b32_e32 v27, 0xffff, v30
	v_and_b32_e32 v30, 0xffff, v37
	v_or_b32_e32 v38, v40, v38
	v_fmac_f32_e32 v25, v88, v90
	;;#ASMSTART
	v_cvt_f32_f16 v27, v27;
	;;#ASMEND
	;;#ASMSTART
	v_cvt_f32_f16 v29, v29;
	;;#ASMEND
	;; [unrolled: 3-line block ×3, first 2 shown]
	v_and_b32_e32 v30, 0xffff, v39
	v_fma_mixlo_f16 v38, v19, v38, 0 op_sel_hi:[0,1,0]
	v_fmac_f32_e32 v25, v80, v78
	;;#ASMSTART
	v_cvt_f32_f16 v33, v30;
	;;#ASMEND
	v_lshrrev_b32_e32 v30, 16, v31
	v_fma_mixlo_f16 v40, v19, v40, 0 op_sel:[0,1,0] op_sel_hi:[0,1,0]
	v_fmac_f32_e32 v25, v35, v34
	v_and_b32_e32 v31, 0xffff, v31
	;;#ASMSTART
	v_cvt_f32_f16 v34, v31;
	;;#ASMEND
	;;#ASMSTART
	v_cvt_f32_f16 v35, v30;
	;;#ASMEND
	v_and_b32_e32 v30, 0xffff, v38
	v_fmac_f32_e32 v26, v48, v36
	;;#ASMSTART
	v_cvt_f32_f16 v36, v30;
	;;#ASMEND
	v_and_b32_e32 v30, 0xffff, v40
	;;#ASMSTART
	v_cvt_f32_f16 v37, v30;
	;;#ASMEND
	ds_read_b64 v[30:31], v13 offset:40
	v_or_b32_e32 v41, v43, v41
	v_fma_mixlo_f16 v41, v19, v41, 0 op_sel_hi:[0,1,0]
	v_fma_mixlo_f16 v43, v19, v43, 0 op_sel:[0,1,0] op_sel_hi:[0,1,0]
	v_fmac_f32_e32 v22, v27, v32
	v_fmac_f32_e32 v23, v29, v33
	s_waitcnt lgkmcnt(0)
	v_lshrrev_b32_e32 v29, 16, v30
	v_and_b32_e32 v27, 0xffff, v30
	v_and_b32_e32 v30, 0xffff, v41
	v_or_b32_e32 v42, v44, v42
	;;#ASMSTART
	v_cvt_f32_f16 v27, v27;
	;;#ASMEND
	;;#ASMSTART
	v_cvt_f32_f16 v29, v29;
	;;#ASMEND
	;; [unrolled: 3-line block ×3, first 2 shown]
	v_and_b32_e32 v30, 0xffff, v43
	v_fma_mixlo_f16 v42, v19, v42, 0 op_sel_hi:[0,1,0]
	;;#ASMSTART
	v_cvt_f32_f16 v33, v30;
	;;#ASMEND
	v_lshrrev_b32_e32 v30, 16, v31
	v_fma_mixlo_f16 v44, v19, v44, 0 op_sel:[0,1,0] op_sel_hi:[0,1,0]
	v_fmac_f32_e32 v25, v34, v36
	v_fmac_f32_e32 v26, v35, v37
	v_and_b32_e32 v31, 0xffff, v31
	;;#ASMSTART
	v_cvt_f32_f16 v34, v31;
	;;#ASMEND
	;;#ASMSTART
	v_cvt_f32_f16 v35, v30;
	;;#ASMEND
	v_and_b32_e32 v30, 0xffff, v42
	;;#ASMSTART
	v_cvt_f32_f16 v36, v30;
	;;#ASMEND
	v_and_b32_e32 v30, 0xffff, v44
	;;#ASMSTART
	v_cvt_f32_f16 v37, v30;
	;;#ASMEND
	ds_read_b64 v[30:31], v13 offset:48
	v_fma_mixlo_f16 v47, v19, v47, 0 op_sel:[0,1,0] op_sel_hi:[0,1,0]
	v_fmac_f32_e32 v22, v27, v32
	v_fmac_f32_e32 v23, v29, v33
	v_fmac_f32_e32 v25, v34, v36
	s_waitcnt lgkmcnt(0)
	v_lshrrev_b32_e32 v29, 16, v30
	v_and_b32_e32 v27, 0xffff, v30
	v_and_b32_e32 v30, 0xffff, v52
	;;#ASMSTART
	v_cvt_f32_f16 v27, v27;
	;;#ASMEND
	;;#ASMSTART
	v_cvt_f32_f16 v29, v29;
	;;#ASMEND
	;;#ASMSTART
	v_cvt_f32_f16 v32, v30;
	;;#ASMEND
	v_and_b32_e32 v30, 0xffff, v47
	;;#ASMSTART
	v_cvt_f32_f16 v33, v30;
	;;#ASMEND
	v_lshrrev_b32_e32 v30, 16, v31
	v_fmac_f32_e32 v26, v35, v37
	v_and_b32_e32 v31, 0xffff, v31
	;;#ASMSTART
	v_cvt_f32_f16 v34, v31;
	;;#ASMEND
	;;#ASMSTART
	v_cvt_f32_f16 v35, v30;
	;;#ASMEND
	v_and_b32_e32 v30, 0xffff, v46
	;;#ASMSTART
	v_cvt_f32_f16 v36, v30;
	;;#ASMEND
	v_and_b32_e32 v30, 0xffff, v45
	;;#ASMSTART
	v_cvt_f32_f16 v37, v30;
	;;#ASMEND
	ds_read_b64 v[30:31], v13 offset:56
	v_fma_mixlo_f16 v51, v19, v51, 0 op_sel:[0,1,0] op_sel_hi:[0,1,0]
	v_fmac_f32_e32 v22, v27, v32
	v_fmac_f32_e32 v23, v29, v33
	v_fmac_f32_e32 v25, v34, v36
	s_waitcnt lgkmcnt(0)
	v_lshrrev_b32_e32 v29, 16, v30
	v_and_b32_e32 v27, 0xffff, v30
	v_and_b32_e32 v30, 0xffff, v56
	;;#ASMSTART
	v_cvt_f32_f16 v27, v27;
	;;#ASMEND
	;;#ASMSTART
	v_cvt_f32_f16 v29, v29;
	;;#ASMEND
	;;#ASMSTART
	v_cvt_f32_f16 v32, v30;
	;;#ASMEND
	v_and_b32_e32 v30, 0xffff, v51
	;;#ASMSTART
	v_cvt_f32_f16 v33, v30;
	;;#ASMEND
	v_lshrrev_b32_e32 v30, 16, v31
	;; [unrolled: 39-line block ×8, first 2 shown]
	v_fmac_f32_e32 v26, v35, v37
	v_and_b32_e32 v31, 0xffff, v31
	;;#ASMSTART
	v_cvt_f32_f16 v34, v31;
	;;#ASMEND
	;;#ASMSTART
	v_cvt_f32_f16 v35, v30;
	;;#ASMEND
	v_and_b32_e32 v30, 0xffff, v74
	;;#ASMSTART
	v_cvt_f32_f16 v36, v30;
	;;#ASMEND
	v_and_b32_e32 v30, 0xffff, v73
	;;#ASMSTART
	v_cvt_f32_f16 v37, v30;
	;;#ASMEND
	ds_read_b64 v[30:31], v13 offset:112
	v_fmac_f32_e32 v22, v27, v32
	v_fmac_f32_e32 v23, v29, v33
	v_and_b32_e32 v10, 0xffff, v10
	v_and_b32_e32 v9, 0xffff, v9
	s_waitcnt lgkmcnt(0)
	v_lshrrev_b32_e32 v29, 16, v30
	v_and_b32_e32 v27, 0xffff, v30
	;;#ASMSTART
	v_cvt_f32_f16 v27, v27;
	;;#ASMEND
	;;#ASMSTART
	v_cvt_f32_f16 v29, v29;
	;;#ASMEND
	;; [unrolled: 3-line block ×4, first 2 shown]
	v_lshrrev_b32_e32 v9, 16, v31
	v_and_b32_e32 v31, 0xffff, v31
	v_and_b32_e32 v8, 0xffff, v8
	;; [unrolled: 1-line block ×3, first 2 shown]
	;;#ASMSTART
	v_cvt_f32_f16 v31, v31;
	;;#ASMEND
	;;#ASMSTART
	v_cvt_f32_f16 v32, v9;
	;;#ASMEND
	;; [unrolled: 3-line block ×4, first 2 shown]
	ds_read_b64 v[8:9], v13 offset:120
	v_fmac_f32_e32 v26, v35, v37
	v_fmac_f32_e32 v22, v27, v10
	;; [unrolled: 1-line block ×3, first 2 shown]
	v_fma_mixlo_f16 v21, v19, v21, 0 op_sel_hi:[0,1,0]
	s_waitcnt lgkmcnt(0)
	v_lshrrev_b32_e32 v10, 16, v8
	v_and_b32_e32 v2, 0xffff, v8
	;;#ASMSTART
	v_cvt_f32_f16 v2, v2;
	;;#ASMEND
	;;#ASMSTART
	v_cvt_f32_f16 v8, v10;
	;;#ASMEND
	v_and_b32_e32 v10, 0xffff, v24
	v_fmac_f32_e32 v25, v34, v36
	v_fmac_f32_e32 v23, v29, v30
	;;#ASMSTART
	v_cvt_f32_f16 v10, v10;
	;;#ASMEND
	v_and_b32_e32 v20, 0xffff, v20
	v_fmac_f32_e32 v22, v2, v10
	v_and_b32_e32 v2, 0xffff, v9
	v_fma_mixlo_f16 v19, v19, v84, 0 op_sel:[0,1,0] op_sel_hi:[0,1,0]
	v_fmac_f32_e32 v25, v31, v33
	;;#ASMSTART
	v_cvt_f32_f16 v20, v20;
	;;#ASMEND
	;;#ASMSTART
	v_cvt_f32_f16 v2, v2;
	;;#ASMEND
	v_and_b32_e32 v10, 0xffff, v19
	v_fmac_f32_e32 v23, v8, v20
	v_lshrrev_b32_e32 v8, 16, v9
	v_and_b32_e32 v9, 0xffff, v21
	;;#ASMSTART
	v_cvt_f32_f16 v8, v8;
	;;#ASMEND
	;;#ASMSTART
	v_cvt_f32_f16 v9, v9;
	;;#ASMEND
	;; [unrolled: 3-line block ×3, first 2 shown]
	s_nop 0
	v_fmac_f32_e32 v25, v2, v9
	v_add_f32_e32 v2, v22, v23
	v_fmac_f32_e32 v26, v8, v10
	v_add_f32_e32 v2, v2, v25
	v_add_f32_e32 v9, v26, v2
	v_and_b32_e32 v2, 64, v11
	v_xor_b32_e32 v10, 1, v11
	v_add_u32_e32 v8, 64, v2
	v_cmp_lt_i32_e64 s[0:1], v10, v8
	s_nop 1
	v_cndmask_b32_e64 v10, v11, v10, s[0:1]
	v_lshlrev_b32_e32 v10, 2, v10
	ds_bpermute_b32 v10, v10, v9
	s_and_saveexec_b64 s[34:35], vcc
	s_cbranch_execz .LBB268_8
; %bb.394:                              ;   in Loop: Header=BB268_9 Depth=1
	v_add_u32_e32 v19, s41, v15
	v_cvt_f32_i32_e32 v19, v19
	s_waitcnt lgkmcnt(0)
	v_add_f32_e32 v9, v9, v10
	v_cmp_gt_i32_e64 s[0:1], s33, v15
	v_max_f32_e32 v10, v12, v12
	v_mul_f32_e32 v19, s28, v19
	v_cndmask_b32_e64 v19, 0, v19, s[2:3]
	v_fmac_f32_e32 v19, s29, v9
	v_cndmask_b32_e64 v9, 0, v19, s[0:1]
	ds_write_b32 v16, v9
	v_max_f32_e32 v9, v10, v19
	v_cndmask_b32_e64 v12, v12, v9, s[0:1]
	s_branch .LBB268_8
.LBB268_395:
	s_or_b64 exec, exec, s[14:15]
.LBB268_396:
	s_or_b64 exec, exec, s[30:31]
	v_xor_b32_e32 v3, 32, v11
	v_cmp_lt_i32_e32 vcc, v3, v8
	v_xor_b32_e32 v6, 16, v11
	v_max_f32_e32 v5, v12, v12
	v_cndmask_b32_e32 v3, v11, v3, vcc
	v_lshlrev_b32_e32 v3, 2, v3
	ds_bpermute_b32 v4, v3, v12
	v_cmp_lt_i32_e32 vcc, v6, v8
	v_xor_b32_e32 v7, 8, v11
	v_xor_b32_e32 v9, 4, v11
	s_waitcnt lgkmcnt(0)
	v_xor_b32_e32 v10, 2, v11
	v_max_f32_e32 v4, v4, v4
	v_max_f32_e32 v5, v5, v4
	v_cndmask_b32_e32 v4, v11, v6, vcc
	v_lshlrev_b32_e32 v4, 2, v4
	ds_bpermute_b32 v6, v4, v5
	v_cmp_lt_i32_e32 vcc, v7, v8
	v_and_b32_e32 v29, 63, v0
	s_waitcnt lgkmcnt(0)
	v_max_f32_e32 v6, v6, v6
	v_max_f32_e32 v6, v5, v6
	v_cndmask_b32_e32 v5, v11, v7, vcc
	v_lshlrev_b32_e32 v5, 2, v5
	ds_bpermute_b32 v7, v5, v6
	v_cmp_lt_i32_e32 vcc, v9, v8
	s_waitcnt lgkmcnt(0)
	v_max_f32_e32 v7, v7, v7
	v_max_f32_e32 v7, v6, v7
	v_cndmask_b32_e32 v6, v11, v9, vcc
	v_lshlrev_b32_e32 v6, 2, v6
	ds_bpermute_b32 v9, v6, v7
	v_cmp_lt_i32_e32 vcc, v10, v8
	s_waitcnt lgkmcnt(0)
	v_max_f32_e32 v9, v9, v9
	v_max_f32_e32 v9, v7, v9
	v_cndmask_b32_e32 v7, v11, v10, vcc
	v_lshlrev_b32_e32 v30, 2, v7
	ds_bpermute_b32 v10, v30, v9
	v_cmp_eq_u32_e32 vcc, 0, v29
	v_lshlrev_b32_e32 v7, 2, v28
	s_and_saveexec_b64 s[0:1], vcc
	s_cbranch_execz .LBB268_398
; %bb.397:
	s_waitcnt lgkmcnt(0)
	v_max_f32_e32 v10, v10, v10
	v_max_f32_e32 v9, v9, v9
	;; [unrolled: 1-line block ×3, first 2 shown]
	ds_write_b32 v7, v9 offset:256
.LBB268_398:
	s_or_b64 exec, exec, s[0:1]
	v_cmp_gt_u32_e64 s[0:1], 2, v29
	s_waitcnt lgkmcnt(0)
	v_mov_b32_e32 v10, 0xff7fffff
	v_lshlrev_b32_e32 v9, 2, v29
	s_barrier
	s_and_saveexec_b64 s[2:3], s[0:1]
; %bb.399:
	ds_read_b32 v10, v9 offset:256
; %bb.400:
	s_or_b64 exec, exec, s[2:3]
	v_xor_b32_e32 v12, 1, v11
	v_cmp_lt_i32_e64 s[2:3], v12, v8
	v_lshlrev_b32_e32 v2, 2, v2
	s_nop 0
	v_cndmask_b32_e64 v8, v11, v12, s[2:3]
	v_lshlrev_b32_e32 v31, 2, v8
	s_waitcnt lgkmcnt(0)
	ds_bpermute_b32 v8, v31, v10
	v_max_f32_e32 v10, v10, v10
	s_lshl_b32 s2, s19, 5
	s_min_i32 s30, s2, s33
	v_cmp_gt_i32_e64 s[2:3], s30, v0
	s_waitcnt lgkmcnt(0)
	v_max_f32_e32 v8, v8, v8
	v_max_f32_e32 v8, v10, v8
	ds_bpermute_b32 v8, v2, v8
	v_mov_b32_e32 v2, 0
	s_and_saveexec_b64 s[14:15], s[2:3]
	s_cbranch_execz .LBB268_404
; %bb.401:
	v_mov_b32_e32 v2, 0x110
	v_lshl_add_u32 v10, v0, 2, v2
	v_mov_b32_e32 v2, 0
	s_mov_b64 s[28:29], 0
	v_mov_b32_e32 v12, v0
.LBB268_402:                            ; =>This Inner Loop Header: Depth=1
	ds_read_b32 v13, v10
	v_add_u32_e32 v12, 0x80, v12
	v_cmp_le_i32_e64 s[8:9], s30, v12
	s_or_b64 s[28:29], s[8:9], s[28:29]
	s_waitcnt lgkmcnt(0)
	v_sub_f32_e32 v13, v13, v8
	v_mul_f32_e32 v13, 0x3fb8aa3b, v13
	v_exp_f32_e32 v13, v13
	ds_write_b32 v10, v13
	v_add_f32_e32 v2, v2, v13
	v_add_u32_e32 v10, 0x200, v10
	s_andn2_b64 exec, exec, s[28:29]
	s_cbranch_execnz .LBB268_402
; %bb.403:
	s_or_b64 exec, exec, s[28:29]
.LBB268_404:
	s_or_b64 exec, exec, s[14:15]
	ds_bpermute_b32 v3, v3, v2
	s_waitcnt lgkmcnt(0)
	v_add_f32_e32 v2, v2, v3
	ds_bpermute_b32 v3, v4, v2
	s_waitcnt lgkmcnt(0)
	v_add_f32_e32 v2, v2, v3
	;; [unrolled: 3-line block ×6, first 2 shown]
	s_and_saveexec_b64 s[8:9], vcc
; %bb.405:
	ds_write_b32 v7, v2 offset:264
; %bb.406:
	s_or_b64 exec, exec, s[8:9]
	s_waitcnt lgkmcnt(0)
	s_barrier
	s_and_saveexec_b64 s[8:9], s[0:1]
; %bb.407:
	ds_read_b32 v2, v9 offset:264
; %bb.408:
	s_or_b64 exec, exec, s[8:9]
	s_waitcnt lgkmcnt(0)
	ds_bpermute_b32 v3, v31, v2
	v_lshlrev_b32_e32 v4, 2, v11
	s_waitcnt lgkmcnt(0)
	v_add_f32_e32 v2, v2, v3
	v_and_b32_e32 v3, 0xffffff00, v4
	ds_bpermute_b32 v2, v3, v2
	s_and_saveexec_b64 s[0:1], s[2:3]
	s_cbranch_execz .LBB268_421
; %bb.409:
	s_waitcnt lgkmcnt(0)
	v_add_f32_e32 v2, 0x358637bd, v2
	v_div_scale_f32 v3, s[2:3], v2, v2, 1.0
	v_rcp_f32_e32 v4, v3
	v_div_scale_f32 v5, vcc, 1.0, v2, 1.0
	s_movk_i32 s2, 0x7f
	v_fma_f32 v6, -v3, v4, 1.0
	v_fmac_f32_e32 v4, v6, v4
	v_mul_f32_e32 v6, v5, v4
	v_fma_f32 v7, -v3, v6, v5
	v_fmac_f32_e32 v6, v7, v4
	v_fma_f32 v3, -v3, v6, v5
	v_div_fmas_f32 v3, v3, v4, v6
	v_xad_u32 v4, v0, -1, s30
	v_div_fixup_f32 v2, v3, v2, 1.0
	v_cmp_lt_u32_e32 vcc, s2, v4
	s_mov_b64 s[8:9], -1
	v_mov_b32_e32 v3, v0
	s_and_saveexec_b64 s[2:3], vcc
	s_cbranch_execz .LBB268_418
; %bb.410:
	v_lshrrev_b32_e32 v4, 7, v4
	v_add_u32_e32 v6, -1, v4
	v_lshrrev_b32_e32 v5, 1, v6
	v_mov_b32_e32 v3, v2
	v_add_u32_e32 v5, 1, v5
	v_cmp_lt_u32_e32 vcc, 13, v6
	v_mov_b32_e32 v8, 0
	s_and_saveexec_b64 s[8:9], vcc
	s_cbranch_execz .LBB268_414
; %bb.411:
	v_mov_b32_e32 v7, 0x110
	v_and_b32_e32 v6, -8, v5
	v_lshl_add_u32 v7, v0, 2, v7
	s_mov_b32 s28, 0
	s_mov_b64 s[14:15], 0
.LBB268_412:                            ; =>This Inner Loop Header: Depth=1
	ds_read2st64_b32 v[8:9], v7 offset1:2
	ds_read2st64_b32 v[10:11], v7 offset0:4 offset1:6
	ds_read2st64_b32 v[12:13], v7 offset0:8 offset1:10
	;; [unrolled: 1-line block ×3, first 2 shown]
	v_add_u32_e32 v6, -8, v6
	s_waitcnt lgkmcnt(3)
	v_pk_mul_f32 v[8:9], v[2:3], v[8:9]
	s_waitcnt lgkmcnt(2)
	v_pk_mul_f32 v[10:11], v[2:3], v[10:11]
	ds_write2st64_b32 v7, v8, v9 offset1:2
	ds_write2st64_b32 v7, v10, v11 offset0:4 offset1:6
	ds_read2st64_b32 v[10:11], v7 offset0:16 offset1:18
	s_waitcnt lgkmcnt(4)
	v_pk_mul_f32 v[8:9], v[2:3], v[12:13]
	ds_write2st64_b32 v7, v8, v9 offset0:8 offset1:10
	s_waitcnt lgkmcnt(4)
	v_pk_mul_f32 v[8:9], v[2:3], v[16:17]
	ds_write2st64_b32 v7, v8, v9 offset0:12 offset1:14
	ds_read2st64_b32 v[8:9], v7 offset0:20 offset1:22
	s_waitcnt lgkmcnt(3)
	v_pk_mul_f32 v[10:11], v[2:3], v[10:11]
	ds_read2st64_b32 v[12:13], v7 offset0:24 offset1:26
	ds_write2st64_b32 v7, v10, v11 offset0:16 offset1:18
	ds_read2st64_b32 v[10:11], v7 offset0:28 offset1:30
	s_waitcnt lgkmcnt(3)
	v_pk_mul_f32 v[8:9], v[2:3], v[8:9]
	ds_write2st64_b32 v7, v8, v9 offset0:20 offset1:22
	s_waitcnt lgkmcnt(3)
	v_pk_mul_f32 v[8:9], v[2:3], v[12:13]
	ds_write2st64_b32 v7, v8, v9 offset0:24 offset1:26
	s_waitcnt lgkmcnt(2)
	v_pk_mul_f32 v[8:9], v[2:3], v[10:11]
	s_add_i32 s28, s28, 16
	v_cmp_eq_u32_e32 vcc, 0, v6
	ds_write2st64_b32 v7, v8, v9 offset0:28 offset1:30
	v_add_u32_e32 v7, 0x2000, v7
	s_or_b64 s[14:15], vcc, s[14:15]
	v_mov_b32_e32 v8, s28
	s_andn2_b64 exec, exec, s[14:15]
	s_cbranch_execnz .LBB268_412
; %bb.413:
	s_or_b64 exec, exec, s[14:15]
.LBB268_414:
	s_or_b64 exec, exec, s[8:9]
	v_and_b32_e32 v5, 7, v5
	v_cmp_ne_u32_e32 vcc, 0, v5
	s_and_saveexec_b64 s[8:9], vcc
	s_cbranch_execz .LBB268_417
; %bb.415:
	v_lshlrev_b32_e32 v6, 9, v8
	v_lshlrev_b32_e32 v7, 2, v0
	s_movk_i32 s14, 0x110
	v_add3_u32 v6, v6, v7, s14
	s_mov_b64 s[14:15], 0
.LBB268_416:                            ; =>This Inner Loop Header: Depth=1
	ds_read2st64_b32 v[8:9], v6 offset1:2
	v_add_u32_e32 v5, -1, v5
	v_cmp_eq_u32_e32 vcc, 0, v5
	s_or_b64 s[14:15], vcc, s[14:15]
	s_waitcnt lgkmcnt(0)
	v_pk_mul_f32 v[8:9], v[2:3], v[8:9]
	ds_write2st64_b32 v6, v8, v9 offset1:2
	v_add_u32_e32 v6, 0x400, v6
	s_andn2_b64 exec, exec, s[14:15]
	s_cbranch_execnz .LBB268_416
.LBB268_417:
	s_or_b64 exec, exec, s[8:9]
	v_add_u32_e32 v4, 1, v4
	v_and_b32_e32 v5, 0x3fffffe, v4
	v_cmp_ne_u32_e32 vcc, v4, v5
	v_lshl_add_u32 v3, v5, 7, v0
	s_orn2_b64 s[8:9], vcc, exec
.LBB268_418:
	s_or_b64 exec, exec, s[2:3]
	s_and_b64 exec, exec, s[8:9]
	s_cbranch_execz .LBB268_421
; %bb.419:
	v_mov_b32_e32 v4, 0x110
	v_lshl_add_u32 v4, v3, 2, v4
	s_mov_b64 s[2:3], 0
.LBB268_420:                            ; =>This Inner Loop Header: Depth=1
	ds_read_b32 v5, v4
	v_add_u32_e32 v3, 0x80, v3
	v_cmp_le_i32_e32 vcc, s30, v3
	s_or_b64 s[2:3], vcc, s[2:3]
	s_waitcnt lgkmcnt(0)
	v_mul_f32_e32 v5, v2, v5
	ds_write_b32 v4, v5
	v_add_u32_e32 v4, 0x200, v4
	s_andn2_b64 exec, exec, s[2:3]
	s_cbranch_execnz .LBB268_420
.LBB268_421:
	s_or_b64 exec, exec, s[0:1]
	v_mov_b32_e32 v3, 0
	v_and_b32_e32 v32, 3, v0
	s_waitcnt lgkmcnt(0)
	v_mov_b32_e32 v2, 0
	v_mov_b32_e32 v5, 0
	;; [unrolled: 1-line block ×7, first 2 shown]
	s_barrier
	s_and_saveexec_b64 s[2:3], s[6:7]
	s_cbranch_execz .LBB268_825
; %bb.422:
	s_ashr_i32 s1, s12, 31
	s_add_u32 s0, s26, s12
	s_addc_u32 s1, s27, s1
	v_and_b32_e32 v10, 0x1f8, v1
	v_mov_b32_e32 v11, 0
	s_add_i32 s26, s19, -1
	v_lshl_add_u64 v[12:13], s[0:1], 0, v[10:11]
	s_lshl_b64 s[0:1], s[24:25], 2
	v_and_b32_e32 v2, 24, v1
	v_lshlrev_b32_e32 v1, 5, v32
	s_add_u32 s0, s22, s0
	s_mov_b32 s6, -1
	v_lshl_or_b32 v1, v28, 7, v1
	v_and_b32_e32 v10, 60, v14
	s_addc_u32 s1, s23, s1
	s_mov_b32 s28, s13
	s_mov_b32 s7, 0xffffff
	;; [unrolled: 1-line block ×3, first 2 shown]
	v_lshl_or_b32 v33, v28, 5, v2
	v_add_u32_e32 v34, 0x110, v1
	v_lshl_add_u64 v[14:15], s[0:1], 0, v[10:11]
	s_mov_b64 s[8:9], 0
	s_movk_i32 s24, 0x80
	s_movk_i32 s25, 0x7f
	s_mov_b32 s29, 0x8000
	v_mov_b32_e32 v35, 0x2000
	v_mov_b32_e32 v3, 0
	v_mov_b32_e32 v2, 0
	v_mov_b32_e32 v5, 0
	v_mov_b32_e32 v4, 0
	v_mov_b32_e32 v7, 0
	v_mov_b32_e32 v6, 0
	v_mov_b32_e32 v9, 0
	v_mov_b32_e32 v8, 0
	s_branch .LBB268_424
.LBB268_423:                            ;   in Loop: Header=BB268_424 Depth=1
	s_or_b64 exec, exec, s[0:1]
	v_add_f32_e32 v17, v26, v27
	v_add_f32_e32 v2, v2, v17
	;; [unrolled: 1-line block ×13, first 2 shown]
	;;#ASMSTART
	v_pk_mul_f16 v1, v46, v1;

	;;#ASMEND
	v_add_f32_e32 v8, v8, v17
	;;#ASMSTART
	v_pk_mul_f16 v10, v45, v10;

	;;#ASMEND
	;;#ASMSTART
	v_pk_mul_f16 v17, v44, v21;

	;;#ASMEND
	;; [unrolled: 4-line block ×3, first 2 shown]
	v_add_u32_e32 v28, 2, v28
	;;#ASMSTART
	v_pk_add_f16 v1, v1, v10;

	;;#ASMEND
	v_cmp_le_i32_e32 vcc, s19, v28
	;;#ASMSTART
	v_pk_add_f16 v1, v1, v17;

	;;#ASMEND
	v_add_u32_e32 v33, 64, v33
	;;#ASMSTART
	v_pk_add_f16 v1, v1, v16;

	;;#ASMEND
	v_add_u32_e32 v34, 0x100, v34
	v_lshrrev_b32_e32 v10, 16, v1
	v_and_b32_e32 v1, 0xffff, v1
	;;#ASMSTART
	v_cvt_f32_f16 v1, v1;
	;;#ASMEND
	;;#ASMSTART
	v_cvt_f32_f16 v10, v10;
	;;#ASMEND
	s_or_b64 s[8:9], vcc, s[8:9]
	v_add_f32_e32 v1, v1, v10
	v_add_f32_e32 v3, v3, v1
	v_lshl_add_u64 v[14:15], v[14:15], 0, 8
	s_andn2_b64 exec, exec, s[8:9]
	s_cbranch_execz .LBB268_824
.LBB268_424:                            ; =>This Inner Loop Header: Depth=1
	global_load_dword v1, v[14:15], off
	ds_read2_b64 v[16:19], v34 offset1:1
	ds_read2_b64 v[20:23], v34 offset0:2 offset1:3
	s_waitcnt lgkmcnt(1)
	;;#ASMSTART
	v_cvt_f16_f32 v42, v16;

	;;#ASMEND
	;;#ASMSTART
	v_cvt_f16_f32 v44, v17;

	;;#ASMEND
	;; [unrolled: 4-line block ×4, first 2 shown]
	s_waitcnt lgkmcnt(0)
	;;#ASMSTART
	v_cvt_f16_f32 v48, v20;

	;;#ASMEND
	;;#ASMSTART
	v_cvt_f16_f32 v49, v21;

	;;#ASMEND
	;; [unrolled: 4-line block ×4, first 2 shown]
	s_waitcnt vmcnt(0)
	v_mad_i64_i32 v[16:17], s[0:1], v1, s28, v[12:13]
	global_load_dwordx2 v[20:21], v[16:17], off
	global_load_dword v18, v11, s[10:11]
	v_mov_b32_e32 v1, 0
	s_waitcnt vmcnt(1)
	v_cmp_ne_u16_sdwa s[12:13], v20, v11 src0_sel:BYTE_0 src1_sel:DWORD
	s_and_saveexec_b64 s[0:1], s[12:13]
	s_cbranch_execz .LBB268_430
; %bb.425:                              ;   in Loop: Header=BB268_424 Depth=1
	v_cmp_ne_u16_sdwa s[14:15], v20, s24 src0_sel:BYTE_0 src1_sel:DWORD
	v_mov_b32_e32 v1, 0x8000
	s_and_saveexec_b64 s[12:13], s[14:15]
	s_cbranch_execz .LBB268_429
; %bb.426:                              ;   in Loop: Header=BB268_424 Depth=1
	v_and_b32_e32 v10, 0x7f, v20
	v_cmp_ne_u32_e32 vcc, s25, v10
	v_mov_b32_e32 v1, 0x7c01
	s_and_saveexec_b64 s[14:15], vcc
	s_cbranch_execz .LBB268_428
; %bb.427:                              ;   in Loop: Header=BB268_424 Depth=1
	v_and_b32_e32 v1, 7, v20
	v_ffbh_u32_e32 v22, v1
	v_min_u32_e32 v24, 32, v22
	v_subrev_u32_e32 v22, 28, v24
	v_lshlrev_b64 v[22:23], v22, v[20:21]
	v_lshrrev_b32_e32 v19, 3, v10
	v_sub_u32_e32 v23, 29, v24
	v_cmp_gt_u32_e32 vcc, 8, v10
	v_and_b32_e32 v22, 7, v22
	s_nop 0
	v_cndmask_b32_e32 v10, v19, v23, vcc
	v_lshl_add_u32 v10, v10, 10, v35
	v_lshlrev_b32_e32 v19, 8, v20
	v_and_b32_e32 v10, 0xfc00, v10
	v_cndmask_b32_e32 v1, v1, v22, vcc
	v_and_or_b32 v10, v19, s29, v10
	v_lshl_or_b32 v1, v1, 7, v10
.LBB268_428:                            ;   in Loop: Header=BB268_424 Depth=1
	s_or_b64 exec, exec, s[14:15]
.LBB268_429:                            ;   in Loop: Header=BB268_424 Depth=1
	s_or_b64 exec, exec, s[12:13]
.LBB268_430:                            ;   in Loop: Header=BB268_424 Depth=1
	s_or_b64 exec, exec, s[0:1]
	v_lshrrev_b16_e32 v10, 8, v20
	v_cmp_ne_u16_e32 vcc, 0, v10
	v_mov_b32_e32 v19, 0
	v_mov_b32_e32 v22, 0
	s_and_saveexec_b64 s[0:1], vcc
	s_cbranch_execz .LBB268_436
; %bb.431:                              ;   in Loop: Header=BB268_424 Depth=1
	v_cmp_ne_u16_e32 vcc, s24, v10
	v_bfrev_b32_e32 v22, 1
	s_and_saveexec_b64 s[12:13], vcc
	s_cbranch_execz .LBB268_435
; %bb.432:                              ;   in Loop: Header=BB268_424 Depth=1
	v_and_b32_e32 v23, 0x7f, v10
	v_cmp_ne_u32_e32 vcc, s25, v23
	v_mov_b32_e32 v22, 0x7c010000
	s_and_saveexec_b64 s[14:15], vcc
	s_cbranch_execz .LBB268_434
; %bb.433:                              ;   in Loop: Header=BB268_424 Depth=1
	v_and_b32_e32 v22, 7, v10
	v_ffbh_u32_e32 v24, v22
	v_min_u32_e32 v27, 32, v24
	v_subrev_u32_e32 v24, 28, v27
	v_lshlrev_b64 v[24:25], v24, v[10:11]
	v_lshrrev_b32_e32 v26, 3, v23
	v_sub_u32_e32 v25, 29, v27
	v_cmp_gt_u32_e32 vcc, 8, v23
	v_lshlrev_b32_e32 v10, 8, v10
	v_and_b32_e32 v24, 7, v24
	v_cndmask_b32_e32 v23, v26, v25, vcc
	v_lshl_add_u32 v23, v23, 10, v35
	v_and_or_b32 v10, v10, s29, v23
	v_cndmask_b32_e32 v22, v22, v24, vcc
	v_lshlrev_b32_e32 v10, 16, v10
	v_lshl_or_b32 v22, v22, 23, v10
.LBB268_434:                            ;   in Loop: Header=BB268_424 Depth=1
	s_or_b64 exec, exec, s[14:15]
.LBB268_435:                            ;   in Loop: Header=BB268_424 Depth=1
	s_or_b64 exec, exec, s[12:13]
.LBB268_436:                            ;   in Loop: Header=BB268_424 Depth=1
	s_or_b64 exec, exec, s[0:1]
	v_lshrrev_b32_e32 v10, 16, v20
	v_cmp_ne_u16_sdwa s[12:13], v10, v11 src0_sel:BYTE_0 src1_sel:DWORD
	s_and_saveexec_b64 s[0:1], s[12:13]
	s_cbranch_execz .LBB268_442
; %bb.437:                              ;   in Loop: Header=BB268_424 Depth=1
	v_cmp_ne_u16_sdwa s[14:15], v10, s24 src0_sel:BYTE_0 src1_sel:DWORD
	v_mov_b32_e32 v19, 0x8000
	s_and_saveexec_b64 s[12:13], s[14:15]
	s_cbranch_execz .LBB268_441
; %bb.438:                              ;   in Loop: Header=BB268_424 Depth=1
	v_bfe_u32 v23, v20, 16, 7
	v_cmp_ne_u32_e32 vcc, s25, v23
	v_mov_b32_e32 v19, 0x7c01
	s_and_saveexec_b64 s[14:15], vcc
	s_cbranch_execz .LBB268_440
; %bb.439:                              ;   in Loop: Header=BB268_424 Depth=1
	v_and_b32_e32 v19, 7, v10
	v_ffbh_u32_e32 v24, v19
	v_min_u32_e32 v27, 32, v24
	v_subrev_u32_e32 v24, 28, v27
	v_lshlrev_b64 v[24:25], v24, v[10:11]
	v_lshrrev_b32_e32 v26, 3, v23
	v_sub_u32_e32 v25, 29, v27
	v_cmp_gt_u32_e32 vcc, 8, v23
	v_lshlrev_b32_e32 v10, 8, v10
	v_and_b32_e32 v24, 7, v24
	v_cndmask_b32_e32 v23, v26, v25, vcc
	v_lshl_add_u32 v23, v23, 10, v35
	v_and_b32_e32 v23, 0xfc00, v23
	v_cndmask_b32_e32 v19, v19, v24, vcc
	v_and_or_b32 v10, v10, s29, v23
	v_lshl_or_b32 v19, v19, 7, v10
.LBB268_440:                            ;   in Loop: Header=BB268_424 Depth=1
	s_or_b64 exec, exec, s[14:15]
.LBB268_441:                            ;   in Loop: Header=BB268_424 Depth=1
	s_or_b64 exec, exec, s[12:13]
.LBB268_442:                            ;   in Loop: Header=BB268_424 Depth=1
	s_or_b64 exec, exec, s[0:1]
	v_cmp_lt_u32_e32 vcc, s7, v20
	v_mov_b32_e32 v23, 0
	v_mov_b32_e32 v24, 0
	s_and_saveexec_b64 s[0:1], vcc
	s_cbranch_execz .LBB268_448
; %bb.443:                              ;   in Loop: Header=BB268_424 Depth=1
	v_lshrrev_b32_e32 v10, 24, v20
	v_cmp_ne_u32_e32 vcc, s24, v10
	v_bfrev_b32_e32 v24, 1
	s_and_saveexec_b64 s[12:13], vcc
	s_cbranch_execz .LBB268_447
; %bb.444:                              ;   in Loop: Header=BB268_424 Depth=1
	v_and_b32_e32 v25, 0x7f, v10
	v_cmp_ne_u32_e32 vcc, s25, v25
	v_mov_b32_e32 v24, 0x7c010000
	s_and_saveexec_b64 s[14:15], vcc
	s_cbranch_execz .LBB268_446
; %bb.445:                              ;   in Loop: Header=BB268_424 Depth=1
	v_and_b32_e32 v24, 7, v10
	v_ffbh_u32_e32 v26, v24
	v_min_u32_e32 v37, 32, v26
	v_subrev_u32_e32 v26, 28, v37
	v_lshlrev_b64 v[26:27], v26, v[10:11]
	v_lshrrev_b32_e32 v36, 3, v25
	v_sub_u32_e32 v27, 29, v37
	v_cmp_gt_u32_e32 vcc, 8, v25
	v_lshlrev_b32_e32 v10, 8, v10
	v_and_b32_e32 v26, 7, v26
	v_cndmask_b32_e32 v25, v36, v27, vcc
	v_lshl_add_u32 v25, v25, 10, v35
	v_and_or_b32 v10, v10, s29, v25
	v_cndmask_b32_e32 v24, v24, v26, vcc
	v_lshlrev_b32_e32 v10, 16, v10
	v_lshl_or_b32 v24, v24, 23, v10
.LBB268_446:                            ;   in Loop: Header=BB268_424 Depth=1
	s_or_b64 exec, exec, s[14:15]
.LBB268_447:                            ;   in Loop: Header=BB268_424 Depth=1
	s_or_b64 exec, exec, s[12:13]
.LBB268_448:                            ;   in Loop: Header=BB268_424 Depth=1
	s_or_b64 exec, exec, s[0:1]
	v_mov_b32_e32 v10, v21
	v_cmp_ne_u16_sdwa s[12:13], v21, v11 src0_sel:BYTE_0 src1_sel:DWORD
	s_and_saveexec_b64 s[0:1], s[12:13]
	s_cbranch_execz .LBB268_454
; %bb.449:                              ;   in Loop: Header=BB268_424 Depth=1
	v_cmp_ne_u16_sdwa s[14:15], v21, s24 src0_sel:BYTE_0 src1_sel:DWORD
	v_mov_b32_e32 v23, 0x8000
	s_and_saveexec_b64 s[12:13], s[14:15]
	s_cbranch_execz .LBB268_453
; %bb.450:                              ;   in Loop: Header=BB268_424 Depth=1
	v_and_b32_e32 v25, 0x7f, v21
	v_cmp_ne_u32_e32 vcc, s25, v25
	v_mov_b32_e32 v23, 0x7c01
	s_and_saveexec_b64 s[14:15], vcc
	s_cbranch_execz .LBB268_452
; %bb.451:                              ;   in Loop: Header=BB268_424 Depth=1
	v_and_b32_e32 v23, 7, v21
	v_ffbh_u32_e32 v26, v23
	v_min_u32_e32 v37, 32, v26
	v_subrev_u32_e32 v26, 28, v37
	v_lshlrev_b64 v[26:27], v26, v[10:11]
	v_lshrrev_b32_e32 v36, 3, v25
	v_sub_u32_e32 v27, 29, v37
	v_cmp_gt_u32_e32 vcc, 8, v25
	v_and_b32_e32 v26, 7, v26
	s_nop 0
	v_cndmask_b32_e32 v25, v36, v27, vcc
	v_lshl_add_u32 v25, v25, 10, v35
	v_lshlrev_b32_e32 v27, 8, v21
	v_and_b32_e32 v25, 0xfc00, v25
	v_cndmask_b32_e32 v23, v23, v26, vcc
	v_and_or_b32 v25, v27, s29, v25
	v_lshl_or_b32 v23, v23, 7, v25
.LBB268_452:                            ;   in Loop: Header=BB268_424 Depth=1
	s_or_b64 exec, exec, s[14:15]
.LBB268_453:                            ;   in Loop: Header=BB268_424 Depth=1
	s_or_b64 exec, exec, s[12:13]
.LBB268_454:                            ;   in Loop: Header=BB268_424 Depth=1
	s_or_b64 exec, exec, s[0:1]
	v_lshrrev_b16_e32 v10, 8, v10
	v_cmp_ne_u16_e32 vcc, 0, v10
	v_mov_b32_e32 v26, 0
	v_mov_b32_e32 v25, 0
	s_and_saveexec_b64 s[0:1], vcc
	s_cbranch_execz .LBB268_460
; %bb.455:                              ;   in Loop: Header=BB268_424 Depth=1
	v_cmp_ne_u16_e32 vcc, s24, v10
	v_bfrev_b32_e32 v25, 1
	s_and_saveexec_b64 s[12:13], vcc
	s_cbranch_execz .LBB268_459
; %bb.456:                              ;   in Loop: Header=BB268_424 Depth=1
	v_and_b32_e32 v27, 0x7f, v10
	v_cmp_ne_u32_e32 vcc, s25, v27
	v_mov_b32_e32 v25, 0x7c010000
	s_and_saveexec_b64 s[14:15], vcc
	s_cbranch_execz .LBB268_458
; %bb.457:                              ;   in Loop: Header=BB268_424 Depth=1
	v_and_b32_e32 v25, 7, v10
	v_ffbh_u32_e32 v36, v25
	v_min_u32_e32 v39, 32, v36
	v_subrev_u32_e32 v36, 28, v39
	v_lshlrev_b64 v[36:37], v36, v[10:11]
	v_lshrrev_b32_e32 v38, 3, v27
	v_sub_u32_e32 v37, 29, v39
	v_cmp_gt_u32_e32 vcc, 8, v27
	v_lshlrev_b32_e32 v10, 8, v10
	v_and_b32_e32 v36, 7, v36
	v_cndmask_b32_e32 v27, v38, v37, vcc
	v_lshl_add_u32 v27, v27, 10, v35
	v_and_or_b32 v10, v10, s29, v27
	v_cndmask_b32_e32 v25, v25, v36, vcc
	v_lshlrev_b32_e32 v10, 16, v10
	v_lshl_or_b32 v25, v25, 23, v10
.LBB268_458:                            ;   in Loop: Header=BB268_424 Depth=1
	s_or_b64 exec, exec, s[14:15]
.LBB268_459:                            ;   in Loop: Header=BB268_424 Depth=1
	s_or_b64 exec, exec, s[12:13]
.LBB268_460:                            ;   in Loop: Header=BB268_424 Depth=1
	s_or_b64 exec, exec, s[0:1]
	v_lshrrev_b32_e32 v10, 16, v21
	v_cmp_ne_u16_sdwa s[12:13], v10, v11 src0_sel:BYTE_0 src1_sel:DWORD
	s_and_saveexec_b64 s[0:1], s[12:13]
	s_cbranch_execz .LBB268_466
; %bb.461:                              ;   in Loop: Header=BB268_424 Depth=1
	v_cmp_ne_u16_sdwa s[14:15], v10, s24 src0_sel:BYTE_0 src1_sel:DWORD
	v_mov_b32_e32 v26, 0x8000
	s_and_saveexec_b64 s[12:13], s[14:15]
	s_cbranch_execz .LBB268_465
; %bb.462:                              ;   in Loop: Header=BB268_424 Depth=1
	v_bfe_u32 v27, v21, 16, 7
	v_cmp_ne_u32_e32 vcc, s25, v27
	v_mov_b32_e32 v26, 0x7c01
	s_and_saveexec_b64 s[14:15], vcc
	s_cbranch_execz .LBB268_464
; %bb.463:                              ;   in Loop: Header=BB268_424 Depth=1
	v_and_b32_e32 v26, 7, v10
	v_ffbh_u32_e32 v36, v26
	v_min_u32_e32 v39, 32, v36
	v_subrev_u32_e32 v36, 28, v39
	v_lshlrev_b64 v[36:37], v36, v[10:11]
	v_lshrrev_b32_e32 v38, 3, v27
	v_sub_u32_e32 v37, 29, v39
	v_cmp_gt_u32_e32 vcc, 8, v27
	v_lshlrev_b32_e32 v10, 8, v10
	v_and_b32_e32 v36, 7, v36
	v_cndmask_b32_e32 v27, v38, v37, vcc
	v_lshl_add_u32 v27, v27, 10, v35
	v_and_b32_e32 v27, 0xfc00, v27
	v_cndmask_b32_e32 v26, v26, v36, vcc
	v_and_or_b32 v10, v10, s29, v27
	v_lshl_or_b32 v26, v26, 7, v10
.LBB268_464:                            ;   in Loop: Header=BB268_424 Depth=1
	s_or_b64 exec, exec, s[14:15]
.LBB268_465:                            ;   in Loop: Header=BB268_424 Depth=1
	s_or_b64 exec, exec, s[12:13]
.LBB268_466:                            ;   in Loop: Header=BB268_424 Depth=1
	s_or_b64 exec, exec, s[0:1]
	v_cmp_lt_u64_e32 vcc, s[6:7], v[20:21]
	v_mov_b32_e32 v27, 0
	s_and_saveexec_b64 s[0:1], vcc
	s_cbranch_execz .LBB268_472
; %bb.467:                              ;   in Loop: Header=BB268_424 Depth=1
	v_lshrrev_b32_e32 v10, 24, v21
	v_cmp_ne_u32_e32 vcc, s24, v10
	v_bfrev_b32_e32 v27, 1
	s_and_saveexec_b64 s[12:13], vcc
	s_cbranch_execz .LBB268_471
; %bb.468:                              ;   in Loop: Header=BB268_424 Depth=1
	v_and_b32_e32 v20, 0x7f, v10
	v_cmp_ne_u32_e32 vcc, s25, v20
	v_mov_b32_e32 v27, 0x7c010000
	s_and_saveexec_b64 s[14:15], vcc
	s_cbranch_execz .LBB268_470
; %bb.469:                              ;   in Loop: Header=BB268_424 Depth=1
	v_and_b32_e32 v21, 7, v10
	v_ffbh_u32_e32 v36, v21
	v_min_u32_e32 v38, 32, v36
	v_subrev_u32_e32 v36, 28, v38
	v_lshlrev_b64 v[36:37], v36, v[10:11]
	v_lshrrev_b32_e32 v27, 3, v20
	v_sub_u32_e32 v37, 29, v38
	v_cmp_gt_u32_e32 vcc, 8, v20
	v_lshlrev_b32_e32 v10, 8, v10
	s_nop 0
	v_cndmask_b32_e32 v20, v27, v37, vcc
	v_lshl_add_u32 v20, v20, 10, v35
	v_and_b32_e32 v27, 7, v36
	v_and_or_b32 v10, v10, s29, v20
	v_cndmask_b32_e32 v21, v21, v27, vcc
	v_lshlrev_b32_e32 v10, 16, v10
	v_lshl_or_b32 v27, v21, 23, v10
.LBB268_470:                            ;   in Loop: Header=BB268_424 Depth=1
	s_or_b64 exec, exec, s[14:15]
.LBB268_471:                            ;   in Loop: Header=BB268_424 Depth=1
	s_or_b64 exec, exec, s[12:13]
.LBB268_472:                            ;   in Loop: Header=BB268_424 Depth=1
	s_or_b64 exec, exec, s[0:1]
	v_cvt_f32_f16_sdwa v21, v22 dst_sel:DWORD dst_unused:UNUSED_PAD src0_sel:WORD_1
	v_cvt_f32_f16_sdwa v20, v24 dst_sel:DWORD dst_unused:UNUSED_PAD src0_sel:WORD_1
	v_or_b32_e32 v1, v22, v1
	v_or_b32_e32 v10, v24, v19
	v_cvt_f32_f16_e32 v36, v10
	v_cvt_f32_f16_e32 v37, v1
	s_waitcnt vmcnt(0)
	v_pk_mul_f32 v[20:21], v[18:19], v[20:21] op_sel_hi:[0,1]
	v_cvt_pk_f16_f32 v1, v20, v21
	v_and_b32_e32 v19, 0xffff0000, v1
	v_pk_mul_f32 v[36:37], v[18:19], v[36:37] op_sel_hi:[0,1]
	v_or_b32_e32 v10, v25, v23
	v_or_b32_e32 v23, v27, v26
	v_lshlrev_b32_e32 v20, 16, v1
	v_cvt_pk_f16_f32 v1, v36, v37
	v_cvt_f32_f16_e32 v36, v23
	v_cvt_f32_f16_e32 v37, v10
	v_cvt_f32_f16_sdwa v25, v25 dst_sel:DWORD dst_unused:UNUSED_PAD src0_sel:WORD_1
	v_cvt_f32_f16_sdwa v24, v27 dst_sel:DWORD dst_unused:UNUSED_PAD src0_sel:WORD_1
	v_lshrrev_b32_e32 v21, 16, v1
	v_pk_mul_f32 v[26:27], v[18:19], v[36:37] op_sel_hi:[0,1]
	v_cvt_pk_f16_f32 v26, v26, v27
	v_pk_mul_f32 v[24:25], v[18:19], v[24:25] op_sel_hi:[0,1]
	v_cvt_pk_f16_f32 v18, v24, v25
	v_and_b32_e32 v22, 0xffff, v1
	v_and_b32_e32 v23, 0xffff0000, v18
	v_lshlrev_b32_e32 v18, 16, v18
	v_lshrrev_b32_e32 v27, 16, v26
	v_and_b32_e32 v26, 0xffff, v26
	v_cmp_eq_u32_e32 vcc, s26, v28
	v_or_b32_e32 v1, v19, v21
	v_or_b32_e32 v10, v20, v22
	;; [unrolled: 1-line block ×4, first 2 shown]
	v_add_u32_e32 v43, 2, v33
	v_or_b32_e32 v41, 1, v33
	v_or_b32_e32 v40, 3, v33
	;; [unrolled: 1-line block ×6, first 2 shown]
	s_and_saveexec_b64 s[12:13], vcc
	s_cbranch_execz .LBB268_474
; %bb.473:                              ;   in Loop: Header=BB268_424 Depth=1
	v_cmp_gt_i32_e64 s[0:1], s27, v33
	s_nop 1
	v_cndmask_b32_e64 v1, 0, v21, s[0:1]
	v_cmp_gt_i32_e64 s[0:1], s33, v43
	s_nop 1
	v_cndmask_b32_e64 v10, 0, v22, s[0:1]
	;; [unrolled: 3-line block ×3, first 2 shown]
	v_cmp_gt_i32_e64 s[0:1], s33, v40
	v_or_b32_e32 v1, v19, v1
	s_nop 0
	v_cndmask_b32_e64 v20, 0, v20, s[0:1]
	v_cmp_gt_i32_e64 s[0:1], s27, v39
	v_or_b32_e32 v10, v20, v10
	s_nop 0
	v_cndmask_b32_e64 v19, 0, v27, s[0:1]
	v_cmp_gt_i32_e64 s[0:1], s33, v38
	s_nop 1
	v_cndmask_b32_e64 v20, 0, v26, s[0:1]
	v_cmp_gt_i32_e64 s[0:1], s27, v37
	;; [unrolled: 3-line block ×3, first 2 shown]
	v_or_b32_e32 v25, v21, v19
	s_nop 0
	v_cndmask_b32_e64 v18, 0, v18, s[0:1]
	v_or_b32_e32 v24, v18, v20
.LBB268_474:                            ;   in Loop: Header=BB268_424 Depth=1
	s_or_b64 exec, exec, s[12:13]
	v_and_b32_e32 v18, 0xffff, v42
	v_lshl_or_b32 v46, v44, 16, v18
	v_and_b32_e32 v18, 0xffff, v45
	v_lshl_or_b32 v45, v47, 16, v18
	v_and_b32_e32 v18, 0xffff, v48
	v_lshl_or_b32 v44, v49, 16, v18
	v_and_b32_e32 v18, 0xffff, v50
	;;#ASMSTART
	v_pk_mul_f16 v1, v46, v1;

	;;#ASMEND
	v_lshl_or_b32 v42, v51, 16, v18
	;;#ASMSTART
	v_pk_mul_f16 v10, v45, v10;

	;;#ASMEND
	;;#ASMSTART
	v_pk_mul_f16 v18, v44, v25;

	;;#ASMEND
	;; [unrolled: 4-line block ×3, first 2 shown]
	s_nop 0
	;;#ASMSTART
	v_pk_add_f16 v1, v1, v10;

	;;#ASMEND
	s_nop 0
	;;#ASMSTART
	v_pk_add_f16 v1, v1, v18;

	;;#ASMEND
	;; [unrolled: 5-line block ×3, first 2 shown]
	v_mov_b32_e32 v19, 0
	v_lshrrev_b32_e32 v10, 16, v1
	v_and_b32_e32 v1, 0xffff, v1
	;;#ASMSTART
	v_cvt_f32_f16 v47, v1;
	;;#ASMEND
	;;#ASMSTART
	v_cvt_f32_f16 v48, v10;
	;;#ASMEND
	global_load_dwordx2 v[20:21], v[16:17], off offset:512
	v_mov_b32_e32 v1, 0
	global_load_dword v18, v1, s[10:11]
	s_waitcnt vmcnt(1)
	v_cmp_ne_u16_sdwa s[0:1], v20, v11 src0_sel:BYTE_0 src1_sel:DWORD
	s_and_saveexec_b64 s[12:13], s[0:1]
	s_cbranch_execz .LBB268_480
; %bb.475:                              ;   in Loop: Header=BB268_424 Depth=1
	v_cmp_ne_u16_sdwa s[0:1], v20, s24 src0_sel:BYTE_0 src1_sel:DWORD
	v_mov_b32_e32 v19, 0x8000
	s_and_saveexec_b64 s[14:15], s[0:1]
	s_cbranch_execz .LBB268_479
; %bb.476:                              ;   in Loop: Header=BB268_424 Depth=1
	v_and_b32_e32 v10, 0x7f, v20
	v_cmp_ne_u32_e64 s[0:1], s25, v10
	v_mov_b32_e32 v19, 0x7c01
	s_and_saveexec_b64 s[22:23], s[0:1]
	s_cbranch_execz .LBB268_478
; %bb.477:                              ;   in Loop: Header=BB268_424 Depth=1
	v_and_b32_e32 v19, 7, v20
	v_ffbh_u32_e32 v22, v19
	v_min_u32_e32 v25, 32, v22
	v_subrev_u32_e32 v22, 28, v25
	v_lshlrev_b64 v[22:23], v22, v[20:21]
	v_lshrrev_b32_e32 v24, 3, v10
	v_sub_u32_e32 v23, 29, v25
	v_cmp_gt_u32_e64 s[0:1], 8, v10
	v_and_b32_e32 v22, 7, v22
	s_nop 0
	v_cndmask_b32_e64 v10, v24, v23, s[0:1]
	v_lshl_add_u32 v10, v10, 10, v35
	v_lshlrev_b32_e32 v23, 8, v20
	v_and_b32_e32 v10, 0xfc00, v10
	v_cndmask_b32_e64 v19, v19, v22, s[0:1]
	v_and_or_b32 v10, v23, s29, v10
	v_lshl_or_b32 v19, v19, 7, v10
.LBB268_478:                            ;   in Loop: Header=BB268_424 Depth=1
	s_or_b64 exec, exec, s[22:23]
.LBB268_479:                            ;   in Loop: Header=BB268_424 Depth=1
	s_or_b64 exec, exec, s[14:15]
.LBB268_480:                            ;   in Loop: Header=BB268_424 Depth=1
	s_or_b64 exec, exec, s[12:13]
	v_lshrrev_b16_e32 v10, 8, v20
	v_cmp_ne_u16_e64 s[0:1], 0, v10
	s_and_saveexec_b64 s[12:13], s[0:1]
	s_cbranch_execz .LBB268_486
; %bb.481:                              ;   in Loop: Header=BB268_424 Depth=1
	v_cmp_ne_u16_e64 s[0:1], s24, v10
	v_bfrev_b32_e32 v1, 1
	s_and_saveexec_b64 s[14:15], s[0:1]
	s_cbranch_execz .LBB268_485
; %bb.482:                              ;   in Loop: Header=BB268_424 Depth=1
	v_and_b32_e32 v22, 0x7f, v10
	v_cmp_ne_u32_e64 s[0:1], s25, v22
	v_mov_b32_e32 v1, 0x7c010000
	s_and_saveexec_b64 s[22:23], s[0:1]
	s_cbranch_execz .LBB268_484
; %bb.483:                              ;   in Loop: Header=BB268_424 Depth=1
	v_and_b32_e32 v1, 7, v10
	v_ffbh_u32_e32 v24, v1
	v_min_u32_e32 v26, 32, v24
	v_subrev_u32_e32 v24, 28, v26
	v_lshlrev_b64 v[24:25], v24, v[10:11]
	v_lshrrev_b32_e32 v23, 3, v22
	v_sub_u32_e32 v25, 29, v26
	v_cmp_gt_u32_e64 s[0:1], 8, v22
	v_lshlrev_b32_e32 v10, 8, v10
	s_nop 0
	v_cndmask_b32_e64 v22, v23, v25, s[0:1]
	v_lshl_add_u32 v22, v22, 10, v35
	v_and_b32_e32 v23, 7, v24
	v_and_or_b32 v10, v10, s29, v22
	v_cndmask_b32_e64 v1, v1, v23, s[0:1]
	v_lshlrev_b32_e32 v10, 16, v10
	v_lshl_or_b32 v1, v1, 23, v10
.LBB268_484:                            ;   in Loop: Header=BB268_424 Depth=1
	s_or_b64 exec, exec, s[22:23]
.LBB268_485:                            ;   in Loop: Header=BB268_424 Depth=1
	s_or_b64 exec, exec, s[14:15]
.LBB268_486:                            ;   in Loop: Header=BB268_424 Depth=1
	s_or_b64 exec, exec, s[12:13]
	v_lshrrev_b32_e32 v10, 16, v20
	v_cmp_ne_u16_sdwa s[0:1], v10, v11 src0_sel:BYTE_0 src1_sel:DWORD
	v_mov_b32_e32 v23, 0
	v_mov_b32_e32 v22, 0
	s_and_saveexec_b64 s[12:13], s[0:1]
	s_cbranch_execz .LBB268_492
; %bb.487:                              ;   in Loop: Header=BB268_424 Depth=1
	v_cmp_ne_u16_sdwa s[0:1], v10, s24 src0_sel:BYTE_0 src1_sel:DWORD
	v_mov_b32_e32 v22, 0x8000
	s_and_saveexec_b64 s[14:15], s[0:1]
	s_cbranch_execz .LBB268_491
; %bb.488:                              ;   in Loop: Header=BB268_424 Depth=1
	v_bfe_u32 v24, v20, 16, 7
	v_cmp_ne_u32_e64 s[0:1], s25, v24
	v_mov_b32_e32 v22, 0x7c01
	s_and_saveexec_b64 s[22:23], s[0:1]
	s_cbranch_execz .LBB268_490
; %bb.489:                              ;   in Loop: Header=BB268_424 Depth=1
	v_and_b32_e32 v22, 7, v10
	v_ffbh_u32_e32 v26, v22
	v_min_u32_e32 v49, 32, v26
	v_subrev_u32_e32 v26, 28, v49
	v_lshlrev_b64 v[26:27], v26, v[10:11]
	v_lshrrev_b32_e32 v25, 3, v24
	v_sub_u32_e32 v27, 29, v49
	v_cmp_gt_u32_e64 s[0:1], 8, v24
	v_lshlrev_b32_e32 v10, 8, v10
	s_nop 0
	v_cndmask_b32_e64 v24, v25, v27, s[0:1]
	v_lshl_add_u32 v24, v24, 10, v35
	v_and_b32_e32 v25, 7, v26
	v_and_b32_e32 v24, 0xfc00, v24
	v_cndmask_b32_e64 v22, v22, v25, s[0:1]
	v_and_or_b32 v10, v10, s29, v24
	v_lshl_or_b32 v22, v22, 7, v10
.LBB268_490:                            ;   in Loop: Header=BB268_424 Depth=1
	s_or_b64 exec, exec, s[22:23]
.LBB268_491:                            ;   in Loop: Header=BB268_424 Depth=1
	s_or_b64 exec, exec, s[14:15]
.LBB268_492:                            ;   in Loop: Header=BB268_424 Depth=1
	s_or_b64 exec, exec, s[12:13]
	v_cmp_lt_u32_e64 s[0:1], s7, v20
	s_and_saveexec_b64 s[12:13], s[0:1]
	s_cbranch_execz .LBB268_498
; %bb.493:                              ;   in Loop: Header=BB268_424 Depth=1
	v_lshrrev_b32_e32 v10, 24, v20
	v_cmp_ne_u32_e64 s[0:1], s24, v10
	v_bfrev_b32_e32 v23, 1
	s_and_saveexec_b64 s[14:15], s[0:1]
	s_cbranch_execz .LBB268_497
; %bb.494:                              ;   in Loop: Header=BB268_424 Depth=1
	v_and_b32_e32 v24, 0x7f, v10
	v_cmp_ne_u32_e64 s[0:1], s25, v24
	v_mov_b32_e32 v23, 0x7c010000
	s_and_saveexec_b64 s[22:23], s[0:1]
	s_cbranch_execz .LBB268_496
; %bb.495:                              ;   in Loop: Header=BB268_424 Depth=1
	v_and_b32_e32 v23, 7, v10
	v_ffbh_u32_e32 v26, v23
	v_min_u32_e32 v49, 32, v26
	v_subrev_u32_e32 v26, 28, v49
	v_lshlrev_b64 v[26:27], v26, v[10:11]
	v_lshrrev_b32_e32 v25, 3, v24
	v_sub_u32_e32 v27, 29, v49
	v_cmp_gt_u32_e64 s[0:1], 8, v24
	v_lshlrev_b32_e32 v10, 8, v10
	s_nop 0
	v_cndmask_b32_e64 v24, v25, v27, s[0:1]
	v_lshl_add_u32 v24, v24, 10, v35
	v_and_b32_e32 v25, 7, v26
	v_and_or_b32 v10, v10, s29, v24
	v_cndmask_b32_e64 v23, v23, v25, s[0:1]
	v_lshlrev_b32_e32 v10, 16, v10
	v_lshl_or_b32 v23, v23, 23, v10
.LBB268_496:                            ;   in Loop: Header=BB268_424 Depth=1
	s_or_b64 exec, exec, s[22:23]
.LBB268_497:                            ;   in Loop: Header=BB268_424 Depth=1
	s_or_b64 exec, exec, s[14:15]
.LBB268_498:                            ;   in Loop: Header=BB268_424 Depth=1
	s_or_b64 exec, exec, s[12:13]
	v_mov_b32_e32 v10, v21
	v_cmp_ne_u16_sdwa s[0:1], v21, v11 src0_sel:BYTE_0 src1_sel:DWORD
	v_mov_b32_e32 v24, 0
	v_mov_b32_e32 v25, 0
	s_and_saveexec_b64 s[12:13], s[0:1]
	s_cbranch_execz .LBB268_504
; %bb.499:                              ;   in Loop: Header=BB268_424 Depth=1
	v_cmp_ne_u16_sdwa s[0:1], v21, s24 src0_sel:BYTE_0 src1_sel:DWORD
	v_mov_b32_e32 v25, 0x8000
	s_and_saveexec_b64 s[14:15], s[0:1]
	s_cbranch_execz .LBB268_503
; %bb.500:                              ;   in Loop: Header=BB268_424 Depth=1
	v_and_b32_e32 v26, 0x7f, v21
	v_cmp_ne_u32_e64 s[0:1], s25, v26
	v_mov_b32_e32 v25, 0x7c01
	s_and_saveexec_b64 s[22:23], s[0:1]
	s_cbranch_execz .LBB268_502
; %bb.501:                              ;   in Loop: Header=BB268_424 Depth=1
	v_and_b32_e32 v25, 7, v21
	v_ffbh_u32_e32 v49, v25
	v_min_u32_e32 v49, 32, v49
	v_lshrrev_b32_e32 v27, 3, v26
	v_subrev_u32_e32 v50, 28, v49
	v_sub_u32_e32 v49, 29, v49
	v_cmp_gt_u32_e64 s[0:1], 8, v26
	v_lshlrev_b64 v[50:51], v50, v[10:11]
	s_nop 0
	v_cndmask_b32_e64 v26, v27, v49, s[0:1]
	v_lshl_add_u32 v26, v26, 10, v35
	v_lshlrev_b32_e32 v27, 8, v21
	v_and_b32_e32 v49, 7, v50
	v_and_b32_e32 v26, 0xfc00, v26
	v_cndmask_b32_e64 v25, v25, v49, s[0:1]
	v_and_or_b32 v26, v27, s29, v26
	v_lshl_or_b32 v25, v25, 7, v26
.LBB268_502:                            ;   in Loop: Header=BB268_424 Depth=1
	s_or_b64 exec, exec, s[22:23]
.LBB268_503:                            ;   in Loop: Header=BB268_424 Depth=1
	s_or_b64 exec, exec, s[14:15]
.LBB268_504:                            ;   in Loop: Header=BB268_424 Depth=1
	s_or_b64 exec, exec, s[12:13]
	v_lshrrev_b16_e32 v10, 8, v10
	v_cmp_ne_u16_e64 s[0:1], 0, v10
	v_mov_b32_e32 v26, 0
	s_and_saveexec_b64 s[12:13], s[0:1]
	s_cbranch_execz .LBB268_510
; %bb.505:                              ;   in Loop: Header=BB268_424 Depth=1
	v_cmp_ne_u16_e64 s[0:1], s24, v10
	v_bfrev_b32_e32 v26, 1
	s_and_saveexec_b64 s[14:15], s[0:1]
	s_cbranch_execz .LBB268_509
; %bb.506:                              ;   in Loop: Header=BB268_424 Depth=1
	v_and_b32_e32 v27, 0x7f, v10
	v_cmp_ne_u32_e64 s[0:1], s25, v27
	v_mov_b32_e32 v26, 0x7c010000
	s_and_saveexec_b64 s[22:23], s[0:1]
	s_cbranch_execz .LBB268_508
; %bb.507:                              ;   in Loop: Header=BB268_424 Depth=1
	v_and_b32_e32 v26, 7, v10
	v_ffbh_u32_e32 v50, v26
	v_min_u32_e32 v52, 32, v50
	v_subrev_u32_e32 v50, 28, v52
	v_lshlrev_b64 v[50:51], v50, v[10:11]
	v_lshrrev_b32_e32 v49, 3, v27
	v_sub_u32_e32 v51, 29, v52
	v_cmp_gt_u32_e64 s[0:1], 8, v27
	v_lshlrev_b32_e32 v10, 8, v10
	s_nop 0
	v_cndmask_b32_e64 v27, v49, v51, s[0:1]
	v_lshl_add_u32 v27, v27, 10, v35
	v_and_b32_e32 v49, 7, v50
	v_and_or_b32 v10, v10, s29, v27
	v_cndmask_b32_e64 v26, v26, v49, s[0:1]
	v_lshlrev_b32_e32 v10, 16, v10
	v_lshl_or_b32 v26, v26, 23, v10
.LBB268_508:                            ;   in Loop: Header=BB268_424 Depth=1
	s_or_b64 exec, exec, s[22:23]
.LBB268_509:                            ;   in Loop: Header=BB268_424 Depth=1
	s_or_b64 exec, exec, s[14:15]
.LBB268_510:                            ;   in Loop: Header=BB268_424 Depth=1
	s_or_b64 exec, exec, s[12:13]
	v_lshrrev_b32_e32 v10, 16, v21
	v_cmp_ne_u16_sdwa s[0:1], v10, v11 src0_sel:BYTE_0 src1_sel:DWORD
	s_and_saveexec_b64 s[12:13], s[0:1]
	s_cbranch_execz .LBB268_516
; %bb.511:                              ;   in Loop: Header=BB268_424 Depth=1
	v_cmp_ne_u16_sdwa s[0:1], v10, s24 src0_sel:BYTE_0 src1_sel:DWORD
	v_mov_b32_e32 v24, 0x8000
	s_and_saveexec_b64 s[14:15], s[0:1]
	s_cbranch_execz .LBB268_515
; %bb.512:                              ;   in Loop: Header=BB268_424 Depth=1
	v_bfe_u32 v27, v21, 16, 7
	v_cmp_ne_u32_e64 s[0:1], s25, v27
	v_mov_b32_e32 v24, 0x7c01
	s_and_saveexec_b64 s[22:23], s[0:1]
	s_cbranch_execz .LBB268_514
; %bb.513:                              ;   in Loop: Header=BB268_424 Depth=1
	v_and_b32_e32 v24, 7, v10
	v_ffbh_u32_e32 v50, v24
	v_min_u32_e32 v52, 32, v50
	v_subrev_u32_e32 v50, 28, v52
	v_lshlrev_b64 v[50:51], v50, v[10:11]
	v_lshrrev_b32_e32 v49, 3, v27
	v_sub_u32_e32 v51, 29, v52
	v_cmp_gt_u32_e64 s[0:1], 8, v27
	v_lshlrev_b32_e32 v10, 8, v10
	s_nop 0
	v_cndmask_b32_e64 v27, v49, v51, s[0:1]
	v_lshl_add_u32 v27, v27, 10, v35
	v_and_b32_e32 v49, 7, v50
	v_and_b32_e32 v27, 0xfc00, v27
	v_cndmask_b32_e64 v24, v24, v49, s[0:1]
	v_and_or_b32 v10, v10, s29, v27
	v_lshl_or_b32 v24, v24, 7, v10
.LBB268_514:                            ;   in Loop: Header=BB268_424 Depth=1
	s_or_b64 exec, exec, s[22:23]
.LBB268_515:                            ;   in Loop: Header=BB268_424 Depth=1
	s_or_b64 exec, exec, s[14:15]
.LBB268_516:                            ;   in Loop: Header=BB268_424 Depth=1
	s_or_b64 exec, exec, s[12:13]
	v_cmp_lt_u64_e64 s[0:1], s[6:7], v[20:21]
	v_mov_b32_e32 v20, 0
	s_and_saveexec_b64 s[12:13], s[0:1]
	s_cbranch_execz .LBB268_522
; %bb.517:                              ;   in Loop: Header=BB268_424 Depth=1
	v_lshrrev_b32_e32 v10, 24, v21
	v_cmp_ne_u32_e64 s[0:1], s24, v10
	v_bfrev_b32_e32 v20, 1
	s_and_saveexec_b64 s[14:15], s[0:1]
	s_cbranch_execz .LBB268_521
; %bb.518:                              ;   in Loop: Header=BB268_424 Depth=1
	v_and_b32_e32 v21, 0x7f, v10
	v_cmp_ne_u32_e64 s[0:1], s25, v21
	v_mov_b32_e32 v20, 0x7c010000
	s_and_saveexec_b64 s[22:23], s[0:1]
	s_cbranch_execz .LBB268_520
; %bb.519:                              ;   in Loop: Header=BB268_424 Depth=1
	v_and_b32_e32 v20, 7, v10
	v_ffbh_u32_e32 v49, v20
	v_min_u32_e32 v49, 32, v49
	v_lshrrev_b32_e32 v27, 3, v21
	v_subrev_u32_e32 v50, 28, v49
	v_sub_u32_e32 v49, 29, v49
	v_cmp_gt_u32_e64 s[0:1], 8, v21
	v_lshlrev_b64 v[50:51], v50, v[10:11]
	v_lshlrev_b32_e32 v10, 8, v10
	v_cndmask_b32_e64 v21, v27, v49, s[0:1]
	v_lshl_add_u32 v21, v21, 10, v35
	v_and_b32_e32 v27, 7, v50
	v_and_or_b32 v10, v10, s29, v21
	v_cndmask_b32_e64 v20, v20, v27, s[0:1]
	v_lshlrev_b32_e32 v10, 16, v10
	v_lshl_or_b32 v20, v20, 23, v10
.LBB268_520:                            ;   in Loop: Header=BB268_424 Depth=1
	s_or_b64 exec, exec, s[22:23]
.LBB268_521:                            ;   in Loop: Header=BB268_424 Depth=1
	s_or_b64 exec, exec, s[14:15]
.LBB268_522:                            ;   in Loop: Header=BB268_424 Depth=1
	s_or_b64 exec, exec, s[12:13]
	v_cvt_f32_f16_sdwa v51, v1 dst_sel:DWORD dst_unused:UNUSED_PAD src0_sel:WORD_1
	v_cvt_f32_f16_sdwa v50, v23 dst_sel:DWORD dst_unused:UNUSED_PAD src0_sel:WORD_1
	v_or_b32_e32 v1, v1, v19
	v_or_b32_e32 v10, v23, v22
	;; [unrolled: 1-line block ×3, first 2 shown]
	s_waitcnt vmcnt(0)
	v_pk_mul_f32 v[22:23], v[18:19], v[50:51] op_sel_hi:[0,1]
	v_cvt_f32_f16_e32 v50, v10
	v_cvt_f32_f16_e32 v51, v1
	v_cvt_pk_f16_f32 v1, v22, v23
	v_and_b32_e32 v19, 0xffff0000, v1
	v_lshlrev_b32_e32 v10, 16, v1
	v_pk_mul_f32 v[22:23], v[18:19], v[50:51] op_sel_hi:[0,1]
	v_cvt_pk_f16_f32 v1, v22, v23
	v_or_b32_e32 v23, v26, v25
	v_cvt_f32_f16_e32 v24, v24
	v_cvt_f32_f16_e32 v25, v23
	v_cvt_f32_f16_sdwa v27, v26 dst_sel:DWORD dst_unused:UNUSED_PAD src0_sel:WORD_1
	v_cvt_f32_f16_sdwa v26, v20 dst_sel:DWORD dst_unused:UNUSED_PAD src0_sel:WORD_1
	v_lshrrev_b32_e32 v21, 16, v1
	v_pk_mul_f32 v[24:25], v[18:19], v[24:25] op_sel_hi:[0,1]
	v_cvt_pk_f16_f32 v49, v24, v25
	v_pk_mul_f32 v[24:25], v[18:19], v[26:27] op_sel_hi:[0,1]
	v_cvt_pk_f16_f32 v18, v24, v25
	v_and_b32_e32 v22, 0xffff, v1
	v_and_b32_e32 v23, 0xffff0000, v18
	v_lshlrev_b32_e32 v18, 16, v18
	v_lshrrev_b32_e32 v25, 16, v49
	v_and_b32_e32 v24, 0xffff, v49
	v_or_b32_e32 v1, v19, v21
	v_or_b32_e32 v20, v10, v22
	v_or_b32_e32 v27, v23, v25
	v_or_b32_e32 v26, v18, v24
	s_and_saveexec_b64 s[12:13], vcc
	s_cbranch_execz .LBB268_524
; %bb.523:                              ;   in Loop: Header=BB268_424 Depth=1
	v_cmp_gt_i32_e64 s[0:1], s27, v33
	s_nop 1
	v_cndmask_b32_e64 v1, 0, v21, s[0:1]
	v_cmp_gt_i32_e64 s[0:1], s33, v43
	s_nop 1
	v_cndmask_b32_e64 v20, 0, v22, s[0:1]
	;; [unrolled: 3-line block ×3, first 2 shown]
	v_cmp_gt_i32_e64 s[0:1], s33, v40
	v_or_b32_e32 v1, v19, v1
	s_nop 0
	v_cndmask_b32_e64 v10, 0, v10, s[0:1]
	v_cmp_gt_i32_e64 s[0:1], s27, v39
	v_or_b32_e32 v20, v10, v20
	s_nop 0
	v_cndmask_b32_e64 v10, 0, v25, s[0:1]
	v_cmp_gt_i32_e64 s[0:1], s33, v38
	s_nop 1
	v_cndmask_b32_e64 v19, 0, v24, s[0:1]
	v_cmp_gt_i32_e64 s[0:1], s27, v37
	;; [unrolled: 3-line block ×3, first 2 shown]
	v_or_b32_e32 v27, v21, v10
	s_nop 0
	v_cndmask_b32_e64 v18, 0, v18, s[0:1]
	v_or_b32_e32 v26, v18, v19
.LBB268_524:                            ;   in Loop: Header=BB268_424 Depth=1
	s_or_b64 exec, exec, s[12:13]
	;;#ASMSTART
	v_pk_mul_f16 v1, v46, v1;

	;;#ASMEND
	;;#ASMSTART
	v_pk_mul_f16 v10, v45, v20;

	;;#ASMEND
	;; [unrolled: 4-line block ×4, first 2 shown]
	s_nop 0
	;;#ASMSTART
	v_pk_add_f16 v1, v1, v10;

	;;#ASMEND
	s_nop 0
	;;#ASMSTART
	v_pk_add_f16 v1, v1, v18;

	;;#ASMEND
	;; [unrolled: 5-line block ×3, first 2 shown]
	v_mov_b32_e32 v19, 0
	v_lshrrev_b32_e32 v10, 16, v1
	v_and_b32_e32 v1, 0xffff, v1
	;;#ASMSTART
	v_cvt_f32_f16 v49, v1;
	;;#ASMEND
	;;#ASMSTART
	v_cvt_f32_f16 v50, v10;
	;;#ASMEND
	global_load_dwordx2 v[20:21], v[16:17], off offset:1024
	v_mov_b32_e32 v1, 0
	global_load_dword v18, v1, s[10:11]
	s_waitcnt vmcnt(1)
	v_cmp_ne_u16_sdwa s[0:1], v20, v11 src0_sel:BYTE_0 src1_sel:DWORD
	s_and_saveexec_b64 s[12:13], s[0:1]
	s_cbranch_execz .LBB268_530
; %bb.525:                              ;   in Loop: Header=BB268_424 Depth=1
	v_cmp_ne_u16_sdwa s[0:1], v20, s24 src0_sel:BYTE_0 src1_sel:DWORD
	v_mov_b32_e32 v19, 0x8000
	s_and_saveexec_b64 s[14:15], s[0:1]
	s_cbranch_execz .LBB268_529
; %bb.526:                              ;   in Loop: Header=BB268_424 Depth=1
	v_and_b32_e32 v10, 0x7f, v20
	v_cmp_ne_u32_e64 s[0:1], s25, v10
	v_mov_b32_e32 v19, 0x7c01
	s_and_saveexec_b64 s[22:23], s[0:1]
	s_cbranch_execz .LBB268_528
; %bb.527:                              ;   in Loop: Header=BB268_424 Depth=1
	v_and_b32_e32 v19, 7, v20
	v_ffbh_u32_e32 v22, v19
	v_min_u32_e32 v25, 32, v22
	v_subrev_u32_e32 v22, 28, v25
	v_lshlrev_b64 v[22:23], v22, v[20:21]
	v_lshrrev_b32_e32 v24, 3, v10
	v_sub_u32_e32 v23, 29, v25
	v_cmp_gt_u32_e64 s[0:1], 8, v10
	v_and_b32_e32 v22, 7, v22
	s_nop 0
	v_cndmask_b32_e64 v10, v24, v23, s[0:1]
	v_lshl_add_u32 v10, v10, 10, v35
	v_lshlrev_b32_e32 v23, 8, v20
	v_and_b32_e32 v10, 0xfc00, v10
	v_cndmask_b32_e64 v19, v19, v22, s[0:1]
	v_and_or_b32 v10, v23, s29, v10
	v_lshl_or_b32 v19, v19, 7, v10
.LBB268_528:                            ;   in Loop: Header=BB268_424 Depth=1
	s_or_b64 exec, exec, s[22:23]
.LBB268_529:                            ;   in Loop: Header=BB268_424 Depth=1
	s_or_b64 exec, exec, s[14:15]
.LBB268_530:                            ;   in Loop: Header=BB268_424 Depth=1
	s_or_b64 exec, exec, s[12:13]
	v_lshrrev_b16_e32 v10, 8, v20
	v_cmp_ne_u16_e64 s[0:1], 0, v10
	s_and_saveexec_b64 s[12:13], s[0:1]
	s_cbranch_execz .LBB268_536
; %bb.531:                              ;   in Loop: Header=BB268_424 Depth=1
	v_cmp_ne_u16_e64 s[0:1], s24, v10
	v_bfrev_b32_e32 v1, 1
	s_and_saveexec_b64 s[14:15], s[0:1]
	s_cbranch_execz .LBB268_535
; %bb.532:                              ;   in Loop: Header=BB268_424 Depth=1
	v_and_b32_e32 v22, 0x7f, v10
	v_cmp_ne_u32_e64 s[0:1], s25, v22
	v_mov_b32_e32 v1, 0x7c010000
	s_and_saveexec_b64 s[22:23], s[0:1]
	s_cbranch_execz .LBB268_534
; %bb.533:                              ;   in Loop: Header=BB268_424 Depth=1
	v_and_b32_e32 v1, 7, v10
	v_ffbh_u32_e32 v24, v1
	v_min_u32_e32 v26, 32, v24
	v_subrev_u32_e32 v24, 28, v26
	v_lshlrev_b64 v[24:25], v24, v[10:11]
	v_lshrrev_b32_e32 v23, 3, v22
	v_sub_u32_e32 v25, 29, v26
	v_cmp_gt_u32_e64 s[0:1], 8, v22
	v_lshlrev_b32_e32 v10, 8, v10
	s_nop 0
	v_cndmask_b32_e64 v22, v23, v25, s[0:1]
	v_lshl_add_u32 v22, v22, 10, v35
	v_and_b32_e32 v23, 7, v24
	v_and_or_b32 v10, v10, s29, v22
	v_cndmask_b32_e64 v1, v1, v23, s[0:1]
	v_lshlrev_b32_e32 v10, 16, v10
	v_lshl_or_b32 v1, v1, 23, v10
.LBB268_534:                            ;   in Loop: Header=BB268_424 Depth=1
	s_or_b64 exec, exec, s[22:23]
.LBB268_535:                            ;   in Loop: Header=BB268_424 Depth=1
	s_or_b64 exec, exec, s[14:15]
.LBB268_536:                            ;   in Loop: Header=BB268_424 Depth=1
	s_or_b64 exec, exec, s[12:13]
	v_lshrrev_b32_e32 v10, 16, v20
	v_cmp_ne_u16_sdwa s[0:1], v10, v11 src0_sel:BYTE_0 src1_sel:DWORD
	v_mov_b32_e32 v23, 0
	v_mov_b32_e32 v22, 0
	s_and_saveexec_b64 s[12:13], s[0:1]
	s_cbranch_execz .LBB268_542
; %bb.537:                              ;   in Loop: Header=BB268_424 Depth=1
	v_cmp_ne_u16_sdwa s[0:1], v10, s24 src0_sel:BYTE_0 src1_sel:DWORD
	v_mov_b32_e32 v22, 0x8000
	s_and_saveexec_b64 s[14:15], s[0:1]
	s_cbranch_execz .LBB268_541
; %bb.538:                              ;   in Loop: Header=BB268_424 Depth=1
	v_bfe_u32 v24, v20, 16, 7
	v_cmp_ne_u32_e64 s[0:1], s25, v24
	v_mov_b32_e32 v22, 0x7c01
	s_and_saveexec_b64 s[22:23], s[0:1]
	s_cbranch_execz .LBB268_540
; %bb.539:                              ;   in Loop: Header=BB268_424 Depth=1
	v_and_b32_e32 v22, 7, v10
	v_ffbh_u32_e32 v26, v22
	v_min_u32_e32 v51, 32, v26
	v_subrev_u32_e32 v26, 28, v51
	v_lshlrev_b64 v[26:27], v26, v[10:11]
	v_lshrrev_b32_e32 v25, 3, v24
	v_sub_u32_e32 v27, 29, v51
	v_cmp_gt_u32_e64 s[0:1], 8, v24
	v_lshlrev_b32_e32 v10, 8, v10
	s_nop 0
	v_cndmask_b32_e64 v24, v25, v27, s[0:1]
	v_lshl_add_u32 v24, v24, 10, v35
	v_and_b32_e32 v25, 7, v26
	v_and_b32_e32 v24, 0xfc00, v24
	v_cndmask_b32_e64 v22, v22, v25, s[0:1]
	v_and_or_b32 v10, v10, s29, v24
	v_lshl_or_b32 v22, v22, 7, v10
.LBB268_540:                            ;   in Loop: Header=BB268_424 Depth=1
	s_or_b64 exec, exec, s[22:23]
.LBB268_541:                            ;   in Loop: Header=BB268_424 Depth=1
	s_or_b64 exec, exec, s[14:15]
.LBB268_542:                            ;   in Loop: Header=BB268_424 Depth=1
	s_or_b64 exec, exec, s[12:13]
	v_cmp_lt_u32_e64 s[0:1], s7, v20
	s_and_saveexec_b64 s[12:13], s[0:1]
	s_cbranch_execz .LBB268_548
; %bb.543:                              ;   in Loop: Header=BB268_424 Depth=1
	v_lshrrev_b32_e32 v10, 24, v20
	v_cmp_ne_u32_e64 s[0:1], s24, v10
	v_bfrev_b32_e32 v23, 1
	s_and_saveexec_b64 s[14:15], s[0:1]
	s_cbranch_execz .LBB268_547
; %bb.544:                              ;   in Loop: Header=BB268_424 Depth=1
	v_and_b32_e32 v24, 0x7f, v10
	v_cmp_ne_u32_e64 s[0:1], s25, v24
	v_mov_b32_e32 v23, 0x7c010000
	s_and_saveexec_b64 s[22:23], s[0:1]
	s_cbranch_execz .LBB268_546
; %bb.545:                              ;   in Loop: Header=BB268_424 Depth=1
	v_and_b32_e32 v23, 7, v10
	v_ffbh_u32_e32 v26, v23
	v_min_u32_e32 v51, 32, v26
	v_subrev_u32_e32 v26, 28, v51
	v_lshlrev_b64 v[26:27], v26, v[10:11]
	v_lshrrev_b32_e32 v25, 3, v24
	v_sub_u32_e32 v27, 29, v51
	v_cmp_gt_u32_e64 s[0:1], 8, v24
	v_lshlrev_b32_e32 v10, 8, v10
	s_nop 0
	v_cndmask_b32_e64 v24, v25, v27, s[0:1]
	v_lshl_add_u32 v24, v24, 10, v35
	v_and_b32_e32 v25, 7, v26
	v_and_or_b32 v10, v10, s29, v24
	v_cndmask_b32_e64 v23, v23, v25, s[0:1]
	v_lshlrev_b32_e32 v10, 16, v10
	v_lshl_or_b32 v23, v23, 23, v10
.LBB268_546:                            ;   in Loop: Header=BB268_424 Depth=1
	s_or_b64 exec, exec, s[22:23]
.LBB268_547:                            ;   in Loop: Header=BB268_424 Depth=1
	s_or_b64 exec, exec, s[14:15]
.LBB268_548:                            ;   in Loop: Header=BB268_424 Depth=1
	s_or_b64 exec, exec, s[12:13]
	v_mov_b32_e32 v10, v21
	v_cmp_ne_u16_sdwa s[0:1], v21, v11 src0_sel:BYTE_0 src1_sel:DWORD
	v_mov_b32_e32 v24, 0
	v_mov_b32_e32 v25, 0
	s_and_saveexec_b64 s[12:13], s[0:1]
	s_cbranch_execz .LBB268_554
; %bb.549:                              ;   in Loop: Header=BB268_424 Depth=1
	v_cmp_ne_u16_sdwa s[0:1], v21, s24 src0_sel:BYTE_0 src1_sel:DWORD
	v_mov_b32_e32 v25, 0x8000
	s_and_saveexec_b64 s[14:15], s[0:1]
	s_cbranch_execz .LBB268_553
; %bb.550:                              ;   in Loop: Header=BB268_424 Depth=1
	v_and_b32_e32 v26, 0x7f, v21
	v_cmp_ne_u32_e64 s[0:1], s25, v26
	v_mov_b32_e32 v25, 0x7c01
	s_and_saveexec_b64 s[22:23], s[0:1]
	s_cbranch_execz .LBB268_552
; %bb.551:                              ;   in Loop: Header=BB268_424 Depth=1
	v_and_b32_e32 v25, 7, v21
	v_ffbh_u32_e32 v51, v25
	v_min_u32_e32 v51, 32, v51
	v_lshrrev_b32_e32 v27, 3, v26
	v_subrev_u32_e32 v52, 28, v51
	v_sub_u32_e32 v51, 29, v51
	v_cmp_gt_u32_e64 s[0:1], 8, v26
	v_lshlrev_b64 v[52:53], v52, v[10:11]
	s_nop 0
	v_cndmask_b32_e64 v26, v27, v51, s[0:1]
	v_lshl_add_u32 v26, v26, 10, v35
	v_lshlrev_b32_e32 v27, 8, v21
	v_and_b32_e32 v51, 7, v52
	v_and_b32_e32 v26, 0xfc00, v26
	v_cndmask_b32_e64 v25, v25, v51, s[0:1]
	v_and_or_b32 v26, v27, s29, v26
	v_lshl_or_b32 v25, v25, 7, v26
.LBB268_552:                            ;   in Loop: Header=BB268_424 Depth=1
	s_or_b64 exec, exec, s[22:23]
.LBB268_553:                            ;   in Loop: Header=BB268_424 Depth=1
	s_or_b64 exec, exec, s[14:15]
.LBB268_554:                            ;   in Loop: Header=BB268_424 Depth=1
	s_or_b64 exec, exec, s[12:13]
	v_lshrrev_b16_e32 v10, 8, v10
	v_cmp_ne_u16_e64 s[0:1], 0, v10
	v_mov_b32_e32 v26, 0
	s_and_saveexec_b64 s[12:13], s[0:1]
	s_cbranch_execz .LBB268_560
; %bb.555:                              ;   in Loop: Header=BB268_424 Depth=1
	v_cmp_ne_u16_e64 s[0:1], s24, v10
	v_bfrev_b32_e32 v26, 1
	s_and_saveexec_b64 s[14:15], s[0:1]
	s_cbranch_execz .LBB268_559
; %bb.556:                              ;   in Loop: Header=BB268_424 Depth=1
	v_and_b32_e32 v27, 0x7f, v10
	v_cmp_ne_u32_e64 s[0:1], s25, v27
	v_mov_b32_e32 v26, 0x7c010000
	s_and_saveexec_b64 s[22:23], s[0:1]
	s_cbranch_execz .LBB268_558
; %bb.557:                              ;   in Loop: Header=BB268_424 Depth=1
	v_and_b32_e32 v26, 7, v10
	v_ffbh_u32_e32 v52, v26
	v_min_u32_e32 v54, 32, v52
	v_subrev_u32_e32 v52, 28, v54
	v_lshlrev_b64 v[52:53], v52, v[10:11]
	v_lshrrev_b32_e32 v51, 3, v27
	v_sub_u32_e32 v53, 29, v54
	v_cmp_gt_u32_e64 s[0:1], 8, v27
	v_lshlrev_b32_e32 v10, 8, v10
	s_nop 0
	v_cndmask_b32_e64 v27, v51, v53, s[0:1]
	v_lshl_add_u32 v27, v27, 10, v35
	v_and_b32_e32 v51, 7, v52
	v_and_or_b32 v10, v10, s29, v27
	v_cndmask_b32_e64 v26, v26, v51, s[0:1]
	v_lshlrev_b32_e32 v10, 16, v10
	v_lshl_or_b32 v26, v26, 23, v10
.LBB268_558:                            ;   in Loop: Header=BB268_424 Depth=1
	s_or_b64 exec, exec, s[22:23]
.LBB268_559:                            ;   in Loop: Header=BB268_424 Depth=1
	s_or_b64 exec, exec, s[14:15]
.LBB268_560:                            ;   in Loop: Header=BB268_424 Depth=1
	s_or_b64 exec, exec, s[12:13]
	v_lshrrev_b32_e32 v10, 16, v21
	v_cmp_ne_u16_sdwa s[0:1], v10, v11 src0_sel:BYTE_0 src1_sel:DWORD
	s_and_saveexec_b64 s[12:13], s[0:1]
	s_cbranch_execz .LBB268_566
; %bb.561:                              ;   in Loop: Header=BB268_424 Depth=1
	v_cmp_ne_u16_sdwa s[0:1], v10, s24 src0_sel:BYTE_0 src1_sel:DWORD
	v_mov_b32_e32 v24, 0x8000
	s_and_saveexec_b64 s[14:15], s[0:1]
	s_cbranch_execz .LBB268_565
; %bb.562:                              ;   in Loop: Header=BB268_424 Depth=1
	v_bfe_u32 v27, v21, 16, 7
	v_cmp_ne_u32_e64 s[0:1], s25, v27
	v_mov_b32_e32 v24, 0x7c01
	s_and_saveexec_b64 s[22:23], s[0:1]
	s_cbranch_execz .LBB268_564
; %bb.563:                              ;   in Loop: Header=BB268_424 Depth=1
	v_and_b32_e32 v24, 7, v10
	v_ffbh_u32_e32 v52, v24
	v_min_u32_e32 v54, 32, v52
	v_subrev_u32_e32 v52, 28, v54
	v_lshlrev_b64 v[52:53], v52, v[10:11]
	v_lshrrev_b32_e32 v51, 3, v27
	v_sub_u32_e32 v53, 29, v54
	v_cmp_gt_u32_e64 s[0:1], 8, v27
	v_lshlrev_b32_e32 v10, 8, v10
	s_nop 0
	v_cndmask_b32_e64 v27, v51, v53, s[0:1]
	v_lshl_add_u32 v27, v27, 10, v35
	v_and_b32_e32 v51, 7, v52
	v_and_b32_e32 v27, 0xfc00, v27
	v_cndmask_b32_e64 v24, v24, v51, s[0:1]
	v_and_or_b32 v10, v10, s29, v27
	v_lshl_or_b32 v24, v24, 7, v10
.LBB268_564:                            ;   in Loop: Header=BB268_424 Depth=1
	s_or_b64 exec, exec, s[22:23]
.LBB268_565:                            ;   in Loop: Header=BB268_424 Depth=1
	s_or_b64 exec, exec, s[14:15]
.LBB268_566:                            ;   in Loop: Header=BB268_424 Depth=1
	s_or_b64 exec, exec, s[12:13]
	v_cmp_lt_u64_e64 s[0:1], s[6:7], v[20:21]
	v_mov_b32_e32 v20, 0
	s_and_saveexec_b64 s[12:13], s[0:1]
	s_cbranch_execz .LBB268_572
; %bb.567:                              ;   in Loop: Header=BB268_424 Depth=1
	v_lshrrev_b32_e32 v10, 24, v21
	v_cmp_ne_u32_e64 s[0:1], s24, v10
	v_bfrev_b32_e32 v20, 1
	s_and_saveexec_b64 s[14:15], s[0:1]
	s_cbranch_execz .LBB268_571
; %bb.568:                              ;   in Loop: Header=BB268_424 Depth=1
	v_and_b32_e32 v21, 0x7f, v10
	v_cmp_ne_u32_e64 s[0:1], s25, v21
	v_mov_b32_e32 v20, 0x7c010000
	s_and_saveexec_b64 s[22:23], s[0:1]
	s_cbranch_execz .LBB268_570
; %bb.569:                              ;   in Loop: Header=BB268_424 Depth=1
	v_and_b32_e32 v20, 7, v10
	v_ffbh_u32_e32 v51, v20
	v_min_u32_e32 v51, 32, v51
	v_lshrrev_b32_e32 v27, 3, v21
	v_subrev_u32_e32 v52, 28, v51
	v_sub_u32_e32 v51, 29, v51
	v_cmp_gt_u32_e64 s[0:1], 8, v21
	v_lshlrev_b64 v[52:53], v52, v[10:11]
	v_lshlrev_b32_e32 v10, 8, v10
	v_cndmask_b32_e64 v21, v27, v51, s[0:1]
	v_lshl_add_u32 v21, v21, 10, v35
	v_and_b32_e32 v27, 7, v52
	v_and_or_b32 v10, v10, s29, v21
	v_cndmask_b32_e64 v20, v20, v27, s[0:1]
	v_lshlrev_b32_e32 v10, 16, v10
	v_lshl_or_b32 v20, v20, 23, v10
.LBB268_570:                            ;   in Loop: Header=BB268_424 Depth=1
	s_or_b64 exec, exec, s[22:23]
.LBB268_571:                            ;   in Loop: Header=BB268_424 Depth=1
	s_or_b64 exec, exec, s[14:15]
.LBB268_572:                            ;   in Loop: Header=BB268_424 Depth=1
	s_or_b64 exec, exec, s[12:13]
	v_cvt_f32_f16_sdwa v53, v1 dst_sel:DWORD dst_unused:UNUSED_PAD src0_sel:WORD_1
	v_cvt_f32_f16_sdwa v52, v23 dst_sel:DWORD dst_unused:UNUSED_PAD src0_sel:WORD_1
	v_or_b32_e32 v1, v1, v19
	v_or_b32_e32 v10, v23, v22
	;; [unrolled: 1-line block ×3, first 2 shown]
	s_waitcnt vmcnt(0)
	v_pk_mul_f32 v[22:23], v[18:19], v[52:53] op_sel_hi:[0,1]
	v_cvt_f32_f16_e32 v52, v10
	v_cvt_f32_f16_e32 v53, v1
	v_cvt_pk_f16_f32 v1, v22, v23
	v_and_b32_e32 v19, 0xffff0000, v1
	v_lshlrev_b32_e32 v10, 16, v1
	v_pk_mul_f32 v[22:23], v[18:19], v[52:53] op_sel_hi:[0,1]
	v_cvt_pk_f16_f32 v1, v22, v23
	v_or_b32_e32 v23, v26, v25
	v_cvt_f32_f16_e32 v24, v24
	v_cvt_f32_f16_e32 v25, v23
	v_cvt_f32_f16_sdwa v27, v26 dst_sel:DWORD dst_unused:UNUSED_PAD src0_sel:WORD_1
	v_cvt_f32_f16_sdwa v26, v20 dst_sel:DWORD dst_unused:UNUSED_PAD src0_sel:WORD_1
	v_lshrrev_b32_e32 v21, 16, v1
	v_pk_mul_f32 v[24:25], v[18:19], v[24:25] op_sel_hi:[0,1]
	v_cvt_pk_f16_f32 v51, v24, v25
	v_pk_mul_f32 v[24:25], v[18:19], v[26:27] op_sel_hi:[0,1]
	v_cvt_pk_f16_f32 v18, v24, v25
	v_and_b32_e32 v22, 0xffff, v1
	v_and_b32_e32 v23, 0xffff0000, v18
	v_lshlrev_b32_e32 v18, 16, v18
	v_lshrrev_b32_e32 v25, 16, v51
	v_and_b32_e32 v24, 0xffff, v51
	v_or_b32_e32 v1, v19, v21
	v_or_b32_e32 v20, v10, v22
	;; [unrolled: 1-line block ×4, first 2 shown]
	s_and_saveexec_b64 s[12:13], vcc
	s_cbranch_execz .LBB268_574
; %bb.573:                              ;   in Loop: Header=BB268_424 Depth=1
	v_cmp_gt_i32_e64 s[0:1], s27, v33
	s_nop 1
	v_cndmask_b32_e64 v1, 0, v21, s[0:1]
	v_cmp_gt_i32_e64 s[0:1], s33, v43
	s_nop 1
	v_cndmask_b32_e64 v20, 0, v22, s[0:1]
	;; [unrolled: 3-line block ×3, first 2 shown]
	v_cmp_gt_i32_e64 s[0:1], s33, v40
	v_or_b32_e32 v1, v19, v1
	s_nop 0
	v_cndmask_b32_e64 v10, 0, v10, s[0:1]
	v_cmp_gt_i32_e64 s[0:1], s27, v39
	v_or_b32_e32 v20, v10, v20
	s_nop 0
	v_cndmask_b32_e64 v10, 0, v25, s[0:1]
	v_cmp_gt_i32_e64 s[0:1], s33, v38
	s_nop 1
	v_cndmask_b32_e64 v19, 0, v24, s[0:1]
	v_cmp_gt_i32_e64 s[0:1], s27, v37
	;; [unrolled: 3-line block ×3, first 2 shown]
	v_or_b32_e32 v27, v21, v10
	s_nop 0
	v_cndmask_b32_e64 v18, 0, v18, s[0:1]
	v_or_b32_e32 v26, v18, v19
.LBB268_574:                            ;   in Loop: Header=BB268_424 Depth=1
	s_or_b64 exec, exec, s[12:13]
	;;#ASMSTART
	v_pk_mul_f16 v1, v46, v1;

	;;#ASMEND
	;;#ASMSTART
	v_pk_mul_f16 v10, v45, v20;

	;;#ASMEND
	;; [unrolled: 4-line block ×4, first 2 shown]
	s_nop 0
	;;#ASMSTART
	v_pk_add_f16 v1, v1, v10;

	;;#ASMEND
	s_nop 0
	;;#ASMSTART
	v_pk_add_f16 v1, v1, v18;

	;;#ASMEND
	;; [unrolled: 5-line block ×3, first 2 shown]
	v_mov_b32_e32 v19, 0
	v_lshrrev_b32_e32 v10, 16, v1
	v_and_b32_e32 v1, 0xffff, v1
	;;#ASMSTART
	v_cvt_f32_f16 v51, v1;
	;;#ASMEND
	;;#ASMSTART
	v_cvt_f32_f16 v52, v10;
	;;#ASMEND
	global_load_dwordx2 v[20:21], v[16:17], off offset:1536
	v_mov_b32_e32 v1, 0
	global_load_dword v18, v1, s[10:11]
	s_waitcnt vmcnt(1)
	v_cmp_ne_u16_sdwa s[0:1], v20, v11 src0_sel:BYTE_0 src1_sel:DWORD
	s_and_saveexec_b64 s[12:13], s[0:1]
	s_cbranch_execz .LBB268_580
; %bb.575:                              ;   in Loop: Header=BB268_424 Depth=1
	v_cmp_ne_u16_sdwa s[0:1], v20, s24 src0_sel:BYTE_0 src1_sel:DWORD
	v_mov_b32_e32 v19, 0x8000
	s_and_saveexec_b64 s[14:15], s[0:1]
	s_cbranch_execz .LBB268_579
; %bb.576:                              ;   in Loop: Header=BB268_424 Depth=1
	v_and_b32_e32 v10, 0x7f, v20
	v_cmp_ne_u32_e64 s[0:1], s25, v10
	v_mov_b32_e32 v19, 0x7c01
	s_and_saveexec_b64 s[22:23], s[0:1]
	s_cbranch_execz .LBB268_578
; %bb.577:                              ;   in Loop: Header=BB268_424 Depth=1
	v_and_b32_e32 v19, 7, v20
	v_ffbh_u32_e32 v22, v19
	v_min_u32_e32 v25, 32, v22
	v_subrev_u32_e32 v22, 28, v25
	v_lshlrev_b64 v[22:23], v22, v[20:21]
	v_lshrrev_b32_e32 v24, 3, v10
	v_sub_u32_e32 v23, 29, v25
	v_cmp_gt_u32_e64 s[0:1], 8, v10
	v_and_b32_e32 v22, 7, v22
	s_nop 0
	v_cndmask_b32_e64 v10, v24, v23, s[0:1]
	v_lshl_add_u32 v10, v10, 10, v35
	v_lshlrev_b32_e32 v23, 8, v20
	v_and_b32_e32 v10, 0xfc00, v10
	v_cndmask_b32_e64 v19, v19, v22, s[0:1]
	v_and_or_b32 v10, v23, s29, v10
	v_lshl_or_b32 v19, v19, 7, v10
.LBB268_578:                            ;   in Loop: Header=BB268_424 Depth=1
	s_or_b64 exec, exec, s[22:23]
.LBB268_579:                            ;   in Loop: Header=BB268_424 Depth=1
	s_or_b64 exec, exec, s[14:15]
.LBB268_580:                            ;   in Loop: Header=BB268_424 Depth=1
	s_or_b64 exec, exec, s[12:13]
	v_lshrrev_b16_e32 v10, 8, v20
	v_cmp_ne_u16_e64 s[0:1], 0, v10
	s_and_saveexec_b64 s[12:13], s[0:1]
	s_cbranch_execz .LBB268_586
; %bb.581:                              ;   in Loop: Header=BB268_424 Depth=1
	v_cmp_ne_u16_e64 s[0:1], s24, v10
	v_bfrev_b32_e32 v1, 1
	s_and_saveexec_b64 s[14:15], s[0:1]
	s_cbranch_execz .LBB268_585
; %bb.582:                              ;   in Loop: Header=BB268_424 Depth=1
	v_and_b32_e32 v22, 0x7f, v10
	v_cmp_ne_u32_e64 s[0:1], s25, v22
	v_mov_b32_e32 v1, 0x7c010000
	s_and_saveexec_b64 s[22:23], s[0:1]
	s_cbranch_execz .LBB268_584
; %bb.583:                              ;   in Loop: Header=BB268_424 Depth=1
	v_and_b32_e32 v1, 7, v10
	v_ffbh_u32_e32 v24, v1
	v_min_u32_e32 v26, 32, v24
	v_subrev_u32_e32 v24, 28, v26
	v_lshlrev_b64 v[24:25], v24, v[10:11]
	v_lshrrev_b32_e32 v23, 3, v22
	v_sub_u32_e32 v25, 29, v26
	v_cmp_gt_u32_e64 s[0:1], 8, v22
	v_lshlrev_b32_e32 v10, 8, v10
	s_nop 0
	v_cndmask_b32_e64 v22, v23, v25, s[0:1]
	v_lshl_add_u32 v22, v22, 10, v35
	v_and_b32_e32 v23, 7, v24
	v_and_or_b32 v10, v10, s29, v22
	v_cndmask_b32_e64 v1, v1, v23, s[0:1]
	v_lshlrev_b32_e32 v10, 16, v10
	v_lshl_or_b32 v1, v1, 23, v10
.LBB268_584:                            ;   in Loop: Header=BB268_424 Depth=1
	s_or_b64 exec, exec, s[22:23]
.LBB268_585:                            ;   in Loop: Header=BB268_424 Depth=1
	s_or_b64 exec, exec, s[14:15]
.LBB268_586:                            ;   in Loop: Header=BB268_424 Depth=1
	s_or_b64 exec, exec, s[12:13]
	v_lshrrev_b32_e32 v10, 16, v20
	v_cmp_ne_u16_sdwa s[0:1], v10, v11 src0_sel:BYTE_0 src1_sel:DWORD
	v_mov_b32_e32 v23, 0
	v_mov_b32_e32 v22, 0
	s_and_saveexec_b64 s[12:13], s[0:1]
	s_cbranch_execz .LBB268_592
; %bb.587:                              ;   in Loop: Header=BB268_424 Depth=1
	v_cmp_ne_u16_sdwa s[0:1], v10, s24 src0_sel:BYTE_0 src1_sel:DWORD
	v_mov_b32_e32 v22, 0x8000
	s_and_saveexec_b64 s[14:15], s[0:1]
	s_cbranch_execz .LBB268_591
; %bb.588:                              ;   in Loop: Header=BB268_424 Depth=1
	v_bfe_u32 v24, v20, 16, 7
	v_cmp_ne_u32_e64 s[0:1], s25, v24
	v_mov_b32_e32 v22, 0x7c01
	s_and_saveexec_b64 s[22:23], s[0:1]
	s_cbranch_execz .LBB268_590
; %bb.589:                              ;   in Loop: Header=BB268_424 Depth=1
	v_and_b32_e32 v22, 7, v10
	v_ffbh_u32_e32 v26, v22
	v_min_u32_e32 v53, 32, v26
	v_subrev_u32_e32 v26, 28, v53
	v_lshlrev_b64 v[26:27], v26, v[10:11]
	v_lshrrev_b32_e32 v25, 3, v24
	v_sub_u32_e32 v27, 29, v53
	v_cmp_gt_u32_e64 s[0:1], 8, v24
	v_lshlrev_b32_e32 v10, 8, v10
	s_nop 0
	v_cndmask_b32_e64 v24, v25, v27, s[0:1]
	v_lshl_add_u32 v24, v24, 10, v35
	v_and_b32_e32 v25, 7, v26
	v_and_b32_e32 v24, 0xfc00, v24
	v_cndmask_b32_e64 v22, v22, v25, s[0:1]
	v_and_or_b32 v10, v10, s29, v24
	v_lshl_or_b32 v22, v22, 7, v10
.LBB268_590:                            ;   in Loop: Header=BB268_424 Depth=1
	s_or_b64 exec, exec, s[22:23]
.LBB268_591:                            ;   in Loop: Header=BB268_424 Depth=1
	s_or_b64 exec, exec, s[14:15]
.LBB268_592:                            ;   in Loop: Header=BB268_424 Depth=1
	s_or_b64 exec, exec, s[12:13]
	v_cmp_lt_u32_e64 s[0:1], s7, v20
	s_and_saveexec_b64 s[12:13], s[0:1]
	s_cbranch_execz .LBB268_598
; %bb.593:                              ;   in Loop: Header=BB268_424 Depth=1
	v_lshrrev_b32_e32 v10, 24, v20
	v_cmp_ne_u32_e64 s[0:1], s24, v10
	v_bfrev_b32_e32 v23, 1
	s_and_saveexec_b64 s[14:15], s[0:1]
	s_cbranch_execz .LBB268_597
; %bb.594:                              ;   in Loop: Header=BB268_424 Depth=1
	v_and_b32_e32 v24, 0x7f, v10
	v_cmp_ne_u32_e64 s[0:1], s25, v24
	v_mov_b32_e32 v23, 0x7c010000
	s_and_saveexec_b64 s[22:23], s[0:1]
	s_cbranch_execz .LBB268_596
; %bb.595:                              ;   in Loop: Header=BB268_424 Depth=1
	v_and_b32_e32 v23, 7, v10
	v_ffbh_u32_e32 v26, v23
	v_min_u32_e32 v53, 32, v26
	v_subrev_u32_e32 v26, 28, v53
	v_lshlrev_b64 v[26:27], v26, v[10:11]
	v_lshrrev_b32_e32 v25, 3, v24
	v_sub_u32_e32 v27, 29, v53
	v_cmp_gt_u32_e64 s[0:1], 8, v24
	v_lshlrev_b32_e32 v10, 8, v10
	s_nop 0
	v_cndmask_b32_e64 v24, v25, v27, s[0:1]
	v_lshl_add_u32 v24, v24, 10, v35
	v_and_b32_e32 v25, 7, v26
	v_and_or_b32 v10, v10, s29, v24
	v_cndmask_b32_e64 v23, v23, v25, s[0:1]
	v_lshlrev_b32_e32 v10, 16, v10
	v_lshl_or_b32 v23, v23, 23, v10
.LBB268_596:                            ;   in Loop: Header=BB268_424 Depth=1
	s_or_b64 exec, exec, s[22:23]
.LBB268_597:                            ;   in Loop: Header=BB268_424 Depth=1
	s_or_b64 exec, exec, s[14:15]
.LBB268_598:                            ;   in Loop: Header=BB268_424 Depth=1
	s_or_b64 exec, exec, s[12:13]
	v_mov_b32_e32 v10, v21
	v_cmp_ne_u16_sdwa s[0:1], v21, v11 src0_sel:BYTE_0 src1_sel:DWORD
	v_mov_b32_e32 v24, 0
	v_mov_b32_e32 v25, 0
	s_and_saveexec_b64 s[12:13], s[0:1]
	s_cbranch_execz .LBB268_604
; %bb.599:                              ;   in Loop: Header=BB268_424 Depth=1
	v_cmp_ne_u16_sdwa s[0:1], v21, s24 src0_sel:BYTE_0 src1_sel:DWORD
	v_mov_b32_e32 v25, 0x8000
	s_and_saveexec_b64 s[14:15], s[0:1]
	s_cbranch_execz .LBB268_603
; %bb.600:                              ;   in Loop: Header=BB268_424 Depth=1
	v_and_b32_e32 v26, 0x7f, v21
	v_cmp_ne_u32_e64 s[0:1], s25, v26
	v_mov_b32_e32 v25, 0x7c01
	s_and_saveexec_b64 s[22:23], s[0:1]
	s_cbranch_execz .LBB268_602
; %bb.601:                              ;   in Loop: Header=BB268_424 Depth=1
	v_and_b32_e32 v25, 7, v21
	v_ffbh_u32_e32 v53, v25
	v_min_u32_e32 v53, 32, v53
	v_lshrrev_b32_e32 v27, 3, v26
	v_subrev_u32_e32 v54, 28, v53
	v_sub_u32_e32 v53, 29, v53
	v_cmp_gt_u32_e64 s[0:1], 8, v26
	v_lshlrev_b64 v[54:55], v54, v[10:11]
	s_nop 0
	v_cndmask_b32_e64 v26, v27, v53, s[0:1]
	v_lshl_add_u32 v26, v26, 10, v35
	v_lshlrev_b32_e32 v27, 8, v21
	v_and_b32_e32 v53, 7, v54
	v_and_b32_e32 v26, 0xfc00, v26
	v_cndmask_b32_e64 v25, v25, v53, s[0:1]
	v_and_or_b32 v26, v27, s29, v26
	v_lshl_or_b32 v25, v25, 7, v26
.LBB268_602:                            ;   in Loop: Header=BB268_424 Depth=1
	s_or_b64 exec, exec, s[22:23]
.LBB268_603:                            ;   in Loop: Header=BB268_424 Depth=1
	s_or_b64 exec, exec, s[14:15]
.LBB268_604:                            ;   in Loop: Header=BB268_424 Depth=1
	s_or_b64 exec, exec, s[12:13]
	v_lshrrev_b16_e32 v10, 8, v10
	v_cmp_ne_u16_e64 s[0:1], 0, v10
	v_mov_b32_e32 v26, 0
	s_and_saveexec_b64 s[12:13], s[0:1]
	s_cbranch_execz .LBB268_610
; %bb.605:                              ;   in Loop: Header=BB268_424 Depth=1
	v_cmp_ne_u16_e64 s[0:1], s24, v10
	v_bfrev_b32_e32 v26, 1
	s_and_saveexec_b64 s[14:15], s[0:1]
	s_cbranch_execz .LBB268_609
; %bb.606:                              ;   in Loop: Header=BB268_424 Depth=1
	v_and_b32_e32 v27, 0x7f, v10
	v_cmp_ne_u32_e64 s[0:1], s25, v27
	v_mov_b32_e32 v26, 0x7c010000
	s_and_saveexec_b64 s[22:23], s[0:1]
	s_cbranch_execz .LBB268_608
; %bb.607:                              ;   in Loop: Header=BB268_424 Depth=1
	v_and_b32_e32 v26, 7, v10
	v_ffbh_u32_e32 v54, v26
	v_min_u32_e32 v56, 32, v54
	v_subrev_u32_e32 v54, 28, v56
	v_lshlrev_b64 v[54:55], v54, v[10:11]
	v_lshrrev_b32_e32 v53, 3, v27
	v_sub_u32_e32 v55, 29, v56
	v_cmp_gt_u32_e64 s[0:1], 8, v27
	v_lshlrev_b32_e32 v10, 8, v10
	s_nop 0
	v_cndmask_b32_e64 v27, v53, v55, s[0:1]
	v_lshl_add_u32 v27, v27, 10, v35
	v_and_b32_e32 v53, 7, v54
	v_and_or_b32 v10, v10, s29, v27
	v_cndmask_b32_e64 v26, v26, v53, s[0:1]
	v_lshlrev_b32_e32 v10, 16, v10
	v_lshl_or_b32 v26, v26, 23, v10
.LBB268_608:                            ;   in Loop: Header=BB268_424 Depth=1
	s_or_b64 exec, exec, s[22:23]
.LBB268_609:                            ;   in Loop: Header=BB268_424 Depth=1
	s_or_b64 exec, exec, s[14:15]
.LBB268_610:                            ;   in Loop: Header=BB268_424 Depth=1
	s_or_b64 exec, exec, s[12:13]
	v_lshrrev_b32_e32 v10, 16, v21
	v_cmp_ne_u16_sdwa s[0:1], v10, v11 src0_sel:BYTE_0 src1_sel:DWORD
	s_and_saveexec_b64 s[12:13], s[0:1]
	s_cbranch_execz .LBB268_616
; %bb.611:                              ;   in Loop: Header=BB268_424 Depth=1
	v_cmp_ne_u16_sdwa s[0:1], v10, s24 src0_sel:BYTE_0 src1_sel:DWORD
	v_mov_b32_e32 v24, 0x8000
	s_and_saveexec_b64 s[14:15], s[0:1]
	s_cbranch_execz .LBB268_615
; %bb.612:                              ;   in Loop: Header=BB268_424 Depth=1
	v_bfe_u32 v27, v21, 16, 7
	v_cmp_ne_u32_e64 s[0:1], s25, v27
	v_mov_b32_e32 v24, 0x7c01
	s_and_saveexec_b64 s[22:23], s[0:1]
	s_cbranch_execz .LBB268_614
; %bb.613:                              ;   in Loop: Header=BB268_424 Depth=1
	v_and_b32_e32 v24, 7, v10
	v_ffbh_u32_e32 v54, v24
	v_min_u32_e32 v56, 32, v54
	v_subrev_u32_e32 v54, 28, v56
	v_lshlrev_b64 v[54:55], v54, v[10:11]
	v_lshrrev_b32_e32 v53, 3, v27
	v_sub_u32_e32 v55, 29, v56
	v_cmp_gt_u32_e64 s[0:1], 8, v27
	v_lshlrev_b32_e32 v10, 8, v10
	s_nop 0
	v_cndmask_b32_e64 v27, v53, v55, s[0:1]
	v_lshl_add_u32 v27, v27, 10, v35
	v_and_b32_e32 v53, 7, v54
	v_and_b32_e32 v27, 0xfc00, v27
	v_cndmask_b32_e64 v24, v24, v53, s[0:1]
	v_and_or_b32 v10, v10, s29, v27
	v_lshl_or_b32 v24, v24, 7, v10
.LBB268_614:                            ;   in Loop: Header=BB268_424 Depth=1
	s_or_b64 exec, exec, s[22:23]
.LBB268_615:                            ;   in Loop: Header=BB268_424 Depth=1
	s_or_b64 exec, exec, s[14:15]
.LBB268_616:                            ;   in Loop: Header=BB268_424 Depth=1
	s_or_b64 exec, exec, s[12:13]
	v_cmp_lt_u64_e64 s[0:1], s[6:7], v[20:21]
	v_mov_b32_e32 v20, 0
	s_and_saveexec_b64 s[12:13], s[0:1]
	s_cbranch_execz .LBB268_622
; %bb.617:                              ;   in Loop: Header=BB268_424 Depth=1
	v_lshrrev_b32_e32 v10, 24, v21
	v_cmp_ne_u32_e64 s[0:1], s24, v10
	v_bfrev_b32_e32 v20, 1
	s_and_saveexec_b64 s[14:15], s[0:1]
	s_cbranch_execz .LBB268_621
; %bb.618:                              ;   in Loop: Header=BB268_424 Depth=1
	v_and_b32_e32 v21, 0x7f, v10
	v_cmp_ne_u32_e64 s[0:1], s25, v21
	v_mov_b32_e32 v20, 0x7c010000
	s_and_saveexec_b64 s[22:23], s[0:1]
	s_cbranch_execz .LBB268_620
; %bb.619:                              ;   in Loop: Header=BB268_424 Depth=1
	v_and_b32_e32 v20, 7, v10
	v_ffbh_u32_e32 v53, v20
	v_min_u32_e32 v53, 32, v53
	v_lshrrev_b32_e32 v27, 3, v21
	v_subrev_u32_e32 v54, 28, v53
	v_sub_u32_e32 v53, 29, v53
	v_cmp_gt_u32_e64 s[0:1], 8, v21
	v_lshlrev_b64 v[54:55], v54, v[10:11]
	v_lshlrev_b32_e32 v10, 8, v10
	v_cndmask_b32_e64 v21, v27, v53, s[0:1]
	v_lshl_add_u32 v21, v21, 10, v35
	v_and_b32_e32 v27, 7, v54
	v_and_or_b32 v10, v10, s29, v21
	v_cndmask_b32_e64 v20, v20, v27, s[0:1]
	v_lshlrev_b32_e32 v10, 16, v10
	v_lshl_or_b32 v20, v20, 23, v10
.LBB268_620:                            ;   in Loop: Header=BB268_424 Depth=1
	s_or_b64 exec, exec, s[22:23]
.LBB268_621:                            ;   in Loop: Header=BB268_424 Depth=1
	s_or_b64 exec, exec, s[14:15]
.LBB268_622:                            ;   in Loop: Header=BB268_424 Depth=1
	s_or_b64 exec, exec, s[12:13]
	v_cvt_f32_f16_sdwa v55, v1 dst_sel:DWORD dst_unused:UNUSED_PAD src0_sel:WORD_1
	v_cvt_f32_f16_sdwa v54, v23 dst_sel:DWORD dst_unused:UNUSED_PAD src0_sel:WORD_1
	v_or_b32_e32 v1, v1, v19
	v_or_b32_e32 v10, v23, v22
	;; [unrolled: 1-line block ×3, first 2 shown]
	s_waitcnt vmcnt(0)
	v_pk_mul_f32 v[22:23], v[18:19], v[54:55] op_sel_hi:[0,1]
	v_cvt_f32_f16_e32 v54, v10
	v_cvt_f32_f16_e32 v55, v1
	v_cvt_pk_f16_f32 v1, v22, v23
	v_and_b32_e32 v19, 0xffff0000, v1
	v_lshlrev_b32_e32 v10, 16, v1
	v_pk_mul_f32 v[22:23], v[18:19], v[54:55] op_sel_hi:[0,1]
	v_cvt_pk_f16_f32 v1, v22, v23
	v_or_b32_e32 v23, v26, v25
	v_cvt_f32_f16_e32 v24, v24
	v_cvt_f32_f16_e32 v25, v23
	v_cvt_f32_f16_sdwa v27, v26 dst_sel:DWORD dst_unused:UNUSED_PAD src0_sel:WORD_1
	v_cvt_f32_f16_sdwa v26, v20 dst_sel:DWORD dst_unused:UNUSED_PAD src0_sel:WORD_1
	v_lshrrev_b32_e32 v21, 16, v1
	v_pk_mul_f32 v[24:25], v[18:19], v[24:25] op_sel_hi:[0,1]
	v_cvt_pk_f16_f32 v53, v24, v25
	v_pk_mul_f32 v[24:25], v[18:19], v[26:27] op_sel_hi:[0,1]
	v_cvt_pk_f16_f32 v18, v24, v25
	v_and_b32_e32 v22, 0xffff, v1
	v_and_b32_e32 v23, 0xffff0000, v18
	v_lshlrev_b32_e32 v18, 16, v18
	v_lshrrev_b32_e32 v25, 16, v53
	v_and_b32_e32 v24, 0xffff, v53
	v_or_b32_e32 v1, v19, v21
	v_or_b32_e32 v20, v10, v22
	;; [unrolled: 1-line block ×4, first 2 shown]
	s_and_saveexec_b64 s[12:13], vcc
	s_cbranch_execz .LBB268_624
; %bb.623:                              ;   in Loop: Header=BB268_424 Depth=1
	v_cmp_gt_i32_e64 s[0:1], s27, v33
	s_nop 1
	v_cndmask_b32_e64 v1, 0, v21, s[0:1]
	v_cmp_gt_i32_e64 s[0:1], s33, v43
	s_nop 1
	v_cndmask_b32_e64 v20, 0, v22, s[0:1]
	;; [unrolled: 3-line block ×3, first 2 shown]
	v_cmp_gt_i32_e64 s[0:1], s33, v40
	v_or_b32_e32 v1, v19, v1
	s_nop 0
	v_cndmask_b32_e64 v10, 0, v10, s[0:1]
	v_cmp_gt_i32_e64 s[0:1], s27, v39
	v_or_b32_e32 v20, v10, v20
	s_nop 0
	v_cndmask_b32_e64 v10, 0, v25, s[0:1]
	v_cmp_gt_i32_e64 s[0:1], s33, v38
	s_nop 1
	v_cndmask_b32_e64 v19, 0, v24, s[0:1]
	v_cmp_gt_i32_e64 s[0:1], s27, v37
	;; [unrolled: 3-line block ×3, first 2 shown]
	v_or_b32_e32 v27, v21, v10
	s_nop 0
	v_cndmask_b32_e64 v18, 0, v18, s[0:1]
	v_or_b32_e32 v26, v18, v19
.LBB268_624:                            ;   in Loop: Header=BB268_424 Depth=1
	s_or_b64 exec, exec, s[12:13]
	;;#ASMSTART
	v_pk_mul_f16 v1, v46, v1;

	;;#ASMEND
	;;#ASMSTART
	v_pk_mul_f16 v10, v45, v20;

	;;#ASMEND
	;; [unrolled: 4-line block ×4, first 2 shown]
	s_nop 0
	;;#ASMSTART
	v_pk_add_f16 v1, v1, v10;

	;;#ASMEND
	s_nop 0
	;;#ASMSTART
	v_pk_add_f16 v1, v1, v18;

	;;#ASMEND
	;; [unrolled: 5-line block ×3, first 2 shown]
	v_mov_b32_e32 v19, 0
	v_lshrrev_b32_e32 v10, 16, v1
	v_and_b32_e32 v1, 0xffff, v1
	;;#ASMSTART
	v_cvt_f32_f16 v53, v1;
	;;#ASMEND
	;;#ASMSTART
	v_cvt_f32_f16 v54, v10;
	;;#ASMEND
	global_load_dwordx2 v[20:21], v[16:17], off offset:2048
	v_mov_b32_e32 v1, 0
	global_load_dword v18, v1, s[10:11]
	s_waitcnt vmcnt(1)
	v_cmp_ne_u16_sdwa s[0:1], v20, v11 src0_sel:BYTE_0 src1_sel:DWORD
	s_and_saveexec_b64 s[12:13], s[0:1]
	s_cbranch_execz .LBB268_630
; %bb.625:                              ;   in Loop: Header=BB268_424 Depth=1
	v_cmp_ne_u16_sdwa s[0:1], v20, s24 src0_sel:BYTE_0 src1_sel:DWORD
	v_mov_b32_e32 v19, 0x8000
	s_and_saveexec_b64 s[14:15], s[0:1]
	s_cbranch_execz .LBB268_629
; %bb.626:                              ;   in Loop: Header=BB268_424 Depth=1
	v_and_b32_e32 v10, 0x7f, v20
	v_cmp_ne_u32_e64 s[0:1], s25, v10
	v_mov_b32_e32 v19, 0x7c01
	s_and_saveexec_b64 s[22:23], s[0:1]
	s_cbranch_execz .LBB268_628
; %bb.627:                              ;   in Loop: Header=BB268_424 Depth=1
	v_and_b32_e32 v19, 7, v20
	v_ffbh_u32_e32 v22, v19
	v_min_u32_e32 v25, 32, v22
	v_subrev_u32_e32 v22, 28, v25
	v_lshlrev_b64 v[22:23], v22, v[20:21]
	v_lshrrev_b32_e32 v24, 3, v10
	v_sub_u32_e32 v23, 29, v25
	v_cmp_gt_u32_e64 s[0:1], 8, v10
	v_and_b32_e32 v22, 7, v22
	s_nop 0
	v_cndmask_b32_e64 v10, v24, v23, s[0:1]
	v_lshl_add_u32 v10, v10, 10, v35
	v_lshlrev_b32_e32 v23, 8, v20
	v_and_b32_e32 v10, 0xfc00, v10
	v_cndmask_b32_e64 v19, v19, v22, s[0:1]
	v_and_or_b32 v10, v23, s29, v10
	v_lshl_or_b32 v19, v19, 7, v10
.LBB268_628:                            ;   in Loop: Header=BB268_424 Depth=1
	s_or_b64 exec, exec, s[22:23]
.LBB268_629:                            ;   in Loop: Header=BB268_424 Depth=1
	s_or_b64 exec, exec, s[14:15]
.LBB268_630:                            ;   in Loop: Header=BB268_424 Depth=1
	s_or_b64 exec, exec, s[12:13]
	v_lshrrev_b16_e32 v10, 8, v20
	v_cmp_ne_u16_e64 s[0:1], 0, v10
	s_and_saveexec_b64 s[12:13], s[0:1]
	s_cbranch_execz .LBB268_636
; %bb.631:                              ;   in Loop: Header=BB268_424 Depth=1
	v_cmp_ne_u16_e64 s[0:1], s24, v10
	v_bfrev_b32_e32 v1, 1
	s_and_saveexec_b64 s[14:15], s[0:1]
	s_cbranch_execz .LBB268_635
; %bb.632:                              ;   in Loop: Header=BB268_424 Depth=1
	v_and_b32_e32 v22, 0x7f, v10
	v_cmp_ne_u32_e64 s[0:1], s25, v22
	v_mov_b32_e32 v1, 0x7c010000
	s_and_saveexec_b64 s[22:23], s[0:1]
	s_cbranch_execz .LBB268_634
; %bb.633:                              ;   in Loop: Header=BB268_424 Depth=1
	v_and_b32_e32 v1, 7, v10
	v_ffbh_u32_e32 v24, v1
	v_min_u32_e32 v26, 32, v24
	v_subrev_u32_e32 v24, 28, v26
	v_lshlrev_b64 v[24:25], v24, v[10:11]
	v_lshrrev_b32_e32 v23, 3, v22
	v_sub_u32_e32 v25, 29, v26
	v_cmp_gt_u32_e64 s[0:1], 8, v22
	v_lshlrev_b32_e32 v10, 8, v10
	s_nop 0
	v_cndmask_b32_e64 v22, v23, v25, s[0:1]
	v_lshl_add_u32 v22, v22, 10, v35
	v_and_b32_e32 v23, 7, v24
	v_and_or_b32 v10, v10, s29, v22
	v_cndmask_b32_e64 v1, v1, v23, s[0:1]
	v_lshlrev_b32_e32 v10, 16, v10
	v_lshl_or_b32 v1, v1, 23, v10
.LBB268_634:                            ;   in Loop: Header=BB268_424 Depth=1
	s_or_b64 exec, exec, s[22:23]
.LBB268_635:                            ;   in Loop: Header=BB268_424 Depth=1
	s_or_b64 exec, exec, s[14:15]
.LBB268_636:                            ;   in Loop: Header=BB268_424 Depth=1
	s_or_b64 exec, exec, s[12:13]
	v_lshrrev_b32_e32 v10, 16, v20
	v_cmp_ne_u16_sdwa s[0:1], v10, v11 src0_sel:BYTE_0 src1_sel:DWORD
	v_mov_b32_e32 v23, 0
	v_mov_b32_e32 v22, 0
	s_and_saveexec_b64 s[12:13], s[0:1]
	s_cbranch_execz .LBB268_642
; %bb.637:                              ;   in Loop: Header=BB268_424 Depth=1
	v_cmp_ne_u16_sdwa s[0:1], v10, s24 src0_sel:BYTE_0 src1_sel:DWORD
	v_mov_b32_e32 v22, 0x8000
	s_and_saveexec_b64 s[14:15], s[0:1]
	s_cbranch_execz .LBB268_641
; %bb.638:                              ;   in Loop: Header=BB268_424 Depth=1
	v_bfe_u32 v24, v20, 16, 7
	v_cmp_ne_u32_e64 s[0:1], s25, v24
	v_mov_b32_e32 v22, 0x7c01
	s_and_saveexec_b64 s[22:23], s[0:1]
	s_cbranch_execz .LBB268_640
; %bb.639:                              ;   in Loop: Header=BB268_424 Depth=1
	v_and_b32_e32 v22, 7, v10
	v_ffbh_u32_e32 v26, v22
	v_min_u32_e32 v55, 32, v26
	v_subrev_u32_e32 v26, 28, v55
	v_lshlrev_b64 v[26:27], v26, v[10:11]
	v_lshrrev_b32_e32 v25, 3, v24
	v_sub_u32_e32 v27, 29, v55
	v_cmp_gt_u32_e64 s[0:1], 8, v24
	v_lshlrev_b32_e32 v10, 8, v10
	s_nop 0
	v_cndmask_b32_e64 v24, v25, v27, s[0:1]
	v_lshl_add_u32 v24, v24, 10, v35
	v_and_b32_e32 v25, 7, v26
	v_and_b32_e32 v24, 0xfc00, v24
	v_cndmask_b32_e64 v22, v22, v25, s[0:1]
	v_and_or_b32 v10, v10, s29, v24
	v_lshl_or_b32 v22, v22, 7, v10
.LBB268_640:                            ;   in Loop: Header=BB268_424 Depth=1
	s_or_b64 exec, exec, s[22:23]
.LBB268_641:                            ;   in Loop: Header=BB268_424 Depth=1
	s_or_b64 exec, exec, s[14:15]
.LBB268_642:                            ;   in Loop: Header=BB268_424 Depth=1
	s_or_b64 exec, exec, s[12:13]
	v_cmp_lt_u32_e64 s[0:1], s7, v20
	s_and_saveexec_b64 s[12:13], s[0:1]
	s_cbranch_execz .LBB268_648
; %bb.643:                              ;   in Loop: Header=BB268_424 Depth=1
	v_lshrrev_b32_e32 v10, 24, v20
	v_cmp_ne_u32_e64 s[0:1], s24, v10
	v_bfrev_b32_e32 v23, 1
	s_and_saveexec_b64 s[14:15], s[0:1]
	s_cbranch_execz .LBB268_647
; %bb.644:                              ;   in Loop: Header=BB268_424 Depth=1
	v_and_b32_e32 v24, 0x7f, v10
	v_cmp_ne_u32_e64 s[0:1], s25, v24
	v_mov_b32_e32 v23, 0x7c010000
	s_and_saveexec_b64 s[22:23], s[0:1]
	s_cbranch_execz .LBB268_646
; %bb.645:                              ;   in Loop: Header=BB268_424 Depth=1
	v_and_b32_e32 v23, 7, v10
	v_ffbh_u32_e32 v26, v23
	v_min_u32_e32 v55, 32, v26
	v_subrev_u32_e32 v26, 28, v55
	v_lshlrev_b64 v[26:27], v26, v[10:11]
	v_lshrrev_b32_e32 v25, 3, v24
	v_sub_u32_e32 v27, 29, v55
	v_cmp_gt_u32_e64 s[0:1], 8, v24
	v_lshlrev_b32_e32 v10, 8, v10
	s_nop 0
	v_cndmask_b32_e64 v24, v25, v27, s[0:1]
	v_lshl_add_u32 v24, v24, 10, v35
	v_and_b32_e32 v25, 7, v26
	v_and_or_b32 v10, v10, s29, v24
	v_cndmask_b32_e64 v23, v23, v25, s[0:1]
	v_lshlrev_b32_e32 v10, 16, v10
	v_lshl_or_b32 v23, v23, 23, v10
.LBB268_646:                            ;   in Loop: Header=BB268_424 Depth=1
	s_or_b64 exec, exec, s[22:23]
.LBB268_647:                            ;   in Loop: Header=BB268_424 Depth=1
	s_or_b64 exec, exec, s[14:15]
.LBB268_648:                            ;   in Loop: Header=BB268_424 Depth=1
	s_or_b64 exec, exec, s[12:13]
	v_mov_b32_e32 v10, v21
	v_cmp_ne_u16_sdwa s[0:1], v21, v11 src0_sel:BYTE_0 src1_sel:DWORD
	v_mov_b32_e32 v24, 0
	v_mov_b32_e32 v25, 0
	s_and_saveexec_b64 s[12:13], s[0:1]
	s_cbranch_execz .LBB268_654
; %bb.649:                              ;   in Loop: Header=BB268_424 Depth=1
	v_cmp_ne_u16_sdwa s[0:1], v21, s24 src0_sel:BYTE_0 src1_sel:DWORD
	v_mov_b32_e32 v25, 0x8000
	s_and_saveexec_b64 s[14:15], s[0:1]
	s_cbranch_execz .LBB268_653
; %bb.650:                              ;   in Loop: Header=BB268_424 Depth=1
	v_and_b32_e32 v26, 0x7f, v21
	v_cmp_ne_u32_e64 s[0:1], s25, v26
	v_mov_b32_e32 v25, 0x7c01
	s_and_saveexec_b64 s[22:23], s[0:1]
	s_cbranch_execz .LBB268_652
; %bb.651:                              ;   in Loop: Header=BB268_424 Depth=1
	v_and_b32_e32 v25, 7, v21
	v_ffbh_u32_e32 v55, v25
	v_min_u32_e32 v55, 32, v55
	v_lshrrev_b32_e32 v27, 3, v26
	v_subrev_u32_e32 v56, 28, v55
	v_sub_u32_e32 v55, 29, v55
	v_cmp_gt_u32_e64 s[0:1], 8, v26
	v_lshlrev_b64 v[56:57], v56, v[10:11]
	s_nop 0
	v_cndmask_b32_e64 v26, v27, v55, s[0:1]
	v_lshl_add_u32 v26, v26, 10, v35
	v_lshlrev_b32_e32 v27, 8, v21
	v_and_b32_e32 v55, 7, v56
	v_and_b32_e32 v26, 0xfc00, v26
	v_cndmask_b32_e64 v25, v25, v55, s[0:1]
	v_and_or_b32 v26, v27, s29, v26
	v_lshl_or_b32 v25, v25, 7, v26
.LBB268_652:                            ;   in Loop: Header=BB268_424 Depth=1
	s_or_b64 exec, exec, s[22:23]
.LBB268_653:                            ;   in Loop: Header=BB268_424 Depth=1
	s_or_b64 exec, exec, s[14:15]
.LBB268_654:                            ;   in Loop: Header=BB268_424 Depth=1
	s_or_b64 exec, exec, s[12:13]
	v_lshrrev_b16_e32 v10, 8, v10
	v_cmp_ne_u16_e64 s[0:1], 0, v10
	v_mov_b32_e32 v26, 0
	s_and_saveexec_b64 s[12:13], s[0:1]
	s_cbranch_execz .LBB268_660
; %bb.655:                              ;   in Loop: Header=BB268_424 Depth=1
	v_cmp_ne_u16_e64 s[0:1], s24, v10
	v_bfrev_b32_e32 v26, 1
	s_and_saveexec_b64 s[14:15], s[0:1]
	s_cbranch_execz .LBB268_659
; %bb.656:                              ;   in Loop: Header=BB268_424 Depth=1
	v_and_b32_e32 v27, 0x7f, v10
	v_cmp_ne_u32_e64 s[0:1], s25, v27
	v_mov_b32_e32 v26, 0x7c010000
	s_and_saveexec_b64 s[22:23], s[0:1]
	s_cbranch_execz .LBB268_658
; %bb.657:                              ;   in Loop: Header=BB268_424 Depth=1
	v_and_b32_e32 v26, 7, v10
	v_ffbh_u32_e32 v56, v26
	v_min_u32_e32 v58, 32, v56
	v_subrev_u32_e32 v56, 28, v58
	v_lshlrev_b64 v[56:57], v56, v[10:11]
	v_lshrrev_b32_e32 v55, 3, v27
	v_sub_u32_e32 v57, 29, v58
	v_cmp_gt_u32_e64 s[0:1], 8, v27
	v_lshlrev_b32_e32 v10, 8, v10
	s_nop 0
	v_cndmask_b32_e64 v27, v55, v57, s[0:1]
	v_lshl_add_u32 v27, v27, 10, v35
	v_and_b32_e32 v55, 7, v56
	v_and_or_b32 v10, v10, s29, v27
	v_cndmask_b32_e64 v26, v26, v55, s[0:1]
	v_lshlrev_b32_e32 v10, 16, v10
	v_lshl_or_b32 v26, v26, 23, v10
.LBB268_658:                            ;   in Loop: Header=BB268_424 Depth=1
	s_or_b64 exec, exec, s[22:23]
.LBB268_659:                            ;   in Loop: Header=BB268_424 Depth=1
	s_or_b64 exec, exec, s[14:15]
.LBB268_660:                            ;   in Loop: Header=BB268_424 Depth=1
	s_or_b64 exec, exec, s[12:13]
	v_lshrrev_b32_e32 v10, 16, v21
	v_cmp_ne_u16_sdwa s[0:1], v10, v11 src0_sel:BYTE_0 src1_sel:DWORD
	s_and_saveexec_b64 s[12:13], s[0:1]
	s_cbranch_execz .LBB268_666
; %bb.661:                              ;   in Loop: Header=BB268_424 Depth=1
	v_cmp_ne_u16_sdwa s[0:1], v10, s24 src0_sel:BYTE_0 src1_sel:DWORD
	v_mov_b32_e32 v24, 0x8000
	s_and_saveexec_b64 s[14:15], s[0:1]
	s_cbranch_execz .LBB268_665
; %bb.662:                              ;   in Loop: Header=BB268_424 Depth=1
	v_bfe_u32 v27, v21, 16, 7
	v_cmp_ne_u32_e64 s[0:1], s25, v27
	v_mov_b32_e32 v24, 0x7c01
	s_and_saveexec_b64 s[22:23], s[0:1]
	s_cbranch_execz .LBB268_664
; %bb.663:                              ;   in Loop: Header=BB268_424 Depth=1
	v_and_b32_e32 v24, 7, v10
	v_ffbh_u32_e32 v56, v24
	v_min_u32_e32 v58, 32, v56
	v_subrev_u32_e32 v56, 28, v58
	v_lshlrev_b64 v[56:57], v56, v[10:11]
	v_lshrrev_b32_e32 v55, 3, v27
	v_sub_u32_e32 v57, 29, v58
	v_cmp_gt_u32_e64 s[0:1], 8, v27
	v_lshlrev_b32_e32 v10, 8, v10
	s_nop 0
	v_cndmask_b32_e64 v27, v55, v57, s[0:1]
	v_lshl_add_u32 v27, v27, 10, v35
	v_and_b32_e32 v55, 7, v56
	v_and_b32_e32 v27, 0xfc00, v27
	v_cndmask_b32_e64 v24, v24, v55, s[0:1]
	v_and_or_b32 v10, v10, s29, v27
	v_lshl_or_b32 v24, v24, 7, v10
.LBB268_664:                            ;   in Loop: Header=BB268_424 Depth=1
	s_or_b64 exec, exec, s[22:23]
.LBB268_665:                            ;   in Loop: Header=BB268_424 Depth=1
	s_or_b64 exec, exec, s[14:15]
.LBB268_666:                            ;   in Loop: Header=BB268_424 Depth=1
	s_or_b64 exec, exec, s[12:13]
	v_cmp_lt_u64_e64 s[0:1], s[6:7], v[20:21]
	v_mov_b32_e32 v20, 0
	s_and_saveexec_b64 s[12:13], s[0:1]
	s_cbranch_execz .LBB268_672
; %bb.667:                              ;   in Loop: Header=BB268_424 Depth=1
	v_lshrrev_b32_e32 v10, 24, v21
	v_cmp_ne_u32_e64 s[0:1], s24, v10
	v_bfrev_b32_e32 v20, 1
	s_and_saveexec_b64 s[14:15], s[0:1]
	s_cbranch_execz .LBB268_671
; %bb.668:                              ;   in Loop: Header=BB268_424 Depth=1
	v_and_b32_e32 v21, 0x7f, v10
	v_cmp_ne_u32_e64 s[0:1], s25, v21
	v_mov_b32_e32 v20, 0x7c010000
	s_and_saveexec_b64 s[22:23], s[0:1]
	s_cbranch_execz .LBB268_670
; %bb.669:                              ;   in Loop: Header=BB268_424 Depth=1
	v_and_b32_e32 v20, 7, v10
	v_ffbh_u32_e32 v55, v20
	v_min_u32_e32 v55, 32, v55
	v_lshrrev_b32_e32 v27, 3, v21
	v_subrev_u32_e32 v56, 28, v55
	v_sub_u32_e32 v55, 29, v55
	v_cmp_gt_u32_e64 s[0:1], 8, v21
	v_lshlrev_b64 v[56:57], v56, v[10:11]
	v_lshlrev_b32_e32 v10, 8, v10
	v_cndmask_b32_e64 v21, v27, v55, s[0:1]
	v_lshl_add_u32 v21, v21, 10, v35
	v_and_b32_e32 v27, 7, v56
	v_and_or_b32 v10, v10, s29, v21
	v_cndmask_b32_e64 v20, v20, v27, s[0:1]
	v_lshlrev_b32_e32 v10, 16, v10
	v_lshl_or_b32 v20, v20, 23, v10
.LBB268_670:                            ;   in Loop: Header=BB268_424 Depth=1
	s_or_b64 exec, exec, s[22:23]
.LBB268_671:                            ;   in Loop: Header=BB268_424 Depth=1
	s_or_b64 exec, exec, s[14:15]
.LBB268_672:                            ;   in Loop: Header=BB268_424 Depth=1
	s_or_b64 exec, exec, s[12:13]
	v_cvt_f32_f16_sdwa v57, v1 dst_sel:DWORD dst_unused:UNUSED_PAD src0_sel:WORD_1
	v_cvt_f32_f16_sdwa v56, v23 dst_sel:DWORD dst_unused:UNUSED_PAD src0_sel:WORD_1
	v_or_b32_e32 v1, v1, v19
	v_or_b32_e32 v10, v23, v22
	;; [unrolled: 1-line block ×3, first 2 shown]
	s_waitcnt vmcnt(0)
	v_pk_mul_f32 v[22:23], v[18:19], v[56:57] op_sel_hi:[0,1]
	v_cvt_f32_f16_e32 v56, v10
	v_cvt_f32_f16_e32 v57, v1
	v_cvt_pk_f16_f32 v1, v22, v23
	v_and_b32_e32 v19, 0xffff0000, v1
	v_lshlrev_b32_e32 v10, 16, v1
	v_pk_mul_f32 v[22:23], v[18:19], v[56:57] op_sel_hi:[0,1]
	v_cvt_pk_f16_f32 v1, v22, v23
	v_or_b32_e32 v23, v26, v25
	v_cvt_f32_f16_e32 v24, v24
	v_cvt_f32_f16_e32 v25, v23
	v_cvt_f32_f16_sdwa v27, v26 dst_sel:DWORD dst_unused:UNUSED_PAD src0_sel:WORD_1
	v_cvt_f32_f16_sdwa v26, v20 dst_sel:DWORD dst_unused:UNUSED_PAD src0_sel:WORD_1
	v_lshrrev_b32_e32 v21, 16, v1
	v_pk_mul_f32 v[24:25], v[18:19], v[24:25] op_sel_hi:[0,1]
	v_cvt_pk_f16_f32 v55, v24, v25
	v_pk_mul_f32 v[24:25], v[18:19], v[26:27] op_sel_hi:[0,1]
	v_cvt_pk_f16_f32 v18, v24, v25
	v_and_b32_e32 v22, 0xffff, v1
	v_and_b32_e32 v23, 0xffff0000, v18
	v_lshlrev_b32_e32 v18, 16, v18
	v_lshrrev_b32_e32 v25, 16, v55
	v_and_b32_e32 v24, 0xffff, v55
	v_or_b32_e32 v1, v19, v21
	v_or_b32_e32 v20, v10, v22
	;; [unrolled: 1-line block ×4, first 2 shown]
	s_and_saveexec_b64 s[12:13], vcc
	s_cbranch_execz .LBB268_674
; %bb.673:                              ;   in Loop: Header=BB268_424 Depth=1
	v_cmp_gt_i32_e64 s[0:1], s27, v33
	s_nop 1
	v_cndmask_b32_e64 v1, 0, v21, s[0:1]
	v_cmp_gt_i32_e64 s[0:1], s33, v43
	s_nop 1
	v_cndmask_b32_e64 v20, 0, v22, s[0:1]
	;; [unrolled: 3-line block ×3, first 2 shown]
	v_cmp_gt_i32_e64 s[0:1], s33, v40
	v_or_b32_e32 v1, v19, v1
	s_nop 0
	v_cndmask_b32_e64 v10, 0, v10, s[0:1]
	v_cmp_gt_i32_e64 s[0:1], s27, v39
	v_or_b32_e32 v20, v10, v20
	s_nop 0
	v_cndmask_b32_e64 v10, 0, v25, s[0:1]
	v_cmp_gt_i32_e64 s[0:1], s33, v38
	s_nop 1
	v_cndmask_b32_e64 v19, 0, v24, s[0:1]
	v_cmp_gt_i32_e64 s[0:1], s27, v37
	;; [unrolled: 3-line block ×3, first 2 shown]
	v_or_b32_e32 v27, v21, v10
	s_nop 0
	v_cndmask_b32_e64 v18, 0, v18, s[0:1]
	v_or_b32_e32 v26, v18, v19
.LBB268_674:                            ;   in Loop: Header=BB268_424 Depth=1
	s_or_b64 exec, exec, s[12:13]
	;;#ASMSTART
	v_pk_mul_f16 v1, v46, v1;

	;;#ASMEND
	;;#ASMSTART
	v_pk_mul_f16 v10, v45, v20;

	;;#ASMEND
	;; [unrolled: 4-line block ×4, first 2 shown]
	s_nop 0
	;;#ASMSTART
	v_pk_add_f16 v1, v1, v10;

	;;#ASMEND
	s_nop 0
	;;#ASMSTART
	v_pk_add_f16 v1, v1, v18;

	;;#ASMEND
	;; [unrolled: 5-line block ×3, first 2 shown]
	v_mov_b32_e32 v19, 0
	v_lshrrev_b32_e32 v10, 16, v1
	v_and_b32_e32 v1, 0xffff, v1
	;;#ASMSTART
	v_cvt_f32_f16 v55, v1;
	;;#ASMEND
	;;#ASMSTART
	v_cvt_f32_f16 v56, v10;
	;;#ASMEND
	global_load_dwordx2 v[20:21], v[16:17], off offset:2560
	v_mov_b32_e32 v1, 0
	global_load_dword v18, v1, s[10:11]
	s_waitcnt vmcnt(1)
	v_cmp_ne_u16_sdwa s[0:1], v20, v11 src0_sel:BYTE_0 src1_sel:DWORD
	s_and_saveexec_b64 s[12:13], s[0:1]
	s_cbranch_execz .LBB268_680
; %bb.675:                              ;   in Loop: Header=BB268_424 Depth=1
	v_cmp_ne_u16_sdwa s[0:1], v20, s24 src0_sel:BYTE_0 src1_sel:DWORD
	v_mov_b32_e32 v19, 0x8000
	s_and_saveexec_b64 s[14:15], s[0:1]
	s_cbranch_execz .LBB268_679
; %bb.676:                              ;   in Loop: Header=BB268_424 Depth=1
	v_and_b32_e32 v10, 0x7f, v20
	v_cmp_ne_u32_e64 s[0:1], s25, v10
	v_mov_b32_e32 v19, 0x7c01
	s_and_saveexec_b64 s[22:23], s[0:1]
	s_cbranch_execz .LBB268_678
; %bb.677:                              ;   in Loop: Header=BB268_424 Depth=1
	v_and_b32_e32 v19, 7, v20
	v_ffbh_u32_e32 v22, v19
	v_min_u32_e32 v25, 32, v22
	v_subrev_u32_e32 v22, 28, v25
	v_lshlrev_b64 v[22:23], v22, v[20:21]
	v_lshrrev_b32_e32 v24, 3, v10
	v_sub_u32_e32 v23, 29, v25
	v_cmp_gt_u32_e64 s[0:1], 8, v10
	v_and_b32_e32 v22, 7, v22
	s_nop 0
	v_cndmask_b32_e64 v10, v24, v23, s[0:1]
	v_lshl_add_u32 v10, v10, 10, v35
	v_lshlrev_b32_e32 v23, 8, v20
	v_and_b32_e32 v10, 0xfc00, v10
	v_cndmask_b32_e64 v19, v19, v22, s[0:1]
	v_and_or_b32 v10, v23, s29, v10
	v_lshl_or_b32 v19, v19, 7, v10
.LBB268_678:                            ;   in Loop: Header=BB268_424 Depth=1
	s_or_b64 exec, exec, s[22:23]
.LBB268_679:                            ;   in Loop: Header=BB268_424 Depth=1
	s_or_b64 exec, exec, s[14:15]
.LBB268_680:                            ;   in Loop: Header=BB268_424 Depth=1
	s_or_b64 exec, exec, s[12:13]
	v_lshrrev_b16_e32 v10, 8, v20
	v_cmp_ne_u16_e64 s[0:1], 0, v10
	s_and_saveexec_b64 s[12:13], s[0:1]
	s_cbranch_execz .LBB268_686
; %bb.681:                              ;   in Loop: Header=BB268_424 Depth=1
	v_cmp_ne_u16_e64 s[0:1], s24, v10
	v_bfrev_b32_e32 v1, 1
	s_and_saveexec_b64 s[14:15], s[0:1]
	s_cbranch_execz .LBB268_685
; %bb.682:                              ;   in Loop: Header=BB268_424 Depth=1
	v_and_b32_e32 v22, 0x7f, v10
	v_cmp_ne_u32_e64 s[0:1], s25, v22
	v_mov_b32_e32 v1, 0x7c010000
	s_and_saveexec_b64 s[22:23], s[0:1]
	s_cbranch_execz .LBB268_684
; %bb.683:                              ;   in Loop: Header=BB268_424 Depth=1
	v_and_b32_e32 v1, 7, v10
	v_ffbh_u32_e32 v24, v1
	v_min_u32_e32 v26, 32, v24
	v_subrev_u32_e32 v24, 28, v26
	v_lshlrev_b64 v[24:25], v24, v[10:11]
	v_lshrrev_b32_e32 v23, 3, v22
	v_sub_u32_e32 v25, 29, v26
	v_cmp_gt_u32_e64 s[0:1], 8, v22
	v_lshlrev_b32_e32 v10, 8, v10
	s_nop 0
	v_cndmask_b32_e64 v22, v23, v25, s[0:1]
	v_lshl_add_u32 v22, v22, 10, v35
	v_and_b32_e32 v23, 7, v24
	v_and_or_b32 v10, v10, s29, v22
	v_cndmask_b32_e64 v1, v1, v23, s[0:1]
	v_lshlrev_b32_e32 v10, 16, v10
	v_lshl_or_b32 v1, v1, 23, v10
.LBB268_684:                            ;   in Loop: Header=BB268_424 Depth=1
	s_or_b64 exec, exec, s[22:23]
.LBB268_685:                            ;   in Loop: Header=BB268_424 Depth=1
	s_or_b64 exec, exec, s[14:15]
.LBB268_686:                            ;   in Loop: Header=BB268_424 Depth=1
	s_or_b64 exec, exec, s[12:13]
	v_lshrrev_b32_e32 v10, 16, v20
	v_cmp_ne_u16_sdwa s[0:1], v10, v11 src0_sel:BYTE_0 src1_sel:DWORD
	v_mov_b32_e32 v23, 0
	v_mov_b32_e32 v22, 0
	s_and_saveexec_b64 s[12:13], s[0:1]
	s_cbranch_execz .LBB268_692
; %bb.687:                              ;   in Loop: Header=BB268_424 Depth=1
	v_cmp_ne_u16_sdwa s[0:1], v10, s24 src0_sel:BYTE_0 src1_sel:DWORD
	v_mov_b32_e32 v22, 0x8000
	s_and_saveexec_b64 s[14:15], s[0:1]
	s_cbranch_execz .LBB268_691
; %bb.688:                              ;   in Loop: Header=BB268_424 Depth=1
	v_bfe_u32 v24, v20, 16, 7
	v_cmp_ne_u32_e64 s[0:1], s25, v24
	v_mov_b32_e32 v22, 0x7c01
	s_and_saveexec_b64 s[22:23], s[0:1]
	s_cbranch_execz .LBB268_690
; %bb.689:                              ;   in Loop: Header=BB268_424 Depth=1
	v_and_b32_e32 v22, 7, v10
	v_ffbh_u32_e32 v26, v22
	v_min_u32_e32 v57, 32, v26
	v_subrev_u32_e32 v26, 28, v57
	v_lshlrev_b64 v[26:27], v26, v[10:11]
	v_lshrrev_b32_e32 v25, 3, v24
	v_sub_u32_e32 v27, 29, v57
	v_cmp_gt_u32_e64 s[0:1], 8, v24
	v_lshlrev_b32_e32 v10, 8, v10
	s_nop 0
	v_cndmask_b32_e64 v24, v25, v27, s[0:1]
	v_lshl_add_u32 v24, v24, 10, v35
	v_and_b32_e32 v25, 7, v26
	v_and_b32_e32 v24, 0xfc00, v24
	v_cndmask_b32_e64 v22, v22, v25, s[0:1]
	v_and_or_b32 v10, v10, s29, v24
	v_lshl_or_b32 v22, v22, 7, v10
.LBB268_690:                            ;   in Loop: Header=BB268_424 Depth=1
	s_or_b64 exec, exec, s[22:23]
.LBB268_691:                            ;   in Loop: Header=BB268_424 Depth=1
	s_or_b64 exec, exec, s[14:15]
.LBB268_692:                            ;   in Loop: Header=BB268_424 Depth=1
	s_or_b64 exec, exec, s[12:13]
	v_cmp_lt_u32_e64 s[0:1], s7, v20
	s_and_saveexec_b64 s[12:13], s[0:1]
	s_cbranch_execz .LBB268_698
; %bb.693:                              ;   in Loop: Header=BB268_424 Depth=1
	v_lshrrev_b32_e32 v10, 24, v20
	v_cmp_ne_u32_e64 s[0:1], s24, v10
	v_bfrev_b32_e32 v23, 1
	s_and_saveexec_b64 s[14:15], s[0:1]
	s_cbranch_execz .LBB268_697
; %bb.694:                              ;   in Loop: Header=BB268_424 Depth=1
	v_and_b32_e32 v24, 0x7f, v10
	v_cmp_ne_u32_e64 s[0:1], s25, v24
	v_mov_b32_e32 v23, 0x7c010000
	s_and_saveexec_b64 s[22:23], s[0:1]
	s_cbranch_execz .LBB268_696
; %bb.695:                              ;   in Loop: Header=BB268_424 Depth=1
	v_and_b32_e32 v23, 7, v10
	v_ffbh_u32_e32 v26, v23
	v_min_u32_e32 v57, 32, v26
	v_subrev_u32_e32 v26, 28, v57
	v_lshlrev_b64 v[26:27], v26, v[10:11]
	v_lshrrev_b32_e32 v25, 3, v24
	v_sub_u32_e32 v27, 29, v57
	v_cmp_gt_u32_e64 s[0:1], 8, v24
	v_lshlrev_b32_e32 v10, 8, v10
	s_nop 0
	v_cndmask_b32_e64 v24, v25, v27, s[0:1]
	v_lshl_add_u32 v24, v24, 10, v35
	v_and_b32_e32 v25, 7, v26
	v_and_or_b32 v10, v10, s29, v24
	v_cndmask_b32_e64 v23, v23, v25, s[0:1]
	v_lshlrev_b32_e32 v10, 16, v10
	v_lshl_or_b32 v23, v23, 23, v10
.LBB268_696:                            ;   in Loop: Header=BB268_424 Depth=1
	s_or_b64 exec, exec, s[22:23]
.LBB268_697:                            ;   in Loop: Header=BB268_424 Depth=1
	s_or_b64 exec, exec, s[14:15]
.LBB268_698:                            ;   in Loop: Header=BB268_424 Depth=1
	s_or_b64 exec, exec, s[12:13]
	v_mov_b32_e32 v10, v21
	v_cmp_ne_u16_sdwa s[0:1], v21, v11 src0_sel:BYTE_0 src1_sel:DWORD
	v_mov_b32_e32 v24, 0
	v_mov_b32_e32 v25, 0
	s_and_saveexec_b64 s[12:13], s[0:1]
	s_cbranch_execz .LBB268_704
; %bb.699:                              ;   in Loop: Header=BB268_424 Depth=1
	v_cmp_ne_u16_sdwa s[0:1], v21, s24 src0_sel:BYTE_0 src1_sel:DWORD
	v_mov_b32_e32 v25, 0x8000
	s_and_saveexec_b64 s[14:15], s[0:1]
	s_cbranch_execz .LBB268_703
; %bb.700:                              ;   in Loop: Header=BB268_424 Depth=1
	v_and_b32_e32 v26, 0x7f, v21
	v_cmp_ne_u32_e64 s[0:1], s25, v26
	v_mov_b32_e32 v25, 0x7c01
	s_and_saveexec_b64 s[22:23], s[0:1]
	s_cbranch_execz .LBB268_702
; %bb.701:                              ;   in Loop: Header=BB268_424 Depth=1
	v_and_b32_e32 v25, 7, v21
	v_ffbh_u32_e32 v57, v25
	v_min_u32_e32 v57, 32, v57
	v_lshrrev_b32_e32 v27, 3, v26
	v_subrev_u32_e32 v58, 28, v57
	v_sub_u32_e32 v57, 29, v57
	v_cmp_gt_u32_e64 s[0:1], 8, v26
	v_lshlrev_b64 v[58:59], v58, v[10:11]
	s_nop 0
	v_cndmask_b32_e64 v26, v27, v57, s[0:1]
	v_lshl_add_u32 v26, v26, 10, v35
	v_lshlrev_b32_e32 v27, 8, v21
	v_and_b32_e32 v57, 7, v58
	v_and_b32_e32 v26, 0xfc00, v26
	v_cndmask_b32_e64 v25, v25, v57, s[0:1]
	v_and_or_b32 v26, v27, s29, v26
	v_lshl_or_b32 v25, v25, 7, v26
.LBB268_702:                            ;   in Loop: Header=BB268_424 Depth=1
	s_or_b64 exec, exec, s[22:23]
.LBB268_703:                            ;   in Loop: Header=BB268_424 Depth=1
	s_or_b64 exec, exec, s[14:15]
.LBB268_704:                            ;   in Loop: Header=BB268_424 Depth=1
	s_or_b64 exec, exec, s[12:13]
	v_lshrrev_b16_e32 v10, 8, v10
	v_cmp_ne_u16_e64 s[0:1], 0, v10
	v_mov_b32_e32 v26, 0
	s_and_saveexec_b64 s[12:13], s[0:1]
	s_cbranch_execz .LBB268_710
; %bb.705:                              ;   in Loop: Header=BB268_424 Depth=1
	v_cmp_ne_u16_e64 s[0:1], s24, v10
	v_bfrev_b32_e32 v26, 1
	s_and_saveexec_b64 s[14:15], s[0:1]
	s_cbranch_execz .LBB268_709
; %bb.706:                              ;   in Loop: Header=BB268_424 Depth=1
	v_and_b32_e32 v27, 0x7f, v10
	v_cmp_ne_u32_e64 s[0:1], s25, v27
	v_mov_b32_e32 v26, 0x7c010000
	s_and_saveexec_b64 s[22:23], s[0:1]
	s_cbranch_execz .LBB268_708
; %bb.707:                              ;   in Loop: Header=BB268_424 Depth=1
	v_and_b32_e32 v26, 7, v10
	v_ffbh_u32_e32 v58, v26
	v_min_u32_e32 v60, 32, v58
	v_subrev_u32_e32 v58, 28, v60
	v_lshlrev_b64 v[58:59], v58, v[10:11]
	v_lshrrev_b32_e32 v57, 3, v27
	v_sub_u32_e32 v59, 29, v60
	v_cmp_gt_u32_e64 s[0:1], 8, v27
	v_lshlrev_b32_e32 v10, 8, v10
	s_nop 0
	v_cndmask_b32_e64 v27, v57, v59, s[0:1]
	v_lshl_add_u32 v27, v27, 10, v35
	v_and_b32_e32 v57, 7, v58
	v_and_or_b32 v10, v10, s29, v27
	v_cndmask_b32_e64 v26, v26, v57, s[0:1]
	v_lshlrev_b32_e32 v10, 16, v10
	v_lshl_or_b32 v26, v26, 23, v10
.LBB268_708:                            ;   in Loop: Header=BB268_424 Depth=1
	s_or_b64 exec, exec, s[22:23]
.LBB268_709:                            ;   in Loop: Header=BB268_424 Depth=1
	s_or_b64 exec, exec, s[14:15]
.LBB268_710:                            ;   in Loop: Header=BB268_424 Depth=1
	s_or_b64 exec, exec, s[12:13]
	v_lshrrev_b32_e32 v10, 16, v21
	v_cmp_ne_u16_sdwa s[0:1], v10, v11 src0_sel:BYTE_0 src1_sel:DWORD
	s_and_saveexec_b64 s[12:13], s[0:1]
	s_cbranch_execz .LBB268_716
; %bb.711:                              ;   in Loop: Header=BB268_424 Depth=1
	v_cmp_ne_u16_sdwa s[0:1], v10, s24 src0_sel:BYTE_0 src1_sel:DWORD
	v_mov_b32_e32 v24, 0x8000
	s_and_saveexec_b64 s[14:15], s[0:1]
	s_cbranch_execz .LBB268_715
; %bb.712:                              ;   in Loop: Header=BB268_424 Depth=1
	v_bfe_u32 v27, v21, 16, 7
	v_cmp_ne_u32_e64 s[0:1], s25, v27
	v_mov_b32_e32 v24, 0x7c01
	s_and_saveexec_b64 s[22:23], s[0:1]
	s_cbranch_execz .LBB268_714
; %bb.713:                              ;   in Loop: Header=BB268_424 Depth=1
	v_and_b32_e32 v24, 7, v10
	v_ffbh_u32_e32 v58, v24
	v_min_u32_e32 v60, 32, v58
	v_subrev_u32_e32 v58, 28, v60
	v_lshlrev_b64 v[58:59], v58, v[10:11]
	v_lshrrev_b32_e32 v57, 3, v27
	v_sub_u32_e32 v59, 29, v60
	v_cmp_gt_u32_e64 s[0:1], 8, v27
	v_lshlrev_b32_e32 v10, 8, v10
	s_nop 0
	v_cndmask_b32_e64 v27, v57, v59, s[0:1]
	v_lshl_add_u32 v27, v27, 10, v35
	v_and_b32_e32 v57, 7, v58
	v_and_b32_e32 v27, 0xfc00, v27
	v_cndmask_b32_e64 v24, v24, v57, s[0:1]
	v_and_or_b32 v10, v10, s29, v27
	v_lshl_or_b32 v24, v24, 7, v10
.LBB268_714:                            ;   in Loop: Header=BB268_424 Depth=1
	s_or_b64 exec, exec, s[22:23]
.LBB268_715:                            ;   in Loop: Header=BB268_424 Depth=1
	s_or_b64 exec, exec, s[14:15]
.LBB268_716:                            ;   in Loop: Header=BB268_424 Depth=1
	s_or_b64 exec, exec, s[12:13]
	v_cmp_lt_u64_e64 s[0:1], s[6:7], v[20:21]
	v_mov_b32_e32 v20, 0
	s_and_saveexec_b64 s[12:13], s[0:1]
	s_cbranch_execz .LBB268_722
; %bb.717:                              ;   in Loop: Header=BB268_424 Depth=1
	v_lshrrev_b32_e32 v10, 24, v21
	v_cmp_ne_u32_e64 s[0:1], s24, v10
	v_bfrev_b32_e32 v20, 1
	s_and_saveexec_b64 s[14:15], s[0:1]
	s_cbranch_execz .LBB268_721
; %bb.718:                              ;   in Loop: Header=BB268_424 Depth=1
	v_and_b32_e32 v21, 0x7f, v10
	v_cmp_ne_u32_e64 s[0:1], s25, v21
	v_mov_b32_e32 v20, 0x7c010000
	s_and_saveexec_b64 s[22:23], s[0:1]
	s_cbranch_execz .LBB268_720
; %bb.719:                              ;   in Loop: Header=BB268_424 Depth=1
	v_and_b32_e32 v20, 7, v10
	v_ffbh_u32_e32 v57, v20
	v_min_u32_e32 v57, 32, v57
	v_lshrrev_b32_e32 v27, 3, v21
	v_subrev_u32_e32 v58, 28, v57
	v_sub_u32_e32 v57, 29, v57
	v_cmp_gt_u32_e64 s[0:1], 8, v21
	v_lshlrev_b64 v[58:59], v58, v[10:11]
	v_lshlrev_b32_e32 v10, 8, v10
	v_cndmask_b32_e64 v21, v27, v57, s[0:1]
	v_lshl_add_u32 v21, v21, 10, v35
	v_and_b32_e32 v27, 7, v58
	v_and_or_b32 v10, v10, s29, v21
	v_cndmask_b32_e64 v20, v20, v27, s[0:1]
	v_lshlrev_b32_e32 v10, 16, v10
	v_lshl_or_b32 v20, v20, 23, v10
.LBB268_720:                            ;   in Loop: Header=BB268_424 Depth=1
	s_or_b64 exec, exec, s[22:23]
.LBB268_721:                            ;   in Loop: Header=BB268_424 Depth=1
	s_or_b64 exec, exec, s[14:15]
.LBB268_722:                            ;   in Loop: Header=BB268_424 Depth=1
	s_or_b64 exec, exec, s[12:13]
	v_cvt_f32_f16_sdwa v59, v1 dst_sel:DWORD dst_unused:UNUSED_PAD src0_sel:WORD_1
	v_cvt_f32_f16_sdwa v58, v23 dst_sel:DWORD dst_unused:UNUSED_PAD src0_sel:WORD_1
	v_or_b32_e32 v1, v1, v19
	v_or_b32_e32 v10, v23, v22
	v_or_b32_e32 v24, v20, v24
	s_waitcnt vmcnt(0)
	v_pk_mul_f32 v[22:23], v[18:19], v[58:59] op_sel_hi:[0,1]
	v_cvt_f32_f16_e32 v58, v10
	v_cvt_f32_f16_e32 v59, v1
	v_cvt_pk_f16_f32 v1, v22, v23
	v_and_b32_e32 v19, 0xffff0000, v1
	v_lshlrev_b32_e32 v10, 16, v1
	v_pk_mul_f32 v[22:23], v[18:19], v[58:59] op_sel_hi:[0,1]
	v_cvt_pk_f16_f32 v1, v22, v23
	v_or_b32_e32 v23, v26, v25
	v_cvt_f32_f16_e32 v24, v24
	v_cvt_f32_f16_e32 v25, v23
	v_cvt_f32_f16_sdwa v27, v26 dst_sel:DWORD dst_unused:UNUSED_PAD src0_sel:WORD_1
	v_cvt_f32_f16_sdwa v26, v20 dst_sel:DWORD dst_unused:UNUSED_PAD src0_sel:WORD_1
	v_lshrrev_b32_e32 v21, 16, v1
	v_pk_mul_f32 v[24:25], v[18:19], v[24:25] op_sel_hi:[0,1]
	v_cvt_pk_f16_f32 v57, v24, v25
	v_pk_mul_f32 v[24:25], v[18:19], v[26:27] op_sel_hi:[0,1]
	v_cvt_pk_f16_f32 v18, v24, v25
	v_and_b32_e32 v22, 0xffff, v1
	v_and_b32_e32 v23, 0xffff0000, v18
	v_lshlrev_b32_e32 v18, 16, v18
	v_lshrrev_b32_e32 v25, 16, v57
	v_and_b32_e32 v24, 0xffff, v57
	v_or_b32_e32 v1, v19, v21
	v_or_b32_e32 v20, v10, v22
	;; [unrolled: 1-line block ×4, first 2 shown]
	s_and_saveexec_b64 s[12:13], vcc
	s_cbranch_execz .LBB268_724
; %bb.723:                              ;   in Loop: Header=BB268_424 Depth=1
	v_cmp_gt_i32_e64 s[0:1], s27, v33
	s_nop 1
	v_cndmask_b32_e64 v1, 0, v21, s[0:1]
	v_cmp_gt_i32_e64 s[0:1], s33, v43
	s_nop 1
	v_cndmask_b32_e64 v20, 0, v22, s[0:1]
	;; [unrolled: 3-line block ×3, first 2 shown]
	v_cmp_gt_i32_e64 s[0:1], s33, v40
	v_or_b32_e32 v1, v19, v1
	s_nop 0
	v_cndmask_b32_e64 v10, 0, v10, s[0:1]
	v_cmp_gt_i32_e64 s[0:1], s27, v39
	v_or_b32_e32 v20, v10, v20
	s_nop 0
	v_cndmask_b32_e64 v10, 0, v25, s[0:1]
	v_cmp_gt_i32_e64 s[0:1], s33, v38
	s_nop 1
	v_cndmask_b32_e64 v19, 0, v24, s[0:1]
	v_cmp_gt_i32_e64 s[0:1], s27, v37
	;; [unrolled: 3-line block ×3, first 2 shown]
	v_or_b32_e32 v27, v21, v10
	s_nop 0
	v_cndmask_b32_e64 v18, 0, v18, s[0:1]
	v_or_b32_e32 v26, v18, v19
.LBB268_724:                            ;   in Loop: Header=BB268_424 Depth=1
	s_or_b64 exec, exec, s[12:13]
	;;#ASMSTART
	v_pk_mul_f16 v1, v46, v1;

	;;#ASMEND
	;;#ASMSTART
	v_pk_mul_f16 v10, v45, v20;

	;;#ASMEND
	;; [unrolled: 4-line block ×4, first 2 shown]
	s_nop 0
	;;#ASMSTART
	v_pk_add_f16 v1, v1, v10;

	;;#ASMEND
	s_nop 0
	;;#ASMSTART
	v_pk_add_f16 v1, v1, v18;

	;;#ASMEND
	;; [unrolled: 5-line block ×3, first 2 shown]
	v_mov_b32_e32 v19, 0
	v_lshrrev_b32_e32 v10, 16, v1
	v_and_b32_e32 v1, 0xffff, v1
	;;#ASMSTART
	v_cvt_f32_f16 v57, v1;
	;;#ASMEND
	;;#ASMSTART
	v_cvt_f32_f16 v58, v10;
	;;#ASMEND
	global_load_dwordx2 v[20:21], v[16:17], off offset:3072
	v_mov_b32_e32 v1, 0
	global_load_dword v18, v1, s[10:11]
	s_waitcnt vmcnt(1)
	v_cmp_ne_u16_sdwa s[0:1], v20, v11 src0_sel:BYTE_0 src1_sel:DWORD
	s_and_saveexec_b64 s[12:13], s[0:1]
	s_cbranch_execz .LBB268_730
; %bb.725:                              ;   in Loop: Header=BB268_424 Depth=1
	v_cmp_ne_u16_sdwa s[0:1], v20, s24 src0_sel:BYTE_0 src1_sel:DWORD
	v_mov_b32_e32 v19, 0x8000
	s_and_saveexec_b64 s[14:15], s[0:1]
	s_cbranch_execz .LBB268_729
; %bb.726:                              ;   in Loop: Header=BB268_424 Depth=1
	v_and_b32_e32 v10, 0x7f, v20
	v_cmp_ne_u32_e64 s[0:1], s25, v10
	v_mov_b32_e32 v19, 0x7c01
	s_and_saveexec_b64 s[22:23], s[0:1]
	s_cbranch_execz .LBB268_728
; %bb.727:                              ;   in Loop: Header=BB268_424 Depth=1
	v_and_b32_e32 v19, 7, v20
	v_ffbh_u32_e32 v22, v19
	v_min_u32_e32 v25, 32, v22
	v_subrev_u32_e32 v22, 28, v25
	v_lshlrev_b64 v[22:23], v22, v[20:21]
	v_lshrrev_b32_e32 v24, 3, v10
	v_sub_u32_e32 v23, 29, v25
	v_cmp_gt_u32_e64 s[0:1], 8, v10
	v_and_b32_e32 v22, 7, v22
	s_nop 0
	v_cndmask_b32_e64 v10, v24, v23, s[0:1]
	v_lshl_add_u32 v10, v10, 10, v35
	v_lshlrev_b32_e32 v23, 8, v20
	v_and_b32_e32 v10, 0xfc00, v10
	v_cndmask_b32_e64 v19, v19, v22, s[0:1]
	v_and_or_b32 v10, v23, s29, v10
	v_lshl_or_b32 v19, v19, 7, v10
.LBB268_728:                            ;   in Loop: Header=BB268_424 Depth=1
	s_or_b64 exec, exec, s[22:23]
.LBB268_729:                            ;   in Loop: Header=BB268_424 Depth=1
	s_or_b64 exec, exec, s[14:15]
.LBB268_730:                            ;   in Loop: Header=BB268_424 Depth=1
	s_or_b64 exec, exec, s[12:13]
	v_lshrrev_b16_e32 v10, 8, v20
	v_cmp_ne_u16_e64 s[0:1], 0, v10
	s_and_saveexec_b64 s[12:13], s[0:1]
	s_cbranch_execz .LBB268_736
; %bb.731:                              ;   in Loop: Header=BB268_424 Depth=1
	v_cmp_ne_u16_e64 s[0:1], s24, v10
	v_bfrev_b32_e32 v1, 1
	s_and_saveexec_b64 s[14:15], s[0:1]
	s_cbranch_execz .LBB268_735
; %bb.732:                              ;   in Loop: Header=BB268_424 Depth=1
	v_and_b32_e32 v22, 0x7f, v10
	v_cmp_ne_u32_e64 s[0:1], s25, v22
	v_mov_b32_e32 v1, 0x7c010000
	s_and_saveexec_b64 s[22:23], s[0:1]
	s_cbranch_execz .LBB268_734
; %bb.733:                              ;   in Loop: Header=BB268_424 Depth=1
	v_and_b32_e32 v1, 7, v10
	v_ffbh_u32_e32 v24, v1
	v_min_u32_e32 v26, 32, v24
	v_subrev_u32_e32 v24, 28, v26
	v_lshlrev_b64 v[24:25], v24, v[10:11]
	v_lshrrev_b32_e32 v23, 3, v22
	v_sub_u32_e32 v25, 29, v26
	v_cmp_gt_u32_e64 s[0:1], 8, v22
	v_lshlrev_b32_e32 v10, 8, v10
	s_nop 0
	v_cndmask_b32_e64 v22, v23, v25, s[0:1]
	v_lshl_add_u32 v22, v22, 10, v35
	v_and_b32_e32 v23, 7, v24
	v_and_or_b32 v10, v10, s29, v22
	v_cndmask_b32_e64 v1, v1, v23, s[0:1]
	v_lshlrev_b32_e32 v10, 16, v10
	v_lshl_or_b32 v1, v1, 23, v10
.LBB268_734:                            ;   in Loop: Header=BB268_424 Depth=1
	s_or_b64 exec, exec, s[22:23]
.LBB268_735:                            ;   in Loop: Header=BB268_424 Depth=1
	s_or_b64 exec, exec, s[14:15]
.LBB268_736:                            ;   in Loop: Header=BB268_424 Depth=1
	s_or_b64 exec, exec, s[12:13]
	v_lshrrev_b32_e32 v10, 16, v20
	v_cmp_ne_u16_sdwa s[0:1], v10, v11 src0_sel:BYTE_0 src1_sel:DWORD
	v_mov_b32_e32 v23, 0
	v_mov_b32_e32 v22, 0
	s_and_saveexec_b64 s[12:13], s[0:1]
	s_cbranch_execz .LBB268_742
; %bb.737:                              ;   in Loop: Header=BB268_424 Depth=1
	v_cmp_ne_u16_sdwa s[0:1], v10, s24 src0_sel:BYTE_0 src1_sel:DWORD
	v_mov_b32_e32 v22, 0x8000
	s_and_saveexec_b64 s[14:15], s[0:1]
	s_cbranch_execz .LBB268_741
; %bb.738:                              ;   in Loop: Header=BB268_424 Depth=1
	v_bfe_u32 v24, v20, 16, 7
	v_cmp_ne_u32_e64 s[0:1], s25, v24
	v_mov_b32_e32 v22, 0x7c01
	s_and_saveexec_b64 s[22:23], s[0:1]
	s_cbranch_execz .LBB268_740
; %bb.739:                              ;   in Loop: Header=BB268_424 Depth=1
	v_and_b32_e32 v22, 7, v10
	v_ffbh_u32_e32 v26, v22
	v_min_u32_e32 v59, 32, v26
	v_subrev_u32_e32 v26, 28, v59
	v_lshlrev_b64 v[26:27], v26, v[10:11]
	v_lshrrev_b32_e32 v25, 3, v24
	v_sub_u32_e32 v27, 29, v59
	v_cmp_gt_u32_e64 s[0:1], 8, v24
	v_lshlrev_b32_e32 v10, 8, v10
	s_nop 0
	v_cndmask_b32_e64 v24, v25, v27, s[0:1]
	v_lshl_add_u32 v24, v24, 10, v35
	v_and_b32_e32 v25, 7, v26
	v_and_b32_e32 v24, 0xfc00, v24
	v_cndmask_b32_e64 v22, v22, v25, s[0:1]
	v_and_or_b32 v10, v10, s29, v24
	v_lshl_or_b32 v22, v22, 7, v10
.LBB268_740:                            ;   in Loop: Header=BB268_424 Depth=1
	s_or_b64 exec, exec, s[22:23]
.LBB268_741:                            ;   in Loop: Header=BB268_424 Depth=1
	s_or_b64 exec, exec, s[14:15]
.LBB268_742:                            ;   in Loop: Header=BB268_424 Depth=1
	s_or_b64 exec, exec, s[12:13]
	v_cmp_lt_u32_e64 s[0:1], s7, v20
	s_and_saveexec_b64 s[12:13], s[0:1]
	s_cbranch_execz .LBB268_748
; %bb.743:                              ;   in Loop: Header=BB268_424 Depth=1
	v_lshrrev_b32_e32 v10, 24, v20
	v_cmp_ne_u32_e64 s[0:1], s24, v10
	v_bfrev_b32_e32 v23, 1
	s_and_saveexec_b64 s[14:15], s[0:1]
	s_cbranch_execz .LBB268_747
; %bb.744:                              ;   in Loop: Header=BB268_424 Depth=1
	v_and_b32_e32 v24, 0x7f, v10
	v_cmp_ne_u32_e64 s[0:1], s25, v24
	v_mov_b32_e32 v23, 0x7c010000
	s_and_saveexec_b64 s[22:23], s[0:1]
	s_cbranch_execz .LBB268_746
; %bb.745:                              ;   in Loop: Header=BB268_424 Depth=1
	v_and_b32_e32 v23, 7, v10
	v_ffbh_u32_e32 v26, v23
	v_min_u32_e32 v59, 32, v26
	v_subrev_u32_e32 v26, 28, v59
	v_lshlrev_b64 v[26:27], v26, v[10:11]
	v_lshrrev_b32_e32 v25, 3, v24
	v_sub_u32_e32 v27, 29, v59
	v_cmp_gt_u32_e64 s[0:1], 8, v24
	v_lshlrev_b32_e32 v10, 8, v10
	s_nop 0
	v_cndmask_b32_e64 v24, v25, v27, s[0:1]
	v_lshl_add_u32 v24, v24, 10, v35
	v_and_b32_e32 v25, 7, v26
	v_and_or_b32 v10, v10, s29, v24
	v_cndmask_b32_e64 v23, v23, v25, s[0:1]
	v_lshlrev_b32_e32 v10, 16, v10
	v_lshl_or_b32 v23, v23, 23, v10
.LBB268_746:                            ;   in Loop: Header=BB268_424 Depth=1
	s_or_b64 exec, exec, s[22:23]
.LBB268_747:                            ;   in Loop: Header=BB268_424 Depth=1
	s_or_b64 exec, exec, s[14:15]
.LBB268_748:                            ;   in Loop: Header=BB268_424 Depth=1
	s_or_b64 exec, exec, s[12:13]
	v_mov_b32_e32 v10, v21
	v_cmp_ne_u16_sdwa s[0:1], v21, v11 src0_sel:BYTE_0 src1_sel:DWORD
	v_mov_b32_e32 v24, 0
	v_mov_b32_e32 v25, 0
	s_and_saveexec_b64 s[12:13], s[0:1]
	s_cbranch_execz .LBB268_754
; %bb.749:                              ;   in Loop: Header=BB268_424 Depth=1
	v_cmp_ne_u16_sdwa s[0:1], v21, s24 src0_sel:BYTE_0 src1_sel:DWORD
	v_mov_b32_e32 v25, 0x8000
	s_and_saveexec_b64 s[14:15], s[0:1]
	s_cbranch_execz .LBB268_753
; %bb.750:                              ;   in Loop: Header=BB268_424 Depth=1
	v_and_b32_e32 v26, 0x7f, v21
	v_cmp_ne_u32_e64 s[0:1], s25, v26
	v_mov_b32_e32 v25, 0x7c01
	s_and_saveexec_b64 s[22:23], s[0:1]
	s_cbranch_execz .LBB268_752
; %bb.751:                              ;   in Loop: Header=BB268_424 Depth=1
	v_and_b32_e32 v25, 7, v21
	v_ffbh_u32_e32 v59, v25
	v_min_u32_e32 v59, 32, v59
	v_lshrrev_b32_e32 v27, 3, v26
	v_subrev_u32_e32 v60, 28, v59
	v_sub_u32_e32 v59, 29, v59
	v_cmp_gt_u32_e64 s[0:1], 8, v26
	v_lshlrev_b64 v[60:61], v60, v[10:11]
	s_nop 0
	v_cndmask_b32_e64 v26, v27, v59, s[0:1]
	v_lshl_add_u32 v26, v26, 10, v35
	v_lshlrev_b32_e32 v27, 8, v21
	v_and_b32_e32 v59, 7, v60
	v_and_b32_e32 v26, 0xfc00, v26
	v_cndmask_b32_e64 v25, v25, v59, s[0:1]
	v_and_or_b32 v26, v27, s29, v26
	v_lshl_or_b32 v25, v25, 7, v26
.LBB268_752:                            ;   in Loop: Header=BB268_424 Depth=1
	s_or_b64 exec, exec, s[22:23]
.LBB268_753:                            ;   in Loop: Header=BB268_424 Depth=1
	s_or_b64 exec, exec, s[14:15]
.LBB268_754:                            ;   in Loop: Header=BB268_424 Depth=1
	s_or_b64 exec, exec, s[12:13]
	v_lshrrev_b16_e32 v10, 8, v10
	v_cmp_ne_u16_e64 s[0:1], 0, v10
	v_mov_b32_e32 v26, 0
	s_and_saveexec_b64 s[12:13], s[0:1]
	s_cbranch_execz .LBB268_760
; %bb.755:                              ;   in Loop: Header=BB268_424 Depth=1
	v_cmp_ne_u16_e64 s[0:1], s24, v10
	v_bfrev_b32_e32 v26, 1
	s_and_saveexec_b64 s[14:15], s[0:1]
	s_cbranch_execz .LBB268_759
; %bb.756:                              ;   in Loop: Header=BB268_424 Depth=1
	v_and_b32_e32 v27, 0x7f, v10
	v_cmp_ne_u32_e64 s[0:1], s25, v27
	v_mov_b32_e32 v26, 0x7c010000
	s_and_saveexec_b64 s[22:23], s[0:1]
	s_cbranch_execz .LBB268_758
; %bb.757:                              ;   in Loop: Header=BB268_424 Depth=1
	v_and_b32_e32 v26, 7, v10
	v_ffbh_u32_e32 v60, v26
	v_min_u32_e32 v62, 32, v60
	v_subrev_u32_e32 v60, 28, v62
	v_lshlrev_b64 v[60:61], v60, v[10:11]
	v_lshrrev_b32_e32 v59, 3, v27
	v_sub_u32_e32 v61, 29, v62
	v_cmp_gt_u32_e64 s[0:1], 8, v27
	v_lshlrev_b32_e32 v10, 8, v10
	s_nop 0
	v_cndmask_b32_e64 v27, v59, v61, s[0:1]
	v_lshl_add_u32 v27, v27, 10, v35
	v_and_b32_e32 v59, 7, v60
	v_and_or_b32 v10, v10, s29, v27
	v_cndmask_b32_e64 v26, v26, v59, s[0:1]
	v_lshlrev_b32_e32 v10, 16, v10
	v_lshl_or_b32 v26, v26, 23, v10
.LBB268_758:                            ;   in Loop: Header=BB268_424 Depth=1
	s_or_b64 exec, exec, s[22:23]
.LBB268_759:                            ;   in Loop: Header=BB268_424 Depth=1
	s_or_b64 exec, exec, s[14:15]
.LBB268_760:                            ;   in Loop: Header=BB268_424 Depth=1
	s_or_b64 exec, exec, s[12:13]
	v_lshrrev_b32_e32 v10, 16, v21
	v_cmp_ne_u16_sdwa s[0:1], v10, v11 src0_sel:BYTE_0 src1_sel:DWORD
	s_and_saveexec_b64 s[12:13], s[0:1]
	s_cbranch_execz .LBB268_766
; %bb.761:                              ;   in Loop: Header=BB268_424 Depth=1
	v_cmp_ne_u16_sdwa s[0:1], v10, s24 src0_sel:BYTE_0 src1_sel:DWORD
	v_mov_b32_e32 v24, 0x8000
	s_and_saveexec_b64 s[14:15], s[0:1]
	s_cbranch_execz .LBB268_765
; %bb.762:                              ;   in Loop: Header=BB268_424 Depth=1
	v_bfe_u32 v27, v21, 16, 7
	v_cmp_ne_u32_e64 s[0:1], s25, v27
	v_mov_b32_e32 v24, 0x7c01
	s_and_saveexec_b64 s[22:23], s[0:1]
	s_cbranch_execz .LBB268_764
; %bb.763:                              ;   in Loop: Header=BB268_424 Depth=1
	v_and_b32_e32 v24, 7, v10
	v_ffbh_u32_e32 v60, v24
	v_min_u32_e32 v62, 32, v60
	v_subrev_u32_e32 v60, 28, v62
	v_lshlrev_b64 v[60:61], v60, v[10:11]
	v_lshrrev_b32_e32 v59, 3, v27
	v_sub_u32_e32 v61, 29, v62
	v_cmp_gt_u32_e64 s[0:1], 8, v27
	v_lshlrev_b32_e32 v10, 8, v10
	s_nop 0
	v_cndmask_b32_e64 v27, v59, v61, s[0:1]
	v_lshl_add_u32 v27, v27, 10, v35
	v_and_b32_e32 v59, 7, v60
	v_and_b32_e32 v27, 0xfc00, v27
	v_cndmask_b32_e64 v24, v24, v59, s[0:1]
	v_and_or_b32 v10, v10, s29, v27
	v_lshl_or_b32 v24, v24, 7, v10
.LBB268_764:                            ;   in Loop: Header=BB268_424 Depth=1
	s_or_b64 exec, exec, s[22:23]
.LBB268_765:                            ;   in Loop: Header=BB268_424 Depth=1
	s_or_b64 exec, exec, s[14:15]
.LBB268_766:                            ;   in Loop: Header=BB268_424 Depth=1
	s_or_b64 exec, exec, s[12:13]
	v_cmp_lt_u64_e64 s[0:1], s[6:7], v[20:21]
	v_mov_b32_e32 v20, 0
	s_and_saveexec_b64 s[12:13], s[0:1]
	s_cbranch_execz .LBB268_772
; %bb.767:                              ;   in Loop: Header=BB268_424 Depth=1
	v_lshrrev_b32_e32 v10, 24, v21
	v_cmp_ne_u32_e64 s[0:1], s24, v10
	v_bfrev_b32_e32 v20, 1
	s_and_saveexec_b64 s[14:15], s[0:1]
	s_cbranch_execz .LBB268_771
; %bb.768:                              ;   in Loop: Header=BB268_424 Depth=1
	v_and_b32_e32 v21, 0x7f, v10
	v_cmp_ne_u32_e64 s[0:1], s25, v21
	v_mov_b32_e32 v20, 0x7c010000
	s_and_saveexec_b64 s[22:23], s[0:1]
	s_cbranch_execz .LBB268_770
; %bb.769:                              ;   in Loop: Header=BB268_424 Depth=1
	v_and_b32_e32 v20, 7, v10
	v_ffbh_u32_e32 v59, v20
	v_min_u32_e32 v59, 32, v59
	v_lshrrev_b32_e32 v27, 3, v21
	v_subrev_u32_e32 v60, 28, v59
	v_sub_u32_e32 v59, 29, v59
	v_cmp_gt_u32_e64 s[0:1], 8, v21
	v_lshlrev_b64 v[60:61], v60, v[10:11]
	v_lshlrev_b32_e32 v10, 8, v10
	v_cndmask_b32_e64 v21, v27, v59, s[0:1]
	v_lshl_add_u32 v21, v21, 10, v35
	v_and_b32_e32 v27, 7, v60
	v_and_or_b32 v10, v10, s29, v21
	v_cndmask_b32_e64 v20, v20, v27, s[0:1]
	v_lshlrev_b32_e32 v10, 16, v10
	v_lshl_or_b32 v20, v20, 23, v10
.LBB268_770:                            ;   in Loop: Header=BB268_424 Depth=1
	s_or_b64 exec, exec, s[22:23]
.LBB268_771:                            ;   in Loop: Header=BB268_424 Depth=1
	s_or_b64 exec, exec, s[14:15]
.LBB268_772:                            ;   in Loop: Header=BB268_424 Depth=1
	s_or_b64 exec, exec, s[12:13]
	v_cvt_f32_f16_sdwa v61, v1 dst_sel:DWORD dst_unused:UNUSED_PAD src0_sel:WORD_1
	v_cvt_f32_f16_sdwa v60, v23 dst_sel:DWORD dst_unused:UNUSED_PAD src0_sel:WORD_1
	v_or_b32_e32 v1, v1, v19
	v_or_b32_e32 v10, v23, v22
	;; [unrolled: 1-line block ×3, first 2 shown]
	s_waitcnt vmcnt(0)
	v_pk_mul_f32 v[22:23], v[18:19], v[60:61] op_sel_hi:[0,1]
	v_cvt_f32_f16_e32 v60, v10
	v_cvt_f32_f16_e32 v61, v1
	v_cvt_pk_f16_f32 v1, v22, v23
	v_and_b32_e32 v19, 0xffff0000, v1
	v_lshlrev_b32_e32 v10, 16, v1
	v_pk_mul_f32 v[22:23], v[18:19], v[60:61] op_sel_hi:[0,1]
	v_cvt_pk_f16_f32 v1, v22, v23
	v_or_b32_e32 v23, v26, v25
	v_cvt_f32_f16_e32 v24, v24
	v_cvt_f32_f16_e32 v25, v23
	v_cvt_f32_f16_sdwa v27, v26 dst_sel:DWORD dst_unused:UNUSED_PAD src0_sel:WORD_1
	v_cvt_f32_f16_sdwa v26, v20 dst_sel:DWORD dst_unused:UNUSED_PAD src0_sel:WORD_1
	v_lshrrev_b32_e32 v21, 16, v1
	v_pk_mul_f32 v[24:25], v[18:19], v[24:25] op_sel_hi:[0,1]
	v_cvt_pk_f16_f32 v59, v24, v25
	v_pk_mul_f32 v[24:25], v[18:19], v[26:27] op_sel_hi:[0,1]
	v_cvt_pk_f16_f32 v18, v24, v25
	v_and_b32_e32 v22, 0xffff, v1
	v_and_b32_e32 v23, 0xffff0000, v18
	v_lshlrev_b32_e32 v18, 16, v18
	v_lshrrev_b32_e32 v25, 16, v59
	v_and_b32_e32 v24, 0xffff, v59
	v_or_b32_e32 v1, v19, v21
	v_or_b32_e32 v20, v10, v22
	;; [unrolled: 1-line block ×4, first 2 shown]
	s_and_saveexec_b64 s[12:13], vcc
	s_cbranch_execz .LBB268_774
; %bb.773:                              ;   in Loop: Header=BB268_424 Depth=1
	v_cmp_gt_i32_e64 s[0:1], s27, v33
	s_nop 1
	v_cndmask_b32_e64 v1, 0, v21, s[0:1]
	v_cmp_gt_i32_e64 s[0:1], s33, v43
	s_nop 1
	v_cndmask_b32_e64 v20, 0, v22, s[0:1]
	;; [unrolled: 3-line block ×3, first 2 shown]
	v_cmp_gt_i32_e64 s[0:1], s33, v40
	v_or_b32_e32 v1, v19, v1
	s_nop 0
	v_cndmask_b32_e64 v10, 0, v10, s[0:1]
	v_cmp_gt_i32_e64 s[0:1], s27, v39
	v_or_b32_e32 v20, v10, v20
	s_nop 0
	v_cndmask_b32_e64 v10, 0, v25, s[0:1]
	v_cmp_gt_i32_e64 s[0:1], s33, v38
	s_nop 1
	v_cndmask_b32_e64 v19, 0, v24, s[0:1]
	v_cmp_gt_i32_e64 s[0:1], s27, v37
	;; [unrolled: 3-line block ×3, first 2 shown]
	v_or_b32_e32 v27, v21, v10
	s_nop 0
	v_cndmask_b32_e64 v18, 0, v18, s[0:1]
	v_or_b32_e32 v26, v18, v19
.LBB268_774:                            ;   in Loop: Header=BB268_424 Depth=1
	s_or_b64 exec, exec, s[12:13]
	;;#ASMSTART
	v_pk_mul_f16 v1, v46, v1;

	;;#ASMEND
	;;#ASMSTART
	v_pk_mul_f16 v10, v45, v20;

	;;#ASMEND
	;; [unrolled: 4-line block ×4, first 2 shown]
	s_nop 0
	;;#ASMSTART
	v_pk_add_f16 v1, v1, v10;

	;;#ASMEND
	s_nop 0
	;;#ASMSTART
	v_pk_add_f16 v1, v1, v18;

	;;#ASMEND
	s_nop 0
	;;#ASMSTART
	v_pk_add_f16 v1, v1, v19;

	;;#ASMEND
	s_nop 0
	v_lshrrev_b32_e32 v10, 16, v1
	v_and_b32_e32 v1, 0xffff, v1
	;;#ASMSTART
	v_cvt_f32_f16 v26, v1;
	;;#ASMEND
	;;#ASMSTART
	v_cvt_f32_f16 v27, v10;
	;;#ASMEND
	global_load_dwordx2 v[18:19], v[16:17], off offset:3584
	v_mov_b32_e32 v1, 0
	global_load_dword v16, v1, s[10:11]
	v_mov_b32_e32 v17, 0
	s_waitcnt vmcnt(1)
	v_cmp_ne_u16_sdwa s[0:1], v18, v11 src0_sel:BYTE_0 src1_sel:DWORD
	s_and_saveexec_b64 s[12:13], s[0:1]
	s_cbranch_execz .LBB268_780
; %bb.775:                              ;   in Loop: Header=BB268_424 Depth=1
	v_cmp_ne_u16_sdwa s[0:1], v18, s24 src0_sel:BYTE_0 src1_sel:DWORD
	v_mov_b32_e32 v17, 0x8000
	s_and_saveexec_b64 s[14:15], s[0:1]
	s_cbranch_execz .LBB268_779
; %bb.776:                              ;   in Loop: Header=BB268_424 Depth=1
	v_and_b32_e32 v10, 0x7f, v18
	v_cmp_ne_u32_e64 s[0:1], s25, v10
	v_mov_b32_e32 v17, 0x7c01
	s_and_saveexec_b64 s[22:23], s[0:1]
	s_cbranch_execz .LBB268_778
; %bb.777:                              ;   in Loop: Header=BB268_424 Depth=1
	v_and_b32_e32 v17, 7, v18
	v_ffbh_u32_e32 v20, v17
	v_min_u32_e32 v23, 32, v20
	v_subrev_u32_e32 v20, 28, v23
	v_lshlrev_b64 v[20:21], v20, v[18:19]
	v_lshrrev_b32_e32 v22, 3, v10
	v_sub_u32_e32 v21, 29, v23
	v_cmp_gt_u32_e64 s[0:1], 8, v10
	v_and_b32_e32 v20, 7, v20
	s_nop 0
	v_cndmask_b32_e64 v10, v22, v21, s[0:1]
	v_lshl_add_u32 v10, v10, 10, v35
	v_lshlrev_b32_e32 v21, 8, v18
	v_and_b32_e32 v10, 0xfc00, v10
	v_cndmask_b32_e64 v17, v17, v20, s[0:1]
	v_and_or_b32 v10, v21, s29, v10
	v_lshl_or_b32 v17, v17, 7, v10
.LBB268_778:                            ;   in Loop: Header=BB268_424 Depth=1
	s_or_b64 exec, exec, s[22:23]
.LBB268_779:                            ;   in Loop: Header=BB268_424 Depth=1
	s_or_b64 exec, exec, s[14:15]
.LBB268_780:                            ;   in Loop: Header=BB268_424 Depth=1
	s_or_b64 exec, exec, s[12:13]
	v_lshrrev_b16_e32 v10, 8, v18
	v_cmp_ne_u16_e64 s[0:1], 0, v10
	s_and_saveexec_b64 s[12:13], s[0:1]
	s_cbranch_execz .LBB268_786
; %bb.781:                              ;   in Loop: Header=BB268_424 Depth=1
	v_cmp_ne_u16_e64 s[0:1], s24, v10
	v_bfrev_b32_e32 v1, 1
	s_and_saveexec_b64 s[14:15], s[0:1]
	s_cbranch_execz .LBB268_785
; %bb.782:                              ;   in Loop: Header=BB268_424 Depth=1
	v_and_b32_e32 v20, 0x7f, v10
	v_cmp_ne_u32_e64 s[0:1], s25, v20
	v_mov_b32_e32 v1, 0x7c010000
	s_and_saveexec_b64 s[22:23], s[0:1]
	s_cbranch_execz .LBB268_784
; %bb.783:                              ;   in Loop: Header=BB268_424 Depth=1
	v_and_b32_e32 v1, 7, v10
	v_ffbh_u32_e32 v22, v1
	v_min_u32_e32 v24, 32, v22
	v_subrev_u32_e32 v22, 28, v24
	v_lshlrev_b64 v[22:23], v22, v[10:11]
	v_lshrrev_b32_e32 v21, 3, v20
	v_sub_u32_e32 v23, 29, v24
	v_cmp_gt_u32_e64 s[0:1], 8, v20
	v_lshlrev_b32_e32 v10, 8, v10
	s_nop 0
	v_cndmask_b32_e64 v20, v21, v23, s[0:1]
	v_lshl_add_u32 v20, v20, 10, v35
	v_and_b32_e32 v21, 7, v22
	v_and_or_b32 v10, v10, s29, v20
	v_cndmask_b32_e64 v1, v1, v21, s[0:1]
	v_lshlrev_b32_e32 v10, 16, v10
	v_lshl_or_b32 v1, v1, 23, v10
.LBB268_784:                            ;   in Loop: Header=BB268_424 Depth=1
	s_or_b64 exec, exec, s[22:23]
.LBB268_785:                            ;   in Loop: Header=BB268_424 Depth=1
	s_or_b64 exec, exec, s[14:15]
.LBB268_786:                            ;   in Loop: Header=BB268_424 Depth=1
	s_or_b64 exec, exec, s[12:13]
	v_lshrrev_b32_e32 v10, 16, v18
	v_cmp_ne_u16_sdwa s[0:1], v10, v11 src0_sel:BYTE_0 src1_sel:DWORD
	v_mov_b32_e32 v21, 0
	v_mov_b32_e32 v20, 0
	s_and_saveexec_b64 s[12:13], s[0:1]
	s_cbranch_execz .LBB268_792
; %bb.787:                              ;   in Loop: Header=BB268_424 Depth=1
	v_cmp_ne_u16_sdwa s[0:1], v10, s24 src0_sel:BYTE_0 src1_sel:DWORD
	v_mov_b32_e32 v20, 0x8000
	s_and_saveexec_b64 s[14:15], s[0:1]
	s_cbranch_execz .LBB268_791
; %bb.788:                              ;   in Loop: Header=BB268_424 Depth=1
	v_bfe_u32 v22, v18, 16, 7
	v_cmp_ne_u32_e64 s[0:1], s25, v22
	v_mov_b32_e32 v20, 0x7c01
	s_and_saveexec_b64 s[22:23], s[0:1]
	s_cbranch_execz .LBB268_790
; %bb.789:                              ;   in Loop: Header=BB268_424 Depth=1
	v_and_b32_e32 v20, 7, v10
	v_ffbh_u32_e32 v24, v20
	v_min_u32_e32 v59, 32, v24
	v_subrev_u32_e32 v24, 28, v59
	v_lshlrev_b64 v[24:25], v24, v[10:11]
	v_lshrrev_b32_e32 v23, 3, v22
	v_sub_u32_e32 v25, 29, v59
	v_cmp_gt_u32_e64 s[0:1], 8, v22
	v_lshlrev_b32_e32 v10, 8, v10
	s_nop 0
	v_cndmask_b32_e64 v22, v23, v25, s[0:1]
	v_lshl_add_u32 v22, v22, 10, v35
	v_and_b32_e32 v23, 7, v24
	v_and_b32_e32 v22, 0xfc00, v22
	v_cndmask_b32_e64 v20, v20, v23, s[0:1]
	v_and_or_b32 v10, v10, s29, v22
	v_lshl_or_b32 v20, v20, 7, v10
.LBB268_790:                            ;   in Loop: Header=BB268_424 Depth=1
	s_or_b64 exec, exec, s[22:23]
.LBB268_791:                            ;   in Loop: Header=BB268_424 Depth=1
	s_or_b64 exec, exec, s[14:15]
.LBB268_792:                            ;   in Loop: Header=BB268_424 Depth=1
	s_or_b64 exec, exec, s[12:13]
	v_cmp_lt_u32_e64 s[0:1], s7, v18
	s_and_saveexec_b64 s[12:13], s[0:1]
	s_cbranch_execz .LBB268_798
; %bb.793:                              ;   in Loop: Header=BB268_424 Depth=1
	v_lshrrev_b32_e32 v10, 24, v18
	v_cmp_ne_u32_e64 s[0:1], s24, v10
	v_bfrev_b32_e32 v21, 1
	s_and_saveexec_b64 s[14:15], s[0:1]
	s_cbranch_execz .LBB268_797
; %bb.794:                              ;   in Loop: Header=BB268_424 Depth=1
	v_and_b32_e32 v22, 0x7f, v10
	v_cmp_ne_u32_e64 s[0:1], s25, v22
	v_mov_b32_e32 v21, 0x7c010000
	s_and_saveexec_b64 s[22:23], s[0:1]
	s_cbranch_execz .LBB268_796
; %bb.795:                              ;   in Loop: Header=BB268_424 Depth=1
	v_and_b32_e32 v21, 7, v10
	v_ffbh_u32_e32 v24, v21
	v_min_u32_e32 v59, 32, v24
	v_subrev_u32_e32 v24, 28, v59
	v_lshlrev_b64 v[24:25], v24, v[10:11]
	v_lshrrev_b32_e32 v23, 3, v22
	v_sub_u32_e32 v25, 29, v59
	v_cmp_gt_u32_e64 s[0:1], 8, v22
	v_lshlrev_b32_e32 v10, 8, v10
	s_nop 0
	v_cndmask_b32_e64 v22, v23, v25, s[0:1]
	v_lshl_add_u32 v22, v22, 10, v35
	v_and_b32_e32 v23, 7, v24
	v_and_or_b32 v10, v10, s29, v22
	v_cndmask_b32_e64 v21, v21, v23, s[0:1]
	v_lshlrev_b32_e32 v10, 16, v10
	v_lshl_or_b32 v21, v21, 23, v10
.LBB268_796:                            ;   in Loop: Header=BB268_424 Depth=1
	s_or_b64 exec, exec, s[22:23]
.LBB268_797:                            ;   in Loop: Header=BB268_424 Depth=1
	s_or_b64 exec, exec, s[14:15]
.LBB268_798:                            ;   in Loop: Header=BB268_424 Depth=1
	s_or_b64 exec, exec, s[12:13]
	v_mov_b32_e32 v10, v19
	v_cmp_ne_u16_sdwa s[0:1], v19, v11 src0_sel:BYTE_0 src1_sel:DWORD
	v_mov_b32_e32 v22, 0
	v_mov_b32_e32 v23, 0
	s_and_saveexec_b64 s[12:13], s[0:1]
	s_cbranch_execz .LBB268_804
; %bb.799:                              ;   in Loop: Header=BB268_424 Depth=1
	v_cmp_ne_u16_sdwa s[0:1], v19, s24 src0_sel:BYTE_0 src1_sel:DWORD
	v_mov_b32_e32 v23, 0x8000
	s_and_saveexec_b64 s[14:15], s[0:1]
	s_cbranch_execz .LBB268_803
; %bb.800:                              ;   in Loop: Header=BB268_424 Depth=1
	v_and_b32_e32 v24, 0x7f, v19
	v_cmp_ne_u32_e64 s[0:1], s25, v24
	v_mov_b32_e32 v23, 0x7c01
	s_and_saveexec_b64 s[22:23], s[0:1]
	s_cbranch_execz .LBB268_802
; %bb.801:                              ;   in Loop: Header=BB268_424 Depth=1
	v_and_b32_e32 v23, 7, v19
	v_ffbh_u32_e32 v59, v23
	v_min_u32_e32 v59, 32, v59
	v_lshrrev_b32_e32 v25, 3, v24
	v_subrev_u32_e32 v60, 28, v59
	v_sub_u32_e32 v59, 29, v59
	v_cmp_gt_u32_e64 s[0:1], 8, v24
	v_lshlrev_b64 v[60:61], v60, v[10:11]
	s_nop 0
	v_cndmask_b32_e64 v24, v25, v59, s[0:1]
	v_lshl_add_u32 v24, v24, 10, v35
	v_lshlrev_b32_e32 v25, 8, v19
	v_and_b32_e32 v59, 7, v60
	v_and_b32_e32 v24, 0xfc00, v24
	v_cndmask_b32_e64 v23, v23, v59, s[0:1]
	v_and_or_b32 v24, v25, s29, v24
	v_lshl_or_b32 v23, v23, 7, v24
.LBB268_802:                            ;   in Loop: Header=BB268_424 Depth=1
	s_or_b64 exec, exec, s[22:23]
.LBB268_803:                            ;   in Loop: Header=BB268_424 Depth=1
	s_or_b64 exec, exec, s[14:15]
.LBB268_804:                            ;   in Loop: Header=BB268_424 Depth=1
	s_or_b64 exec, exec, s[12:13]
	v_lshrrev_b16_e32 v10, 8, v10
	v_cmp_ne_u16_e64 s[0:1], 0, v10
	v_mov_b32_e32 v24, 0
	s_and_saveexec_b64 s[12:13], s[0:1]
	s_cbranch_execz .LBB268_810
; %bb.805:                              ;   in Loop: Header=BB268_424 Depth=1
	v_cmp_ne_u16_e64 s[0:1], s24, v10
	v_bfrev_b32_e32 v24, 1
	s_and_saveexec_b64 s[14:15], s[0:1]
	s_cbranch_execz .LBB268_809
; %bb.806:                              ;   in Loop: Header=BB268_424 Depth=1
	v_and_b32_e32 v25, 0x7f, v10
	v_cmp_ne_u32_e64 s[0:1], s25, v25
	v_mov_b32_e32 v24, 0x7c010000
	s_and_saveexec_b64 s[22:23], s[0:1]
	s_cbranch_execz .LBB268_808
; %bb.807:                              ;   in Loop: Header=BB268_424 Depth=1
	v_and_b32_e32 v24, 7, v10
	v_ffbh_u32_e32 v60, v24
	v_min_u32_e32 v62, 32, v60
	v_subrev_u32_e32 v60, 28, v62
	v_lshlrev_b64 v[60:61], v60, v[10:11]
	v_lshrrev_b32_e32 v59, 3, v25
	v_sub_u32_e32 v61, 29, v62
	v_cmp_gt_u32_e64 s[0:1], 8, v25
	v_lshlrev_b32_e32 v10, 8, v10
	s_nop 0
	v_cndmask_b32_e64 v25, v59, v61, s[0:1]
	v_lshl_add_u32 v25, v25, 10, v35
	v_and_b32_e32 v59, 7, v60
	v_and_or_b32 v10, v10, s29, v25
	v_cndmask_b32_e64 v24, v24, v59, s[0:1]
	v_lshlrev_b32_e32 v10, 16, v10
	v_lshl_or_b32 v24, v24, 23, v10
.LBB268_808:                            ;   in Loop: Header=BB268_424 Depth=1
	s_or_b64 exec, exec, s[22:23]
.LBB268_809:                            ;   in Loop: Header=BB268_424 Depth=1
	s_or_b64 exec, exec, s[14:15]
.LBB268_810:                            ;   in Loop: Header=BB268_424 Depth=1
	s_or_b64 exec, exec, s[12:13]
	v_lshrrev_b32_e32 v10, 16, v19
	v_cmp_ne_u16_sdwa s[0:1], v10, v11 src0_sel:BYTE_0 src1_sel:DWORD
	s_and_saveexec_b64 s[12:13], s[0:1]
	s_cbranch_execz .LBB268_816
; %bb.811:                              ;   in Loop: Header=BB268_424 Depth=1
	v_cmp_ne_u16_sdwa s[0:1], v10, s24 src0_sel:BYTE_0 src1_sel:DWORD
	v_mov_b32_e32 v22, 0x8000
	s_and_saveexec_b64 s[14:15], s[0:1]
	s_cbranch_execz .LBB268_815
; %bb.812:                              ;   in Loop: Header=BB268_424 Depth=1
	v_bfe_u32 v25, v19, 16, 7
	v_cmp_ne_u32_e64 s[0:1], s25, v25
	v_mov_b32_e32 v22, 0x7c01
	s_and_saveexec_b64 s[22:23], s[0:1]
	s_cbranch_execz .LBB268_814
; %bb.813:                              ;   in Loop: Header=BB268_424 Depth=1
	v_and_b32_e32 v22, 7, v10
	v_ffbh_u32_e32 v60, v22
	v_min_u32_e32 v62, 32, v60
	v_subrev_u32_e32 v60, 28, v62
	v_lshlrev_b64 v[60:61], v60, v[10:11]
	v_lshrrev_b32_e32 v59, 3, v25
	v_sub_u32_e32 v61, 29, v62
	v_cmp_gt_u32_e64 s[0:1], 8, v25
	v_lshlrev_b32_e32 v10, 8, v10
	s_nop 0
	v_cndmask_b32_e64 v25, v59, v61, s[0:1]
	v_lshl_add_u32 v25, v25, 10, v35
	v_and_b32_e32 v59, 7, v60
	v_and_b32_e32 v25, 0xfc00, v25
	v_cndmask_b32_e64 v22, v22, v59, s[0:1]
	v_and_or_b32 v10, v10, s29, v25
	v_lshl_or_b32 v22, v22, 7, v10
.LBB268_814:                            ;   in Loop: Header=BB268_424 Depth=1
	s_or_b64 exec, exec, s[22:23]
.LBB268_815:                            ;   in Loop: Header=BB268_424 Depth=1
	s_or_b64 exec, exec, s[14:15]
.LBB268_816:                            ;   in Loop: Header=BB268_424 Depth=1
	s_or_b64 exec, exec, s[12:13]
	v_cmp_lt_u64_e64 s[0:1], s[6:7], v[18:19]
	v_mov_b32_e32 v25, 0
	s_and_saveexec_b64 s[12:13], s[0:1]
	s_cbranch_execz .LBB268_822
; %bb.817:                              ;   in Loop: Header=BB268_424 Depth=1
	v_lshrrev_b32_e32 v10, 24, v19
	v_cmp_ne_u32_e64 s[0:1], s24, v10
	v_bfrev_b32_e32 v25, 1
	s_and_saveexec_b64 s[14:15], s[0:1]
	s_cbranch_execz .LBB268_821
; %bb.818:                              ;   in Loop: Header=BB268_424 Depth=1
	v_and_b32_e32 v18, 0x7f, v10
	v_cmp_ne_u32_e64 s[0:1], s25, v18
	v_mov_b32_e32 v25, 0x7c010000
	s_and_saveexec_b64 s[22:23], s[0:1]
	s_cbranch_execz .LBB268_820
; %bb.819:                              ;   in Loop: Header=BB268_424 Depth=1
	v_and_b32_e32 v19, 7, v10
	v_ffbh_u32_e32 v59, v19
	v_min_u32_e32 v59, 32, v59
	v_lshrrev_b32_e32 v25, 3, v18
	v_subrev_u32_e32 v60, 28, v59
	v_sub_u32_e32 v59, 29, v59
	v_cmp_gt_u32_e64 s[0:1], 8, v18
	v_lshlrev_b64 v[60:61], v60, v[10:11]
	v_lshlrev_b32_e32 v10, 8, v10
	v_cndmask_b32_e64 v18, v25, v59, s[0:1]
	v_lshl_add_u32 v18, v18, 10, v35
	v_and_b32_e32 v25, 7, v60
	v_and_or_b32 v10, v10, s29, v18
	v_cndmask_b32_e64 v19, v19, v25, s[0:1]
	v_lshlrev_b32_e32 v10, 16, v10
	v_lshl_or_b32 v25, v19, 23, v10
.LBB268_820:                            ;   in Loop: Header=BB268_424 Depth=1
	s_or_b64 exec, exec, s[22:23]
.LBB268_821:                            ;   in Loop: Header=BB268_424 Depth=1
	s_or_b64 exec, exec, s[14:15]
.LBB268_822:                            ;   in Loop: Header=BB268_424 Depth=1
	s_or_b64 exec, exec, s[12:13]
	v_cvt_f32_f16_sdwa v19, v1 dst_sel:DWORD dst_unused:UNUSED_PAD src0_sel:WORD_1
	v_cvt_f32_f16_sdwa v18, v21 dst_sel:DWORD dst_unused:UNUSED_PAD src0_sel:WORD_1
	v_or_b32_e32 v1, v1, v17
	v_or_b32_e32 v10, v21, v20
	v_cvt_f32_f16_e32 v20, v10
	v_cvt_f32_f16_e32 v21, v1
	s_waitcnt vmcnt(0)
	v_pk_mul_f32 v[18:19], v[16:17], v[18:19] op_sel_hi:[0,1]
	v_cvt_pk_f16_f32 v1, v18, v19
	v_and_b32_e32 v17, 0xffff0000, v1
	v_pk_mul_f32 v[20:21], v[16:17], v[20:21] op_sel_hi:[0,1]
	v_lshlrev_b32_e32 v18, 16, v1
	v_cvt_pk_f16_f32 v1, v20, v21
	v_or_b32_e32 v10, v24, v23
	v_or_b32_e32 v21, v25, v22
	v_cvt_f32_f16_e32 v22, v21
	v_cvt_f32_f16_e32 v23, v10
	v_cvt_f32_f16_sdwa v61, v24 dst_sel:DWORD dst_unused:UNUSED_PAD src0_sel:WORD_1
	v_cvt_f32_f16_sdwa v60, v25 dst_sel:DWORD dst_unused:UNUSED_PAD src0_sel:WORD_1
	v_lshrrev_b32_e32 v19, 16, v1
	v_pk_mul_f32 v[22:23], v[16:17], v[22:23] op_sel_hi:[0,1]
	v_cvt_pk_f16_f32 v21, v22, v23
	v_pk_mul_f32 v[22:23], v[16:17], v[60:61] op_sel_hi:[0,1]
	v_cvt_pk_f16_f32 v16, v22, v23
	v_and_b32_e32 v20, 0xffff, v1
	v_and_b32_e32 v23, 0xffff0000, v16
	v_lshlrev_b32_e32 v22, 16, v16
	v_lshrrev_b32_e32 v25, 16, v21
	v_and_b32_e32 v24, 0xffff, v21
	v_or_b32_e32 v1, v17, v19
	v_or_b32_e32 v10, v18, v20
	;; [unrolled: 1-line block ×4, first 2 shown]
	s_and_saveexec_b64 s[0:1], vcc
	s_cbranch_execz .LBB268_423
; %bb.823:                              ;   in Loop: Header=BB268_424 Depth=1
	v_cmp_gt_i32_e32 vcc, s27, v33
	s_nop 1
	v_cndmask_b32_e32 v1, 0, v19, vcc
	v_cmp_gt_i32_e32 vcc, s33, v43
	s_nop 1
	v_cndmask_b32_e32 v10, 0, v20, vcc
	;; [unrolled: 3-line block ×3, first 2 shown]
	v_cmp_gt_i32_e32 vcc, s33, v40
	v_or_b32_e32 v1, v16, v1
	s_nop 0
	v_cndmask_b32_e32 v17, 0, v18, vcc
	v_cmp_gt_i32_e32 vcc, s27, v39
	v_or_b32_e32 v10, v17, v10
	s_nop 0
	v_cndmask_b32_e32 v16, 0, v25, vcc
	v_cmp_gt_i32_e32 vcc, s33, v38
	s_nop 1
	v_cndmask_b32_e32 v17, 0, v24, vcc
	v_cmp_gt_i32_e32 vcc, s27, v37
	;; [unrolled: 3-line block ×3, first 2 shown]
	v_or_b32_e32 v21, v18, v16
	s_nop 0
	v_cndmask_b32_e32 v19, 0, v22, vcc
	v_or_b32_e32 v16, v19, v17
	s_branch .LBB268_423
.LBB268_824:
	s_or_b64 exec, exec, s[8:9]
.LBB268_825:
	s_or_b64 exec, exec, s[2:3]
	ds_bpermute_b32 v10, v30, v8
	ds_bpermute_b32 v11, v30, v9
	;; [unrolled: 1-line block ×6, first 2 shown]
	s_waitcnt lgkmcnt(4)
	v_pk_add_f32 v[8:9], v[8:9], v[10:11]
	ds_bpermute_b32 v16, v30, v2
	ds_bpermute_b32 v17, v30, v3
	;; [unrolled: 1-line block ×4, first 2 shown]
	s_waitcnt lgkmcnt(6)
	v_pk_add_f32 v[6:7], v[6:7], v[12:13]
	s_waitcnt lgkmcnt(4)
	v_pk_add_f32 v[4:5], v[4:5], v[14:15]
	ds_bpermute_b32 v12, v31, v6
	ds_bpermute_b32 v13, v31, v7
	;; [unrolled: 1-line block ×4, first 2 shown]
	s_waitcnt lgkmcnt(6)
	v_pk_add_f32 v[2:3], v[2:3], v[16:17]
	s_waitcnt lgkmcnt(4)
	v_pk_add_f32 v[8:9], v[8:9], v[10:11]
	ds_bpermute_b32 v10, v31, v2
	ds_bpermute_b32 v11, v31, v3
	v_and_b32_e32 v1, 0x3c3, v0
	s_waitcnt lgkmcnt(4)
	v_pk_add_f32 v[6:7], v[6:7], v[12:13]
	s_waitcnt lgkmcnt(2)
	v_pk_add_f32 v[4:5], v[4:5], v[14:15]
	v_cmp_ne_u32_e32 vcc, 64, v1
	s_waitcnt lgkmcnt(0)
	s_barrier
	s_and_saveexec_b64 s[0:1], vcc
	s_xor_b64 s[0:1], exec, s[0:1]
; %bb.826:
                                        ; implicit-def: $vgpr29
; %bb.827:
	s_or_saveexec_b64 s[0:1], s[0:1]
	v_pk_add_f32 v[2:3], v[2:3], v[10:11]
	s_xor_b64 exec, exec, s[0:1]
	s_cbranch_execz .LBB268_829
; %bb.828:
	v_add_u32_e32 v10, 0x110, v29
	ds_write2_b32 v10, v8, v9 offset1:16
	ds_write2_b32 v10, v6, v7 offset0:32 offset1:48
	ds_write2_b32 v10, v4, v5 offset0:64 offset1:80
	;; [unrolled: 1-line block ×3, first 2 shown]
.LBB268_829:
	s_or_b64 exec, exec, s[0:1]
	v_cmp_gt_u32_e32 vcc, 64, v0
	v_lshrrev_b32_e32 v0, 2, v0
	s_waitcnt lgkmcnt(0)
	s_barrier
	s_and_saveexec_b64 s[0:1], vcc
	s_cbranch_execz .LBB268_840
; %bb.830:
	v_mov_b32_e32 v10, 0x110
	v_cmp_eq_u32_e32 vcc, 0, v32
	v_lshl_add_u32 v10, v0, 2, v10
	s_and_saveexec_b64 s[2:3], vcc
	s_cbranch_execnz .LBB268_843
; %bb.831:
	s_or_b64 exec, exec, s[2:3]
	s_and_saveexec_b64 s[2:3], vcc
	s_cbranch_execnz .LBB268_844
.LBB268_832:
	s_or_b64 exec, exec, s[2:3]
	s_and_saveexec_b64 s[2:3], vcc
	s_cbranch_execnz .LBB268_845
.LBB268_833:
	s_or_b64 exec, exec, s[2:3]
	s_and_saveexec_b64 s[2:3], vcc
	s_cbranch_execnz .LBB268_846
.LBB268_834:
	s_or_b64 exec, exec, s[2:3]
	s_and_saveexec_b64 s[2:3], vcc
	s_cbranch_execnz .LBB268_847
.LBB268_835:
	s_or_b64 exec, exec, s[2:3]
	s_and_saveexec_b64 s[2:3], vcc
	s_cbranch_execnz .LBB268_848
.LBB268_836:
	s_or_b64 exec, exec, s[2:3]
	s_and_saveexec_b64 s[2:3], vcc
	s_cbranch_execnz .LBB268_849
.LBB268_837:
	s_or_b64 exec, exec, s[2:3]
	s_and_saveexec_b64 s[2:3], vcc
	s_cbranch_execz .LBB268_839
.LBB268_838:
	ds_read_b32 v10, v10 offset:448
	s_waitcnt lgkmcnt(0)
	v_add_f32_e32 v3, v3, v10
.LBB268_839:
	s_or_b64 exec, exec, s[2:3]
.LBB268_840:
	s_or_b64 exec, exec, s[0:1]
	v_cmp_eq_u32_e32 vcc, 0, v1
	s_barrier
	s_and_saveexec_b64 s[0:1], vcc
	s_cbranch_execz .LBB268_842
; %bb.841:
	s_mul_i32 s0, s16, s17
	s_mul_i32 s0, s0, s5
	s_lshl_b32 s0, s0, 7
	s_ashr_i32 s1, s0, 31
	s_lshl_b64 s[0:1], s[0:1], 1
	s_add_u32 s2, s20, s0
	s_mul_i32 s0, s17, s18
	s_addc_u32 s3, s21, s1
	s_ashr_i32 s1, s0, 31
	s_lshl_b64 s[0:1], s[0:1], 1
	s_add_u32 s2, s2, s0
	s_addc_u32 s3, s3, s1
	s_lshl_b32 s0, s4, 7
	s_ashr_i32 s1, s0, 31
	s_lshl_b64 s[0:1], s[0:1], 1
	s_add_u32 s0, s2, s0
	s_addc_u32 s1, s3, s1
	v_lshlrev_b32_e32 v0, 1, v0
	;;#ASMSTART
	v_cvt_f16_f32 v1, v8;

	;;#ASMEND
	global_store_short v0, v1, s[0:1]
	;;#ASMSTART
	v_cvt_f16_f32 v1, v9;

	;;#ASMEND
	global_store_short v0, v1, s[0:1] offset:32
	;;#ASMSTART
	v_cvt_f16_f32 v1, v6;

	;;#ASMEND
	global_store_short v0, v1, s[0:1] offset:64
	;; [unrolled: 5-line block ×7, first 2 shown]
.LBB268_842:
	s_endpgm
.LBB268_843:
	ds_read_b32 v11, v10
	s_waitcnt lgkmcnt(0)
	v_add_f32_e32 v8, v8, v11
	s_or_b64 exec, exec, s[2:3]
	s_and_saveexec_b64 s[2:3], vcc
	s_cbranch_execz .LBB268_832
.LBB268_844:
	ds_read_b32 v11, v10 offset:64
	s_waitcnt lgkmcnt(0)
	v_add_f32_e32 v9, v9, v11
	s_or_b64 exec, exec, s[2:3]
	s_and_saveexec_b64 s[2:3], vcc
	s_cbranch_execz .LBB268_833
.LBB268_845:
	ds_read_b32 v11, v10 offset:128
	s_waitcnt lgkmcnt(0)
	v_add_f32_e32 v6, v6, v11
	s_or_b64 exec, exec, s[2:3]
	s_and_saveexec_b64 s[2:3], vcc
	s_cbranch_execz .LBB268_834
.LBB268_846:
	ds_read_b32 v11, v10 offset:192
	s_waitcnt lgkmcnt(0)
	v_add_f32_e32 v7, v7, v11
	s_or_b64 exec, exec, s[2:3]
	s_and_saveexec_b64 s[2:3], vcc
	s_cbranch_execz .LBB268_835
.LBB268_847:
	ds_read_b32 v11, v10 offset:256
	s_waitcnt lgkmcnt(0)
	v_add_f32_e32 v4, v4, v11
	s_or_b64 exec, exec, s[2:3]
	s_and_saveexec_b64 s[2:3], vcc
	s_cbranch_execz .LBB268_836
.LBB268_848:
	ds_read_b32 v11, v10 offset:320
	s_waitcnt lgkmcnt(0)
	v_add_f32_e32 v5, v5, v11
	s_or_b64 exec, exec, s[2:3]
	s_and_saveexec_b64 s[2:3], vcc
	s_cbranch_execz .LBB268_837
.LBB268_849:
	ds_read_b32 v11, v10 offset:384
	s_waitcnt lgkmcnt(0)
	v_add_f32_e32 v2, v2, v11
	s_or_b64 exec, exec, s[2:3]
	s_and_saveexec_b64 s[2:3], vcc
	s_cbranch_execnz .LBB268_838
	s_branch .LBB268_839
	.section	.rodata,"a",@progbits
	.p2align	6, 0x0
	.amdhsa_kernel _ZN4vllm25paged_attention_v1_kernelIthLi128ELi32ELi128ELNS_18Fp8KVCacheDataTypeE1ELb0EEEvPT_PKS2_PKT0_S8_ifPKiSA_iPKfiiiSC_SC_iiiii
		.amdhsa_group_segment_fixed_size 272
		.amdhsa_private_segment_fixed_size 0
		.amdhsa_kernarg_size 384
		.amdhsa_user_sgpr_count 2
		.amdhsa_user_sgpr_dispatch_ptr 0
		.amdhsa_user_sgpr_queue_ptr 0
		.amdhsa_user_sgpr_kernarg_segment_ptr 1
		.amdhsa_user_sgpr_dispatch_id 0
		.amdhsa_user_sgpr_kernarg_preload_length 0
		.amdhsa_user_sgpr_kernarg_preload_offset 0
		.amdhsa_user_sgpr_private_segment_size 0
		.amdhsa_uses_dynamic_stack 0
		.amdhsa_enable_private_segment 0
		.amdhsa_system_sgpr_workgroup_id_x 1
		.amdhsa_system_sgpr_workgroup_id_y 1
		.amdhsa_system_sgpr_workgroup_id_z 1
		.amdhsa_system_sgpr_workgroup_info 0
		.amdhsa_system_vgpr_workitem_id 0
		.amdhsa_next_free_vgpr 92
		.amdhsa_next_free_sgpr 46
		.amdhsa_accum_offset 92
		.amdhsa_reserve_vcc 1
		.amdhsa_float_round_mode_32 0
		.amdhsa_float_round_mode_16_64 0
		.amdhsa_float_denorm_mode_32 3
		.amdhsa_float_denorm_mode_16_64 3
		.amdhsa_dx10_clamp 1
		.amdhsa_ieee_mode 1
		.amdhsa_fp16_overflow 0
		.amdhsa_tg_split 0
		.amdhsa_exception_fp_ieee_invalid_op 0
		.amdhsa_exception_fp_denorm_src 0
		.amdhsa_exception_fp_ieee_div_zero 0
		.amdhsa_exception_fp_ieee_overflow 0
		.amdhsa_exception_fp_ieee_underflow 0
		.amdhsa_exception_fp_ieee_inexact 0
		.amdhsa_exception_int_div_zero 0
	.end_amdhsa_kernel
	.section	.text._ZN4vllm25paged_attention_v1_kernelIthLi128ELi32ELi128ELNS_18Fp8KVCacheDataTypeE1ELb0EEEvPT_PKS2_PKT0_S8_ifPKiSA_iPKfiiiSC_SC_iiiii,"axG",@progbits,_ZN4vllm25paged_attention_v1_kernelIthLi128ELi32ELi128ELNS_18Fp8KVCacheDataTypeE1ELb0EEEvPT_PKS2_PKT0_S8_ifPKiSA_iPKfiiiSC_SC_iiiii,comdat
.Lfunc_end268:
	.size	_ZN4vllm25paged_attention_v1_kernelIthLi128ELi32ELi128ELNS_18Fp8KVCacheDataTypeE1ELb0EEEvPT_PKS2_PKT0_S8_ifPKiSA_iPKfiiiSC_SC_iiiii, .Lfunc_end268-_ZN4vllm25paged_attention_v1_kernelIthLi128ELi32ELi128ELNS_18Fp8KVCacheDataTypeE1ELb0EEEvPT_PKS2_PKT0_S8_ifPKiSA_iPKfiiiSC_SC_iiiii
                                        ; -- End function
	.set _ZN4vllm25paged_attention_v1_kernelIthLi128ELi32ELi128ELNS_18Fp8KVCacheDataTypeE1ELb0EEEvPT_PKS2_PKT0_S8_ifPKiSA_iPKfiiiSC_SC_iiiii.num_vgpr, 92
	.set _ZN4vllm25paged_attention_v1_kernelIthLi128ELi32ELi128ELNS_18Fp8KVCacheDataTypeE1ELb0EEEvPT_PKS2_PKT0_S8_ifPKiSA_iPKfiiiSC_SC_iiiii.num_agpr, 0
	.set _ZN4vllm25paged_attention_v1_kernelIthLi128ELi32ELi128ELNS_18Fp8KVCacheDataTypeE1ELb0EEEvPT_PKS2_PKT0_S8_ifPKiSA_iPKfiiiSC_SC_iiiii.numbered_sgpr, 46
	.set _ZN4vllm25paged_attention_v1_kernelIthLi128ELi32ELi128ELNS_18Fp8KVCacheDataTypeE1ELb0EEEvPT_PKS2_PKT0_S8_ifPKiSA_iPKfiiiSC_SC_iiiii.num_named_barrier, 0
	.set _ZN4vllm25paged_attention_v1_kernelIthLi128ELi32ELi128ELNS_18Fp8KVCacheDataTypeE1ELb0EEEvPT_PKS2_PKT0_S8_ifPKiSA_iPKfiiiSC_SC_iiiii.private_seg_size, 0
	.set _ZN4vllm25paged_attention_v1_kernelIthLi128ELi32ELi128ELNS_18Fp8KVCacheDataTypeE1ELb0EEEvPT_PKS2_PKT0_S8_ifPKiSA_iPKfiiiSC_SC_iiiii.uses_vcc, 1
	.set _ZN4vllm25paged_attention_v1_kernelIthLi128ELi32ELi128ELNS_18Fp8KVCacheDataTypeE1ELb0EEEvPT_PKS2_PKT0_S8_ifPKiSA_iPKfiiiSC_SC_iiiii.uses_flat_scratch, 0
	.set _ZN4vllm25paged_attention_v1_kernelIthLi128ELi32ELi128ELNS_18Fp8KVCacheDataTypeE1ELb0EEEvPT_PKS2_PKT0_S8_ifPKiSA_iPKfiiiSC_SC_iiiii.has_dyn_sized_stack, 0
	.set _ZN4vllm25paged_attention_v1_kernelIthLi128ELi32ELi128ELNS_18Fp8KVCacheDataTypeE1ELb0EEEvPT_PKS2_PKT0_S8_ifPKiSA_iPKfiiiSC_SC_iiiii.has_recursion, 0
	.set _ZN4vllm25paged_attention_v1_kernelIthLi128ELi32ELi128ELNS_18Fp8KVCacheDataTypeE1ELb0EEEvPT_PKS2_PKT0_S8_ifPKiSA_iPKfiiiSC_SC_iiiii.has_indirect_call, 0
	.section	.AMDGPU.csdata,"",@progbits
; Kernel info:
; codeLenInByte = 36360
; TotalNumSgprs: 52
; NumVgprs: 92
; NumAgprs: 0
; TotalNumVgprs: 92
; ScratchSize: 0
; MemoryBound: 0
; FloatMode: 240
; IeeeMode: 1
; LDSByteSize: 272 bytes/workgroup (compile time only)
; SGPRBlocks: 6
; VGPRBlocks: 11
; NumSGPRsForWavesPerEU: 52
; NumVGPRsForWavesPerEU: 92
; AccumOffset: 92
; Occupancy: 5
; WaveLimiterHint : 1
; COMPUTE_PGM_RSRC2:SCRATCH_EN: 0
; COMPUTE_PGM_RSRC2:USER_SGPR: 2
; COMPUTE_PGM_RSRC2:TRAP_HANDLER: 0
; COMPUTE_PGM_RSRC2:TGID_X_EN: 1
; COMPUTE_PGM_RSRC2:TGID_Y_EN: 1
; COMPUTE_PGM_RSRC2:TGID_Z_EN: 1
; COMPUTE_PGM_RSRC2:TIDIG_COMP_CNT: 0
; COMPUTE_PGM_RSRC3_GFX90A:ACCUM_OFFSET: 22
; COMPUTE_PGM_RSRC3_GFX90A:TG_SPLIT: 0
	.section	.text._ZN4vllm25paged_attention_v1_kernelIthLi192ELi32ELi128ELNS_18Fp8KVCacheDataTypeE1ELb0EEEvPT_PKS2_PKT0_S8_ifPKiSA_iPKfiiiSC_SC_iiiii,"axG",@progbits,_ZN4vllm25paged_attention_v1_kernelIthLi192ELi32ELi128ELNS_18Fp8KVCacheDataTypeE1ELb0EEEvPT_PKS2_PKT0_S8_ifPKiSA_iPKfiiiSC_SC_iiiii,comdat
	.protected	_ZN4vllm25paged_attention_v1_kernelIthLi192ELi32ELi128ELNS_18Fp8KVCacheDataTypeE1ELb0EEEvPT_PKS2_PKT0_S8_ifPKiSA_iPKfiiiSC_SC_iiiii ; -- Begin function _ZN4vllm25paged_attention_v1_kernelIthLi192ELi32ELi128ELNS_18Fp8KVCacheDataTypeE1ELb0EEEvPT_PKS2_PKT0_S8_ifPKiSA_iPKfiiiSC_SC_iiiii
	.globl	_ZN4vllm25paged_attention_v1_kernelIthLi192ELi32ELi128ELNS_18Fp8KVCacheDataTypeE1ELb0EEEvPT_PKS2_PKT0_S8_ifPKiSA_iPKfiiiSC_SC_iiiii
	.p2align	8
	.type	_ZN4vllm25paged_attention_v1_kernelIthLi192ELi32ELi128ELNS_18Fp8KVCacheDataTypeE1ELb0EEEvPT_PKS2_PKT0_S8_ifPKiSA_iPKfiiiSC_SC_iiiii,@function
_ZN4vllm25paged_attention_v1_kernelIthLi192ELi32ELi128ELNS_18Fp8KVCacheDataTypeE1ELb0EEEvPT_PKS2_PKT0_S8_ifPKiSA_iPKfiiiSC_SC_iiiii: ; @_ZN4vllm25paged_attention_v1_kernelIthLi192ELi32ELi128ELNS_18Fp8KVCacheDataTypeE1ELb0EEEvPT_PKS2_PKT0_S8_ifPKiSA_iPKfiiiSC_SC_iiiii
; %bb.0:
	s_load_dword s5, s[0:1], 0x80
	s_load_dwordx2 s[6:7], s[0:1], 0x30
	s_load_dwordx2 s[28:29], s[0:1], 0x20
	s_mov_b32 s16, s3
	s_ashr_i32 s17, s3, 31
	s_lshl_b64 s[8:9], s[16:17], 2
	s_waitcnt lgkmcnt(0)
	s_add_u32 s6, s6, s8
	s_addc_u32 s7, s7, s9
	s_abs_i32 s3, s28
	v_cvt_f32_u32_e32 v1, s3
	s_sub_i32 s10, 0, s3
	s_abs_i32 s9, s5
	s_xor_b32 s8, s5, s28
	v_rcp_iflag_f32_e32 v1, v1
	s_ashr_i32 s8, s8, 31
	s_mov_b32 s28, 0
	v_mul_f32_e32 v1, 0x4f7ffffe, v1
	v_cvt_u32_f32_e32 v1, v1
	s_nop 0
	v_readfirstlane_b32 s11, v1
	s_mul_i32 s10, s10, s11
	s_mul_hi_u32 s10, s11, s10
	s_add_i32 s11, s11, s10
	s_mul_hi_u32 s10, s9, s11
	s_mul_i32 s11, s10, s3
	s_sub_i32 s9, s9, s11
	s_add_i32 s11, s10, 1
	s_sub_i32 s12, s9, s3
	s_cmp_ge_u32 s9, s3
	s_cselect_b32 s10, s11, s10
	s_cselect_b32 s9, s12, s9
	s_add_i32 s11, s10, 1
	s_cmp_ge_u32 s9, s3
	s_cselect_b32 s3, s11, s10
	s_xor_b32 s3, s3, s8
	s_sub_i32 s12, s3, s8
	s_abs_i32 s10, s12
	v_cvt_f32_u32_e32 v1, s10
	s_load_dwordx2 s[8:9], s[0:1], 0x40
	s_sub_i32 s3, 0, s10
	s_abs_i32 s11, s2
	v_rcp_iflag_f32_e32 v1, v1
	s_nop 0
	v_mul_f32_e32 v1, 0x4f7ffffe, v1
	v_cvt_u32_f32_e32 v1, v1
	s_nop 0
	v_readfirstlane_b32 s13, v1
	s_mul_i32 s3, s3, s13
	s_mul_hi_u32 s3, s13, s3
	s_add_i32 s13, s13, s3
	s_waitcnt lgkmcnt(0)
	s_cmp_eq_u64 s[8:9], 0
	s_mul_hi_u32 s17, s11, s13
	s_cbranch_scc1 .LBB269_2
; %bb.1:
	s_ashr_i32 s3, s2, 31
	s_lshl_b64 s[14:15], s[2:3], 2
	s_add_u32 s8, s8, s14
	s_addc_u32 s9, s9, s15
	s_load_dword s28, s[8:9], 0x0
.LBB269_2:
	s_load_dword s33, s[6:7], 0x0
	s_ashr_i32 s7, s12, 31
	s_load_dwordx4 s[12:15], s[0:1], 0x48
	s_ashr_i32 s6, s2, 31
	v_and_b32_e32 v7, 1, v0
	s_movk_i32 s8, 0xc0
	s_mul_i32 s18, s2, 0xc0
	v_cmp_gt_u32_e32 vcc, 48, v0
	v_lshlrev_b32_e32 v1, 3, v0
	s_and_saveexec_b64 s[2:3], vcc
	s_cbranch_execz .LBB269_4
; %bb.3:
	s_load_dwordx2 s[20:21], s[0:1], 0x8
	s_waitcnt lgkmcnt(0)
	s_mul_i32 s22, s12, s16
	s_ashr_i32 s23, s22, 31
	s_lshl_b64 s[22:23], s[22:23], 1
	v_lshlrev_b32_e32 v4, 2, v0
	s_add_u32 s9, s20, s22
	s_addc_u32 s12, s21, s23
	s_ashr_i32 s19, s18, 31
	s_lshl_b64 s[20:21], s[18:19], 1
	s_add_u32 s20, s9, s20
	s_addc_u32 s21, s12, s21
	global_load_dwordx2 v[2:3], v1, s[20:21]
	v_and_b32_e32 v4, 0xff8, v4
	v_mad_u32_u24 v4, v7, s8, v4
	s_waitcnt vmcnt(0)
	ds_write_b64 v4, v[2:3]
.LBB269_4:
	s_or_b64 exec, exec, s[2:3]
	s_waitcnt lgkmcnt(0)
	s_add_i32 s3, s33, 31
	s_ashr_i32 s8, s3, 31
	s_lshr_b32 s8, s8, 27
	s_add_i32 s3, s3, s8
	s_ashr_i32 s19, s3, 5
	s_xor_b32 s3, s6, s7
	s_mul_i32 s6, s17, s10
	s_sub_i32 s6, s11, s6
	s_add_i32 s7, s17, 1
	s_sub_i32 s8, s6, s10
	s_load_dwordx2 s[22:23], s[0:1], 0x28
	s_load_dword s2, s[0:1], 0x38
	s_cmp_ge_u32 s6, s10
	s_cselect_b32 s7, s7, s17
	s_cselect_b32 s6, s8, s6
	s_add_i32 s8, s7, 1
	s_cmp_ge_u32 s6, s10
	s_cselect_b32 s6, s8, s7
	v_lshrrev_b32_e32 v32, 6, v0
	s_xor_b32 s6, s6, s3
	s_waitcnt lgkmcnt(0)
	s_mul_i32 s24, s2, s16
	s_sub_i32 s12, s6, s3
	s_ashr_i32 s25, s24, 31
	v_cmp_gt_i32_e64 s[6:7], s19, v32
	v_cmp_le_i32_e32 vcc, s19, v32
	v_mbcnt_lo_u32_b32 v13, -1, 0
	s_barrier
                                        ; implicit-def: $vgpr17
                                        ; implicit-def: $vgpr2
                                        ; implicit-def: $vgpr12
	s_and_saveexec_b64 s[2:3], vcc
	s_xor_b64 s[2:3], exec, s[2:3]
; %bb.5:
	v_mbcnt_hi_u32_b32 v17, -1, v13
	v_and_b32_e32 v2, 64, v17
	v_add_u32_e32 v12, 64, v2
                                        ; implicit-def: $vgpr7
                                        ; implicit-def: $vgpr13
; %bb.6:
	s_or_saveexec_b64 s[30:31], s[2:3]
	s_load_dwordx2 s[20:21], s[0:1], 0x0
	s_load_dwordx2 s[26:27], s[0:1], 0x18
	s_load_dword s17, s[0:1], 0x88
	s_load_dwordx4 s[8:11], s[0:1], 0x58
	v_mov_b32_e32 v19, 0xff7fffff
	s_mul_i32 s12, s12, s14
	v_lshrrev_b32_e32 v18, 4, v0
	s_xor_b64 exec, exec, s[30:31]
	s_cbranch_execz .LBB269_588
; %bb.7:
	s_load_dwordx2 s[0:1], s[0:1], 0x10
	s_ashr_i32 s2, s12, 31
	v_bfe_u32 v10, v0, 1, 5
	v_lshlrev_b32_e32 v2, 4, v10
	v_mov_b32_e32 v3, 0
	s_waitcnt lgkmcnt(0)
	s_add_u32 s0, s0, s12
	s_addc_u32 s1, s1, s2
	v_lshl_add_u64 v[4:5], s[0:1], 0, v[2:3]
	s_sub_i32 s49, 1, s33
	v_lshlrev_b32_e32 v2, 2, v10
	s_lshl_b64 s[0:1], s[24:25], 2
	v_lshl_or_b32 v2, v32, 7, v2
	s_add_u32 s0, s22, s0
	v_lshlrev_b32_e32 v6, 2, v7
	v_add_u32_e32 v22, 0x190, v2
	v_and_b32_e32 v2, 60, v18
	s_addc_u32 s1, s23, s1
	s_mov_b32 s48, s13
	v_mul_u32_u24_e32 v20, 0xc0, v7
	v_cmp_eq_u32_e32 vcc, 0, v7
	v_cmp_neq_f32_e64 s[2:3], s28, 0
	v_mov_b32_e32 v7, v3
	v_or_b32_e32 v8, 8, v6
	v_mov_b32_e32 v9, v3
	v_lshl_or_b32 v21, v32, 5, v10
	v_lshl_add_u64 v[10:11], s[0:1], 0, v[2:3]
	v_mov_b32_e32 v19, 0xff7fffff
	s_mov_b64 s[14:15], 0
	s_movk_i32 s50, 0x80
	s_movk_i32 s51, 0x7f
	s_mov_b32 s52, 0x8000
	s_mov_b32 s53, 0xffffff
	s_mov_b64 s[34:35], 0x1000
	s_mov_b64 s[36:37], 0x1200
	;; [unrolled: 1-line block ×4, first 2 shown]
	v_mbcnt_hi_u32_b32 v17, -1, v13
	v_mov_b32_e32 v23, 0x2000
	v_mov_b32_e32 v24, v32
	s_branch .LBB269_9
.LBB269_8:                              ;   in Loop: Header=BB269_9 Depth=1
	s_or_b64 exec, exec, s[42:43]
	v_add_u32_e32 v24, 2, v24
	v_cmp_le_i32_e64 s[0:1], s19, v24
	v_add_u32_e32 v21, 64, v21
	v_add_u32_e32 v22, 0x100, v22
	s_or_b64 s[14:15], s[0:1], s[14:15]
	v_lshl_add_u64 v[10:11], v[10:11], 0, 8
	s_andn2_b64 exec, exec, s[14:15]
	s_cbranch_execz .LBB269_587
.LBB269_9:                              ; =>This Inner Loop Header: Depth=1
	global_load_dword v2, v[10:11], off
	v_mov_b32_e32 v26, 0
	s_waitcnt vmcnt(0)
	v_mad_i64_i32 v[12:13], s[0:1], v2, s48, v[4:5]
	s_waitcnt lgkmcnt(0)
	v_lshl_add_u64 v[14:15], v[12:13], 0, v[6:7]
	global_load_dword v16, v[14:15], off
	global_load_dword v25, v3, s[8:9]
	s_waitcnt vmcnt(1)
	v_cmp_ne_u16_sdwa s[0:1], v16, v3 src0_sel:BYTE_0 src1_sel:DWORD
	s_and_saveexec_b64 s[42:43], s[0:1]
	s_cbranch_execz .LBB269_15
; %bb.10:                               ;   in Loop: Header=BB269_9 Depth=1
	v_cmp_ne_u16_sdwa s[0:1], v16, s50 src0_sel:BYTE_0 src1_sel:DWORD
	v_mov_b32_e32 v26, 0x8000
	s_and_saveexec_b64 s[44:45], s[0:1]
	s_cbranch_execz .LBB269_14
; %bb.11:                               ;   in Loop: Header=BB269_9 Depth=1
	v_and_b32_e32 v2, 0x7f, v16
	v_cmp_ne_u32_e64 s[0:1], s51, v2
	v_mov_b32_e32 v26, 0x7c01
	s_and_saveexec_b64 s[46:47], s[0:1]
	s_cbranch_execz .LBB269_13
; %bb.12:                               ;   in Loop: Header=BB269_9 Depth=1
	v_and_b32_e32 v28, 7, v16
	v_ffbh_u32_e32 v26, v28
	v_min_u32_e32 v30, 32, v26
	v_subrev_u32_e32 v26, 28, v30
	v_lshlrev_b64 v[26:27], v26, v[16:17]
	v_lshrrev_b32_e32 v29, 3, v2
	v_sub_u32_e32 v27, 29, v30
	v_cmp_gt_u32_e64 s[0:1], 8, v2
	v_and_b32_e32 v26, 7, v26
	s_nop 0
	v_cndmask_b32_e64 v2, v29, v27, s[0:1]
	v_lshl_add_u32 v2, v2, 10, v23
	v_lshlrev_b32_e32 v27, 8, v16
	v_and_b32_e32 v2, 0xfc00, v2
	v_cndmask_b32_e64 v26, v28, v26, s[0:1]
	v_and_or_b32 v2, v27, s52, v2
	v_lshl_or_b32 v26, v26, 7, v2
.LBB269_13:                             ;   in Loop: Header=BB269_9 Depth=1
	s_or_b64 exec, exec, s[46:47]
.LBB269_14:                             ;   in Loop: Header=BB269_9 Depth=1
	s_or_b64 exec, exec, s[44:45]
.LBB269_15:                             ;   in Loop: Header=BB269_9 Depth=1
	s_or_b64 exec, exec, s[42:43]
	v_lshrrev_b16_e32 v2, 8, v16
	v_cmp_ne_u16_e64 s[0:1], 0, v2
	v_mov_b32_e32 v27, 0
	v_mov_b32_e32 v28, 0
	s_and_saveexec_b64 s[42:43], s[0:1]
	s_cbranch_execz .LBB269_21
; %bb.16:                               ;   in Loop: Header=BB269_9 Depth=1
	v_cmp_ne_u16_e64 s[0:1], s50, v2
	v_bfrev_b32_e32 v28, 1
	s_and_saveexec_b64 s[44:45], s[0:1]
	s_cbranch_execz .LBB269_20
; %bb.17:                               ;   in Loop: Header=BB269_9 Depth=1
	v_and_b32_e32 v29, 0x7f, v2
	v_cmp_ne_u32_e64 s[0:1], s51, v29
	v_mov_b32_e32 v28, 0x7c010000
	s_and_saveexec_b64 s[46:47], s[0:1]
	s_cbranch_execz .LBB269_19
; %bb.18:                               ;   in Loop: Header=BB269_9 Depth=1
	v_and_b32_e32 v28, 7, v2
	v_ffbh_u32_e32 v30, v28
	v_min_u32_e32 v34, 32, v30
	v_subrev_u32_e32 v30, 28, v34
	v_lshlrev_b64 v[30:31], v30, v[2:3]
	v_lshrrev_b32_e32 v33, 3, v29
	v_sub_u32_e32 v31, 29, v34
	v_cmp_gt_u32_e64 s[0:1], 8, v29
	v_lshlrev_b32_e32 v2, 8, v2
	v_and_b32_e32 v30, 7, v30
	v_cndmask_b32_e64 v29, v33, v31, s[0:1]
	v_lshl_add_u32 v29, v29, 10, v23
	v_and_or_b32 v2, v2, s52, v29
	v_cndmask_b32_e64 v28, v28, v30, s[0:1]
	v_lshlrev_b32_e32 v2, 16, v2
	v_lshl_or_b32 v28, v28, 23, v2
.LBB269_19:                             ;   in Loop: Header=BB269_9 Depth=1
	s_or_b64 exec, exec, s[46:47]
.LBB269_20:                             ;   in Loop: Header=BB269_9 Depth=1
	s_or_b64 exec, exec, s[44:45]
.LBB269_21:                             ;   in Loop: Header=BB269_9 Depth=1
	s_or_b64 exec, exec, s[42:43]
	v_lshrrev_b32_e32 v2, 16, v16
	v_cmp_ne_u16_sdwa s[0:1], v2, v3 src0_sel:BYTE_0 src1_sel:DWORD
	s_and_saveexec_b64 s[42:43], s[0:1]
	s_cbranch_execz .LBB269_27
; %bb.22:                               ;   in Loop: Header=BB269_9 Depth=1
	v_cmp_ne_u16_sdwa s[0:1], v2, s50 src0_sel:BYTE_0 src1_sel:DWORD
	v_mov_b32_e32 v27, 0x8000
	s_and_saveexec_b64 s[44:45], s[0:1]
	s_cbranch_execz .LBB269_26
; %bb.23:                               ;   in Loop: Header=BB269_9 Depth=1
	v_bfe_u32 v29, v16, 16, 7
	v_cmp_ne_u32_e64 s[0:1], s51, v29
	v_mov_b32_e32 v27, 0x7c01
	s_and_saveexec_b64 s[46:47], s[0:1]
	s_cbranch_execz .LBB269_25
; %bb.24:                               ;   in Loop: Header=BB269_9 Depth=1
	v_and_b32_e32 v27, 7, v2
	v_ffbh_u32_e32 v30, v27
	v_min_u32_e32 v34, 32, v30
	v_subrev_u32_e32 v30, 28, v34
	v_lshlrev_b64 v[30:31], v30, v[2:3]
	v_lshrrev_b32_e32 v33, 3, v29
	v_sub_u32_e32 v31, 29, v34
	v_cmp_gt_u32_e64 s[0:1], 8, v29
	v_lshlrev_b32_e32 v2, 8, v2
	v_and_b32_e32 v30, 7, v30
	v_cndmask_b32_e64 v29, v33, v31, s[0:1]
	v_lshl_add_u32 v29, v29, 10, v23
	v_and_b32_e32 v29, 0xfc00, v29
	v_cndmask_b32_e64 v27, v27, v30, s[0:1]
	v_and_or_b32 v2, v2, s52, v29
	v_lshl_or_b32 v27, v27, 7, v2
.LBB269_25:                             ;   in Loop: Header=BB269_9 Depth=1
	s_or_b64 exec, exec, s[46:47]
.LBB269_26:                             ;   in Loop: Header=BB269_9 Depth=1
	s_or_b64 exec, exec, s[44:45]
.LBB269_27:                             ;   in Loop: Header=BB269_9 Depth=1
	s_or_b64 exec, exec, s[42:43]
	v_cmp_lt_u32_e64 s[0:1], s53, v16
	v_mov_b32_e32 v30, 0
	v_mov_b32_e32 v29, 0
	s_and_saveexec_b64 s[42:43], s[0:1]
	s_cbranch_execz .LBB269_33
; %bb.28:                               ;   in Loop: Header=BB269_9 Depth=1
	v_lshrrev_b32_e32 v2, 24, v16
	v_cmp_ne_u32_e64 s[0:1], s50, v2
	v_bfrev_b32_e32 v29, 1
	s_and_saveexec_b64 s[44:45], s[0:1]
	s_cbranch_execz .LBB269_32
; %bb.29:                               ;   in Loop: Header=BB269_9 Depth=1
	v_and_b32_e32 v16, 0x7f, v2
	v_cmp_ne_u32_e64 s[0:1], s51, v16
	v_mov_b32_e32 v29, 0x7c010000
	s_and_saveexec_b64 s[46:47], s[0:1]
	s_cbranch_execz .LBB269_31
; %bb.30:                               ;   in Loop: Header=BB269_9 Depth=1
	v_and_b32_e32 v29, 7, v2
	v_ffbh_u32_e32 v33, v29
	v_min_u32_e32 v33, 32, v33
	v_lshrrev_b32_e32 v31, 3, v16
	v_subrev_u32_e32 v34, 28, v33
	v_sub_u32_e32 v33, 29, v33
	v_cmp_gt_u32_e64 s[0:1], 8, v16
	v_lshlrev_b64 v[34:35], v34, v[2:3]
	v_lshlrev_b32_e32 v2, 8, v2
	v_cndmask_b32_e64 v16, v31, v33, s[0:1]
	v_lshl_add_u32 v16, v16, 10, v23
	v_and_b32_e32 v31, 7, v34
	v_and_or_b32 v2, v2, s52, v16
	v_cndmask_b32_e64 v29, v29, v31, s[0:1]
	v_lshlrev_b32_e32 v2, 16, v2
	v_lshl_or_b32 v29, v29, 23, v2
.LBB269_31:                             ;   in Loop: Header=BB269_9 Depth=1
	s_or_b64 exec, exec, s[46:47]
.LBB269_32:                             ;   in Loop: Header=BB269_9 Depth=1
	s_or_b64 exec, exec, s[44:45]
.LBB269_33:                             ;   in Loop: Header=BB269_9 Depth=1
	s_or_b64 exec, exec, s[42:43]
	global_load_dword v16, v[14:15], off offset:8
	s_waitcnt vmcnt(0)
	v_cmp_ne_u16_sdwa s[0:1], v16, v3 src0_sel:BYTE_0 src1_sel:DWORD
	s_and_saveexec_b64 s[42:43], s[0:1]
	s_cbranch_execz .LBB269_39
; %bb.34:                               ;   in Loop: Header=BB269_9 Depth=1
	v_cmp_ne_u16_sdwa s[0:1], v16, s50 src0_sel:BYTE_0 src1_sel:DWORD
	v_mov_b32_e32 v30, 0x8000
	s_and_saveexec_b64 s[44:45], s[0:1]
	s_cbranch_execz .LBB269_38
; %bb.35:                               ;   in Loop: Header=BB269_9 Depth=1
	v_and_b32_e32 v2, 0x7f, v16
	v_cmp_ne_u32_e64 s[0:1], s51, v2
	v_mov_b32_e32 v30, 0x7c01
	s_and_saveexec_b64 s[46:47], s[0:1]
	s_cbranch_execz .LBB269_37
; %bb.36:                               ;   in Loop: Header=BB269_9 Depth=1
	v_and_b32_e32 v33, 7, v16
	v_ffbh_u32_e32 v30, v33
	v_min_u32_e32 v35, 32, v30
	v_subrev_u32_e32 v30, 28, v35
	v_lshlrev_b64 v[30:31], v30, v[16:17]
	v_lshrrev_b32_e32 v34, 3, v2
	v_sub_u32_e32 v31, 29, v35
	v_cmp_gt_u32_e64 s[0:1], 8, v2
	v_and_b32_e32 v30, 7, v30
	s_nop 0
	v_cndmask_b32_e64 v2, v34, v31, s[0:1]
	v_lshl_add_u32 v2, v2, 10, v23
	v_lshlrev_b32_e32 v31, 8, v16
	v_and_b32_e32 v2, 0xfc00, v2
	v_cndmask_b32_e64 v30, v33, v30, s[0:1]
	v_and_or_b32 v2, v31, s52, v2
	v_lshl_or_b32 v30, v30, 7, v2
.LBB269_37:                             ;   in Loop: Header=BB269_9 Depth=1
	s_or_b64 exec, exec, s[46:47]
.LBB269_38:                             ;   in Loop: Header=BB269_9 Depth=1
	s_or_b64 exec, exec, s[44:45]
.LBB269_39:                             ;   in Loop: Header=BB269_9 Depth=1
	s_or_b64 exec, exec, s[42:43]
	v_lshrrev_b16_e32 v2, 8, v16
	v_cmp_ne_u16_e64 s[0:1], 0, v2
	v_mov_b32_e32 v31, 0
	v_mov_b32_e32 v33, 0
	s_and_saveexec_b64 s[42:43], s[0:1]
	s_cbranch_execz .LBB269_45
; %bb.40:                               ;   in Loop: Header=BB269_9 Depth=1
	v_cmp_ne_u16_e64 s[0:1], s50, v2
	v_bfrev_b32_e32 v33, 1
	s_and_saveexec_b64 s[44:45], s[0:1]
	s_cbranch_execz .LBB269_44
; %bb.41:                               ;   in Loop: Header=BB269_9 Depth=1
	v_and_b32_e32 v34, 0x7f, v2
	v_cmp_ne_u32_e64 s[0:1], s51, v34
	v_mov_b32_e32 v33, 0x7c010000
	s_and_saveexec_b64 s[46:47], s[0:1]
	s_cbranch_execz .LBB269_43
; %bb.42:                               ;   in Loop: Header=BB269_9 Depth=1
	v_and_b32_e32 v33, 7, v2
	v_ffbh_u32_e32 v36, v33
	v_min_u32_e32 v38, 32, v36
	v_subrev_u32_e32 v36, 28, v38
	v_lshlrev_b64 v[36:37], v36, v[2:3]
	v_lshrrev_b32_e32 v35, 3, v34
	v_sub_u32_e32 v37, 29, v38
	v_cmp_gt_u32_e64 s[0:1], 8, v34
	v_lshlrev_b32_e32 v2, 8, v2
	s_nop 0
	v_cndmask_b32_e64 v34, v35, v37, s[0:1]
	v_lshl_add_u32 v34, v34, 10, v23
	v_and_b32_e32 v35, 7, v36
	v_and_or_b32 v2, v2, s52, v34
	v_cndmask_b32_e64 v33, v33, v35, s[0:1]
	v_lshlrev_b32_e32 v2, 16, v2
	v_lshl_or_b32 v33, v33, 23, v2
.LBB269_43:                             ;   in Loop: Header=BB269_9 Depth=1
	s_or_b64 exec, exec, s[46:47]
.LBB269_44:                             ;   in Loop: Header=BB269_9 Depth=1
	s_or_b64 exec, exec, s[44:45]
.LBB269_45:                             ;   in Loop: Header=BB269_9 Depth=1
	s_or_b64 exec, exec, s[42:43]
	v_lshrrev_b32_e32 v2, 16, v16
	v_cmp_ne_u16_sdwa s[0:1], v2, v3 src0_sel:BYTE_0 src1_sel:DWORD
	s_and_saveexec_b64 s[42:43], s[0:1]
	s_cbranch_execz .LBB269_51
; %bb.46:                               ;   in Loop: Header=BB269_9 Depth=1
	v_cmp_ne_u16_sdwa s[0:1], v2, s50 src0_sel:BYTE_0 src1_sel:DWORD
	v_mov_b32_e32 v31, 0x8000
	s_and_saveexec_b64 s[44:45], s[0:1]
	s_cbranch_execz .LBB269_50
; %bb.47:                               ;   in Loop: Header=BB269_9 Depth=1
	v_bfe_u32 v34, v16, 16, 7
	v_cmp_ne_u32_e64 s[0:1], s51, v34
	v_mov_b32_e32 v31, 0x7c01
	s_and_saveexec_b64 s[46:47], s[0:1]
	s_cbranch_execz .LBB269_49
; %bb.48:                               ;   in Loop: Header=BB269_9 Depth=1
	v_and_b32_e32 v31, 7, v2
	v_ffbh_u32_e32 v36, v31
	v_min_u32_e32 v38, 32, v36
	v_subrev_u32_e32 v36, 28, v38
	v_lshlrev_b64 v[36:37], v36, v[2:3]
	v_lshrrev_b32_e32 v35, 3, v34
	v_sub_u32_e32 v37, 29, v38
	v_cmp_gt_u32_e64 s[0:1], 8, v34
	v_lshlrev_b32_e32 v2, 8, v2
	s_nop 0
	v_cndmask_b32_e64 v34, v35, v37, s[0:1]
	v_lshl_add_u32 v34, v34, 10, v23
	v_and_b32_e32 v35, 7, v36
	v_and_b32_e32 v34, 0xfc00, v34
	v_cndmask_b32_e64 v31, v31, v35, s[0:1]
	v_and_or_b32 v2, v2, s52, v34
	v_lshl_or_b32 v31, v31, 7, v2
.LBB269_49:                             ;   in Loop: Header=BB269_9 Depth=1
	s_or_b64 exec, exec, s[46:47]
.LBB269_50:                             ;   in Loop: Header=BB269_9 Depth=1
	s_or_b64 exec, exec, s[44:45]
.LBB269_51:                             ;   in Loop: Header=BB269_9 Depth=1
	s_or_b64 exec, exec, s[42:43]
	v_cmp_lt_u32_e64 s[0:1], s53, v16
	v_mov_b32_e32 v35, 0
	v_mov_b32_e32 v34, 0
	s_and_saveexec_b64 s[42:43], s[0:1]
	s_cbranch_execz .LBB269_57
; %bb.52:                               ;   in Loop: Header=BB269_9 Depth=1
	v_lshrrev_b32_e32 v2, 24, v16
	v_cmp_ne_u32_e64 s[0:1], s50, v2
	v_bfrev_b32_e32 v34, 1
	s_and_saveexec_b64 s[44:45], s[0:1]
	s_cbranch_execz .LBB269_56
; %bb.53:                               ;   in Loop: Header=BB269_9 Depth=1
	v_and_b32_e32 v16, 0x7f, v2
	v_cmp_ne_u32_e64 s[0:1], s51, v16
	v_mov_b32_e32 v34, 0x7c010000
	s_and_saveexec_b64 s[46:47], s[0:1]
	s_cbranch_execz .LBB269_55
; %bb.54:                               ;   in Loop: Header=BB269_9 Depth=1
	v_and_b32_e32 v34, 7, v2
	v_ffbh_u32_e32 v36, v34
	v_min_u32_e32 v39, 32, v36
	v_subrev_u32_e32 v36, 28, v39
	v_lshlrev_b64 v[36:37], v36, v[2:3]
	v_lshrrev_b32_e32 v38, 3, v16
	v_sub_u32_e32 v37, 29, v39
	v_cmp_gt_u32_e64 s[0:1], 8, v16
	v_lshlrev_b32_e32 v2, 8, v2
	v_and_b32_e32 v36, 7, v36
	v_cndmask_b32_e64 v16, v38, v37, s[0:1]
	v_lshl_add_u32 v16, v16, 10, v23
	v_and_or_b32 v2, v2, s52, v16
	v_cndmask_b32_e64 v34, v34, v36, s[0:1]
	v_lshlrev_b32_e32 v2, 16, v2
	v_lshl_or_b32 v34, v34, 23, v2
.LBB269_55:                             ;   in Loop: Header=BB269_9 Depth=1
	s_or_b64 exec, exec, s[46:47]
.LBB269_56:                             ;   in Loop: Header=BB269_9 Depth=1
	s_or_b64 exec, exec, s[44:45]
.LBB269_57:                             ;   in Loop: Header=BB269_9 Depth=1
	s_or_b64 exec, exec, s[42:43]
	global_load_dword v16, v[14:15], off offset:512
	s_waitcnt vmcnt(0)
	v_cmp_ne_u16_sdwa s[0:1], v16, v3 src0_sel:BYTE_0 src1_sel:DWORD
	s_and_saveexec_b64 s[42:43], s[0:1]
	s_cbranch_execz .LBB269_63
; %bb.58:                               ;   in Loop: Header=BB269_9 Depth=1
	v_cmp_ne_u16_sdwa s[0:1], v16, s50 src0_sel:BYTE_0 src1_sel:DWORD
	v_mov_b32_e32 v35, 0x8000
	s_and_saveexec_b64 s[44:45], s[0:1]
	s_cbranch_execz .LBB269_62
; %bb.59:                               ;   in Loop: Header=BB269_9 Depth=1
	v_and_b32_e32 v2, 0x7f, v16
	v_cmp_ne_u32_e64 s[0:1], s51, v2
	v_mov_b32_e32 v35, 0x7c01
	s_and_saveexec_b64 s[46:47], s[0:1]
	s_cbranch_execz .LBB269_61
; %bb.60:                               ;   in Loop: Header=BB269_9 Depth=1
	v_and_b32_e32 v35, 7, v16
	v_ffbh_u32_e32 v36, v35
	v_min_u32_e32 v39, 32, v36
	v_subrev_u32_e32 v36, 28, v39
	v_lshlrev_b64 v[36:37], v36, v[16:17]
	v_lshrrev_b32_e32 v38, 3, v2
	v_sub_u32_e32 v37, 29, v39
	v_cmp_gt_u32_e64 s[0:1], 8, v2
	v_and_b32_e32 v36, 7, v36
	s_nop 0
	v_cndmask_b32_e64 v2, v38, v37, s[0:1]
	v_lshl_add_u32 v2, v2, 10, v23
	v_lshlrev_b32_e32 v37, 8, v16
	v_and_b32_e32 v2, 0xfc00, v2
	v_cndmask_b32_e64 v35, v35, v36, s[0:1]
	v_and_or_b32 v2, v37, s52, v2
	v_lshl_or_b32 v35, v35, 7, v2
.LBB269_61:                             ;   in Loop: Header=BB269_9 Depth=1
	s_or_b64 exec, exec, s[46:47]
.LBB269_62:                             ;   in Loop: Header=BB269_9 Depth=1
	s_or_b64 exec, exec, s[44:45]
.LBB269_63:                             ;   in Loop: Header=BB269_9 Depth=1
	s_or_b64 exec, exec, s[42:43]
	v_lshrrev_b16_e32 v2, 8, v16
	v_cmp_ne_u16_e64 s[0:1], 0, v2
	v_mov_b32_e32 v36, 0
	v_mov_b32_e32 v37, 0
	s_and_saveexec_b64 s[42:43], s[0:1]
	s_cbranch_execz .LBB269_69
; %bb.64:                               ;   in Loop: Header=BB269_9 Depth=1
	v_cmp_ne_u16_e64 s[0:1], s50, v2
	v_bfrev_b32_e32 v37, 1
	s_and_saveexec_b64 s[44:45], s[0:1]
	s_cbranch_execz .LBB269_68
; %bb.65:                               ;   in Loop: Header=BB269_9 Depth=1
	v_and_b32_e32 v38, 0x7f, v2
	v_cmp_ne_u32_e64 s[0:1], s51, v38
	v_mov_b32_e32 v37, 0x7c010000
	s_and_saveexec_b64 s[46:47], s[0:1]
	s_cbranch_execz .LBB269_67
; %bb.66:                               ;   in Loop: Header=BB269_9 Depth=1
	v_and_b32_e32 v37, 7, v2
	v_ffbh_u32_e32 v40, v37
	v_min_u32_e32 v42, 32, v40
	v_subrev_u32_e32 v40, 28, v42
	v_lshlrev_b64 v[40:41], v40, v[2:3]
	v_lshrrev_b32_e32 v39, 3, v38
	v_sub_u32_e32 v41, 29, v42
	v_cmp_gt_u32_e64 s[0:1], 8, v38
	v_lshlrev_b32_e32 v2, 8, v2
	s_nop 0
	v_cndmask_b32_e64 v38, v39, v41, s[0:1]
	v_lshl_add_u32 v38, v38, 10, v23
	v_and_b32_e32 v39, 7, v40
	v_and_or_b32 v2, v2, s52, v38
	v_cndmask_b32_e64 v37, v37, v39, s[0:1]
	v_lshlrev_b32_e32 v2, 16, v2
	v_lshl_or_b32 v37, v37, 23, v2
.LBB269_67:                             ;   in Loop: Header=BB269_9 Depth=1
	s_or_b64 exec, exec, s[46:47]
.LBB269_68:                             ;   in Loop: Header=BB269_9 Depth=1
	s_or_b64 exec, exec, s[44:45]
.LBB269_69:                             ;   in Loop: Header=BB269_9 Depth=1
	s_or_b64 exec, exec, s[42:43]
	v_lshrrev_b32_e32 v2, 16, v16
	v_cmp_ne_u16_sdwa s[0:1], v2, v3 src0_sel:BYTE_0 src1_sel:DWORD
	s_and_saveexec_b64 s[42:43], s[0:1]
	s_cbranch_execz .LBB269_75
; %bb.70:                               ;   in Loop: Header=BB269_9 Depth=1
	v_cmp_ne_u16_sdwa s[0:1], v2, s50 src0_sel:BYTE_0 src1_sel:DWORD
	v_mov_b32_e32 v36, 0x8000
	s_and_saveexec_b64 s[44:45], s[0:1]
	s_cbranch_execz .LBB269_74
; %bb.71:                               ;   in Loop: Header=BB269_9 Depth=1
	v_bfe_u32 v38, v16, 16, 7
	v_cmp_ne_u32_e64 s[0:1], s51, v38
	v_mov_b32_e32 v36, 0x7c01
	s_and_saveexec_b64 s[46:47], s[0:1]
	s_cbranch_execz .LBB269_73
; %bb.72:                               ;   in Loop: Header=BB269_9 Depth=1
	v_and_b32_e32 v36, 7, v2
	v_ffbh_u32_e32 v40, v36
	v_min_u32_e32 v42, 32, v40
	v_subrev_u32_e32 v40, 28, v42
	v_lshlrev_b64 v[40:41], v40, v[2:3]
	v_lshrrev_b32_e32 v39, 3, v38
	v_sub_u32_e32 v41, 29, v42
	v_cmp_gt_u32_e64 s[0:1], 8, v38
	v_lshlrev_b32_e32 v2, 8, v2
	s_nop 0
	v_cndmask_b32_e64 v38, v39, v41, s[0:1]
	v_lshl_add_u32 v38, v38, 10, v23
	v_and_b32_e32 v39, 7, v40
	v_and_b32_e32 v38, 0xfc00, v38
	v_cndmask_b32_e64 v36, v36, v39, s[0:1]
	v_and_or_b32 v2, v2, s52, v38
	v_lshl_or_b32 v36, v36, 7, v2
.LBB269_73:                             ;   in Loop: Header=BB269_9 Depth=1
	s_or_b64 exec, exec, s[46:47]
.LBB269_74:                             ;   in Loop: Header=BB269_9 Depth=1
	s_or_b64 exec, exec, s[44:45]
.LBB269_75:                             ;   in Loop: Header=BB269_9 Depth=1
	s_or_b64 exec, exec, s[42:43]
	v_cmp_lt_u32_e64 s[0:1], s53, v16
	v_mov_b32_e32 v39, 0
	v_mov_b32_e32 v38, 0
	s_and_saveexec_b64 s[42:43], s[0:1]
	s_cbranch_execz .LBB269_81
; %bb.76:                               ;   in Loop: Header=BB269_9 Depth=1
	v_lshrrev_b32_e32 v2, 24, v16
	v_cmp_ne_u32_e64 s[0:1], s50, v2
	v_bfrev_b32_e32 v38, 1
	s_and_saveexec_b64 s[44:45], s[0:1]
	s_cbranch_execz .LBB269_80
; %bb.77:                               ;   in Loop: Header=BB269_9 Depth=1
	v_and_b32_e32 v16, 0x7f, v2
	v_cmp_ne_u32_e64 s[0:1], s51, v16
	v_mov_b32_e32 v38, 0x7c010000
	s_and_saveexec_b64 s[46:47], s[0:1]
	s_cbranch_execz .LBB269_79
; %bb.78:                               ;   in Loop: Header=BB269_9 Depth=1
	v_and_b32_e32 v38, 7, v2
	v_ffbh_u32_e32 v40, v38
	v_min_u32_e32 v43, 32, v40
	v_subrev_u32_e32 v40, 28, v43
	v_lshlrev_b64 v[40:41], v40, v[2:3]
	v_lshrrev_b32_e32 v42, 3, v16
	v_sub_u32_e32 v41, 29, v43
	v_cmp_gt_u32_e64 s[0:1], 8, v16
	v_lshlrev_b32_e32 v2, 8, v2
	v_and_b32_e32 v40, 7, v40
	v_cndmask_b32_e64 v16, v42, v41, s[0:1]
	v_lshl_add_u32 v16, v16, 10, v23
	v_and_or_b32 v2, v2, s52, v16
	v_cndmask_b32_e64 v38, v38, v40, s[0:1]
	v_lshlrev_b32_e32 v2, 16, v2
	v_lshl_or_b32 v38, v38, 23, v2
.LBB269_79:                             ;   in Loop: Header=BB269_9 Depth=1
	s_or_b64 exec, exec, s[46:47]
.LBB269_80:                             ;   in Loop: Header=BB269_9 Depth=1
	s_or_b64 exec, exec, s[44:45]
.LBB269_81:                             ;   in Loop: Header=BB269_9 Depth=1
	s_or_b64 exec, exec, s[42:43]
	global_load_dword v16, v[14:15], off offset:520
	s_waitcnt vmcnt(0)
	v_cmp_ne_u16_sdwa s[0:1], v16, v3 src0_sel:BYTE_0 src1_sel:DWORD
	s_and_saveexec_b64 s[42:43], s[0:1]
	s_cbranch_execz .LBB269_87
; %bb.82:                               ;   in Loop: Header=BB269_9 Depth=1
	v_cmp_ne_u16_sdwa s[0:1], v16, s50 src0_sel:BYTE_0 src1_sel:DWORD
	v_mov_b32_e32 v39, 0x8000
	s_and_saveexec_b64 s[44:45], s[0:1]
	s_cbranch_execz .LBB269_86
; %bb.83:                               ;   in Loop: Header=BB269_9 Depth=1
	v_and_b32_e32 v2, 0x7f, v16
	v_cmp_ne_u32_e64 s[0:1], s51, v2
	v_mov_b32_e32 v39, 0x7c01
	s_and_saveexec_b64 s[46:47], s[0:1]
	s_cbranch_execz .LBB269_85
; %bb.84:                               ;   in Loop: Header=BB269_9 Depth=1
	v_and_b32_e32 v39, 7, v16
	v_ffbh_u32_e32 v40, v39
	v_min_u32_e32 v43, 32, v40
	v_subrev_u32_e32 v40, 28, v43
	v_lshlrev_b64 v[40:41], v40, v[16:17]
	v_lshrrev_b32_e32 v42, 3, v2
	v_sub_u32_e32 v41, 29, v43
	v_cmp_gt_u32_e64 s[0:1], 8, v2
	v_and_b32_e32 v40, 7, v40
	s_nop 0
	v_cndmask_b32_e64 v2, v42, v41, s[0:1]
	v_lshl_add_u32 v2, v2, 10, v23
	v_lshlrev_b32_e32 v41, 8, v16
	v_and_b32_e32 v2, 0xfc00, v2
	v_cndmask_b32_e64 v39, v39, v40, s[0:1]
	v_and_or_b32 v2, v41, s52, v2
	v_lshl_or_b32 v39, v39, 7, v2
.LBB269_85:                             ;   in Loop: Header=BB269_9 Depth=1
	s_or_b64 exec, exec, s[46:47]
.LBB269_86:                             ;   in Loop: Header=BB269_9 Depth=1
	s_or_b64 exec, exec, s[44:45]
.LBB269_87:                             ;   in Loop: Header=BB269_9 Depth=1
	s_or_b64 exec, exec, s[42:43]
	v_lshrrev_b16_e32 v2, 8, v16
	v_cmp_ne_u16_e64 s[0:1], 0, v2
	v_mov_b32_e32 v40, 0
	v_mov_b32_e32 v41, 0
	s_and_saveexec_b64 s[42:43], s[0:1]
	s_cbranch_execz .LBB269_93
; %bb.88:                               ;   in Loop: Header=BB269_9 Depth=1
	v_cmp_ne_u16_e64 s[0:1], s50, v2
	v_bfrev_b32_e32 v41, 1
	s_and_saveexec_b64 s[44:45], s[0:1]
	s_cbranch_execz .LBB269_92
; %bb.89:                               ;   in Loop: Header=BB269_9 Depth=1
	v_and_b32_e32 v42, 0x7f, v2
	v_cmp_ne_u32_e64 s[0:1], s51, v42
	v_mov_b32_e32 v41, 0x7c010000
	s_and_saveexec_b64 s[46:47], s[0:1]
	s_cbranch_execz .LBB269_91
; %bb.90:                               ;   in Loop: Header=BB269_9 Depth=1
	v_and_b32_e32 v41, 7, v2
	v_ffbh_u32_e32 v44, v41
	v_min_u32_e32 v46, 32, v44
	v_subrev_u32_e32 v44, 28, v46
	v_lshlrev_b64 v[44:45], v44, v[2:3]
	v_lshrrev_b32_e32 v43, 3, v42
	v_sub_u32_e32 v45, 29, v46
	v_cmp_gt_u32_e64 s[0:1], 8, v42
	v_lshlrev_b32_e32 v2, 8, v2
	s_nop 0
	v_cndmask_b32_e64 v42, v43, v45, s[0:1]
	v_lshl_add_u32 v42, v42, 10, v23
	v_and_b32_e32 v43, 7, v44
	v_and_or_b32 v2, v2, s52, v42
	v_cndmask_b32_e64 v41, v41, v43, s[0:1]
	v_lshlrev_b32_e32 v2, 16, v2
	v_lshl_or_b32 v41, v41, 23, v2
.LBB269_91:                             ;   in Loop: Header=BB269_9 Depth=1
	s_or_b64 exec, exec, s[46:47]
.LBB269_92:                             ;   in Loop: Header=BB269_9 Depth=1
	s_or_b64 exec, exec, s[44:45]
.LBB269_93:                             ;   in Loop: Header=BB269_9 Depth=1
	s_or_b64 exec, exec, s[42:43]
	v_lshrrev_b32_e32 v2, 16, v16
	v_cmp_ne_u16_sdwa s[0:1], v2, v3 src0_sel:BYTE_0 src1_sel:DWORD
	s_and_saveexec_b64 s[42:43], s[0:1]
	s_cbranch_execz .LBB269_99
; %bb.94:                               ;   in Loop: Header=BB269_9 Depth=1
	v_cmp_ne_u16_sdwa s[0:1], v2, s50 src0_sel:BYTE_0 src1_sel:DWORD
	v_mov_b32_e32 v40, 0x8000
	s_and_saveexec_b64 s[44:45], s[0:1]
	s_cbranch_execz .LBB269_98
; %bb.95:                               ;   in Loop: Header=BB269_9 Depth=1
	v_bfe_u32 v42, v16, 16, 7
	v_cmp_ne_u32_e64 s[0:1], s51, v42
	v_mov_b32_e32 v40, 0x7c01
	s_and_saveexec_b64 s[46:47], s[0:1]
	s_cbranch_execz .LBB269_97
; %bb.96:                               ;   in Loop: Header=BB269_9 Depth=1
	v_and_b32_e32 v40, 7, v2
	v_ffbh_u32_e32 v44, v40
	v_min_u32_e32 v46, 32, v44
	v_subrev_u32_e32 v44, 28, v46
	v_lshlrev_b64 v[44:45], v44, v[2:3]
	v_lshrrev_b32_e32 v43, 3, v42
	v_sub_u32_e32 v45, 29, v46
	v_cmp_gt_u32_e64 s[0:1], 8, v42
	v_lshlrev_b32_e32 v2, 8, v2
	s_nop 0
	v_cndmask_b32_e64 v42, v43, v45, s[0:1]
	v_lshl_add_u32 v42, v42, 10, v23
	v_and_b32_e32 v43, 7, v44
	v_and_b32_e32 v42, 0xfc00, v42
	v_cndmask_b32_e64 v40, v40, v43, s[0:1]
	v_and_or_b32 v2, v2, s52, v42
	v_lshl_or_b32 v40, v40, 7, v2
.LBB269_97:                             ;   in Loop: Header=BB269_9 Depth=1
	s_or_b64 exec, exec, s[46:47]
.LBB269_98:                             ;   in Loop: Header=BB269_9 Depth=1
	s_or_b64 exec, exec, s[44:45]
.LBB269_99:                             ;   in Loop: Header=BB269_9 Depth=1
	s_or_b64 exec, exec, s[42:43]
	v_cmp_lt_u32_e64 s[0:1], s53, v16
	v_mov_b32_e32 v43, 0
	v_mov_b32_e32 v42, 0
	s_and_saveexec_b64 s[42:43], s[0:1]
	s_cbranch_execz .LBB269_105
; %bb.100:                              ;   in Loop: Header=BB269_9 Depth=1
	v_lshrrev_b32_e32 v2, 24, v16
	v_cmp_ne_u32_e64 s[0:1], s50, v2
	v_bfrev_b32_e32 v42, 1
	s_and_saveexec_b64 s[44:45], s[0:1]
	s_cbranch_execz .LBB269_104
; %bb.101:                              ;   in Loop: Header=BB269_9 Depth=1
	v_and_b32_e32 v16, 0x7f, v2
	v_cmp_ne_u32_e64 s[0:1], s51, v16
	v_mov_b32_e32 v42, 0x7c010000
	s_and_saveexec_b64 s[46:47], s[0:1]
	s_cbranch_execz .LBB269_103
; %bb.102:                              ;   in Loop: Header=BB269_9 Depth=1
	v_and_b32_e32 v42, 7, v2
	v_ffbh_u32_e32 v44, v42
	v_min_u32_e32 v47, 32, v44
	v_subrev_u32_e32 v44, 28, v47
	v_lshlrev_b64 v[44:45], v44, v[2:3]
	v_lshrrev_b32_e32 v46, 3, v16
	v_sub_u32_e32 v45, 29, v47
	v_cmp_gt_u32_e64 s[0:1], 8, v16
	v_lshlrev_b32_e32 v2, 8, v2
	v_and_b32_e32 v44, 7, v44
	v_cndmask_b32_e64 v16, v46, v45, s[0:1]
	v_lshl_add_u32 v16, v16, 10, v23
	v_and_or_b32 v2, v2, s52, v16
	v_cndmask_b32_e64 v42, v42, v44, s[0:1]
	v_lshlrev_b32_e32 v2, 16, v2
	v_lshl_or_b32 v42, v42, 23, v2
.LBB269_103:                            ;   in Loop: Header=BB269_9 Depth=1
	s_or_b64 exec, exec, s[46:47]
.LBB269_104:                            ;   in Loop: Header=BB269_9 Depth=1
	s_or_b64 exec, exec, s[44:45]
.LBB269_105:                            ;   in Loop: Header=BB269_9 Depth=1
	s_or_b64 exec, exec, s[42:43]
	global_load_dword v16, v[14:15], off offset:1024
	s_waitcnt vmcnt(0)
	v_cmp_ne_u16_sdwa s[0:1], v16, v3 src0_sel:BYTE_0 src1_sel:DWORD
	s_and_saveexec_b64 s[42:43], s[0:1]
	s_cbranch_execz .LBB269_111
; %bb.106:                              ;   in Loop: Header=BB269_9 Depth=1
	v_cmp_ne_u16_sdwa s[0:1], v16, s50 src0_sel:BYTE_0 src1_sel:DWORD
	v_mov_b32_e32 v43, 0x8000
	s_and_saveexec_b64 s[44:45], s[0:1]
	s_cbranch_execz .LBB269_110
; %bb.107:                              ;   in Loop: Header=BB269_9 Depth=1
	v_and_b32_e32 v2, 0x7f, v16
	v_cmp_ne_u32_e64 s[0:1], s51, v2
	v_mov_b32_e32 v43, 0x7c01
	s_and_saveexec_b64 s[46:47], s[0:1]
	s_cbranch_execz .LBB269_109
; %bb.108:                              ;   in Loop: Header=BB269_9 Depth=1
	v_and_b32_e32 v43, 7, v16
	v_ffbh_u32_e32 v44, v43
	v_min_u32_e32 v47, 32, v44
	v_subrev_u32_e32 v44, 28, v47
	v_lshlrev_b64 v[44:45], v44, v[16:17]
	v_lshrrev_b32_e32 v46, 3, v2
	v_sub_u32_e32 v45, 29, v47
	v_cmp_gt_u32_e64 s[0:1], 8, v2
	v_and_b32_e32 v44, 7, v44
	s_nop 0
	v_cndmask_b32_e64 v2, v46, v45, s[0:1]
	v_lshl_add_u32 v2, v2, 10, v23
	v_lshlrev_b32_e32 v45, 8, v16
	v_and_b32_e32 v2, 0xfc00, v2
	v_cndmask_b32_e64 v43, v43, v44, s[0:1]
	v_and_or_b32 v2, v45, s52, v2
	v_lshl_or_b32 v43, v43, 7, v2
.LBB269_109:                            ;   in Loop: Header=BB269_9 Depth=1
	s_or_b64 exec, exec, s[46:47]
.LBB269_110:                            ;   in Loop: Header=BB269_9 Depth=1
	s_or_b64 exec, exec, s[44:45]
.LBB269_111:                            ;   in Loop: Header=BB269_9 Depth=1
	s_or_b64 exec, exec, s[42:43]
	v_lshrrev_b16_e32 v2, 8, v16
	v_cmp_ne_u16_e64 s[0:1], 0, v2
	v_mov_b32_e32 v44, 0
	v_mov_b32_e32 v45, 0
	s_and_saveexec_b64 s[42:43], s[0:1]
	s_cbranch_execz .LBB269_117
; %bb.112:                              ;   in Loop: Header=BB269_9 Depth=1
	v_cmp_ne_u16_e64 s[0:1], s50, v2
	v_bfrev_b32_e32 v45, 1
	s_and_saveexec_b64 s[44:45], s[0:1]
	s_cbranch_execz .LBB269_116
; %bb.113:                              ;   in Loop: Header=BB269_9 Depth=1
	v_and_b32_e32 v46, 0x7f, v2
	v_cmp_ne_u32_e64 s[0:1], s51, v46
	v_mov_b32_e32 v45, 0x7c010000
	s_and_saveexec_b64 s[46:47], s[0:1]
	s_cbranch_execz .LBB269_115
; %bb.114:                              ;   in Loop: Header=BB269_9 Depth=1
	v_and_b32_e32 v45, 7, v2
	v_ffbh_u32_e32 v48, v45
	v_min_u32_e32 v50, 32, v48
	v_subrev_u32_e32 v48, 28, v50
	v_lshlrev_b64 v[48:49], v48, v[2:3]
	v_lshrrev_b32_e32 v47, 3, v46
	v_sub_u32_e32 v49, 29, v50
	v_cmp_gt_u32_e64 s[0:1], 8, v46
	v_lshlrev_b32_e32 v2, 8, v2
	s_nop 0
	v_cndmask_b32_e64 v46, v47, v49, s[0:1]
	v_lshl_add_u32 v46, v46, 10, v23
	v_and_b32_e32 v47, 7, v48
	v_and_or_b32 v2, v2, s52, v46
	v_cndmask_b32_e64 v45, v45, v47, s[0:1]
	v_lshlrev_b32_e32 v2, 16, v2
	v_lshl_or_b32 v45, v45, 23, v2
.LBB269_115:                            ;   in Loop: Header=BB269_9 Depth=1
	s_or_b64 exec, exec, s[46:47]
.LBB269_116:                            ;   in Loop: Header=BB269_9 Depth=1
	s_or_b64 exec, exec, s[44:45]
.LBB269_117:                            ;   in Loop: Header=BB269_9 Depth=1
	s_or_b64 exec, exec, s[42:43]
	v_lshrrev_b32_e32 v2, 16, v16
	v_cmp_ne_u16_sdwa s[0:1], v2, v3 src0_sel:BYTE_0 src1_sel:DWORD
	s_and_saveexec_b64 s[42:43], s[0:1]
	s_cbranch_execz .LBB269_123
; %bb.118:                              ;   in Loop: Header=BB269_9 Depth=1
	v_cmp_ne_u16_sdwa s[0:1], v2, s50 src0_sel:BYTE_0 src1_sel:DWORD
	v_mov_b32_e32 v44, 0x8000
	s_and_saveexec_b64 s[44:45], s[0:1]
	s_cbranch_execz .LBB269_122
; %bb.119:                              ;   in Loop: Header=BB269_9 Depth=1
	v_bfe_u32 v46, v16, 16, 7
	v_cmp_ne_u32_e64 s[0:1], s51, v46
	v_mov_b32_e32 v44, 0x7c01
	s_and_saveexec_b64 s[46:47], s[0:1]
	s_cbranch_execz .LBB269_121
; %bb.120:                              ;   in Loop: Header=BB269_9 Depth=1
	v_and_b32_e32 v44, 7, v2
	v_ffbh_u32_e32 v48, v44
	v_min_u32_e32 v50, 32, v48
	v_subrev_u32_e32 v48, 28, v50
	v_lshlrev_b64 v[48:49], v48, v[2:3]
	v_lshrrev_b32_e32 v47, 3, v46
	v_sub_u32_e32 v49, 29, v50
	v_cmp_gt_u32_e64 s[0:1], 8, v46
	v_lshlrev_b32_e32 v2, 8, v2
	s_nop 0
	v_cndmask_b32_e64 v46, v47, v49, s[0:1]
	v_lshl_add_u32 v46, v46, 10, v23
	v_and_b32_e32 v47, 7, v48
	v_and_b32_e32 v46, 0xfc00, v46
	v_cndmask_b32_e64 v44, v44, v47, s[0:1]
	v_and_or_b32 v2, v2, s52, v46
	v_lshl_or_b32 v44, v44, 7, v2
.LBB269_121:                            ;   in Loop: Header=BB269_9 Depth=1
	s_or_b64 exec, exec, s[46:47]
.LBB269_122:                            ;   in Loop: Header=BB269_9 Depth=1
	s_or_b64 exec, exec, s[44:45]
.LBB269_123:                            ;   in Loop: Header=BB269_9 Depth=1
	s_or_b64 exec, exec, s[42:43]
	v_cmp_lt_u32_e64 s[0:1], s53, v16
	v_mov_b32_e32 v47, 0
	v_mov_b32_e32 v46, 0
	s_and_saveexec_b64 s[42:43], s[0:1]
	s_cbranch_execz .LBB269_129
; %bb.124:                              ;   in Loop: Header=BB269_9 Depth=1
	v_lshrrev_b32_e32 v2, 24, v16
	v_cmp_ne_u32_e64 s[0:1], s50, v2
	v_bfrev_b32_e32 v46, 1
	s_and_saveexec_b64 s[44:45], s[0:1]
	s_cbranch_execz .LBB269_128
; %bb.125:                              ;   in Loop: Header=BB269_9 Depth=1
	v_and_b32_e32 v16, 0x7f, v2
	v_cmp_ne_u32_e64 s[0:1], s51, v16
	v_mov_b32_e32 v46, 0x7c010000
	s_and_saveexec_b64 s[46:47], s[0:1]
	s_cbranch_execz .LBB269_127
; %bb.126:                              ;   in Loop: Header=BB269_9 Depth=1
	v_and_b32_e32 v46, 7, v2
	v_ffbh_u32_e32 v48, v46
	v_min_u32_e32 v51, 32, v48
	v_subrev_u32_e32 v48, 28, v51
	v_lshlrev_b64 v[48:49], v48, v[2:3]
	v_lshrrev_b32_e32 v50, 3, v16
	v_sub_u32_e32 v49, 29, v51
	v_cmp_gt_u32_e64 s[0:1], 8, v16
	v_lshlrev_b32_e32 v2, 8, v2
	v_and_b32_e32 v48, 7, v48
	v_cndmask_b32_e64 v16, v50, v49, s[0:1]
	v_lshl_add_u32 v16, v16, 10, v23
	v_and_or_b32 v2, v2, s52, v16
	v_cndmask_b32_e64 v46, v46, v48, s[0:1]
	v_lshlrev_b32_e32 v2, 16, v2
	v_lshl_or_b32 v46, v46, 23, v2
.LBB269_127:                            ;   in Loop: Header=BB269_9 Depth=1
	s_or_b64 exec, exec, s[46:47]
.LBB269_128:                            ;   in Loop: Header=BB269_9 Depth=1
	s_or_b64 exec, exec, s[44:45]
.LBB269_129:                            ;   in Loop: Header=BB269_9 Depth=1
	s_or_b64 exec, exec, s[42:43]
	global_load_dword v16, v[14:15], off offset:1032
	s_waitcnt vmcnt(0)
	v_cmp_ne_u16_sdwa s[0:1], v16, v3 src0_sel:BYTE_0 src1_sel:DWORD
	s_and_saveexec_b64 s[42:43], s[0:1]
	s_cbranch_execz .LBB269_135
; %bb.130:                              ;   in Loop: Header=BB269_9 Depth=1
	v_cmp_ne_u16_sdwa s[0:1], v16, s50 src0_sel:BYTE_0 src1_sel:DWORD
	v_mov_b32_e32 v47, 0x8000
	s_and_saveexec_b64 s[44:45], s[0:1]
	s_cbranch_execz .LBB269_134
; %bb.131:                              ;   in Loop: Header=BB269_9 Depth=1
	v_and_b32_e32 v2, 0x7f, v16
	v_cmp_ne_u32_e64 s[0:1], s51, v2
	v_mov_b32_e32 v47, 0x7c01
	s_and_saveexec_b64 s[46:47], s[0:1]
	s_cbranch_execz .LBB269_133
; %bb.132:                              ;   in Loop: Header=BB269_9 Depth=1
	v_and_b32_e32 v47, 7, v16
	v_ffbh_u32_e32 v48, v47
	v_min_u32_e32 v51, 32, v48
	v_subrev_u32_e32 v48, 28, v51
	v_lshlrev_b64 v[48:49], v48, v[16:17]
	v_lshrrev_b32_e32 v50, 3, v2
	v_sub_u32_e32 v49, 29, v51
	v_cmp_gt_u32_e64 s[0:1], 8, v2
	v_and_b32_e32 v48, 7, v48
	s_nop 0
	v_cndmask_b32_e64 v2, v50, v49, s[0:1]
	v_lshl_add_u32 v2, v2, 10, v23
	v_lshlrev_b32_e32 v49, 8, v16
	v_and_b32_e32 v2, 0xfc00, v2
	v_cndmask_b32_e64 v47, v47, v48, s[0:1]
	v_and_or_b32 v2, v49, s52, v2
	v_lshl_or_b32 v47, v47, 7, v2
.LBB269_133:                            ;   in Loop: Header=BB269_9 Depth=1
	s_or_b64 exec, exec, s[46:47]
.LBB269_134:                            ;   in Loop: Header=BB269_9 Depth=1
	s_or_b64 exec, exec, s[44:45]
.LBB269_135:                            ;   in Loop: Header=BB269_9 Depth=1
	s_or_b64 exec, exec, s[42:43]
	v_lshrrev_b16_e32 v2, 8, v16
	v_cmp_ne_u16_e64 s[0:1], 0, v2
	v_mov_b32_e32 v48, 0
	v_mov_b32_e32 v49, 0
	s_and_saveexec_b64 s[42:43], s[0:1]
	s_cbranch_execz .LBB269_141
; %bb.136:                              ;   in Loop: Header=BB269_9 Depth=1
	v_cmp_ne_u16_e64 s[0:1], s50, v2
	v_bfrev_b32_e32 v49, 1
	s_and_saveexec_b64 s[44:45], s[0:1]
	s_cbranch_execz .LBB269_140
; %bb.137:                              ;   in Loop: Header=BB269_9 Depth=1
	v_and_b32_e32 v50, 0x7f, v2
	v_cmp_ne_u32_e64 s[0:1], s51, v50
	v_mov_b32_e32 v49, 0x7c010000
	s_and_saveexec_b64 s[46:47], s[0:1]
	s_cbranch_execz .LBB269_139
; %bb.138:                              ;   in Loop: Header=BB269_9 Depth=1
	v_and_b32_e32 v49, 7, v2
	v_ffbh_u32_e32 v52, v49
	v_min_u32_e32 v54, 32, v52
	v_subrev_u32_e32 v52, 28, v54
	v_lshlrev_b64 v[52:53], v52, v[2:3]
	v_lshrrev_b32_e32 v51, 3, v50
	v_sub_u32_e32 v53, 29, v54
	v_cmp_gt_u32_e64 s[0:1], 8, v50
	v_lshlrev_b32_e32 v2, 8, v2
	s_nop 0
	v_cndmask_b32_e64 v50, v51, v53, s[0:1]
	v_lshl_add_u32 v50, v50, 10, v23
	v_and_b32_e32 v51, 7, v52
	v_and_or_b32 v2, v2, s52, v50
	v_cndmask_b32_e64 v49, v49, v51, s[0:1]
	v_lshlrev_b32_e32 v2, 16, v2
	v_lshl_or_b32 v49, v49, 23, v2
.LBB269_139:                            ;   in Loop: Header=BB269_9 Depth=1
	s_or_b64 exec, exec, s[46:47]
.LBB269_140:                            ;   in Loop: Header=BB269_9 Depth=1
	s_or_b64 exec, exec, s[44:45]
.LBB269_141:                            ;   in Loop: Header=BB269_9 Depth=1
	s_or_b64 exec, exec, s[42:43]
	v_lshrrev_b32_e32 v2, 16, v16
	v_cmp_ne_u16_sdwa s[0:1], v2, v3 src0_sel:BYTE_0 src1_sel:DWORD
	s_and_saveexec_b64 s[42:43], s[0:1]
	s_cbranch_execz .LBB269_147
; %bb.142:                              ;   in Loop: Header=BB269_9 Depth=1
	v_cmp_ne_u16_sdwa s[0:1], v2, s50 src0_sel:BYTE_0 src1_sel:DWORD
	v_mov_b32_e32 v48, 0x8000
	s_and_saveexec_b64 s[44:45], s[0:1]
	s_cbranch_execz .LBB269_146
; %bb.143:                              ;   in Loop: Header=BB269_9 Depth=1
	v_bfe_u32 v50, v16, 16, 7
	v_cmp_ne_u32_e64 s[0:1], s51, v50
	v_mov_b32_e32 v48, 0x7c01
	s_and_saveexec_b64 s[46:47], s[0:1]
	s_cbranch_execz .LBB269_145
; %bb.144:                              ;   in Loop: Header=BB269_9 Depth=1
	v_and_b32_e32 v48, 7, v2
	v_ffbh_u32_e32 v52, v48
	v_min_u32_e32 v54, 32, v52
	v_subrev_u32_e32 v52, 28, v54
	v_lshlrev_b64 v[52:53], v52, v[2:3]
	v_lshrrev_b32_e32 v51, 3, v50
	v_sub_u32_e32 v53, 29, v54
	v_cmp_gt_u32_e64 s[0:1], 8, v50
	v_lshlrev_b32_e32 v2, 8, v2
	s_nop 0
	v_cndmask_b32_e64 v50, v51, v53, s[0:1]
	v_lshl_add_u32 v50, v50, 10, v23
	v_and_b32_e32 v51, 7, v52
	v_and_b32_e32 v50, 0xfc00, v50
	v_cndmask_b32_e64 v48, v48, v51, s[0:1]
	v_and_or_b32 v2, v2, s52, v50
	v_lshl_or_b32 v48, v48, 7, v2
.LBB269_145:                            ;   in Loop: Header=BB269_9 Depth=1
	s_or_b64 exec, exec, s[46:47]
.LBB269_146:                            ;   in Loop: Header=BB269_9 Depth=1
	s_or_b64 exec, exec, s[44:45]
.LBB269_147:                            ;   in Loop: Header=BB269_9 Depth=1
	s_or_b64 exec, exec, s[42:43]
	v_cmp_lt_u32_e64 s[0:1], s53, v16
	v_mov_b32_e32 v51, 0
	v_mov_b32_e32 v50, 0
	s_and_saveexec_b64 s[42:43], s[0:1]
	s_cbranch_execz .LBB269_153
; %bb.148:                              ;   in Loop: Header=BB269_9 Depth=1
	v_lshrrev_b32_e32 v2, 24, v16
	v_cmp_ne_u32_e64 s[0:1], s50, v2
	v_bfrev_b32_e32 v50, 1
	s_and_saveexec_b64 s[44:45], s[0:1]
	s_cbranch_execz .LBB269_152
; %bb.149:                              ;   in Loop: Header=BB269_9 Depth=1
	v_and_b32_e32 v16, 0x7f, v2
	v_cmp_ne_u32_e64 s[0:1], s51, v16
	v_mov_b32_e32 v50, 0x7c010000
	s_and_saveexec_b64 s[46:47], s[0:1]
	s_cbranch_execz .LBB269_151
; %bb.150:                              ;   in Loop: Header=BB269_9 Depth=1
	v_and_b32_e32 v50, 7, v2
	v_ffbh_u32_e32 v52, v50
	v_min_u32_e32 v55, 32, v52
	v_subrev_u32_e32 v52, 28, v55
	v_lshlrev_b64 v[52:53], v52, v[2:3]
	v_lshrrev_b32_e32 v54, 3, v16
	v_sub_u32_e32 v53, 29, v55
	v_cmp_gt_u32_e64 s[0:1], 8, v16
	v_lshlrev_b32_e32 v2, 8, v2
	v_and_b32_e32 v52, 7, v52
	v_cndmask_b32_e64 v16, v54, v53, s[0:1]
	v_lshl_add_u32 v16, v16, 10, v23
	v_and_or_b32 v2, v2, s52, v16
	v_cndmask_b32_e64 v50, v50, v52, s[0:1]
	v_lshlrev_b32_e32 v2, 16, v2
	v_lshl_or_b32 v50, v50, 23, v2
.LBB269_151:                            ;   in Loop: Header=BB269_9 Depth=1
	s_or_b64 exec, exec, s[46:47]
.LBB269_152:                            ;   in Loop: Header=BB269_9 Depth=1
	s_or_b64 exec, exec, s[44:45]
.LBB269_153:                            ;   in Loop: Header=BB269_9 Depth=1
	s_or_b64 exec, exec, s[42:43]
	global_load_dword v16, v[14:15], off offset:1536
	s_waitcnt vmcnt(0)
	v_cmp_ne_u16_sdwa s[0:1], v16, v3 src0_sel:BYTE_0 src1_sel:DWORD
	s_and_saveexec_b64 s[42:43], s[0:1]
	s_cbranch_execz .LBB269_159
; %bb.154:                              ;   in Loop: Header=BB269_9 Depth=1
	v_cmp_ne_u16_sdwa s[0:1], v16, s50 src0_sel:BYTE_0 src1_sel:DWORD
	v_mov_b32_e32 v51, 0x8000
	s_and_saveexec_b64 s[44:45], s[0:1]
	s_cbranch_execz .LBB269_158
; %bb.155:                              ;   in Loop: Header=BB269_9 Depth=1
	v_and_b32_e32 v2, 0x7f, v16
	v_cmp_ne_u32_e64 s[0:1], s51, v2
	v_mov_b32_e32 v51, 0x7c01
	s_and_saveexec_b64 s[46:47], s[0:1]
	s_cbranch_execz .LBB269_157
; %bb.156:                              ;   in Loop: Header=BB269_9 Depth=1
	v_and_b32_e32 v51, 7, v16
	v_ffbh_u32_e32 v52, v51
	v_min_u32_e32 v55, 32, v52
	v_subrev_u32_e32 v52, 28, v55
	v_lshlrev_b64 v[52:53], v52, v[16:17]
	v_lshrrev_b32_e32 v54, 3, v2
	v_sub_u32_e32 v53, 29, v55
	v_cmp_gt_u32_e64 s[0:1], 8, v2
	v_and_b32_e32 v52, 7, v52
	s_nop 0
	v_cndmask_b32_e64 v2, v54, v53, s[0:1]
	v_lshl_add_u32 v2, v2, 10, v23
	v_lshlrev_b32_e32 v53, 8, v16
	v_and_b32_e32 v2, 0xfc00, v2
	v_cndmask_b32_e64 v51, v51, v52, s[0:1]
	v_and_or_b32 v2, v53, s52, v2
	v_lshl_or_b32 v51, v51, 7, v2
.LBB269_157:                            ;   in Loop: Header=BB269_9 Depth=1
	s_or_b64 exec, exec, s[46:47]
.LBB269_158:                            ;   in Loop: Header=BB269_9 Depth=1
	s_or_b64 exec, exec, s[44:45]
.LBB269_159:                            ;   in Loop: Header=BB269_9 Depth=1
	s_or_b64 exec, exec, s[42:43]
	v_lshrrev_b16_e32 v2, 8, v16
	v_cmp_ne_u16_e64 s[0:1], 0, v2
	v_mov_b32_e32 v52, 0
	v_mov_b32_e32 v53, 0
	s_and_saveexec_b64 s[42:43], s[0:1]
	s_cbranch_execz .LBB269_165
; %bb.160:                              ;   in Loop: Header=BB269_9 Depth=1
	v_cmp_ne_u16_e64 s[0:1], s50, v2
	v_bfrev_b32_e32 v53, 1
	s_and_saveexec_b64 s[44:45], s[0:1]
	s_cbranch_execz .LBB269_164
; %bb.161:                              ;   in Loop: Header=BB269_9 Depth=1
	v_and_b32_e32 v54, 0x7f, v2
	v_cmp_ne_u32_e64 s[0:1], s51, v54
	v_mov_b32_e32 v53, 0x7c010000
	s_and_saveexec_b64 s[46:47], s[0:1]
	s_cbranch_execz .LBB269_163
; %bb.162:                              ;   in Loop: Header=BB269_9 Depth=1
	v_and_b32_e32 v53, 7, v2
	v_ffbh_u32_e32 v56, v53
	v_min_u32_e32 v58, 32, v56
	v_subrev_u32_e32 v56, 28, v58
	v_lshlrev_b64 v[56:57], v56, v[2:3]
	v_lshrrev_b32_e32 v55, 3, v54
	v_sub_u32_e32 v57, 29, v58
	v_cmp_gt_u32_e64 s[0:1], 8, v54
	v_lshlrev_b32_e32 v2, 8, v2
	s_nop 0
	v_cndmask_b32_e64 v54, v55, v57, s[0:1]
	v_lshl_add_u32 v54, v54, 10, v23
	v_and_b32_e32 v55, 7, v56
	v_and_or_b32 v2, v2, s52, v54
	v_cndmask_b32_e64 v53, v53, v55, s[0:1]
	v_lshlrev_b32_e32 v2, 16, v2
	v_lshl_or_b32 v53, v53, 23, v2
.LBB269_163:                            ;   in Loop: Header=BB269_9 Depth=1
	s_or_b64 exec, exec, s[46:47]
.LBB269_164:                            ;   in Loop: Header=BB269_9 Depth=1
	s_or_b64 exec, exec, s[44:45]
.LBB269_165:                            ;   in Loop: Header=BB269_9 Depth=1
	s_or_b64 exec, exec, s[42:43]
	v_lshrrev_b32_e32 v2, 16, v16
	v_cmp_ne_u16_sdwa s[0:1], v2, v3 src0_sel:BYTE_0 src1_sel:DWORD
	s_and_saveexec_b64 s[42:43], s[0:1]
	s_cbranch_execz .LBB269_171
; %bb.166:                              ;   in Loop: Header=BB269_9 Depth=1
	v_cmp_ne_u16_sdwa s[0:1], v2, s50 src0_sel:BYTE_0 src1_sel:DWORD
	v_mov_b32_e32 v52, 0x8000
	s_and_saveexec_b64 s[44:45], s[0:1]
	s_cbranch_execz .LBB269_170
; %bb.167:                              ;   in Loop: Header=BB269_9 Depth=1
	v_bfe_u32 v54, v16, 16, 7
	v_cmp_ne_u32_e64 s[0:1], s51, v54
	v_mov_b32_e32 v52, 0x7c01
	s_and_saveexec_b64 s[46:47], s[0:1]
	s_cbranch_execz .LBB269_169
; %bb.168:                              ;   in Loop: Header=BB269_9 Depth=1
	v_and_b32_e32 v52, 7, v2
	v_ffbh_u32_e32 v56, v52
	v_min_u32_e32 v58, 32, v56
	v_subrev_u32_e32 v56, 28, v58
	v_lshlrev_b64 v[56:57], v56, v[2:3]
	v_lshrrev_b32_e32 v55, 3, v54
	v_sub_u32_e32 v57, 29, v58
	v_cmp_gt_u32_e64 s[0:1], 8, v54
	v_lshlrev_b32_e32 v2, 8, v2
	s_nop 0
	v_cndmask_b32_e64 v54, v55, v57, s[0:1]
	v_lshl_add_u32 v54, v54, 10, v23
	v_and_b32_e32 v55, 7, v56
	v_and_b32_e32 v54, 0xfc00, v54
	v_cndmask_b32_e64 v52, v52, v55, s[0:1]
	v_and_or_b32 v2, v2, s52, v54
	v_lshl_or_b32 v52, v52, 7, v2
.LBB269_169:                            ;   in Loop: Header=BB269_9 Depth=1
	s_or_b64 exec, exec, s[46:47]
.LBB269_170:                            ;   in Loop: Header=BB269_9 Depth=1
	s_or_b64 exec, exec, s[44:45]
.LBB269_171:                            ;   in Loop: Header=BB269_9 Depth=1
	s_or_b64 exec, exec, s[42:43]
	v_cmp_lt_u32_e64 s[0:1], s53, v16
	v_mov_b32_e32 v55, 0
	v_mov_b32_e32 v54, 0
	s_and_saveexec_b64 s[42:43], s[0:1]
	s_cbranch_execz .LBB269_177
; %bb.172:                              ;   in Loop: Header=BB269_9 Depth=1
	v_lshrrev_b32_e32 v2, 24, v16
	v_cmp_ne_u32_e64 s[0:1], s50, v2
	v_bfrev_b32_e32 v54, 1
	s_and_saveexec_b64 s[44:45], s[0:1]
	s_cbranch_execz .LBB269_176
; %bb.173:                              ;   in Loop: Header=BB269_9 Depth=1
	v_and_b32_e32 v16, 0x7f, v2
	v_cmp_ne_u32_e64 s[0:1], s51, v16
	v_mov_b32_e32 v54, 0x7c010000
	s_and_saveexec_b64 s[46:47], s[0:1]
	s_cbranch_execz .LBB269_175
; %bb.174:                              ;   in Loop: Header=BB269_9 Depth=1
	v_and_b32_e32 v54, 7, v2
	v_ffbh_u32_e32 v56, v54
	v_min_u32_e32 v59, 32, v56
	v_subrev_u32_e32 v56, 28, v59
	v_lshlrev_b64 v[56:57], v56, v[2:3]
	v_lshrrev_b32_e32 v58, 3, v16
	v_sub_u32_e32 v57, 29, v59
	v_cmp_gt_u32_e64 s[0:1], 8, v16
	v_lshlrev_b32_e32 v2, 8, v2
	v_and_b32_e32 v56, 7, v56
	v_cndmask_b32_e64 v16, v58, v57, s[0:1]
	v_lshl_add_u32 v16, v16, 10, v23
	v_and_or_b32 v2, v2, s52, v16
	v_cndmask_b32_e64 v54, v54, v56, s[0:1]
	v_lshlrev_b32_e32 v2, 16, v2
	v_lshl_or_b32 v54, v54, 23, v2
.LBB269_175:                            ;   in Loop: Header=BB269_9 Depth=1
	s_or_b64 exec, exec, s[46:47]
.LBB269_176:                            ;   in Loop: Header=BB269_9 Depth=1
	s_or_b64 exec, exec, s[44:45]
.LBB269_177:                            ;   in Loop: Header=BB269_9 Depth=1
	s_or_b64 exec, exec, s[42:43]
	global_load_dword v16, v[14:15], off offset:1544
	s_waitcnt vmcnt(0)
	v_cmp_ne_u16_sdwa s[0:1], v16, v3 src0_sel:BYTE_0 src1_sel:DWORD
	s_and_saveexec_b64 s[42:43], s[0:1]
	s_cbranch_execz .LBB269_183
; %bb.178:                              ;   in Loop: Header=BB269_9 Depth=1
	v_cmp_ne_u16_sdwa s[0:1], v16, s50 src0_sel:BYTE_0 src1_sel:DWORD
	v_mov_b32_e32 v55, 0x8000
	s_and_saveexec_b64 s[44:45], s[0:1]
	s_cbranch_execz .LBB269_182
; %bb.179:                              ;   in Loop: Header=BB269_9 Depth=1
	v_and_b32_e32 v2, 0x7f, v16
	v_cmp_ne_u32_e64 s[0:1], s51, v2
	v_mov_b32_e32 v55, 0x7c01
	s_and_saveexec_b64 s[46:47], s[0:1]
	s_cbranch_execz .LBB269_181
; %bb.180:                              ;   in Loop: Header=BB269_9 Depth=1
	v_and_b32_e32 v55, 7, v16
	v_ffbh_u32_e32 v56, v55
	v_min_u32_e32 v59, 32, v56
	v_subrev_u32_e32 v56, 28, v59
	v_lshlrev_b64 v[56:57], v56, v[16:17]
	v_lshrrev_b32_e32 v58, 3, v2
	v_sub_u32_e32 v57, 29, v59
	v_cmp_gt_u32_e64 s[0:1], 8, v2
	v_and_b32_e32 v56, 7, v56
	s_nop 0
	v_cndmask_b32_e64 v2, v58, v57, s[0:1]
	v_lshl_add_u32 v2, v2, 10, v23
	v_lshlrev_b32_e32 v57, 8, v16
	v_and_b32_e32 v2, 0xfc00, v2
	v_cndmask_b32_e64 v55, v55, v56, s[0:1]
	v_and_or_b32 v2, v57, s52, v2
	v_lshl_or_b32 v55, v55, 7, v2
.LBB269_181:                            ;   in Loop: Header=BB269_9 Depth=1
	s_or_b64 exec, exec, s[46:47]
.LBB269_182:                            ;   in Loop: Header=BB269_9 Depth=1
	s_or_b64 exec, exec, s[44:45]
.LBB269_183:                            ;   in Loop: Header=BB269_9 Depth=1
	s_or_b64 exec, exec, s[42:43]
	v_lshrrev_b16_e32 v2, 8, v16
	v_cmp_ne_u16_e64 s[0:1], 0, v2
	v_mov_b32_e32 v56, 0
	v_mov_b32_e32 v57, 0
	s_and_saveexec_b64 s[42:43], s[0:1]
	s_cbranch_execz .LBB269_189
; %bb.184:                              ;   in Loop: Header=BB269_9 Depth=1
	v_cmp_ne_u16_e64 s[0:1], s50, v2
	v_bfrev_b32_e32 v57, 1
	s_and_saveexec_b64 s[44:45], s[0:1]
	s_cbranch_execz .LBB269_188
; %bb.185:                              ;   in Loop: Header=BB269_9 Depth=1
	v_and_b32_e32 v58, 0x7f, v2
	v_cmp_ne_u32_e64 s[0:1], s51, v58
	v_mov_b32_e32 v57, 0x7c010000
	s_and_saveexec_b64 s[46:47], s[0:1]
	s_cbranch_execz .LBB269_187
; %bb.186:                              ;   in Loop: Header=BB269_9 Depth=1
	v_and_b32_e32 v57, 7, v2
	v_ffbh_u32_e32 v60, v57
	v_min_u32_e32 v62, 32, v60
	v_subrev_u32_e32 v60, 28, v62
	v_lshlrev_b64 v[60:61], v60, v[2:3]
	v_lshrrev_b32_e32 v59, 3, v58
	v_sub_u32_e32 v61, 29, v62
	v_cmp_gt_u32_e64 s[0:1], 8, v58
	v_lshlrev_b32_e32 v2, 8, v2
	s_nop 0
	v_cndmask_b32_e64 v58, v59, v61, s[0:1]
	v_lshl_add_u32 v58, v58, 10, v23
	v_and_b32_e32 v59, 7, v60
	v_and_or_b32 v2, v2, s52, v58
	v_cndmask_b32_e64 v57, v57, v59, s[0:1]
	v_lshlrev_b32_e32 v2, 16, v2
	v_lshl_or_b32 v57, v57, 23, v2
.LBB269_187:                            ;   in Loop: Header=BB269_9 Depth=1
	s_or_b64 exec, exec, s[46:47]
.LBB269_188:                            ;   in Loop: Header=BB269_9 Depth=1
	s_or_b64 exec, exec, s[44:45]
.LBB269_189:                            ;   in Loop: Header=BB269_9 Depth=1
	s_or_b64 exec, exec, s[42:43]
	v_lshrrev_b32_e32 v2, 16, v16
	v_cmp_ne_u16_sdwa s[0:1], v2, v3 src0_sel:BYTE_0 src1_sel:DWORD
	s_and_saveexec_b64 s[42:43], s[0:1]
	s_cbranch_execz .LBB269_195
; %bb.190:                              ;   in Loop: Header=BB269_9 Depth=1
	v_cmp_ne_u16_sdwa s[0:1], v2, s50 src0_sel:BYTE_0 src1_sel:DWORD
	v_mov_b32_e32 v56, 0x8000
	s_and_saveexec_b64 s[44:45], s[0:1]
	s_cbranch_execz .LBB269_194
; %bb.191:                              ;   in Loop: Header=BB269_9 Depth=1
	v_bfe_u32 v58, v16, 16, 7
	v_cmp_ne_u32_e64 s[0:1], s51, v58
	v_mov_b32_e32 v56, 0x7c01
	s_and_saveexec_b64 s[46:47], s[0:1]
	s_cbranch_execz .LBB269_193
; %bb.192:                              ;   in Loop: Header=BB269_9 Depth=1
	v_and_b32_e32 v56, 7, v2
	v_ffbh_u32_e32 v60, v56
	v_min_u32_e32 v62, 32, v60
	v_subrev_u32_e32 v60, 28, v62
	v_lshlrev_b64 v[60:61], v60, v[2:3]
	v_lshrrev_b32_e32 v59, 3, v58
	v_sub_u32_e32 v61, 29, v62
	v_cmp_gt_u32_e64 s[0:1], 8, v58
	v_lshlrev_b32_e32 v2, 8, v2
	s_nop 0
	v_cndmask_b32_e64 v58, v59, v61, s[0:1]
	v_lshl_add_u32 v58, v58, 10, v23
	v_and_b32_e32 v59, 7, v60
	v_and_b32_e32 v58, 0xfc00, v58
	v_cndmask_b32_e64 v56, v56, v59, s[0:1]
	v_and_or_b32 v2, v2, s52, v58
	v_lshl_or_b32 v56, v56, 7, v2
.LBB269_193:                            ;   in Loop: Header=BB269_9 Depth=1
	s_or_b64 exec, exec, s[46:47]
.LBB269_194:                            ;   in Loop: Header=BB269_9 Depth=1
	s_or_b64 exec, exec, s[44:45]
.LBB269_195:                            ;   in Loop: Header=BB269_9 Depth=1
	s_or_b64 exec, exec, s[42:43]
	v_cmp_lt_u32_e64 s[0:1], s53, v16
	v_mov_b32_e32 v59, 0
	v_mov_b32_e32 v58, 0
	s_and_saveexec_b64 s[42:43], s[0:1]
	s_cbranch_execz .LBB269_201
; %bb.196:                              ;   in Loop: Header=BB269_9 Depth=1
	v_lshrrev_b32_e32 v2, 24, v16
	v_cmp_ne_u32_e64 s[0:1], s50, v2
	v_bfrev_b32_e32 v58, 1
	s_and_saveexec_b64 s[44:45], s[0:1]
	s_cbranch_execz .LBB269_200
; %bb.197:                              ;   in Loop: Header=BB269_9 Depth=1
	v_and_b32_e32 v16, 0x7f, v2
	v_cmp_ne_u32_e64 s[0:1], s51, v16
	v_mov_b32_e32 v58, 0x7c010000
	s_and_saveexec_b64 s[46:47], s[0:1]
	s_cbranch_execz .LBB269_199
; %bb.198:                              ;   in Loop: Header=BB269_9 Depth=1
	v_and_b32_e32 v58, 7, v2
	v_ffbh_u32_e32 v60, v58
	v_min_u32_e32 v63, 32, v60
	v_subrev_u32_e32 v60, 28, v63
	v_lshlrev_b64 v[60:61], v60, v[2:3]
	v_lshrrev_b32_e32 v62, 3, v16
	v_sub_u32_e32 v61, 29, v63
	v_cmp_gt_u32_e64 s[0:1], 8, v16
	v_lshlrev_b32_e32 v2, 8, v2
	v_and_b32_e32 v60, 7, v60
	v_cndmask_b32_e64 v16, v62, v61, s[0:1]
	v_lshl_add_u32 v16, v16, 10, v23
	v_and_or_b32 v2, v2, s52, v16
	v_cndmask_b32_e64 v58, v58, v60, s[0:1]
	v_lshlrev_b32_e32 v2, 16, v2
	v_lshl_or_b32 v58, v58, 23, v2
.LBB269_199:                            ;   in Loop: Header=BB269_9 Depth=1
	s_or_b64 exec, exec, s[46:47]
.LBB269_200:                            ;   in Loop: Header=BB269_9 Depth=1
	s_or_b64 exec, exec, s[44:45]
.LBB269_201:                            ;   in Loop: Header=BB269_9 Depth=1
	s_or_b64 exec, exec, s[42:43]
	global_load_dword v16, v[14:15], off offset:2048
	s_waitcnt vmcnt(0)
	v_cmp_ne_u16_sdwa s[0:1], v16, v3 src0_sel:BYTE_0 src1_sel:DWORD
	s_and_saveexec_b64 s[42:43], s[0:1]
	s_cbranch_execz .LBB269_207
; %bb.202:                              ;   in Loop: Header=BB269_9 Depth=1
	v_cmp_ne_u16_sdwa s[0:1], v16, s50 src0_sel:BYTE_0 src1_sel:DWORD
	v_mov_b32_e32 v59, 0x8000
	s_and_saveexec_b64 s[44:45], s[0:1]
	s_cbranch_execz .LBB269_206
; %bb.203:                              ;   in Loop: Header=BB269_9 Depth=1
	v_and_b32_e32 v2, 0x7f, v16
	v_cmp_ne_u32_e64 s[0:1], s51, v2
	v_mov_b32_e32 v59, 0x7c01
	s_and_saveexec_b64 s[46:47], s[0:1]
	s_cbranch_execz .LBB269_205
; %bb.204:                              ;   in Loop: Header=BB269_9 Depth=1
	v_and_b32_e32 v59, 7, v16
	v_ffbh_u32_e32 v60, v59
	v_min_u32_e32 v63, 32, v60
	v_subrev_u32_e32 v60, 28, v63
	v_lshlrev_b64 v[60:61], v60, v[16:17]
	v_lshrrev_b32_e32 v62, 3, v2
	v_sub_u32_e32 v61, 29, v63
	v_cmp_gt_u32_e64 s[0:1], 8, v2
	v_and_b32_e32 v60, 7, v60
	s_nop 0
	v_cndmask_b32_e64 v2, v62, v61, s[0:1]
	v_lshl_add_u32 v2, v2, 10, v23
	v_lshlrev_b32_e32 v61, 8, v16
	v_and_b32_e32 v2, 0xfc00, v2
	v_cndmask_b32_e64 v59, v59, v60, s[0:1]
	v_and_or_b32 v2, v61, s52, v2
	v_lshl_or_b32 v59, v59, 7, v2
.LBB269_205:                            ;   in Loop: Header=BB269_9 Depth=1
	s_or_b64 exec, exec, s[46:47]
.LBB269_206:                            ;   in Loop: Header=BB269_9 Depth=1
	s_or_b64 exec, exec, s[44:45]
.LBB269_207:                            ;   in Loop: Header=BB269_9 Depth=1
	s_or_b64 exec, exec, s[42:43]
	v_lshrrev_b16_e32 v2, 8, v16
	v_cmp_ne_u16_e64 s[0:1], 0, v2
	v_mov_b32_e32 v60, 0
	v_mov_b32_e32 v61, 0
	s_and_saveexec_b64 s[42:43], s[0:1]
	s_cbranch_execz .LBB269_213
; %bb.208:                              ;   in Loop: Header=BB269_9 Depth=1
	v_cmp_ne_u16_e64 s[0:1], s50, v2
	v_bfrev_b32_e32 v61, 1
	s_and_saveexec_b64 s[44:45], s[0:1]
	s_cbranch_execz .LBB269_212
; %bb.209:                              ;   in Loop: Header=BB269_9 Depth=1
	v_and_b32_e32 v62, 0x7f, v2
	v_cmp_ne_u32_e64 s[0:1], s51, v62
	v_mov_b32_e32 v61, 0x7c010000
	s_and_saveexec_b64 s[46:47], s[0:1]
	s_cbranch_execz .LBB269_211
; %bb.210:                              ;   in Loop: Header=BB269_9 Depth=1
	v_and_b32_e32 v61, 7, v2
	v_ffbh_u32_e32 v64, v61
	v_min_u32_e32 v66, 32, v64
	v_subrev_u32_e32 v64, 28, v66
	v_lshlrev_b64 v[64:65], v64, v[2:3]
	v_lshrrev_b32_e32 v63, 3, v62
	v_sub_u32_e32 v65, 29, v66
	v_cmp_gt_u32_e64 s[0:1], 8, v62
	v_lshlrev_b32_e32 v2, 8, v2
	s_nop 0
	v_cndmask_b32_e64 v62, v63, v65, s[0:1]
	v_lshl_add_u32 v62, v62, 10, v23
	v_and_b32_e32 v63, 7, v64
	v_and_or_b32 v2, v2, s52, v62
	v_cndmask_b32_e64 v61, v61, v63, s[0:1]
	v_lshlrev_b32_e32 v2, 16, v2
	v_lshl_or_b32 v61, v61, 23, v2
.LBB269_211:                            ;   in Loop: Header=BB269_9 Depth=1
	s_or_b64 exec, exec, s[46:47]
.LBB269_212:                            ;   in Loop: Header=BB269_9 Depth=1
	s_or_b64 exec, exec, s[44:45]
.LBB269_213:                            ;   in Loop: Header=BB269_9 Depth=1
	s_or_b64 exec, exec, s[42:43]
	v_lshrrev_b32_e32 v2, 16, v16
	v_cmp_ne_u16_sdwa s[0:1], v2, v3 src0_sel:BYTE_0 src1_sel:DWORD
	s_and_saveexec_b64 s[42:43], s[0:1]
	s_cbranch_execz .LBB269_219
; %bb.214:                              ;   in Loop: Header=BB269_9 Depth=1
	v_cmp_ne_u16_sdwa s[0:1], v2, s50 src0_sel:BYTE_0 src1_sel:DWORD
	v_mov_b32_e32 v60, 0x8000
	s_and_saveexec_b64 s[44:45], s[0:1]
	s_cbranch_execz .LBB269_218
; %bb.215:                              ;   in Loop: Header=BB269_9 Depth=1
	v_bfe_u32 v62, v16, 16, 7
	v_cmp_ne_u32_e64 s[0:1], s51, v62
	v_mov_b32_e32 v60, 0x7c01
	s_and_saveexec_b64 s[46:47], s[0:1]
	s_cbranch_execz .LBB269_217
; %bb.216:                              ;   in Loop: Header=BB269_9 Depth=1
	v_and_b32_e32 v60, 7, v2
	v_ffbh_u32_e32 v64, v60
	v_min_u32_e32 v66, 32, v64
	v_subrev_u32_e32 v64, 28, v66
	v_lshlrev_b64 v[64:65], v64, v[2:3]
	v_lshrrev_b32_e32 v63, 3, v62
	v_sub_u32_e32 v65, 29, v66
	v_cmp_gt_u32_e64 s[0:1], 8, v62
	v_lshlrev_b32_e32 v2, 8, v2
	s_nop 0
	v_cndmask_b32_e64 v62, v63, v65, s[0:1]
	v_lshl_add_u32 v62, v62, 10, v23
	v_and_b32_e32 v63, 7, v64
	v_and_b32_e32 v62, 0xfc00, v62
	v_cndmask_b32_e64 v60, v60, v63, s[0:1]
	v_and_or_b32 v2, v2, s52, v62
	v_lshl_or_b32 v60, v60, 7, v2
.LBB269_217:                            ;   in Loop: Header=BB269_9 Depth=1
	s_or_b64 exec, exec, s[46:47]
.LBB269_218:                            ;   in Loop: Header=BB269_9 Depth=1
	s_or_b64 exec, exec, s[44:45]
.LBB269_219:                            ;   in Loop: Header=BB269_9 Depth=1
	s_or_b64 exec, exec, s[42:43]
	v_cmp_lt_u32_e64 s[0:1], s53, v16
	v_mov_b32_e32 v63, 0
	v_mov_b32_e32 v62, 0
	s_and_saveexec_b64 s[42:43], s[0:1]
	s_cbranch_execz .LBB269_225
; %bb.220:                              ;   in Loop: Header=BB269_9 Depth=1
	v_lshrrev_b32_e32 v2, 24, v16
	v_cmp_ne_u32_e64 s[0:1], s50, v2
	v_bfrev_b32_e32 v62, 1
	s_and_saveexec_b64 s[44:45], s[0:1]
	s_cbranch_execz .LBB269_224
; %bb.221:                              ;   in Loop: Header=BB269_9 Depth=1
	v_and_b32_e32 v16, 0x7f, v2
	v_cmp_ne_u32_e64 s[0:1], s51, v16
	v_mov_b32_e32 v62, 0x7c010000
	s_and_saveexec_b64 s[46:47], s[0:1]
	s_cbranch_execz .LBB269_223
; %bb.222:                              ;   in Loop: Header=BB269_9 Depth=1
	v_and_b32_e32 v62, 7, v2
	v_ffbh_u32_e32 v64, v62
	v_min_u32_e32 v67, 32, v64
	v_subrev_u32_e32 v64, 28, v67
	v_lshlrev_b64 v[64:65], v64, v[2:3]
	v_lshrrev_b32_e32 v66, 3, v16
	v_sub_u32_e32 v65, 29, v67
	v_cmp_gt_u32_e64 s[0:1], 8, v16
	v_lshlrev_b32_e32 v2, 8, v2
	v_and_b32_e32 v64, 7, v64
	v_cndmask_b32_e64 v16, v66, v65, s[0:1]
	v_lshl_add_u32 v16, v16, 10, v23
	v_and_or_b32 v2, v2, s52, v16
	v_cndmask_b32_e64 v62, v62, v64, s[0:1]
	v_lshlrev_b32_e32 v2, 16, v2
	v_lshl_or_b32 v62, v62, 23, v2
.LBB269_223:                            ;   in Loop: Header=BB269_9 Depth=1
	s_or_b64 exec, exec, s[46:47]
.LBB269_224:                            ;   in Loop: Header=BB269_9 Depth=1
	s_or_b64 exec, exec, s[44:45]
.LBB269_225:                            ;   in Loop: Header=BB269_9 Depth=1
	s_or_b64 exec, exec, s[42:43]
	global_load_dword v16, v[14:15], off offset:2056
	s_waitcnt vmcnt(0)
	v_cmp_ne_u16_sdwa s[0:1], v16, v3 src0_sel:BYTE_0 src1_sel:DWORD
	s_and_saveexec_b64 s[42:43], s[0:1]
	s_cbranch_execz .LBB269_231
; %bb.226:                              ;   in Loop: Header=BB269_9 Depth=1
	v_cmp_ne_u16_sdwa s[0:1], v16, s50 src0_sel:BYTE_0 src1_sel:DWORD
	v_mov_b32_e32 v63, 0x8000
	s_and_saveexec_b64 s[44:45], s[0:1]
	s_cbranch_execz .LBB269_230
; %bb.227:                              ;   in Loop: Header=BB269_9 Depth=1
	v_and_b32_e32 v2, 0x7f, v16
	v_cmp_ne_u32_e64 s[0:1], s51, v2
	v_mov_b32_e32 v63, 0x7c01
	s_and_saveexec_b64 s[46:47], s[0:1]
	s_cbranch_execz .LBB269_229
; %bb.228:                              ;   in Loop: Header=BB269_9 Depth=1
	v_and_b32_e32 v63, 7, v16
	v_ffbh_u32_e32 v64, v63
	v_min_u32_e32 v67, 32, v64
	v_subrev_u32_e32 v64, 28, v67
	v_lshlrev_b64 v[64:65], v64, v[16:17]
	v_lshrrev_b32_e32 v66, 3, v2
	v_sub_u32_e32 v65, 29, v67
	v_cmp_gt_u32_e64 s[0:1], 8, v2
	v_and_b32_e32 v64, 7, v64
	s_nop 0
	v_cndmask_b32_e64 v2, v66, v65, s[0:1]
	v_lshl_add_u32 v2, v2, 10, v23
	v_lshlrev_b32_e32 v65, 8, v16
	v_and_b32_e32 v2, 0xfc00, v2
	v_cndmask_b32_e64 v63, v63, v64, s[0:1]
	v_and_or_b32 v2, v65, s52, v2
	v_lshl_or_b32 v63, v63, 7, v2
.LBB269_229:                            ;   in Loop: Header=BB269_9 Depth=1
	s_or_b64 exec, exec, s[46:47]
.LBB269_230:                            ;   in Loop: Header=BB269_9 Depth=1
	s_or_b64 exec, exec, s[44:45]
.LBB269_231:                            ;   in Loop: Header=BB269_9 Depth=1
	s_or_b64 exec, exec, s[42:43]
	v_lshrrev_b16_e32 v2, 8, v16
	v_cmp_ne_u16_e64 s[0:1], 0, v2
	v_mov_b32_e32 v64, 0
	v_mov_b32_e32 v65, 0
	s_and_saveexec_b64 s[42:43], s[0:1]
	s_cbranch_execz .LBB269_237
; %bb.232:                              ;   in Loop: Header=BB269_9 Depth=1
	v_cmp_ne_u16_e64 s[0:1], s50, v2
	v_bfrev_b32_e32 v65, 1
	s_and_saveexec_b64 s[44:45], s[0:1]
	s_cbranch_execz .LBB269_236
; %bb.233:                              ;   in Loop: Header=BB269_9 Depth=1
	v_and_b32_e32 v66, 0x7f, v2
	v_cmp_ne_u32_e64 s[0:1], s51, v66
	v_mov_b32_e32 v65, 0x7c010000
	s_and_saveexec_b64 s[46:47], s[0:1]
	s_cbranch_execz .LBB269_235
; %bb.234:                              ;   in Loop: Header=BB269_9 Depth=1
	v_and_b32_e32 v65, 7, v2
	v_ffbh_u32_e32 v68, v65
	v_min_u32_e32 v70, 32, v68
	v_subrev_u32_e32 v68, 28, v70
	v_lshlrev_b64 v[68:69], v68, v[2:3]
	v_lshrrev_b32_e32 v67, 3, v66
	v_sub_u32_e32 v69, 29, v70
	v_cmp_gt_u32_e64 s[0:1], 8, v66
	v_lshlrev_b32_e32 v2, 8, v2
	s_nop 0
	v_cndmask_b32_e64 v66, v67, v69, s[0:1]
	v_lshl_add_u32 v66, v66, 10, v23
	v_and_b32_e32 v67, 7, v68
	v_and_or_b32 v2, v2, s52, v66
	v_cndmask_b32_e64 v65, v65, v67, s[0:1]
	v_lshlrev_b32_e32 v2, 16, v2
	v_lshl_or_b32 v65, v65, 23, v2
.LBB269_235:                            ;   in Loop: Header=BB269_9 Depth=1
	s_or_b64 exec, exec, s[46:47]
.LBB269_236:                            ;   in Loop: Header=BB269_9 Depth=1
	s_or_b64 exec, exec, s[44:45]
.LBB269_237:                            ;   in Loop: Header=BB269_9 Depth=1
	s_or_b64 exec, exec, s[42:43]
	v_lshrrev_b32_e32 v2, 16, v16
	v_cmp_ne_u16_sdwa s[0:1], v2, v3 src0_sel:BYTE_0 src1_sel:DWORD
	s_and_saveexec_b64 s[42:43], s[0:1]
	s_cbranch_execz .LBB269_243
; %bb.238:                              ;   in Loop: Header=BB269_9 Depth=1
	v_cmp_ne_u16_sdwa s[0:1], v2, s50 src0_sel:BYTE_0 src1_sel:DWORD
	v_mov_b32_e32 v64, 0x8000
	s_and_saveexec_b64 s[44:45], s[0:1]
	s_cbranch_execz .LBB269_242
; %bb.239:                              ;   in Loop: Header=BB269_9 Depth=1
	v_bfe_u32 v66, v16, 16, 7
	v_cmp_ne_u32_e64 s[0:1], s51, v66
	v_mov_b32_e32 v64, 0x7c01
	s_and_saveexec_b64 s[46:47], s[0:1]
	s_cbranch_execz .LBB269_241
; %bb.240:                              ;   in Loop: Header=BB269_9 Depth=1
	v_and_b32_e32 v64, 7, v2
	v_ffbh_u32_e32 v68, v64
	v_min_u32_e32 v70, 32, v68
	v_subrev_u32_e32 v68, 28, v70
	v_lshlrev_b64 v[68:69], v68, v[2:3]
	v_lshrrev_b32_e32 v67, 3, v66
	v_sub_u32_e32 v69, 29, v70
	v_cmp_gt_u32_e64 s[0:1], 8, v66
	v_lshlrev_b32_e32 v2, 8, v2
	s_nop 0
	v_cndmask_b32_e64 v66, v67, v69, s[0:1]
	v_lshl_add_u32 v66, v66, 10, v23
	v_and_b32_e32 v67, 7, v68
	v_and_b32_e32 v66, 0xfc00, v66
	v_cndmask_b32_e64 v64, v64, v67, s[0:1]
	v_and_or_b32 v2, v2, s52, v66
	v_lshl_or_b32 v64, v64, 7, v2
.LBB269_241:                            ;   in Loop: Header=BB269_9 Depth=1
	s_or_b64 exec, exec, s[46:47]
.LBB269_242:                            ;   in Loop: Header=BB269_9 Depth=1
	s_or_b64 exec, exec, s[44:45]
.LBB269_243:                            ;   in Loop: Header=BB269_9 Depth=1
	s_or_b64 exec, exec, s[42:43]
	v_cmp_lt_u32_e64 s[0:1], s53, v16
	v_mov_b32_e32 v67, 0
	v_mov_b32_e32 v66, 0
	s_and_saveexec_b64 s[42:43], s[0:1]
	s_cbranch_execz .LBB269_249
; %bb.244:                              ;   in Loop: Header=BB269_9 Depth=1
	v_lshrrev_b32_e32 v2, 24, v16
	v_cmp_ne_u32_e64 s[0:1], s50, v2
	v_bfrev_b32_e32 v66, 1
	s_and_saveexec_b64 s[44:45], s[0:1]
	s_cbranch_execz .LBB269_248
; %bb.245:                              ;   in Loop: Header=BB269_9 Depth=1
	v_and_b32_e32 v16, 0x7f, v2
	v_cmp_ne_u32_e64 s[0:1], s51, v16
	v_mov_b32_e32 v66, 0x7c010000
	s_and_saveexec_b64 s[46:47], s[0:1]
	s_cbranch_execz .LBB269_247
; %bb.246:                              ;   in Loop: Header=BB269_9 Depth=1
	v_and_b32_e32 v66, 7, v2
	v_ffbh_u32_e32 v68, v66
	v_min_u32_e32 v71, 32, v68
	v_subrev_u32_e32 v68, 28, v71
	v_lshlrev_b64 v[68:69], v68, v[2:3]
	v_lshrrev_b32_e32 v70, 3, v16
	v_sub_u32_e32 v69, 29, v71
	v_cmp_gt_u32_e64 s[0:1], 8, v16
	v_lshlrev_b32_e32 v2, 8, v2
	v_and_b32_e32 v68, 7, v68
	v_cndmask_b32_e64 v16, v70, v69, s[0:1]
	v_lshl_add_u32 v16, v16, 10, v23
	v_and_or_b32 v2, v2, s52, v16
	v_cndmask_b32_e64 v66, v66, v68, s[0:1]
	v_lshlrev_b32_e32 v2, 16, v2
	v_lshl_or_b32 v66, v66, 23, v2
.LBB269_247:                            ;   in Loop: Header=BB269_9 Depth=1
	s_or_b64 exec, exec, s[46:47]
.LBB269_248:                            ;   in Loop: Header=BB269_9 Depth=1
	s_or_b64 exec, exec, s[44:45]
.LBB269_249:                            ;   in Loop: Header=BB269_9 Depth=1
	s_or_b64 exec, exec, s[42:43]
	global_load_dword v16, v[14:15], off offset:2560
	s_waitcnt vmcnt(0)
	v_cmp_ne_u16_sdwa s[0:1], v16, v3 src0_sel:BYTE_0 src1_sel:DWORD
	s_and_saveexec_b64 s[42:43], s[0:1]
	s_cbranch_execz .LBB269_255
; %bb.250:                              ;   in Loop: Header=BB269_9 Depth=1
	v_cmp_ne_u16_sdwa s[0:1], v16, s50 src0_sel:BYTE_0 src1_sel:DWORD
	v_mov_b32_e32 v67, 0x8000
	s_and_saveexec_b64 s[44:45], s[0:1]
	s_cbranch_execz .LBB269_254
; %bb.251:                              ;   in Loop: Header=BB269_9 Depth=1
	v_and_b32_e32 v2, 0x7f, v16
	v_cmp_ne_u32_e64 s[0:1], s51, v2
	v_mov_b32_e32 v67, 0x7c01
	s_and_saveexec_b64 s[46:47], s[0:1]
	s_cbranch_execz .LBB269_253
; %bb.252:                              ;   in Loop: Header=BB269_9 Depth=1
	v_and_b32_e32 v67, 7, v16
	v_ffbh_u32_e32 v68, v67
	v_min_u32_e32 v71, 32, v68
	v_subrev_u32_e32 v68, 28, v71
	v_lshlrev_b64 v[68:69], v68, v[16:17]
	v_lshrrev_b32_e32 v70, 3, v2
	v_sub_u32_e32 v69, 29, v71
	v_cmp_gt_u32_e64 s[0:1], 8, v2
	v_and_b32_e32 v68, 7, v68
	s_nop 0
	v_cndmask_b32_e64 v2, v70, v69, s[0:1]
	v_lshl_add_u32 v2, v2, 10, v23
	v_lshlrev_b32_e32 v69, 8, v16
	v_and_b32_e32 v2, 0xfc00, v2
	v_cndmask_b32_e64 v67, v67, v68, s[0:1]
	v_and_or_b32 v2, v69, s52, v2
	v_lshl_or_b32 v67, v67, 7, v2
.LBB269_253:                            ;   in Loop: Header=BB269_9 Depth=1
	s_or_b64 exec, exec, s[46:47]
.LBB269_254:                            ;   in Loop: Header=BB269_9 Depth=1
	s_or_b64 exec, exec, s[44:45]
.LBB269_255:                            ;   in Loop: Header=BB269_9 Depth=1
	s_or_b64 exec, exec, s[42:43]
	v_lshrrev_b16_e32 v2, 8, v16
	v_cmp_ne_u16_e64 s[0:1], 0, v2
	v_mov_b32_e32 v68, 0
	v_mov_b32_e32 v69, 0
	s_and_saveexec_b64 s[42:43], s[0:1]
	s_cbranch_execz .LBB269_261
; %bb.256:                              ;   in Loop: Header=BB269_9 Depth=1
	v_cmp_ne_u16_e64 s[0:1], s50, v2
	v_bfrev_b32_e32 v69, 1
	s_and_saveexec_b64 s[44:45], s[0:1]
	s_cbranch_execz .LBB269_260
; %bb.257:                              ;   in Loop: Header=BB269_9 Depth=1
	v_and_b32_e32 v70, 0x7f, v2
	v_cmp_ne_u32_e64 s[0:1], s51, v70
	v_mov_b32_e32 v69, 0x7c010000
	s_and_saveexec_b64 s[46:47], s[0:1]
	s_cbranch_execz .LBB269_259
; %bb.258:                              ;   in Loop: Header=BB269_9 Depth=1
	v_and_b32_e32 v69, 7, v2
	v_ffbh_u32_e32 v72, v69
	v_min_u32_e32 v74, 32, v72
	v_subrev_u32_e32 v72, 28, v74
	v_lshlrev_b64 v[72:73], v72, v[2:3]
	v_lshrrev_b32_e32 v71, 3, v70
	v_sub_u32_e32 v73, 29, v74
	v_cmp_gt_u32_e64 s[0:1], 8, v70
	v_lshlrev_b32_e32 v2, 8, v2
	s_nop 0
	v_cndmask_b32_e64 v70, v71, v73, s[0:1]
	v_lshl_add_u32 v70, v70, 10, v23
	v_and_b32_e32 v71, 7, v72
	v_and_or_b32 v2, v2, s52, v70
	v_cndmask_b32_e64 v69, v69, v71, s[0:1]
	v_lshlrev_b32_e32 v2, 16, v2
	v_lshl_or_b32 v69, v69, 23, v2
.LBB269_259:                            ;   in Loop: Header=BB269_9 Depth=1
	s_or_b64 exec, exec, s[46:47]
.LBB269_260:                            ;   in Loop: Header=BB269_9 Depth=1
	s_or_b64 exec, exec, s[44:45]
.LBB269_261:                            ;   in Loop: Header=BB269_9 Depth=1
	s_or_b64 exec, exec, s[42:43]
	v_lshrrev_b32_e32 v2, 16, v16
	v_cmp_ne_u16_sdwa s[0:1], v2, v3 src0_sel:BYTE_0 src1_sel:DWORD
	s_and_saveexec_b64 s[42:43], s[0:1]
	s_cbranch_execz .LBB269_267
; %bb.262:                              ;   in Loop: Header=BB269_9 Depth=1
	v_cmp_ne_u16_sdwa s[0:1], v2, s50 src0_sel:BYTE_0 src1_sel:DWORD
	v_mov_b32_e32 v68, 0x8000
	s_and_saveexec_b64 s[44:45], s[0:1]
	s_cbranch_execz .LBB269_266
; %bb.263:                              ;   in Loop: Header=BB269_9 Depth=1
	v_bfe_u32 v70, v16, 16, 7
	v_cmp_ne_u32_e64 s[0:1], s51, v70
	v_mov_b32_e32 v68, 0x7c01
	s_and_saveexec_b64 s[46:47], s[0:1]
	s_cbranch_execz .LBB269_265
; %bb.264:                              ;   in Loop: Header=BB269_9 Depth=1
	v_and_b32_e32 v68, 7, v2
	v_ffbh_u32_e32 v72, v68
	v_min_u32_e32 v74, 32, v72
	v_subrev_u32_e32 v72, 28, v74
	v_lshlrev_b64 v[72:73], v72, v[2:3]
	v_lshrrev_b32_e32 v71, 3, v70
	v_sub_u32_e32 v73, 29, v74
	v_cmp_gt_u32_e64 s[0:1], 8, v70
	v_lshlrev_b32_e32 v2, 8, v2
	s_nop 0
	v_cndmask_b32_e64 v70, v71, v73, s[0:1]
	v_lshl_add_u32 v70, v70, 10, v23
	v_and_b32_e32 v71, 7, v72
	v_and_b32_e32 v70, 0xfc00, v70
	v_cndmask_b32_e64 v68, v68, v71, s[0:1]
	v_and_or_b32 v2, v2, s52, v70
	v_lshl_or_b32 v68, v68, 7, v2
.LBB269_265:                            ;   in Loop: Header=BB269_9 Depth=1
	s_or_b64 exec, exec, s[46:47]
.LBB269_266:                            ;   in Loop: Header=BB269_9 Depth=1
	s_or_b64 exec, exec, s[44:45]
.LBB269_267:                            ;   in Loop: Header=BB269_9 Depth=1
	s_or_b64 exec, exec, s[42:43]
	v_cmp_lt_u32_e64 s[0:1], s53, v16
	v_mov_b32_e32 v71, 0
	v_mov_b32_e32 v70, 0
	s_and_saveexec_b64 s[42:43], s[0:1]
	s_cbranch_execz .LBB269_273
; %bb.268:                              ;   in Loop: Header=BB269_9 Depth=1
	v_lshrrev_b32_e32 v2, 24, v16
	v_cmp_ne_u32_e64 s[0:1], s50, v2
	v_bfrev_b32_e32 v70, 1
	s_and_saveexec_b64 s[44:45], s[0:1]
	s_cbranch_execz .LBB269_272
; %bb.269:                              ;   in Loop: Header=BB269_9 Depth=1
	v_and_b32_e32 v16, 0x7f, v2
	v_cmp_ne_u32_e64 s[0:1], s51, v16
	v_mov_b32_e32 v70, 0x7c010000
	s_and_saveexec_b64 s[46:47], s[0:1]
	s_cbranch_execz .LBB269_271
; %bb.270:                              ;   in Loop: Header=BB269_9 Depth=1
	v_and_b32_e32 v70, 7, v2
	v_ffbh_u32_e32 v72, v70
	v_min_u32_e32 v75, 32, v72
	v_subrev_u32_e32 v72, 28, v75
	v_lshlrev_b64 v[72:73], v72, v[2:3]
	v_lshrrev_b32_e32 v74, 3, v16
	v_sub_u32_e32 v73, 29, v75
	v_cmp_gt_u32_e64 s[0:1], 8, v16
	v_lshlrev_b32_e32 v2, 8, v2
	v_and_b32_e32 v72, 7, v72
	v_cndmask_b32_e64 v16, v74, v73, s[0:1]
	v_lshl_add_u32 v16, v16, 10, v23
	v_and_or_b32 v2, v2, s52, v16
	v_cndmask_b32_e64 v70, v70, v72, s[0:1]
	v_lshlrev_b32_e32 v2, 16, v2
	v_lshl_or_b32 v70, v70, 23, v2
.LBB269_271:                            ;   in Loop: Header=BB269_9 Depth=1
	s_or_b64 exec, exec, s[46:47]
.LBB269_272:                            ;   in Loop: Header=BB269_9 Depth=1
	s_or_b64 exec, exec, s[44:45]
.LBB269_273:                            ;   in Loop: Header=BB269_9 Depth=1
	s_or_b64 exec, exec, s[42:43]
	global_load_dword v16, v[14:15], off offset:2568
	s_waitcnt vmcnt(0)
	v_cmp_ne_u16_sdwa s[0:1], v16, v3 src0_sel:BYTE_0 src1_sel:DWORD
	s_and_saveexec_b64 s[42:43], s[0:1]
	s_cbranch_execz .LBB269_279
; %bb.274:                              ;   in Loop: Header=BB269_9 Depth=1
	v_cmp_ne_u16_sdwa s[0:1], v16, s50 src0_sel:BYTE_0 src1_sel:DWORD
	v_mov_b32_e32 v71, 0x8000
	s_and_saveexec_b64 s[44:45], s[0:1]
	s_cbranch_execz .LBB269_278
; %bb.275:                              ;   in Loop: Header=BB269_9 Depth=1
	v_and_b32_e32 v2, 0x7f, v16
	v_cmp_ne_u32_e64 s[0:1], s51, v2
	v_mov_b32_e32 v71, 0x7c01
	s_and_saveexec_b64 s[46:47], s[0:1]
	s_cbranch_execz .LBB269_277
; %bb.276:                              ;   in Loop: Header=BB269_9 Depth=1
	v_and_b32_e32 v71, 7, v16
	v_ffbh_u32_e32 v72, v71
	v_min_u32_e32 v75, 32, v72
	v_subrev_u32_e32 v72, 28, v75
	v_lshlrev_b64 v[72:73], v72, v[16:17]
	v_lshrrev_b32_e32 v74, 3, v2
	v_sub_u32_e32 v73, 29, v75
	v_cmp_gt_u32_e64 s[0:1], 8, v2
	v_and_b32_e32 v72, 7, v72
	s_nop 0
	v_cndmask_b32_e64 v2, v74, v73, s[0:1]
	v_lshl_add_u32 v2, v2, 10, v23
	v_lshlrev_b32_e32 v73, 8, v16
	v_and_b32_e32 v2, 0xfc00, v2
	v_cndmask_b32_e64 v71, v71, v72, s[0:1]
	v_and_or_b32 v2, v73, s52, v2
	v_lshl_or_b32 v71, v71, 7, v2
.LBB269_277:                            ;   in Loop: Header=BB269_9 Depth=1
	s_or_b64 exec, exec, s[46:47]
.LBB269_278:                            ;   in Loop: Header=BB269_9 Depth=1
	s_or_b64 exec, exec, s[44:45]
.LBB269_279:                            ;   in Loop: Header=BB269_9 Depth=1
	s_or_b64 exec, exec, s[42:43]
	v_lshrrev_b16_e32 v2, 8, v16
	v_cmp_ne_u16_e64 s[0:1], 0, v2
	v_mov_b32_e32 v72, 0
	v_mov_b32_e32 v73, 0
	s_and_saveexec_b64 s[42:43], s[0:1]
	s_cbranch_execz .LBB269_285
; %bb.280:                              ;   in Loop: Header=BB269_9 Depth=1
	v_cmp_ne_u16_e64 s[0:1], s50, v2
	v_bfrev_b32_e32 v73, 1
	s_and_saveexec_b64 s[44:45], s[0:1]
	s_cbranch_execz .LBB269_284
; %bb.281:                              ;   in Loop: Header=BB269_9 Depth=1
	v_and_b32_e32 v74, 0x7f, v2
	v_cmp_ne_u32_e64 s[0:1], s51, v74
	v_mov_b32_e32 v73, 0x7c010000
	s_and_saveexec_b64 s[46:47], s[0:1]
	s_cbranch_execz .LBB269_283
; %bb.282:                              ;   in Loop: Header=BB269_9 Depth=1
	v_and_b32_e32 v73, 7, v2
	v_ffbh_u32_e32 v76, v73
	v_min_u32_e32 v78, 32, v76
	v_subrev_u32_e32 v76, 28, v78
	v_lshlrev_b64 v[76:77], v76, v[2:3]
	v_lshrrev_b32_e32 v75, 3, v74
	v_sub_u32_e32 v77, 29, v78
	v_cmp_gt_u32_e64 s[0:1], 8, v74
	v_lshlrev_b32_e32 v2, 8, v2
	s_nop 0
	v_cndmask_b32_e64 v74, v75, v77, s[0:1]
	v_lshl_add_u32 v74, v74, 10, v23
	v_and_b32_e32 v75, 7, v76
	v_and_or_b32 v2, v2, s52, v74
	v_cndmask_b32_e64 v73, v73, v75, s[0:1]
	v_lshlrev_b32_e32 v2, 16, v2
	v_lshl_or_b32 v73, v73, 23, v2
.LBB269_283:                            ;   in Loop: Header=BB269_9 Depth=1
	s_or_b64 exec, exec, s[46:47]
.LBB269_284:                            ;   in Loop: Header=BB269_9 Depth=1
	s_or_b64 exec, exec, s[44:45]
.LBB269_285:                            ;   in Loop: Header=BB269_9 Depth=1
	s_or_b64 exec, exec, s[42:43]
	v_lshrrev_b32_e32 v2, 16, v16
	v_cmp_ne_u16_sdwa s[0:1], v2, v3 src0_sel:BYTE_0 src1_sel:DWORD
	s_and_saveexec_b64 s[42:43], s[0:1]
	s_cbranch_execz .LBB269_291
; %bb.286:                              ;   in Loop: Header=BB269_9 Depth=1
	v_cmp_ne_u16_sdwa s[0:1], v2, s50 src0_sel:BYTE_0 src1_sel:DWORD
	v_mov_b32_e32 v72, 0x8000
	s_and_saveexec_b64 s[44:45], s[0:1]
	s_cbranch_execz .LBB269_290
; %bb.287:                              ;   in Loop: Header=BB269_9 Depth=1
	v_bfe_u32 v74, v16, 16, 7
	v_cmp_ne_u32_e64 s[0:1], s51, v74
	v_mov_b32_e32 v72, 0x7c01
	s_and_saveexec_b64 s[46:47], s[0:1]
	s_cbranch_execz .LBB269_289
; %bb.288:                              ;   in Loop: Header=BB269_9 Depth=1
	v_and_b32_e32 v72, 7, v2
	v_ffbh_u32_e32 v76, v72
	v_min_u32_e32 v78, 32, v76
	v_subrev_u32_e32 v76, 28, v78
	v_lshlrev_b64 v[76:77], v76, v[2:3]
	v_lshrrev_b32_e32 v75, 3, v74
	v_sub_u32_e32 v77, 29, v78
	v_cmp_gt_u32_e64 s[0:1], 8, v74
	v_lshlrev_b32_e32 v2, 8, v2
	s_nop 0
	v_cndmask_b32_e64 v74, v75, v77, s[0:1]
	v_lshl_add_u32 v74, v74, 10, v23
	v_and_b32_e32 v75, 7, v76
	v_and_b32_e32 v74, 0xfc00, v74
	v_cndmask_b32_e64 v72, v72, v75, s[0:1]
	v_and_or_b32 v2, v2, s52, v74
	v_lshl_or_b32 v72, v72, 7, v2
.LBB269_289:                            ;   in Loop: Header=BB269_9 Depth=1
	s_or_b64 exec, exec, s[46:47]
.LBB269_290:                            ;   in Loop: Header=BB269_9 Depth=1
	s_or_b64 exec, exec, s[44:45]
.LBB269_291:                            ;   in Loop: Header=BB269_9 Depth=1
	s_or_b64 exec, exec, s[42:43]
	v_cmp_lt_u32_e64 s[0:1], s53, v16
	v_mov_b32_e32 v75, 0
	v_mov_b32_e32 v74, 0
	s_and_saveexec_b64 s[42:43], s[0:1]
	s_cbranch_execz .LBB269_297
; %bb.292:                              ;   in Loop: Header=BB269_9 Depth=1
	v_lshrrev_b32_e32 v2, 24, v16
	v_cmp_ne_u32_e64 s[0:1], s50, v2
	v_bfrev_b32_e32 v74, 1
	s_and_saveexec_b64 s[44:45], s[0:1]
	s_cbranch_execz .LBB269_296
; %bb.293:                              ;   in Loop: Header=BB269_9 Depth=1
	v_and_b32_e32 v16, 0x7f, v2
	v_cmp_ne_u32_e64 s[0:1], s51, v16
	v_mov_b32_e32 v74, 0x7c010000
	s_and_saveexec_b64 s[46:47], s[0:1]
	s_cbranch_execz .LBB269_295
; %bb.294:                              ;   in Loop: Header=BB269_9 Depth=1
	v_and_b32_e32 v74, 7, v2
	v_ffbh_u32_e32 v76, v74
	v_min_u32_e32 v79, 32, v76
	v_subrev_u32_e32 v76, 28, v79
	v_lshlrev_b64 v[76:77], v76, v[2:3]
	v_lshrrev_b32_e32 v78, 3, v16
	v_sub_u32_e32 v77, 29, v79
	v_cmp_gt_u32_e64 s[0:1], 8, v16
	v_lshlrev_b32_e32 v2, 8, v2
	v_and_b32_e32 v76, 7, v76
	v_cndmask_b32_e64 v16, v78, v77, s[0:1]
	v_lshl_add_u32 v16, v16, 10, v23
	v_and_or_b32 v2, v2, s52, v16
	v_cndmask_b32_e64 v74, v74, v76, s[0:1]
	v_lshlrev_b32_e32 v2, 16, v2
	v_lshl_or_b32 v74, v74, 23, v2
.LBB269_295:                            ;   in Loop: Header=BB269_9 Depth=1
	s_or_b64 exec, exec, s[46:47]
.LBB269_296:                            ;   in Loop: Header=BB269_9 Depth=1
	s_or_b64 exec, exec, s[44:45]
.LBB269_297:                            ;   in Loop: Header=BB269_9 Depth=1
	s_or_b64 exec, exec, s[42:43]
	global_load_dword v16, v[14:15], off offset:3072
	s_waitcnt vmcnt(0)
	v_cmp_ne_u16_sdwa s[0:1], v16, v3 src0_sel:BYTE_0 src1_sel:DWORD
	s_and_saveexec_b64 s[42:43], s[0:1]
	s_cbranch_execz .LBB269_303
; %bb.298:                              ;   in Loop: Header=BB269_9 Depth=1
	v_cmp_ne_u16_sdwa s[0:1], v16, s50 src0_sel:BYTE_0 src1_sel:DWORD
	v_mov_b32_e32 v75, 0x8000
	s_and_saveexec_b64 s[44:45], s[0:1]
	s_cbranch_execz .LBB269_302
; %bb.299:                              ;   in Loop: Header=BB269_9 Depth=1
	v_and_b32_e32 v2, 0x7f, v16
	v_cmp_ne_u32_e64 s[0:1], s51, v2
	v_mov_b32_e32 v75, 0x7c01
	s_and_saveexec_b64 s[46:47], s[0:1]
	s_cbranch_execz .LBB269_301
; %bb.300:                              ;   in Loop: Header=BB269_9 Depth=1
	v_and_b32_e32 v75, 7, v16
	v_ffbh_u32_e32 v76, v75
	v_min_u32_e32 v79, 32, v76
	v_subrev_u32_e32 v76, 28, v79
	v_lshlrev_b64 v[76:77], v76, v[16:17]
	v_lshrrev_b32_e32 v78, 3, v2
	v_sub_u32_e32 v77, 29, v79
	v_cmp_gt_u32_e64 s[0:1], 8, v2
	v_and_b32_e32 v76, 7, v76
	s_nop 0
	v_cndmask_b32_e64 v2, v78, v77, s[0:1]
	v_lshl_add_u32 v2, v2, 10, v23
	v_lshlrev_b32_e32 v77, 8, v16
	v_and_b32_e32 v2, 0xfc00, v2
	v_cndmask_b32_e64 v75, v75, v76, s[0:1]
	v_and_or_b32 v2, v77, s52, v2
	v_lshl_or_b32 v75, v75, 7, v2
.LBB269_301:                            ;   in Loop: Header=BB269_9 Depth=1
	s_or_b64 exec, exec, s[46:47]
.LBB269_302:                            ;   in Loop: Header=BB269_9 Depth=1
	s_or_b64 exec, exec, s[44:45]
.LBB269_303:                            ;   in Loop: Header=BB269_9 Depth=1
	s_or_b64 exec, exec, s[42:43]
	v_lshrrev_b16_e32 v2, 8, v16
	v_cmp_ne_u16_e64 s[0:1], 0, v2
	v_mov_b32_e32 v76, 0
	v_mov_b32_e32 v77, 0
	s_and_saveexec_b64 s[42:43], s[0:1]
	s_cbranch_execz .LBB269_309
; %bb.304:                              ;   in Loop: Header=BB269_9 Depth=1
	v_cmp_ne_u16_e64 s[0:1], s50, v2
	v_bfrev_b32_e32 v77, 1
	s_and_saveexec_b64 s[44:45], s[0:1]
	s_cbranch_execz .LBB269_308
; %bb.305:                              ;   in Loop: Header=BB269_9 Depth=1
	v_and_b32_e32 v78, 0x7f, v2
	v_cmp_ne_u32_e64 s[0:1], s51, v78
	v_mov_b32_e32 v77, 0x7c010000
	s_and_saveexec_b64 s[46:47], s[0:1]
	s_cbranch_execz .LBB269_307
; %bb.306:                              ;   in Loop: Header=BB269_9 Depth=1
	v_and_b32_e32 v77, 7, v2
	v_ffbh_u32_e32 v80, v77
	v_min_u32_e32 v82, 32, v80
	v_subrev_u32_e32 v80, 28, v82
	v_lshlrev_b64 v[80:81], v80, v[2:3]
	v_lshrrev_b32_e32 v79, 3, v78
	v_sub_u32_e32 v81, 29, v82
	v_cmp_gt_u32_e64 s[0:1], 8, v78
	v_lshlrev_b32_e32 v2, 8, v2
	s_nop 0
	v_cndmask_b32_e64 v78, v79, v81, s[0:1]
	v_lshl_add_u32 v78, v78, 10, v23
	v_and_b32_e32 v79, 7, v80
	v_and_or_b32 v2, v2, s52, v78
	v_cndmask_b32_e64 v77, v77, v79, s[0:1]
	v_lshlrev_b32_e32 v2, 16, v2
	v_lshl_or_b32 v77, v77, 23, v2
.LBB269_307:                            ;   in Loop: Header=BB269_9 Depth=1
	s_or_b64 exec, exec, s[46:47]
.LBB269_308:                            ;   in Loop: Header=BB269_9 Depth=1
	s_or_b64 exec, exec, s[44:45]
.LBB269_309:                            ;   in Loop: Header=BB269_9 Depth=1
	s_or_b64 exec, exec, s[42:43]
	v_lshrrev_b32_e32 v2, 16, v16
	v_cmp_ne_u16_sdwa s[0:1], v2, v3 src0_sel:BYTE_0 src1_sel:DWORD
	s_and_saveexec_b64 s[42:43], s[0:1]
	s_cbranch_execz .LBB269_315
; %bb.310:                              ;   in Loop: Header=BB269_9 Depth=1
	v_cmp_ne_u16_sdwa s[0:1], v2, s50 src0_sel:BYTE_0 src1_sel:DWORD
	v_mov_b32_e32 v76, 0x8000
	s_and_saveexec_b64 s[44:45], s[0:1]
	s_cbranch_execz .LBB269_314
; %bb.311:                              ;   in Loop: Header=BB269_9 Depth=1
	v_bfe_u32 v78, v16, 16, 7
	v_cmp_ne_u32_e64 s[0:1], s51, v78
	v_mov_b32_e32 v76, 0x7c01
	s_and_saveexec_b64 s[46:47], s[0:1]
	s_cbranch_execz .LBB269_313
; %bb.312:                              ;   in Loop: Header=BB269_9 Depth=1
	v_and_b32_e32 v76, 7, v2
	v_ffbh_u32_e32 v80, v76
	v_min_u32_e32 v82, 32, v80
	v_subrev_u32_e32 v80, 28, v82
	v_lshlrev_b64 v[80:81], v80, v[2:3]
	v_lshrrev_b32_e32 v79, 3, v78
	v_sub_u32_e32 v81, 29, v82
	v_cmp_gt_u32_e64 s[0:1], 8, v78
	v_lshlrev_b32_e32 v2, 8, v2
	s_nop 0
	v_cndmask_b32_e64 v78, v79, v81, s[0:1]
	v_lshl_add_u32 v78, v78, 10, v23
	v_and_b32_e32 v79, 7, v80
	v_and_b32_e32 v78, 0xfc00, v78
	v_cndmask_b32_e64 v76, v76, v79, s[0:1]
	v_and_or_b32 v2, v2, s52, v78
	v_lshl_or_b32 v76, v76, 7, v2
.LBB269_313:                            ;   in Loop: Header=BB269_9 Depth=1
	s_or_b64 exec, exec, s[46:47]
.LBB269_314:                            ;   in Loop: Header=BB269_9 Depth=1
	s_or_b64 exec, exec, s[44:45]
.LBB269_315:                            ;   in Loop: Header=BB269_9 Depth=1
	s_or_b64 exec, exec, s[42:43]
	v_cmp_lt_u32_e64 s[0:1], s53, v16
	v_mov_b32_e32 v79, 0
	v_mov_b32_e32 v78, 0
	s_and_saveexec_b64 s[42:43], s[0:1]
	s_cbranch_execz .LBB269_321
; %bb.316:                              ;   in Loop: Header=BB269_9 Depth=1
	v_lshrrev_b32_e32 v2, 24, v16
	v_cmp_ne_u32_e64 s[0:1], s50, v2
	v_bfrev_b32_e32 v78, 1
	s_and_saveexec_b64 s[44:45], s[0:1]
	s_cbranch_execz .LBB269_320
; %bb.317:                              ;   in Loop: Header=BB269_9 Depth=1
	v_and_b32_e32 v16, 0x7f, v2
	v_cmp_ne_u32_e64 s[0:1], s51, v16
	v_mov_b32_e32 v78, 0x7c010000
	s_and_saveexec_b64 s[46:47], s[0:1]
	s_cbranch_execz .LBB269_319
; %bb.318:                              ;   in Loop: Header=BB269_9 Depth=1
	v_and_b32_e32 v78, 7, v2
	v_ffbh_u32_e32 v80, v78
	v_min_u32_e32 v83, 32, v80
	v_subrev_u32_e32 v80, 28, v83
	v_lshlrev_b64 v[80:81], v80, v[2:3]
	v_lshrrev_b32_e32 v82, 3, v16
	v_sub_u32_e32 v81, 29, v83
	v_cmp_gt_u32_e64 s[0:1], 8, v16
	v_lshlrev_b32_e32 v2, 8, v2
	v_and_b32_e32 v80, 7, v80
	v_cndmask_b32_e64 v16, v82, v81, s[0:1]
	v_lshl_add_u32 v16, v16, 10, v23
	v_and_or_b32 v2, v2, s52, v16
	v_cndmask_b32_e64 v78, v78, v80, s[0:1]
	v_lshlrev_b32_e32 v2, 16, v2
	v_lshl_or_b32 v78, v78, 23, v2
.LBB269_319:                            ;   in Loop: Header=BB269_9 Depth=1
	s_or_b64 exec, exec, s[46:47]
.LBB269_320:                            ;   in Loop: Header=BB269_9 Depth=1
	s_or_b64 exec, exec, s[44:45]
.LBB269_321:                            ;   in Loop: Header=BB269_9 Depth=1
	s_or_b64 exec, exec, s[42:43]
	global_load_dword v16, v[14:15], off offset:3080
	s_waitcnt vmcnt(0)
	v_cmp_ne_u16_sdwa s[0:1], v16, v3 src0_sel:BYTE_0 src1_sel:DWORD
	s_and_saveexec_b64 s[42:43], s[0:1]
	s_cbranch_execz .LBB269_327
; %bb.322:                              ;   in Loop: Header=BB269_9 Depth=1
	v_cmp_ne_u16_sdwa s[0:1], v16, s50 src0_sel:BYTE_0 src1_sel:DWORD
	v_mov_b32_e32 v79, 0x8000
	s_and_saveexec_b64 s[44:45], s[0:1]
	s_cbranch_execz .LBB269_326
; %bb.323:                              ;   in Loop: Header=BB269_9 Depth=1
	v_and_b32_e32 v2, 0x7f, v16
	v_cmp_ne_u32_e64 s[0:1], s51, v2
	v_mov_b32_e32 v79, 0x7c01
	s_and_saveexec_b64 s[46:47], s[0:1]
	s_cbranch_execz .LBB269_325
; %bb.324:                              ;   in Loop: Header=BB269_9 Depth=1
	v_and_b32_e32 v79, 7, v16
	v_ffbh_u32_e32 v80, v79
	v_min_u32_e32 v83, 32, v80
	v_subrev_u32_e32 v80, 28, v83
	v_lshlrev_b64 v[80:81], v80, v[16:17]
	v_lshrrev_b32_e32 v82, 3, v2
	v_sub_u32_e32 v81, 29, v83
	v_cmp_gt_u32_e64 s[0:1], 8, v2
	v_and_b32_e32 v80, 7, v80
	s_nop 0
	v_cndmask_b32_e64 v2, v82, v81, s[0:1]
	v_lshl_add_u32 v2, v2, 10, v23
	v_lshlrev_b32_e32 v81, 8, v16
	v_and_b32_e32 v2, 0xfc00, v2
	v_cndmask_b32_e64 v79, v79, v80, s[0:1]
	v_and_or_b32 v2, v81, s52, v2
	v_lshl_or_b32 v79, v79, 7, v2
.LBB269_325:                            ;   in Loop: Header=BB269_9 Depth=1
	s_or_b64 exec, exec, s[46:47]
.LBB269_326:                            ;   in Loop: Header=BB269_9 Depth=1
	s_or_b64 exec, exec, s[44:45]
.LBB269_327:                            ;   in Loop: Header=BB269_9 Depth=1
	s_or_b64 exec, exec, s[42:43]
	v_lshrrev_b16_e32 v2, 8, v16
	v_cmp_ne_u16_e64 s[0:1], 0, v2
	v_mov_b32_e32 v80, 0
	v_mov_b32_e32 v81, 0
	s_and_saveexec_b64 s[42:43], s[0:1]
	s_cbranch_execz .LBB269_333
; %bb.328:                              ;   in Loop: Header=BB269_9 Depth=1
	v_cmp_ne_u16_e64 s[0:1], s50, v2
	v_bfrev_b32_e32 v81, 1
	s_and_saveexec_b64 s[44:45], s[0:1]
	s_cbranch_execz .LBB269_332
; %bb.329:                              ;   in Loop: Header=BB269_9 Depth=1
	v_and_b32_e32 v82, 0x7f, v2
	v_cmp_ne_u32_e64 s[0:1], s51, v82
	v_mov_b32_e32 v81, 0x7c010000
	s_and_saveexec_b64 s[46:47], s[0:1]
	s_cbranch_execz .LBB269_331
; %bb.330:                              ;   in Loop: Header=BB269_9 Depth=1
	v_and_b32_e32 v81, 7, v2
	v_ffbh_u32_e32 v84, v81
	v_min_u32_e32 v86, 32, v84
	v_subrev_u32_e32 v84, 28, v86
	v_lshlrev_b64 v[84:85], v84, v[2:3]
	v_lshrrev_b32_e32 v83, 3, v82
	v_sub_u32_e32 v85, 29, v86
	v_cmp_gt_u32_e64 s[0:1], 8, v82
	v_lshlrev_b32_e32 v2, 8, v2
	s_nop 0
	v_cndmask_b32_e64 v82, v83, v85, s[0:1]
	v_lshl_add_u32 v82, v82, 10, v23
	v_and_b32_e32 v83, 7, v84
	v_and_or_b32 v2, v2, s52, v82
	v_cndmask_b32_e64 v81, v81, v83, s[0:1]
	v_lshlrev_b32_e32 v2, 16, v2
	v_lshl_or_b32 v81, v81, 23, v2
.LBB269_331:                            ;   in Loop: Header=BB269_9 Depth=1
	s_or_b64 exec, exec, s[46:47]
.LBB269_332:                            ;   in Loop: Header=BB269_9 Depth=1
	s_or_b64 exec, exec, s[44:45]
.LBB269_333:                            ;   in Loop: Header=BB269_9 Depth=1
	s_or_b64 exec, exec, s[42:43]
	v_lshrrev_b32_e32 v2, 16, v16
	v_cmp_ne_u16_sdwa s[0:1], v2, v3 src0_sel:BYTE_0 src1_sel:DWORD
	s_and_saveexec_b64 s[42:43], s[0:1]
	s_cbranch_execz .LBB269_339
; %bb.334:                              ;   in Loop: Header=BB269_9 Depth=1
	v_cmp_ne_u16_sdwa s[0:1], v2, s50 src0_sel:BYTE_0 src1_sel:DWORD
	v_mov_b32_e32 v80, 0x8000
	s_and_saveexec_b64 s[44:45], s[0:1]
	s_cbranch_execz .LBB269_338
; %bb.335:                              ;   in Loop: Header=BB269_9 Depth=1
	v_bfe_u32 v82, v16, 16, 7
	v_cmp_ne_u32_e64 s[0:1], s51, v82
	v_mov_b32_e32 v80, 0x7c01
	s_and_saveexec_b64 s[46:47], s[0:1]
	s_cbranch_execz .LBB269_337
; %bb.336:                              ;   in Loop: Header=BB269_9 Depth=1
	v_and_b32_e32 v80, 7, v2
	v_ffbh_u32_e32 v84, v80
	v_min_u32_e32 v86, 32, v84
	v_subrev_u32_e32 v84, 28, v86
	v_lshlrev_b64 v[84:85], v84, v[2:3]
	v_lshrrev_b32_e32 v83, 3, v82
	v_sub_u32_e32 v85, 29, v86
	v_cmp_gt_u32_e64 s[0:1], 8, v82
	v_lshlrev_b32_e32 v2, 8, v2
	s_nop 0
	v_cndmask_b32_e64 v82, v83, v85, s[0:1]
	v_lshl_add_u32 v82, v82, 10, v23
	v_and_b32_e32 v83, 7, v84
	v_and_b32_e32 v82, 0xfc00, v82
	v_cndmask_b32_e64 v80, v80, v83, s[0:1]
	v_and_or_b32 v2, v2, s52, v82
	v_lshl_or_b32 v80, v80, 7, v2
.LBB269_337:                            ;   in Loop: Header=BB269_9 Depth=1
	s_or_b64 exec, exec, s[46:47]
.LBB269_338:                            ;   in Loop: Header=BB269_9 Depth=1
	s_or_b64 exec, exec, s[44:45]
.LBB269_339:                            ;   in Loop: Header=BB269_9 Depth=1
	s_or_b64 exec, exec, s[42:43]
	v_cmp_lt_u32_e64 s[0:1], s53, v16
	v_mov_b32_e32 v83, 0
	v_mov_b32_e32 v82, 0
	s_and_saveexec_b64 s[42:43], s[0:1]
	s_cbranch_execz .LBB269_345
; %bb.340:                              ;   in Loop: Header=BB269_9 Depth=1
	v_lshrrev_b32_e32 v2, 24, v16
	v_cmp_ne_u32_e64 s[0:1], s50, v2
	v_bfrev_b32_e32 v82, 1
	s_and_saveexec_b64 s[44:45], s[0:1]
	s_cbranch_execz .LBB269_344
; %bb.341:                              ;   in Loop: Header=BB269_9 Depth=1
	v_and_b32_e32 v16, 0x7f, v2
	v_cmp_ne_u32_e64 s[0:1], s51, v16
	v_mov_b32_e32 v82, 0x7c010000
	s_and_saveexec_b64 s[46:47], s[0:1]
	s_cbranch_execz .LBB269_343
; %bb.342:                              ;   in Loop: Header=BB269_9 Depth=1
	v_and_b32_e32 v82, 7, v2
	v_ffbh_u32_e32 v84, v82
	v_min_u32_e32 v87, 32, v84
	v_subrev_u32_e32 v84, 28, v87
	v_lshlrev_b64 v[84:85], v84, v[2:3]
	v_lshrrev_b32_e32 v86, 3, v16
	v_sub_u32_e32 v85, 29, v87
	v_cmp_gt_u32_e64 s[0:1], 8, v16
	v_lshlrev_b32_e32 v2, 8, v2
	v_and_b32_e32 v84, 7, v84
	v_cndmask_b32_e64 v16, v86, v85, s[0:1]
	v_lshl_add_u32 v16, v16, 10, v23
	v_and_or_b32 v2, v2, s52, v16
	v_cndmask_b32_e64 v82, v82, v84, s[0:1]
	v_lshlrev_b32_e32 v2, 16, v2
	v_lshl_or_b32 v82, v82, 23, v2
.LBB269_343:                            ;   in Loop: Header=BB269_9 Depth=1
	s_or_b64 exec, exec, s[46:47]
.LBB269_344:                            ;   in Loop: Header=BB269_9 Depth=1
	s_or_b64 exec, exec, s[44:45]
.LBB269_345:                            ;   in Loop: Header=BB269_9 Depth=1
	s_or_b64 exec, exec, s[42:43]
	global_load_dword v16, v[14:15], off offset:3584
	s_waitcnt vmcnt(0)
	v_cmp_ne_u16_sdwa s[0:1], v16, v3 src0_sel:BYTE_0 src1_sel:DWORD
	s_and_saveexec_b64 s[42:43], s[0:1]
	s_cbranch_execz .LBB269_351
; %bb.346:                              ;   in Loop: Header=BB269_9 Depth=1
	v_cmp_ne_u16_sdwa s[0:1], v16, s50 src0_sel:BYTE_0 src1_sel:DWORD
	v_mov_b32_e32 v83, 0x8000
	s_and_saveexec_b64 s[44:45], s[0:1]
	s_cbranch_execz .LBB269_350
; %bb.347:                              ;   in Loop: Header=BB269_9 Depth=1
	v_and_b32_e32 v2, 0x7f, v16
	v_cmp_ne_u32_e64 s[0:1], s51, v2
	v_mov_b32_e32 v83, 0x7c01
	s_and_saveexec_b64 s[46:47], s[0:1]
	s_cbranch_execz .LBB269_349
; %bb.348:                              ;   in Loop: Header=BB269_9 Depth=1
	v_and_b32_e32 v83, 7, v16
	v_ffbh_u32_e32 v84, v83
	v_min_u32_e32 v87, 32, v84
	v_subrev_u32_e32 v84, 28, v87
	v_lshlrev_b64 v[84:85], v84, v[16:17]
	v_lshrrev_b32_e32 v86, 3, v2
	v_sub_u32_e32 v85, 29, v87
	v_cmp_gt_u32_e64 s[0:1], 8, v2
	v_and_b32_e32 v84, 7, v84
	s_nop 0
	v_cndmask_b32_e64 v2, v86, v85, s[0:1]
	v_lshl_add_u32 v2, v2, 10, v23
	v_lshlrev_b32_e32 v85, 8, v16
	v_and_b32_e32 v2, 0xfc00, v2
	v_cndmask_b32_e64 v83, v83, v84, s[0:1]
	v_and_or_b32 v2, v85, s52, v2
	v_lshl_or_b32 v83, v83, 7, v2
.LBB269_349:                            ;   in Loop: Header=BB269_9 Depth=1
	s_or_b64 exec, exec, s[46:47]
.LBB269_350:                            ;   in Loop: Header=BB269_9 Depth=1
	s_or_b64 exec, exec, s[44:45]
.LBB269_351:                            ;   in Loop: Header=BB269_9 Depth=1
	s_or_b64 exec, exec, s[42:43]
	v_lshrrev_b16_e32 v2, 8, v16
	v_cmp_ne_u16_e64 s[0:1], 0, v2
	v_mov_b32_e32 v84, 0
	v_mov_b32_e32 v85, 0
	s_and_saveexec_b64 s[42:43], s[0:1]
	s_cbranch_execz .LBB269_357
; %bb.352:                              ;   in Loop: Header=BB269_9 Depth=1
	v_cmp_ne_u16_e64 s[0:1], s50, v2
	v_bfrev_b32_e32 v85, 1
	s_and_saveexec_b64 s[44:45], s[0:1]
	s_cbranch_execz .LBB269_356
; %bb.353:                              ;   in Loop: Header=BB269_9 Depth=1
	v_and_b32_e32 v86, 0x7f, v2
	v_cmp_ne_u32_e64 s[0:1], s51, v86
	v_mov_b32_e32 v85, 0x7c010000
	s_and_saveexec_b64 s[46:47], s[0:1]
	s_cbranch_execz .LBB269_355
; %bb.354:                              ;   in Loop: Header=BB269_9 Depth=1
	v_and_b32_e32 v85, 7, v2
	v_ffbh_u32_e32 v88, v85
	v_min_u32_e32 v90, 32, v88
	v_subrev_u32_e32 v88, 28, v90
	v_lshlrev_b64 v[88:89], v88, v[2:3]
	v_lshrrev_b32_e32 v87, 3, v86
	v_sub_u32_e32 v89, 29, v90
	v_cmp_gt_u32_e64 s[0:1], 8, v86
	v_lshlrev_b32_e32 v2, 8, v2
	s_nop 0
	v_cndmask_b32_e64 v86, v87, v89, s[0:1]
	v_lshl_add_u32 v86, v86, 10, v23
	v_and_b32_e32 v87, 7, v88
	v_and_or_b32 v2, v2, s52, v86
	v_cndmask_b32_e64 v85, v85, v87, s[0:1]
	v_lshlrev_b32_e32 v2, 16, v2
	v_lshl_or_b32 v85, v85, 23, v2
.LBB269_355:                            ;   in Loop: Header=BB269_9 Depth=1
	s_or_b64 exec, exec, s[46:47]
.LBB269_356:                            ;   in Loop: Header=BB269_9 Depth=1
	s_or_b64 exec, exec, s[44:45]
.LBB269_357:                            ;   in Loop: Header=BB269_9 Depth=1
	s_or_b64 exec, exec, s[42:43]
	v_lshrrev_b32_e32 v2, 16, v16
	v_cmp_ne_u16_sdwa s[0:1], v2, v3 src0_sel:BYTE_0 src1_sel:DWORD
	s_and_saveexec_b64 s[42:43], s[0:1]
	s_cbranch_execz .LBB269_363
; %bb.358:                              ;   in Loop: Header=BB269_9 Depth=1
	v_cmp_ne_u16_sdwa s[0:1], v2, s50 src0_sel:BYTE_0 src1_sel:DWORD
	v_mov_b32_e32 v84, 0x8000
	s_and_saveexec_b64 s[44:45], s[0:1]
	s_cbranch_execz .LBB269_362
; %bb.359:                              ;   in Loop: Header=BB269_9 Depth=1
	v_bfe_u32 v86, v16, 16, 7
	v_cmp_ne_u32_e64 s[0:1], s51, v86
	v_mov_b32_e32 v84, 0x7c01
	s_and_saveexec_b64 s[46:47], s[0:1]
	s_cbranch_execz .LBB269_361
; %bb.360:                              ;   in Loop: Header=BB269_9 Depth=1
	v_and_b32_e32 v84, 7, v2
	v_ffbh_u32_e32 v88, v84
	v_min_u32_e32 v90, 32, v88
	v_subrev_u32_e32 v88, 28, v90
	v_lshlrev_b64 v[88:89], v88, v[2:3]
	v_lshrrev_b32_e32 v87, 3, v86
	v_sub_u32_e32 v89, 29, v90
	v_cmp_gt_u32_e64 s[0:1], 8, v86
	v_lshlrev_b32_e32 v2, 8, v2
	s_nop 0
	v_cndmask_b32_e64 v86, v87, v89, s[0:1]
	v_lshl_add_u32 v86, v86, 10, v23
	v_and_b32_e32 v87, 7, v88
	v_and_b32_e32 v86, 0xfc00, v86
	v_cndmask_b32_e64 v84, v84, v87, s[0:1]
	v_and_or_b32 v2, v2, s52, v86
	v_lshl_or_b32 v84, v84, 7, v2
.LBB269_361:                            ;   in Loop: Header=BB269_9 Depth=1
	s_or_b64 exec, exec, s[46:47]
.LBB269_362:                            ;   in Loop: Header=BB269_9 Depth=1
	s_or_b64 exec, exec, s[44:45]
.LBB269_363:                            ;   in Loop: Header=BB269_9 Depth=1
	s_or_b64 exec, exec, s[42:43]
	v_cmp_lt_u32_e64 s[0:1], s53, v16
	v_mov_b32_e32 v87, 0
	v_mov_b32_e32 v86, 0
	s_and_saveexec_b64 s[42:43], s[0:1]
	s_cbranch_execz .LBB269_369
; %bb.364:                              ;   in Loop: Header=BB269_9 Depth=1
	v_lshrrev_b32_e32 v2, 24, v16
	v_cmp_ne_u32_e64 s[0:1], s50, v2
	v_bfrev_b32_e32 v86, 1
	s_and_saveexec_b64 s[44:45], s[0:1]
	s_cbranch_execz .LBB269_368
; %bb.365:                              ;   in Loop: Header=BB269_9 Depth=1
	v_and_b32_e32 v16, 0x7f, v2
	v_cmp_ne_u32_e64 s[0:1], s51, v16
	v_mov_b32_e32 v86, 0x7c010000
	s_and_saveexec_b64 s[46:47], s[0:1]
	s_cbranch_execz .LBB269_367
; %bb.366:                              ;   in Loop: Header=BB269_9 Depth=1
	v_and_b32_e32 v86, 7, v2
	v_ffbh_u32_e32 v88, v86
	v_min_u32_e32 v91, 32, v88
	v_subrev_u32_e32 v88, 28, v91
	v_lshlrev_b64 v[88:89], v88, v[2:3]
	v_lshrrev_b32_e32 v90, 3, v16
	v_sub_u32_e32 v89, 29, v91
	v_cmp_gt_u32_e64 s[0:1], 8, v16
	v_lshlrev_b32_e32 v2, 8, v2
	v_and_b32_e32 v88, 7, v88
	v_cndmask_b32_e64 v16, v90, v89, s[0:1]
	v_lshl_add_u32 v16, v16, 10, v23
	v_and_or_b32 v2, v2, s52, v16
	v_cndmask_b32_e64 v86, v86, v88, s[0:1]
	v_lshlrev_b32_e32 v2, 16, v2
	v_lshl_or_b32 v86, v86, 23, v2
.LBB269_367:                            ;   in Loop: Header=BB269_9 Depth=1
	s_or_b64 exec, exec, s[46:47]
.LBB269_368:                            ;   in Loop: Header=BB269_9 Depth=1
	s_or_b64 exec, exec, s[44:45]
.LBB269_369:                            ;   in Loop: Header=BB269_9 Depth=1
	s_or_b64 exec, exec, s[42:43]
	global_load_dword v14, v[14:15], off offset:3592
	s_waitcnt vmcnt(0)
	v_cmp_ne_u16_sdwa s[0:1], v14, v3 src0_sel:BYTE_0 src1_sel:DWORD
	s_and_saveexec_b64 s[42:43], s[0:1]
	s_cbranch_execz .LBB269_375
; %bb.370:                              ;   in Loop: Header=BB269_9 Depth=1
	v_cmp_ne_u16_sdwa s[0:1], v14, s50 src0_sel:BYTE_0 src1_sel:DWORD
	v_mov_b32_e32 v87, 0x8000
	s_and_saveexec_b64 s[44:45], s[0:1]
	s_cbranch_execz .LBB269_374
; %bb.371:                              ;   in Loop: Header=BB269_9 Depth=1
	v_and_b32_e32 v2, 0x7f, v14
	v_cmp_ne_u32_e64 s[0:1], s51, v2
	v_mov_b32_e32 v87, 0x7c01
	s_and_saveexec_b64 s[46:47], s[0:1]
	s_cbranch_execz .LBB269_373
; %bb.372:                              ;   in Loop: Header=BB269_9 Depth=1
	v_and_b32_e32 v15, 7, v14
	v_ffbh_u32_e32 v87, v15
	v_min_u32_e32 v87, 32, v87
	v_lshrrev_b32_e32 v16, 3, v2
	v_subrev_u32_e32 v88, 28, v87
	v_sub_u32_e32 v87, 29, v87
	v_cmp_gt_u32_e64 s[0:1], 8, v2
	v_lshlrev_b64 v[88:89], v88, v[14:15]
	s_nop 0
	v_cndmask_b32_e64 v2, v16, v87, s[0:1]
	v_lshl_add_u32 v2, v2, 10, v23
	v_lshlrev_b32_e32 v16, 8, v14
	v_and_b32_e32 v87, 7, v88
	v_and_b32_e32 v2, 0xfc00, v2
	v_cndmask_b32_e64 v15, v15, v87, s[0:1]
	v_and_or_b32 v2, v16, s52, v2
	v_lshl_or_b32 v87, v15, 7, v2
.LBB269_373:                            ;   in Loop: Header=BB269_9 Depth=1
	s_or_b64 exec, exec, s[46:47]
.LBB269_374:                            ;   in Loop: Header=BB269_9 Depth=1
	s_or_b64 exec, exec, s[44:45]
.LBB269_375:                            ;   in Loop: Header=BB269_9 Depth=1
	s_or_b64 exec, exec, s[42:43]
	v_lshrrev_b16_e32 v2, 8, v14
	v_cmp_ne_u16_e64 s[0:1], 0, v2
	v_mov_b32_e32 v88, 0
	v_mov_b32_e32 v89, 0
	s_and_saveexec_b64 s[42:43], s[0:1]
	s_cbranch_execz .LBB269_381
; %bb.376:                              ;   in Loop: Header=BB269_9 Depth=1
	v_cmp_ne_u16_e64 s[0:1], s50, v2
	v_bfrev_b32_e32 v89, 1
	s_and_saveexec_b64 s[44:45], s[0:1]
	s_cbranch_execz .LBB269_380
; %bb.377:                              ;   in Loop: Header=BB269_9 Depth=1
	v_and_b32_e32 v15, 0x7f, v2
	v_cmp_ne_u32_e64 s[0:1], s51, v15
	v_mov_b32_e32 v89, 0x7c010000
	s_and_saveexec_b64 s[46:47], s[0:1]
	s_cbranch_execz .LBB269_379
; %bb.378:                              ;   in Loop: Header=BB269_9 Depth=1
	v_and_b32_e32 v16, 7, v2
	v_ffbh_u32_e32 v90, v16
	v_min_u32_e32 v92, 32, v90
	v_subrev_u32_e32 v90, 28, v92
	v_lshlrev_b64 v[90:91], v90, v[2:3]
	v_lshrrev_b32_e32 v89, 3, v15
	v_sub_u32_e32 v91, 29, v92
	v_cmp_gt_u32_e64 s[0:1], 8, v15
	v_lshlrev_b32_e32 v2, 8, v2
	s_nop 0
	v_cndmask_b32_e64 v15, v89, v91, s[0:1]
	v_lshl_add_u32 v15, v15, 10, v23
	v_and_b32_e32 v89, 7, v90
	v_and_or_b32 v2, v2, s52, v15
	v_cndmask_b32_e64 v16, v16, v89, s[0:1]
	v_lshlrev_b32_e32 v2, 16, v2
	v_lshl_or_b32 v89, v16, 23, v2
.LBB269_379:                            ;   in Loop: Header=BB269_9 Depth=1
	s_or_b64 exec, exec, s[46:47]
.LBB269_380:                            ;   in Loop: Header=BB269_9 Depth=1
	s_or_b64 exec, exec, s[44:45]
.LBB269_381:                            ;   in Loop: Header=BB269_9 Depth=1
	s_or_b64 exec, exec, s[42:43]
	v_lshrrev_b32_e32 v2, 16, v14
	v_cmp_ne_u16_sdwa s[0:1], v2, v3 src0_sel:BYTE_0 src1_sel:DWORD
	s_and_saveexec_b64 s[42:43], s[0:1]
	s_cbranch_execz .LBB269_387
; %bb.382:                              ;   in Loop: Header=BB269_9 Depth=1
	v_cmp_ne_u16_sdwa s[0:1], v2, s50 src0_sel:BYTE_0 src1_sel:DWORD
	v_mov_b32_e32 v88, 0x8000
	s_and_saveexec_b64 s[44:45], s[0:1]
	s_cbranch_execz .LBB269_386
; %bb.383:                              ;   in Loop: Header=BB269_9 Depth=1
	v_bfe_u32 v15, v14, 16, 7
	v_cmp_ne_u32_e64 s[0:1], s51, v15
	v_mov_b32_e32 v88, 0x7c01
	s_and_saveexec_b64 s[46:47], s[0:1]
	s_cbranch_execz .LBB269_385
; %bb.384:                              ;   in Loop: Header=BB269_9 Depth=1
	v_and_b32_e32 v16, 7, v2
	v_ffbh_u32_e32 v90, v16
	v_min_u32_e32 v92, 32, v90
	v_subrev_u32_e32 v90, 28, v92
	v_lshlrev_b64 v[90:91], v90, v[2:3]
	v_lshrrev_b32_e32 v88, 3, v15
	v_sub_u32_e32 v91, 29, v92
	v_cmp_gt_u32_e64 s[0:1], 8, v15
	v_lshlrev_b32_e32 v2, 8, v2
	s_nop 0
	v_cndmask_b32_e64 v15, v88, v91, s[0:1]
	v_lshl_add_u32 v15, v15, 10, v23
	v_and_b32_e32 v88, 7, v90
	v_and_b32_e32 v15, 0xfc00, v15
	v_cndmask_b32_e64 v16, v16, v88, s[0:1]
	v_and_or_b32 v2, v2, s52, v15
	v_lshl_or_b32 v88, v16, 7, v2
.LBB269_385:                            ;   in Loop: Header=BB269_9 Depth=1
	s_or_b64 exec, exec, s[46:47]
.LBB269_386:                            ;   in Loop: Header=BB269_9 Depth=1
	s_or_b64 exec, exec, s[44:45]
.LBB269_387:                            ;   in Loop: Header=BB269_9 Depth=1
	s_or_b64 exec, exec, s[42:43]
	v_cmp_lt_u32_e64 s[0:1], s53, v14
	v_mov_b32_e32 v91, 0
	v_mov_b32_e32 v90, 0
	s_and_saveexec_b64 s[42:43], s[0:1]
	s_cbranch_execz .LBB269_393
; %bb.388:                              ;   in Loop: Header=BB269_9 Depth=1
	v_lshrrev_b32_e32 v2, 24, v14
	v_cmp_ne_u32_e64 s[0:1], s50, v2
	v_bfrev_b32_e32 v90, 1
	s_and_saveexec_b64 s[44:45], s[0:1]
	s_cbranch_execz .LBB269_392
; %bb.389:                              ;   in Loop: Header=BB269_9 Depth=1
	v_and_b32_e32 v14, 0x7f, v2
	v_cmp_ne_u32_e64 s[0:1], s51, v14
	v_mov_b32_e32 v90, 0x7c010000
	s_and_saveexec_b64 s[46:47], s[0:1]
	s_cbranch_execz .LBB269_391
; %bb.390:                              ;   in Loop: Header=BB269_9 Depth=1
	v_and_b32_e32 v15, 7, v2
	v_ffbh_u32_e32 v90, v15
	v_min_u32_e32 v90, 32, v90
	v_lshrrev_b32_e32 v16, 3, v14
	v_subrev_u32_e32 v92, 28, v90
	v_sub_u32_e32 v90, 29, v90
	v_cmp_gt_u32_e64 s[0:1], 8, v14
	v_lshlrev_b64 v[92:93], v92, v[2:3]
	v_lshlrev_b32_e32 v2, 8, v2
	v_cndmask_b32_e64 v14, v16, v90, s[0:1]
	v_lshl_add_u32 v14, v14, 10, v23
	v_and_b32_e32 v16, 7, v92
	v_and_or_b32 v2, v2, s52, v14
	v_cndmask_b32_e64 v15, v15, v16, s[0:1]
	v_lshlrev_b32_e32 v2, 16, v2
	v_lshl_or_b32 v90, v15, 23, v2
.LBB269_391:                            ;   in Loop: Header=BB269_9 Depth=1
	s_or_b64 exec, exec, s[46:47]
.LBB269_392:                            ;   in Loop: Header=BB269_9 Depth=1
	s_or_b64 exec, exec, s[44:45]
.LBB269_393:                            ;   in Loop: Header=BB269_9 Depth=1
	s_or_b64 exec, exec, s[42:43]
	v_lshl_add_u64 v[14:15], v[12:13], 0, s[34:35]
	v_lshl_add_u64 v[92:93], v[14:15], 0, v[6:7]
	global_load_dword v16, v[92:93], off
	s_waitcnt vmcnt(0)
	v_cmp_ne_u16_sdwa s[0:1], v16, v3 src0_sel:BYTE_0 src1_sel:DWORD
	s_and_saveexec_b64 s[42:43], s[0:1]
	s_cbranch_execz .LBB269_399
; %bb.394:                              ;   in Loop: Header=BB269_9 Depth=1
	v_cmp_ne_u16_sdwa s[0:1], v16, s50 src0_sel:BYTE_0 src1_sel:DWORD
	v_mov_b32_e32 v91, 0x8000
	s_and_saveexec_b64 s[44:45], s[0:1]
	s_cbranch_execz .LBB269_398
; %bb.395:                              ;   in Loop: Header=BB269_9 Depth=1
	v_and_b32_e32 v2, 0x7f, v16
	v_cmp_ne_u32_e64 s[0:1], s51, v2
	v_mov_b32_e32 v91, 0x7c01
	s_and_saveexec_b64 s[46:47], s[0:1]
	s_cbranch_execz .LBB269_397
; %bb.396:                              ;   in Loop: Header=BB269_9 Depth=1
	v_and_b32_e32 v91, 7, v16
	v_ffbh_u32_e32 v92, v91
	v_min_u32_e32 v95, 32, v92
	v_subrev_u32_e32 v92, 28, v95
	v_lshlrev_b64 v[92:93], v92, v[16:17]
	v_lshrrev_b32_e32 v94, 3, v2
	v_sub_u32_e32 v93, 29, v95
	v_cmp_gt_u32_e64 s[0:1], 8, v2
	v_and_b32_e32 v92, 7, v92
	s_nop 0
	v_cndmask_b32_e64 v2, v94, v93, s[0:1]
	v_lshl_add_u32 v2, v2, 10, v23
	v_lshlrev_b32_e32 v93, 8, v16
	v_and_b32_e32 v2, 0xfc00, v2
	v_cndmask_b32_e64 v91, v91, v92, s[0:1]
	v_and_or_b32 v2, v93, s52, v2
	v_lshl_or_b32 v91, v91, 7, v2
.LBB269_397:                            ;   in Loop: Header=BB269_9 Depth=1
	s_or_b64 exec, exec, s[46:47]
.LBB269_398:                            ;   in Loop: Header=BB269_9 Depth=1
	s_or_b64 exec, exec, s[44:45]
.LBB269_399:                            ;   in Loop: Header=BB269_9 Depth=1
	s_or_b64 exec, exec, s[42:43]
	v_lshrrev_b16_e32 v2, 8, v16
	v_cmp_ne_u16_e64 s[0:1], 0, v2
	v_mov_b32_e32 v92, 0
	v_mov_b32_e32 v93, 0
	s_and_saveexec_b64 s[42:43], s[0:1]
	s_cbranch_execz .LBB269_405
; %bb.400:                              ;   in Loop: Header=BB269_9 Depth=1
	v_cmp_ne_u16_e64 s[0:1], s50, v2
	v_bfrev_b32_e32 v93, 1
	s_and_saveexec_b64 s[44:45], s[0:1]
	s_cbranch_execz .LBB269_404
; %bb.401:                              ;   in Loop: Header=BB269_9 Depth=1
	v_and_b32_e32 v94, 0x7f, v2
	v_cmp_ne_u32_e64 s[0:1], s51, v94
	v_mov_b32_e32 v93, 0x7c010000
	s_and_saveexec_b64 s[46:47], s[0:1]
	s_cbranch_execz .LBB269_403
; %bb.402:                              ;   in Loop: Header=BB269_9 Depth=1
	v_and_b32_e32 v93, 7, v2
	v_ffbh_u32_e32 v96, v93
	v_min_u32_e32 v98, 32, v96
	v_subrev_u32_e32 v96, 28, v98
	v_lshlrev_b64 v[96:97], v96, v[2:3]
	v_lshrrev_b32_e32 v95, 3, v94
	v_sub_u32_e32 v97, 29, v98
	v_cmp_gt_u32_e64 s[0:1], 8, v94
	v_lshlrev_b32_e32 v2, 8, v2
	s_nop 0
	v_cndmask_b32_e64 v94, v95, v97, s[0:1]
	v_lshl_add_u32 v94, v94, 10, v23
	v_and_b32_e32 v95, 7, v96
	v_and_or_b32 v2, v2, s52, v94
	v_cndmask_b32_e64 v93, v93, v95, s[0:1]
	v_lshlrev_b32_e32 v2, 16, v2
	v_lshl_or_b32 v93, v93, 23, v2
.LBB269_403:                            ;   in Loop: Header=BB269_9 Depth=1
	s_or_b64 exec, exec, s[46:47]
.LBB269_404:                            ;   in Loop: Header=BB269_9 Depth=1
	s_or_b64 exec, exec, s[44:45]
.LBB269_405:                            ;   in Loop: Header=BB269_9 Depth=1
	s_or_b64 exec, exec, s[42:43]
	v_lshrrev_b32_e32 v2, 16, v16
	v_cmp_ne_u16_sdwa s[0:1], v2, v3 src0_sel:BYTE_0 src1_sel:DWORD
	s_and_saveexec_b64 s[42:43], s[0:1]
	s_cbranch_execz .LBB269_411
; %bb.406:                              ;   in Loop: Header=BB269_9 Depth=1
	v_cmp_ne_u16_sdwa s[0:1], v2, s50 src0_sel:BYTE_0 src1_sel:DWORD
	v_mov_b32_e32 v92, 0x8000
	s_and_saveexec_b64 s[44:45], s[0:1]
	s_cbranch_execz .LBB269_410
; %bb.407:                              ;   in Loop: Header=BB269_9 Depth=1
	v_bfe_u32 v94, v16, 16, 7
	v_cmp_ne_u32_e64 s[0:1], s51, v94
	v_mov_b32_e32 v92, 0x7c01
	s_and_saveexec_b64 s[46:47], s[0:1]
	s_cbranch_execz .LBB269_409
; %bb.408:                              ;   in Loop: Header=BB269_9 Depth=1
	v_and_b32_e32 v92, 7, v2
	v_ffbh_u32_e32 v96, v92
	v_min_u32_e32 v98, 32, v96
	v_subrev_u32_e32 v96, 28, v98
	v_lshlrev_b64 v[96:97], v96, v[2:3]
	v_lshrrev_b32_e32 v95, 3, v94
	v_sub_u32_e32 v97, 29, v98
	v_cmp_gt_u32_e64 s[0:1], 8, v94
	v_lshlrev_b32_e32 v2, 8, v2
	s_nop 0
	v_cndmask_b32_e64 v94, v95, v97, s[0:1]
	v_lshl_add_u32 v94, v94, 10, v23
	v_and_b32_e32 v95, 7, v96
	v_and_b32_e32 v94, 0xfc00, v94
	v_cndmask_b32_e64 v92, v92, v95, s[0:1]
	v_and_or_b32 v2, v2, s52, v94
	v_lshl_or_b32 v92, v92, 7, v2
.LBB269_409:                            ;   in Loop: Header=BB269_9 Depth=1
	s_or_b64 exec, exec, s[46:47]
.LBB269_410:                            ;   in Loop: Header=BB269_9 Depth=1
	s_or_b64 exec, exec, s[44:45]
.LBB269_411:                            ;   in Loop: Header=BB269_9 Depth=1
	s_or_b64 exec, exec, s[42:43]
	v_cmp_lt_u32_e64 s[0:1], s53, v16
	v_mov_b32_e32 v95, 0
	v_mov_b32_e32 v94, 0
	s_and_saveexec_b64 s[42:43], s[0:1]
	s_cbranch_execz .LBB269_417
; %bb.412:                              ;   in Loop: Header=BB269_9 Depth=1
	v_lshrrev_b32_e32 v2, 24, v16
	v_cmp_ne_u32_e64 s[0:1], s50, v2
	v_bfrev_b32_e32 v94, 1
	s_and_saveexec_b64 s[44:45], s[0:1]
	s_cbranch_execz .LBB269_416
; %bb.413:                              ;   in Loop: Header=BB269_9 Depth=1
	v_and_b32_e32 v16, 0x7f, v2
	v_cmp_ne_u32_e64 s[0:1], s51, v16
	v_mov_b32_e32 v94, 0x7c010000
	s_and_saveexec_b64 s[46:47], s[0:1]
	s_cbranch_execz .LBB269_415
; %bb.414:                              ;   in Loop: Header=BB269_9 Depth=1
	v_and_b32_e32 v94, 7, v2
	v_ffbh_u32_e32 v96, v94
	v_min_u32_e32 v99, 32, v96
	v_subrev_u32_e32 v96, 28, v99
	v_lshlrev_b64 v[96:97], v96, v[2:3]
	v_lshrrev_b32_e32 v98, 3, v16
	v_sub_u32_e32 v97, 29, v99
	v_cmp_gt_u32_e64 s[0:1], 8, v16
	v_lshlrev_b32_e32 v2, 8, v2
	v_and_b32_e32 v96, 7, v96
	v_cndmask_b32_e64 v16, v98, v97, s[0:1]
	v_lshl_add_u32 v16, v16, 10, v23
	v_and_or_b32 v2, v2, s52, v16
	v_cndmask_b32_e64 v94, v94, v96, s[0:1]
	v_lshlrev_b32_e32 v2, 16, v2
	v_lshl_or_b32 v94, v94, 23, v2
.LBB269_415:                            ;   in Loop: Header=BB269_9 Depth=1
	s_or_b64 exec, exec, s[46:47]
.LBB269_416:                            ;   in Loop: Header=BB269_9 Depth=1
	s_or_b64 exec, exec, s[44:45]
.LBB269_417:                            ;   in Loop: Header=BB269_9 Depth=1
	s_or_b64 exec, exec, s[42:43]
	v_lshl_add_u64 v[14:15], v[14:15], 0, v[8:9]
	global_load_dword v14, v[14:15], off
	s_waitcnt vmcnt(0)
	v_cmp_ne_u16_sdwa s[0:1], v14, v3 src0_sel:BYTE_0 src1_sel:DWORD
	s_and_saveexec_b64 s[42:43], s[0:1]
	s_cbranch_execz .LBB269_423
; %bb.418:                              ;   in Loop: Header=BB269_9 Depth=1
	v_cmp_ne_u16_sdwa s[0:1], v14, s50 src0_sel:BYTE_0 src1_sel:DWORD
	v_mov_b32_e32 v95, 0x8000
	s_and_saveexec_b64 s[44:45], s[0:1]
	s_cbranch_execz .LBB269_422
; %bb.419:                              ;   in Loop: Header=BB269_9 Depth=1
	v_and_b32_e32 v2, 0x7f, v14
	v_cmp_ne_u32_e64 s[0:1], s51, v2
	v_mov_b32_e32 v95, 0x7c01
	s_and_saveexec_b64 s[46:47], s[0:1]
	s_cbranch_execz .LBB269_421
; %bb.420:                              ;   in Loop: Header=BB269_9 Depth=1
	v_and_b32_e32 v15, 7, v14
	v_ffbh_u32_e32 v95, v15
	v_min_u32_e32 v95, 32, v95
	v_lshrrev_b32_e32 v16, 3, v2
	v_subrev_u32_e32 v96, 28, v95
	v_sub_u32_e32 v95, 29, v95
	v_cmp_gt_u32_e64 s[0:1], 8, v2
	v_lshlrev_b64 v[96:97], v96, v[14:15]
	s_nop 0
	v_cndmask_b32_e64 v2, v16, v95, s[0:1]
	v_lshl_add_u32 v2, v2, 10, v23
	v_lshlrev_b32_e32 v16, 8, v14
	v_and_b32_e32 v95, 7, v96
	v_and_b32_e32 v2, 0xfc00, v2
	v_cndmask_b32_e64 v15, v15, v95, s[0:1]
	v_and_or_b32 v2, v16, s52, v2
	v_lshl_or_b32 v95, v15, 7, v2
.LBB269_421:                            ;   in Loop: Header=BB269_9 Depth=1
	s_or_b64 exec, exec, s[46:47]
.LBB269_422:                            ;   in Loop: Header=BB269_9 Depth=1
	s_or_b64 exec, exec, s[44:45]
.LBB269_423:                            ;   in Loop: Header=BB269_9 Depth=1
	s_or_b64 exec, exec, s[42:43]
	v_lshrrev_b16_e32 v2, 8, v14
	v_cmp_ne_u16_e64 s[0:1], 0, v2
	v_mov_b32_e32 v96, 0
	v_mov_b32_e32 v97, 0
	s_and_saveexec_b64 s[42:43], s[0:1]
	s_cbranch_execz .LBB269_429
; %bb.424:                              ;   in Loop: Header=BB269_9 Depth=1
	v_cmp_ne_u16_e64 s[0:1], s50, v2
	v_bfrev_b32_e32 v97, 1
	s_and_saveexec_b64 s[44:45], s[0:1]
	s_cbranch_execz .LBB269_428
; %bb.425:                              ;   in Loop: Header=BB269_9 Depth=1
	v_and_b32_e32 v15, 0x7f, v2
	v_cmp_ne_u32_e64 s[0:1], s51, v15
	v_mov_b32_e32 v97, 0x7c010000
	s_and_saveexec_b64 s[46:47], s[0:1]
	s_cbranch_execz .LBB269_427
; %bb.426:                              ;   in Loop: Header=BB269_9 Depth=1
	v_and_b32_e32 v16, 7, v2
	v_ffbh_u32_e32 v98, v16
	v_min_u32_e32 v100, 32, v98
	v_subrev_u32_e32 v98, 28, v100
	v_lshlrev_b64 v[98:99], v98, v[2:3]
	v_lshrrev_b32_e32 v97, 3, v15
	v_sub_u32_e32 v99, 29, v100
	v_cmp_gt_u32_e64 s[0:1], 8, v15
	v_lshlrev_b32_e32 v2, 8, v2
	s_nop 0
	v_cndmask_b32_e64 v15, v97, v99, s[0:1]
	v_lshl_add_u32 v15, v15, 10, v23
	v_and_b32_e32 v97, 7, v98
	v_and_or_b32 v2, v2, s52, v15
	v_cndmask_b32_e64 v16, v16, v97, s[0:1]
	v_lshlrev_b32_e32 v2, 16, v2
	v_lshl_or_b32 v97, v16, 23, v2
.LBB269_427:                            ;   in Loop: Header=BB269_9 Depth=1
	s_or_b64 exec, exec, s[46:47]
.LBB269_428:                            ;   in Loop: Header=BB269_9 Depth=1
	s_or_b64 exec, exec, s[44:45]
.LBB269_429:                            ;   in Loop: Header=BB269_9 Depth=1
	s_or_b64 exec, exec, s[42:43]
	v_lshrrev_b32_e32 v2, 16, v14
	v_cmp_ne_u16_sdwa s[0:1], v2, v3 src0_sel:BYTE_0 src1_sel:DWORD
	s_and_saveexec_b64 s[42:43], s[0:1]
	s_cbranch_execz .LBB269_435
; %bb.430:                              ;   in Loop: Header=BB269_9 Depth=1
	v_cmp_ne_u16_sdwa s[0:1], v2, s50 src0_sel:BYTE_0 src1_sel:DWORD
	v_mov_b32_e32 v96, 0x8000
	s_and_saveexec_b64 s[44:45], s[0:1]
	s_cbranch_execz .LBB269_434
; %bb.431:                              ;   in Loop: Header=BB269_9 Depth=1
	v_bfe_u32 v15, v14, 16, 7
	v_cmp_ne_u32_e64 s[0:1], s51, v15
	v_mov_b32_e32 v96, 0x7c01
	s_and_saveexec_b64 s[46:47], s[0:1]
	s_cbranch_execz .LBB269_433
; %bb.432:                              ;   in Loop: Header=BB269_9 Depth=1
	v_and_b32_e32 v16, 7, v2
	v_ffbh_u32_e32 v98, v16
	v_min_u32_e32 v100, 32, v98
	v_subrev_u32_e32 v98, 28, v100
	v_lshlrev_b64 v[98:99], v98, v[2:3]
	v_lshrrev_b32_e32 v96, 3, v15
	v_sub_u32_e32 v99, 29, v100
	v_cmp_gt_u32_e64 s[0:1], 8, v15
	v_lshlrev_b32_e32 v2, 8, v2
	s_nop 0
	v_cndmask_b32_e64 v15, v96, v99, s[0:1]
	v_lshl_add_u32 v15, v15, 10, v23
	v_and_b32_e32 v96, 7, v98
	v_and_b32_e32 v15, 0xfc00, v15
	v_cndmask_b32_e64 v16, v16, v96, s[0:1]
	v_and_or_b32 v2, v2, s52, v15
	v_lshl_or_b32 v96, v16, 7, v2
.LBB269_433:                            ;   in Loop: Header=BB269_9 Depth=1
	s_or_b64 exec, exec, s[46:47]
.LBB269_434:                            ;   in Loop: Header=BB269_9 Depth=1
	s_or_b64 exec, exec, s[44:45]
.LBB269_435:                            ;   in Loop: Header=BB269_9 Depth=1
	s_or_b64 exec, exec, s[42:43]
	v_cmp_lt_u32_e64 s[0:1], s53, v14
	v_mov_b32_e32 v99, 0
	v_mov_b32_e32 v98, 0
	s_and_saveexec_b64 s[42:43], s[0:1]
	s_cbranch_execz .LBB269_441
; %bb.436:                              ;   in Loop: Header=BB269_9 Depth=1
	v_lshrrev_b32_e32 v2, 24, v14
	v_cmp_ne_u32_e64 s[0:1], s50, v2
	v_bfrev_b32_e32 v98, 1
	s_and_saveexec_b64 s[44:45], s[0:1]
	s_cbranch_execz .LBB269_440
; %bb.437:                              ;   in Loop: Header=BB269_9 Depth=1
	v_and_b32_e32 v14, 0x7f, v2
	v_cmp_ne_u32_e64 s[0:1], s51, v14
	v_mov_b32_e32 v98, 0x7c010000
	s_and_saveexec_b64 s[46:47], s[0:1]
	s_cbranch_execz .LBB269_439
; %bb.438:                              ;   in Loop: Header=BB269_9 Depth=1
	v_and_b32_e32 v15, 7, v2
	v_ffbh_u32_e32 v98, v15
	v_min_u32_e32 v98, 32, v98
	v_lshrrev_b32_e32 v16, 3, v14
	v_subrev_u32_e32 v100, 28, v98
	v_sub_u32_e32 v98, 29, v98
	v_cmp_gt_u32_e64 s[0:1], 8, v14
	v_lshlrev_b64 v[100:101], v100, v[2:3]
	v_lshlrev_b32_e32 v2, 8, v2
	v_cndmask_b32_e64 v14, v16, v98, s[0:1]
	v_lshl_add_u32 v14, v14, 10, v23
	v_and_b32_e32 v16, 7, v100
	v_and_or_b32 v2, v2, s52, v14
	v_cndmask_b32_e64 v15, v15, v16, s[0:1]
	v_lshlrev_b32_e32 v2, 16, v2
	v_lshl_or_b32 v98, v15, 23, v2
.LBB269_439:                            ;   in Loop: Header=BB269_9 Depth=1
	s_or_b64 exec, exec, s[46:47]
.LBB269_440:                            ;   in Loop: Header=BB269_9 Depth=1
	s_or_b64 exec, exec, s[44:45]
.LBB269_441:                            ;   in Loop: Header=BB269_9 Depth=1
	s_or_b64 exec, exec, s[42:43]
	v_lshl_add_u64 v[14:15], v[12:13], 0, s[36:37]
	v_lshl_add_u64 v[100:101], v[14:15], 0, v[6:7]
	global_load_dword v16, v[100:101], off
	s_waitcnt vmcnt(0)
	v_cmp_ne_u16_sdwa s[0:1], v16, v3 src0_sel:BYTE_0 src1_sel:DWORD
	s_and_saveexec_b64 s[42:43], s[0:1]
	s_cbranch_execz .LBB269_447
; %bb.442:                              ;   in Loop: Header=BB269_9 Depth=1
	v_cmp_ne_u16_sdwa s[0:1], v16, s50 src0_sel:BYTE_0 src1_sel:DWORD
	v_mov_b32_e32 v99, 0x8000
	s_and_saveexec_b64 s[44:45], s[0:1]
	s_cbranch_execz .LBB269_446
; %bb.443:                              ;   in Loop: Header=BB269_9 Depth=1
	v_and_b32_e32 v2, 0x7f, v16
	v_cmp_ne_u32_e64 s[0:1], s51, v2
	v_mov_b32_e32 v99, 0x7c01
	s_and_saveexec_b64 s[46:47], s[0:1]
	s_cbranch_execz .LBB269_445
; %bb.444:                              ;   in Loop: Header=BB269_9 Depth=1
	v_and_b32_e32 v99, 7, v16
	v_ffbh_u32_e32 v100, v99
	v_min_u32_e32 v103, 32, v100
	v_subrev_u32_e32 v100, 28, v103
	v_lshlrev_b64 v[100:101], v100, v[16:17]
	v_lshrrev_b32_e32 v102, 3, v2
	v_sub_u32_e32 v101, 29, v103
	v_cmp_gt_u32_e64 s[0:1], 8, v2
	v_and_b32_e32 v100, 7, v100
	s_nop 0
	v_cndmask_b32_e64 v2, v102, v101, s[0:1]
	v_lshl_add_u32 v2, v2, 10, v23
	v_lshlrev_b32_e32 v101, 8, v16
	v_and_b32_e32 v2, 0xfc00, v2
	v_cndmask_b32_e64 v99, v99, v100, s[0:1]
	v_and_or_b32 v2, v101, s52, v2
	v_lshl_or_b32 v99, v99, 7, v2
.LBB269_445:                            ;   in Loop: Header=BB269_9 Depth=1
	s_or_b64 exec, exec, s[46:47]
.LBB269_446:                            ;   in Loop: Header=BB269_9 Depth=1
	s_or_b64 exec, exec, s[44:45]
.LBB269_447:                            ;   in Loop: Header=BB269_9 Depth=1
	s_or_b64 exec, exec, s[42:43]
	v_lshrrev_b16_e32 v2, 8, v16
	v_cmp_ne_u16_e64 s[0:1], 0, v2
	v_mov_b32_e32 v100, 0
	v_mov_b32_e32 v101, 0
	s_and_saveexec_b64 s[42:43], s[0:1]
	s_cbranch_execz .LBB269_453
; %bb.448:                              ;   in Loop: Header=BB269_9 Depth=1
	v_cmp_ne_u16_e64 s[0:1], s50, v2
	v_bfrev_b32_e32 v101, 1
	s_and_saveexec_b64 s[44:45], s[0:1]
	s_cbranch_execz .LBB269_452
; %bb.449:                              ;   in Loop: Header=BB269_9 Depth=1
	v_and_b32_e32 v102, 0x7f, v2
	v_cmp_ne_u32_e64 s[0:1], s51, v102
	v_mov_b32_e32 v101, 0x7c010000
	s_and_saveexec_b64 s[46:47], s[0:1]
	s_cbranch_execz .LBB269_451
; %bb.450:                              ;   in Loop: Header=BB269_9 Depth=1
	v_and_b32_e32 v101, 7, v2
	v_ffbh_u32_e32 v104, v101
	v_min_u32_e32 v106, 32, v104
	v_subrev_u32_e32 v104, 28, v106
	v_lshlrev_b64 v[104:105], v104, v[2:3]
	v_lshrrev_b32_e32 v103, 3, v102
	v_sub_u32_e32 v105, 29, v106
	v_cmp_gt_u32_e64 s[0:1], 8, v102
	v_lshlrev_b32_e32 v2, 8, v2
	s_nop 0
	v_cndmask_b32_e64 v102, v103, v105, s[0:1]
	v_lshl_add_u32 v102, v102, 10, v23
	v_and_b32_e32 v103, 7, v104
	v_and_or_b32 v2, v2, s52, v102
	v_cndmask_b32_e64 v101, v101, v103, s[0:1]
	v_lshlrev_b32_e32 v2, 16, v2
	v_lshl_or_b32 v101, v101, 23, v2
.LBB269_451:                            ;   in Loop: Header=BB269_9 Depth=1
	s_or_b64 exec, exec, s[46:47]
.LBB269_452:                            ;   in Loop: Header=BB269_9 Depth=1
	s_or_b64 exec, exec, s[44:45]
.LBB269_453:                            ;   in Loop: Header=BB269_9 Depth=1
	s_or_b64 exec, exec, s[42:43]
	v_lshrrev_b32_e32 v2, 16, v16
	v_cmp_ne_u16_sdwa s[0:1], v2, v3 src0_sel:BYTE_0 src1_sel:DWORD
	s_and_saveexec_b64 s[42:43], s[0:1]
	s_cbranch_execz .LBB269_459
; %bb.454:                              ;   in Loop: Header=BB269_9 Depth=1
	v_cmp_ne_u16_sdwa s[0:1], v2, s50 src0_sel:BYTE_0 src1_sel:DWORD
	v_mov_b32_e32 v100, 0x8000
	s_and_saveexec_b64 s[44:45], s[0:1]
	s_cbranch_execz .LBB269_458
; %bb.455:                              ;   in Loop: Header=BB269_9 Depth=1
	v_bfe_u32 v102, v16, 16, 7
	v_cmp_ne_u32_e64 s[0:1], s51, v102
	v_mov_b32_e32 v100, 0x7c01
	s_and_saveexec_b64 s[46:47], s[0:1]
	s_cbranch_execz .LBB269_457
; %bb.456:                              ;   in Loop: Header=BB269_9 Depth=1
	v_and_b32_e32 v100, 7, v2
	v_ffbh_u32_e32 v104, v100
	v_min_u32_e32 v106, 32, v104
	v_subrev_u32_e32 v104, 28, v106
	v_lshlrev_b64 v[104:105], v104, v[2:3]
	v_lshrrev_b32_e32 v103, 3, v102
	v_sub_u32_e32 v105, 29, v106
	v_cmp_gt_u32_e64 s[0:1], 8, v102
	v_lshlrev_b32_e32 v2, 8, v2
	s_nop 0
	v_cndmask_b32_e64 v102, v103, v105, s[0:1]
	v_lshl_add_u32 v102, v102, 10, v23
	v_and_b32_e32 v103, 7, v104
	v_and_b32_e32 v102, 0xfc00, v102
	v_cndmask_b32_e64 v100, v100, v103, s[0:1]
	v_and_or_b32 v2, v2, s52, v102
	v_lshl_or_b32 v100, v100, 7, v2
.LBB269_457:                            ;   in Loop: Header=BB269_9 Depth=1
	s_or_b64 exec, exec, s[46:47]
.LBB269_458:                            ;   in Loop: Header=BB269_9 Depth=1
	s_or_b64 exec, exec, s[44:45]
.LBB269_459:                            ;   in Loop: Header=BB269_9 Depth=1
	s_or_b64 exec, exec, s[42:43]
	v_cmp_lt_u32_e64 s[0:1], s53, v16
	v_mov_b32_e32 v103, 0
	v_mov_b32_e32 v102, 0
	s_and_saveexec_b64 s[42:43], s[0:1]
	s_cbranch_execz .LBB269_465
; %bb.460:                              ;   in Loop: Header=BB269_9 Depth=1
	v_lshrrev_b32_e32 v2, 24, v16
	v_cmp_ne_u32_e64 s[0:1], s50, v2
	v_bfrev_b32_e32 v102, 1
	s_and_saveexec_b64 s[44:45], s[0:1]
	s_cbranch_execz .LBB269_464
; %bb.461:                              ;   in Loop: Header=BB269_9 Depth=1
	v_and_b32_e32 v16, 0x7f, v2
	v_cmp_ne_u32_e64 s[0:1], s51, v16
	v_mov_b32_e32 v102, 0x7c010000
	s_and_saveexec_b64 s[46:47], s[0:1]
	s_cbranch_execz .LBB269_463
; %bb.462:                              ;   in Loop: Header=BB269_9 Depth=1
	v_and_b32_e32 v102, 7, v2
	v_ffbh_u32_e32 v104, v102
	v_min_u32_e32 v107, 32, v104
	v_subrev_u32_e32 v104, 28, v107
	v_lshlrev_b64 v[104:105], v104, v[2:3]
	v_lshrrev_b32_e32 v106, 3, v16
	v_sub_u32_e32 v105, 29, v107
	v_cmp_gt_u32_e64 s[0:1], 8, v16
	v_lshlrev_b32_e32 v2, 8, v2
	v_and_b32_e32 v104, 7, v104
	v_cndmask_b32_e64 v16, v106, v105, s[0:1]
	v_lshl_add_u32 v16, v16, 10, v23
	v_and_or_b32 v2, v2, s52, v16
	v_cndmask_b32_e64 v102, v102, v104, s[0:1]
	v_lshlrev_b32_e32 v2, 16, v2
	v_lshl_or_b32 v102, v102, 23, v2
.LBB269_463:                            ;   in Loop: Header=BB269_9 Depth=1
	s_or_b64 exec, exec, s[46:47]
.LBB269_464:                            ;   in Loop: Header=BB269_9 Depth=1
	s_or_b64 exec, exec, s[44:45]
.LBB269_465:                            ;   in Loop: Header=BB269_9 Depth=1
	s_or_b64 exec, exec, s[42:43]
	v_lshl_add_u64 v[14:15], v[14:15], 0, v[8:9]
	global_load_dword v14, v[14:15], off
	s_waitcnt vmcnt(0)
	v_cmp_ne_u16_sdwa s[0:1], v14, v3 src0_sel:BYTE_0 src1_sel:DWORD
	s_and_saveexec_b64 s[42:43], s[0:1]
	s_cbranch_execz .LBB269_471
; %bb.466:                              ;   in Loop: Header=BB269_9 Depth=1
	v_cmp_ne_u16_sdwa s[0:1], v14, s50 src0_sel:BYTE_0 src1_sel:DWORD
	v_mov_b32_e32 v103, 0x8000
	s_and_saveexec_b64 s[44:45], s[0:1]
	s_cbranch_execz .LBB269_470
; %bb.467:                              ;   in Loop: Header=BB269_9 Depth=1
	v_and_b32_e32 v2, 0x7f, v14
	v_cmp_ne_u32_e64 s[0:1], s51, v2
	v_mov_b32_e32 v103, 0x7c01
	s_and_saveexec_b64 s[46:47], s[0:1]
	s_cbranch_execz .LBB269_469
; %bb.468:                              ;   in Loop: Header=BB269_9 Depth=1
	v_and_b32_e32 v15, 7, v14
	v_ffbh_u32_e32 v103, v15
	v_min_u32_e32 v103, 32, v103
	v_lshrrev_b32_e32 v16, 3, v2
	v_subrev_u32_e32 v104, 28, v103
	v_sub_u32_e32 v103, 29, v103
	v_cmp_gt_u32_e64 s[0:1], 8, v2
	v_lshlrev_b64 v[104:105], v104, v[14:15]
	s_nop 0
	v_cndmask_b32_e64 v2, v16, v103, s[0:1]
	v_lshl_add_u32 v2, v2, 10, v23
	v_lshlrev_b32_e32 v16, 8, v14
	v_and_b32_e32 v103, 7, v104
	v_and_b32_e32 v2, 0xfc00, v2
	v_cndmask_b32_e64 v15, v15, v103, s[0:1]
	v_and_or_b32 v2, v16, s52, v2
	v_lshl_or_b32 v103, v15, 7, v2
.LBB269_469:                            ;   in Loop: Header=BB269_9 Depth=1
	s_or_b64 exec, exec, s[46:47]
.LBB269_470:                            ;   in Loop: Header=BB269_9 Depth=1
	s_or_b64 exec, exec, s[44:45]
.LBB269_471:                            ;   in Loop: Header=BB269_9 Depth=1
	s_or_b64 exec, exec, s[42:43]
	v_lshrrev_b16_e32 v2, 8, v14
	v_cmp_ne_u16_e64 s[0:1], 0, v2
	v_mov_b32_e32 v104, 0
	v_mov_b32_e32 v105, 0
	s_and_saveexec_b64 s[42:43], s[0:1]
	s_cbranch_execz .LBB269_477
; %bb.472:                              ;   in Loop: Header=BB269_9 Depth=1
	v_cmp_ne_u16_e64 s[0:1], s50, v2
	v_bfrev_b32_e32 v105, 1
	s_and_saveexec_b64 s[44:45], s[0:1]
	s_cbranch_execz .LBB269_476
; %bb.473:                              ;   in Loop: Header=BB269_9 Depth=1
	v_and_b32_e32 v15, 0x7f, v2
	v_cmp_ne_u32_e64 s[0:1], s51, v15
	v_mov_b32_e32 v105, 0x7c010000
	s_and_saveexec_b64 s[46:47], s[0:1]
	s_cbranch_execz .LBB269_475
; %bb.474:                              ;   in Loop: Header=BB269_9 Depth=1
	v_and_b32_e32 v16, 7, v2
	v_ffbh_u32_e32 v106, v16
	v_min_u32_e32 v108, 32, v106
	v_subrev_u32_e32 v106, 28, v108
	v_lshlrev_b64 v[106:107], v106, v[2:3]
	v_lshrrev_b32_e32 v105, 3, v15
	v_sub_u32_e32 v107, 29, v108
	v_cmp_gt_u32_e64 s[0:1], 8, v15
	v_lshlrev_b32_e32 v2, 8, v2
	s_nop 0
	v_cndmask_b32_e64 v15, v105, v107, s[0:1]
	v_lshl_add_u32 v15, v15, 10, v23
	v_and_b32_e32 v105, 7, v106
	v_and_or_b32 v2, v2, s52, v15
	v_cndmask_b32_e64 v16, v16, v105, s[0:1]
	v_lshlrev_b32_e32 v2, 16, v2
	v_lshl_or_b32 v105, v16, 23, v2
.LBB269_475:                            ;   in Loop: Header=BB269_9 Depth=1
	s_or_b64 exec, exec, s[46:47]
.LBB269_476:                            ;   in Loop: Header=BB269_9 Depth=1
	s_or_b64 exec, exec, s[44:45]
.LBB269_477:                            ;   in Loop: Header=BB269_9 Depth=1
	s_or_b64 exec, exec, s[42:43]
	v_lshrrev_b32_e32 v2, 16, v14
	v_cmp_ne_u16_sdwa s[0:1], v2, v3 src0_sel:BYTE_0 src1_sel:DWORD
	s_and_saveexec_b64 s[42:43], s[0:1]
	s_cbranch_execz .LBB269_483
; %bb.478:                              ;   in Loop: Header=BB269_9 Depth=1
	v_cmp_ne_u16_sdwa s[0:1], v2, s50 src0_sel:BYTE_0 src1_sel:DWORD
	v_mov_b32_e32 v104, 0x8000
	s_and_saveexec_b64 s[44:45], s[0:1]
	s_cbranch_execz .LBB269_482
; %bb.479:                              ;   in Loop: Header=BB269_9 Depth=1
	v_bfe_u32 v15, v14, 16, 7
	v_cmp_ne_u32_e64 s[0:1], s51, v15
	v_mov_b32_e32 v104, 0x7c01
	s_and_saveexec_b64 s[46:47], s[0:1]
	s_cbranch_execz .LBB269_481
; %bb.480:                              ;   in Loop: Header=BB269_9 Depth=1
	v_and_b32_e32 v16, 7, v2
	v_ffbh_u32_e32 v106, v16
	v_min_u32_e32 v108, 32, v106
	v_subrev_u32_e32 v106, 28, v108
	v_lshlrev_b64 v[106:107], v106, v[2:3]
	v_lshrrev_b32_e32 v104, 3, v15
	v_sub_u32_e32 v107, 29, v108
	v_cmp_gt_u32_e64 s[0:1], 8, v15
	v_lshlrev_b32_e32 v2, 8, v2
	s_nop 0
	v_cndmask_b32_e64 v15, v104, v107, s[0:1]
	v_lshl_add_u32 v15, v15, 10, v23
	v_and_b32_e32 v104, 7, v106
	v_and_b32_e32 v15, 0xfc00, v15
	v_cndmask_b32_e64 v16, v16, v104, s[0:1]
	v_and_or_b32 v2, v2, s52, v15
	v_lshl_or_b32 v104, v16, 7, v2
.LBB269_481:                            ;   in Loop: Header=BB269_9 Depth=1
	s_or_b64 exec, exec, s[46:47]
.LBB269_482:                            ;   in Loop: Header=BB269_9 Depth=1
	s_or_b64 exec, exec, s[44:45]
.LBB269_483:                            ;   in Loop: Header=BB269_9 Depth=1
	s_or_b64 exec, exec, s[42:43]
	v_cmp_lt_u32_e64 s[0:1], s53, v14
	v_mov_b32_e32 v107, 0
	v_mov_b32_e32 v106, 0
	s_and_saveexec_b64 s[42:43], s[0:1]
	s_cbranch_execz .LBB269_489
; %bb.484:                              ;   in Loop: Header=BB269_9 Depth=1
	v_lshrrev_b32_e32 v2, 24, v14
	v_cmp_ne_u32_e64 s[0:1], s50, v2
	v_bfrev_b32_e32 v106, 1
	s_and_saveexec_b64 s[44:45], s[0:1]
	s_cbranch_execz .LBB269_488
; %bb.485:                              ;   in Loop: Header=BB269_9 Depth=1
	v_and_b32_e32 v14, 0x7f, v2
	v_cmp_ne_u32_e64 s[0:1], s51, v14
	v_mov_b32_e32 v106, 0x7c010000
	s_and_saveexec_b64 s[46:47], s[0:1]
	s_cbranch_execz .LBB269_487
; %bb.486:                              ;   in Loop: Header=BB269_9 Depth=1
	v_and_b32_e32 v15, 7, v2
	v_ffbh_u32_e32 v106, v15
	v_min_u32_e32 v106, 32, v106
	v_lshrrev_b32_e32 v16, 3, v14
	v_subrev_u32_e32 v108, 28, v106
	v_sub_u32_e32 v106, 29, v106
	v_cmp_gt_u32_e64 s[0:1], 8, v14
	v_lshlrev_b64 v[108:109], v108, v[2:3]
	v_lshlrev_b32_e32 v2, 8, v2
	v_cndmask_b32_e64 v14, v16, v106, s[0:1]
	v_lshl_add_u32 v14, v14, 10, v23
	v_and_b32_e32 v16, 7, v108
	v_and_or_b32 v2, v2, s52, v14
	v_cndmask_b32_e64 v15, v15, v16, s[0:1]
	v_lshlrev_b32_e32 v2, 16, v2
	v_lshl_or_b32 v106, v15, 23, v2
.LBB269_487:                            ;   in Loop: Header=BB269_9 Depth=1
	s_or_b64 exec, exec, s[46:47]
.LBB269_488:                            ;   in Loop: Header=BB269_9 Depth=1
	s_or_b64 exec, exec, s[44:45]
.LBB269_489:                            ;   in Loop: Header=BB269_9 Depth=1
	s_or_b64 exec, exec, s[42:43]
	v_lshl_add_u64 v[14:15], v[12:13], 0, s[38:39]
	v_lshl_add_u64 v[108:109], v[14:15], 0, v[6:7]
	global_load_dword v16, v[108:109], off
	s_waitcnt vmcnt(0)
	v_cmp_ne_u16_sdwa s[0:1], v16, v3 src0_sel:BYTE_0 src1_sel:DWORD
	s_and_saveexec_b64 s[42:43], s[0:1]
	s_cbranch_execz .LBB269_495
; %bb.490:                              ;   in Loop: Header=BB269_9 Depth=1
	v_cmp_ne_u16_sdwa s[0:1], v16, s50 src0_sel:BYTE_0 src1_sel:DWORD
	v_mov_b32_e32 v107, 0x8000
	s_and_saveexec_b64 s[44:45], s[0:1]
	s_cbranch_execz .LBB269_494
; %bb.491:                              ;   in Loop: Header=BB269_9 Depth=1
	v_and_b32_e32 v2, 0x7f, v16
	v_cmp_ne_u32_e64 s[0:1], s51, v2
	v_mov_b32_e32 v107, 0x7c01
	s_and_saveexec_b64 s[46:47], s[0:1]
	s_cbranch_execz .LBB269_493
; %bb.492:                              ;   in Loop: Header=BB269_9 Depth=1
	v_and_b32_e32 v107, 7, v16
	v_ffbh_u32_e32 v108, v107
	v_min_u32_e32 v111, 32, v108
	v_subrev_u32_e32 v108, 28, v111
	v_lshlrev_b64 v[108:109], v108, v[16:17]
	v_lshrrev_b32_e32 v110, 3, v2
	v_sub_u32_e32 v109, 29, v111
	v_cmp_gt_u32_e64 s[0:1], 8, v2
	v_and_b32_e32 v108, 7, v108
	s_nop 0
	v_cndmask_b32_e64 v2, v110, v109, s[0:1]
	v_lshl_add_u32 v2, v2, 10, v23
	v_lshlrev_b32_e32 v109, 8, v16
	v_and_b32_e32 v2, 0xfc00, v2
	v_cndmask_b32_e64 v107, v107, v108, s[0:1]
	v_and_or_b32 v2, v109, s52, v2
	v_lshl_or_b32 v107, v107, 7, v2
.LBB269_493:                            ;   in Loop: Header=BB269_9 Depth=1
	s_or_b64 exec, exec, s[46:47]
.LBB269_494:                            ;   in Loop: Header=BB269_9 Depth=1
	s_or_b64 exec, exec, s[44:45]
.LBB269_495:                            ;   in Loop: Header=BB269_9 Depth=1
	s_or_b64 exec, exec, s[42:43]
	v_lshrrev_b16_e32 v2, 8, v16
	v_cmp_ne_u16_e64 s[0:1], 0, v2
	v_mov_b32_e32 v110, 0
	v_mov_b32_e32 v111, 0
	s_and_saveexec_b64 s[42:43], s[0:1]
	s_cbranch_execz .LBB269_501
; %bb.496:                              ;   in Loop: Header=BB269_9 Depth=1
	v_cmp_ne_u16_e64 s[0:1], s50, v2
	v_bfrev_b32_e32 v111, 1
	s_and_saveexec_b64 s[44:45], s[0:1]
	s_cbranch_execz .LBB269_500
; %bb.497:                              ;   in Loop: Header=BB269_9 Depth=1
	v_and_b32_e32 v108, 0x7f, v2
	v_cmp_ne_u32_e64 s[0:1], s51, v108
	v_mov_b32_e32 v111, 0x7c010000
	s_and_saveexec_b64 s[46:47], s[0:1]
	s_cbranch_execz .LBB269_499
; %bb.498:                              ;   in Loop: Header=BB269_9 Depth=1
	v_and_b32_e32 v109, 7, v2
	v_ffbh_u32_e32 v112, v109
	v_min_u32_e32 v114, 32, v112
	v_subrev_u32_e32 v112, 28, v114
	v_lshlrev_b64 v[112:113], v112, v[2:3]
	v_lshrrev_b32_e32 v111, 3, v108
	v_sub_u32_e32 v113, 29, v114
	v_cmp_gt_u32_e64 s[0:1], 8, v108
	v_lshlrev_b32_e32 v2, 8, v2
	s_nop 0
	v_cndmask_b32_e64 v108, v111, v113, s[0:1]
	v_lshl_add_u32 v108, v108, 10, v23
	v_and_b32_e32 v111, 7, v112
	v_and_or_b32 v2, v2, s52, v108
	v_cndmask_b32_e64 v109, v109, v111, s[0:1]
	v_lshlrev_b32_e32 v2, 16, v2
	v_lshl_or_b32 v111, v109, 23, v2
.LBB269_499:                            ;   in Loop: Header=BB269_9 Depth=1
	s_or_b64 exec, exec, s[46:47]
.LBB269_500:                            ;   in Loop: Header=BB269_9 Depth=1
	s_or_b64 exec, exec, s[44:45]
.LBB269_501:                            ;   in Loop: Header=BB269_9 Depth=1
	s_or_b64 exec, exec, s[42:43]
	v_lshrrev_b32_e32 v2, 16, v16
	v_cmp_ne_u16_sdwa s[0:1], v2, v3 src0_sel:BYTE_0 src1_sel:DWORD
	s_and_saveexec_b64 s[42:43], s[0:1]
	s_cbranch_execz .LBB269_507
; %bb.502:                              ;   in Loop: Header=BB269_9 Depth=1
	v_cmp_ne_u16_sdwa s[0:1], v2, s50 src0_sel:BYTE_0 src1_sel:DWORD
	v_mov_b32_e32 v110, 0x8000
	s_and_saveexec_b64 s[44:45], s[0:1]
	s_cbranch_execz .LBB269_506
; %bb.503:                              ;   in Loop: Header=BB269_9 Depth=1
	v_bfe_u32 v108, v16, 16, 7
	v_cmp_ne_u32_e64 s[0:1], s51, v108
	v_mov_b32_e32 v110, 0x7c01
	s_and_saveexec_b64 s[46:47], s[0:1]
	s_cbranch_execz .LBB269_505
; %bb.504:                              ;   in Loop: Header=BB269_9 Depth=1
	v_and_b32_e32 v109, 7, v2
	v_ffbh_u32_e32 v112, v109
	v_min_u32_e32 v114, 32, v112
	v_subrev_u32_e32 v112, 28, v114
	v_lshlrev_b64 v[112:113], v112, v[2:3]
	v_lshrrev_b32_e32 v110, 3, v108
	v_sub_u32_e32 v113, 29, v114
	v_cmp_gt_u32_e64 s[0:1], 8, v108
	v_lshlrev_b32_e32 v2, 8, v2
	s_nop 0
	v_cndmask_b32_e64 v108, v110, v113, s[0:1]
	v_lshl_add_u32 v108, v108, 10, v23
	v_and_b32_e32 v110, 7, v112
	v_and_b32_e32 v108, 0xfc00, v108
	v_cndmask_b32_e64 v109, v109, v110, s[0:1]
	v_and_or_b32 v2, v2, s52, v108
	v_lshl_or_b32 v110, v109, 7, v2
.LBB269_505:                            ;   in Loop: Header=BB269_9 Depth=1
	s_or_b64 exec, exec, s[46:47]
.LBB269_506:                            ;   in Loop: Header=BB269_9 Depth=1
	s_or_b64 exec, exec, s[44:45]
.LBB269_507:                            ;   in Loop: Header=BB269_9 Depth=1
	s_or_b64 exec, exec, s[42:43]
	v_cmp_lt_u32_e64 s[0:1], s53, v16
	v_mov_b32_e32 v108, 0
	v_mov_b32_e32 v113, 0
	s_and_saveexec_b64 s[42:43], s[0:1]
	s_cbranch_execz .LBB269_513
; %bb.508:                              ;   in Loop: Header=BB269_9 Depth=1
	v_lshrrev_b32_e32 v2, 24, v16
	v_cmp_ne_u32_e64 s[0:1], s50, v2
	v_bfrev_b32_e32 v113, 1
	s_and_saveexec_b64 s[44:45], s[0:1]
	s_cbranch_execz .LBB269_512
; %bb.509:                              ;   in Loop: Header=BB269_9 Depth=1
	v_and_b32_e32 v16, 0x7f, v2
	v_cmp_ne_u32_e64 s[0:1], s51, v16
	v_mov_b32_e32 v113, 0x7c010000
	s_and_saveexec_b64 s[46:47], s[0:1]
	s_cbranch_execz .LBB269_511
; %bb.510:                              ;   in Loop: Header=BB269_9 Depth=1
	v_and_b32_e32 v109, 7, v2
	v_ffbh_u32_e32 v112, v109
	v_min_u32_e32 v115, 32, v112
	v_subrev_u32_e32 v112, 28, v115
	v_lshlrev_b64 v[112:113], v112, v[2:3]
	v_lshrrev_b32_e32 v114, 3, v16
	v_sub_u32_e32 v113, 29, v115
	v_cmp_gt_u32_e64 s[0:1], 8, v16
	v_lshlrev_b32_e32 v2, 8, v2
	v_and_b32_e32 v112, 7, v112
	v_cndmask_b32_e64 v16, v114, v113, s[0:1]
	v_lshl_add_u32 v16, v16, 10, v23
	v_and_or_b32 v2, v2, s52, v16
	v_cndmask_b32_e64 v109, v109, v112, s[0:1]
	v_lshlrev_b32_e32 v2, 16, v2
	v_lshl_or_b32 v113, v109, 23, v2
.LBB269_511:                            ;   in Loop: Header=BB269_9 Depth=1
	s_or_b64 exec, exec, s[46:47]
.LBB269_512:                            ;   in Loop: Header=BB269_9 Depth=1
	s_or_b64 exec, exec, s[44:45]
.LBB269_513:                            ;   in Loop: Header=BB269_9 Depth=1
	s_or_b64 exec, exec, s[42:43]
	v_lshl_add_u64 v[14:15], v[14:15], 0, v[8:9]
	global_load_dword v14, v[14:15], off
	s_waitcnt vmcnt(0)
	v_cmp_ne_u16_sdwa s[0:1], v14, v3 src0_sel:BYTE_0 src1_sel:DWORD
	s_and_saveexec_b64 s[42:43], s[0:1]
	s_cbranch_execz .LBB269_519
; %bb.514:                              ;   in Loop: Header=BB269_9 Depth=1
	v_cmp_ne_u16_sdwa s[0:1], v14, s50 src0_sel:BYTE_0 src1_sel:DWORD
	v_mov_b32_e32 v108, 0x8000
	s_and_saveexec_b64 s[44:45], s[0:1]
	s_cbranch_execz .LBB269_518
; %bb.515:                              ;   in Loop: Header=BB269_9 Depth=1
	v_and_b32_e32 v2, 0x7f, v14
	v_cmp_ne_u32_e64 s[0:1], s51, v2
	v_mov_b32_e32 v108, 0x7c01
	s_and_saveexec_b64 s[46:47], s[0:1]
	s_cbranch_execz .LBB269_517
; %bb.516:                              ;   in Loop: Header=BB269_9 Depth=1
	v_and_b32_e32 v15, 7, v14
	v_ffbh_u32_e32 v108, v15
	v_min_u32_e32 v112, 32, v108
	v_subrev_u32_e32 v108, 28, v112
	v_lshlrev_b64 v[108:109], v108, v[14:15]
	v_lshrrev_b32_e32 v16, 3, v2
	v_sub_u32_e32 v109, 29, v112
	v_cmp_gt_u32_e64 s[0:1], 8, v2
	v_and_b32_e32 v108, 7, v108
	s_nop 0
	v_cndmask_b32_e64 v2, v16, v109, s[0:1]
	v_lshl_add_u32 v2, v2, 10, v23
	v_lshlrev_b32_e32 v16, 8, v14
	v_and_b32_e32 v2, 0xfc00, v2
	v_cndmask_b32_e64 v15, v15, v108, s[0:1]
	v_and_or_b32 v2, v16, s52, v2
	v_lshl_or_b32 v108, v15, 7, v2
.LBB269_517:                            ;   in Loop: Header=BB269_9 Depth=1
	s_or_b64 exec, exec, s[46:47]
.LBB269_518:                            ;   in Loop: Header=BB269_9 Depth=1
	s_or_b64 exec, exec, s[44:45]
.LBB269_519:                            ;   in Loop: Header=BB269_9 Depth=1
	s_or_b64 exec, exec, s[42:43]
	v_lshrrev_b16_e32 v2, 8, v14
	v_cmp_ne_u16_e64 s[0:1], 0, v2
	v_mov_b32_e32 v15, 0
	v_mov_b32_e32 v16, 0
	s_and_saveexec_b64 s[42:43], s[0:1]
	s_cbranch_execz .LBB269_525
; %bb.520:                              ;   in Loop: Header=BB269_9 Depth=1
	v_cmp_ne_u16_e64 s[0:1], s50, v2
	v_bfrev_b32_e32 v16, 1
	s_and_saveexec_b64 s[44:45], s[0:1]
	s_cbranch_execz .LBB269_524
; %bb.521:                              ;   in Loop: Header=BB269_9 Depth=1
	v_and_b32_e32 v109, 0x7f, v2
	v_cmp_ne_u32_e64 s[0:1], s51, v109
	v_mov_b32_e32 v16, 0x7c010000
	s_and_saveexec_b64 s[46:47], s[0:1]
	s_cbranch_execz .LBB269_523
; %bb.522:                              ;   in Loop: Header=BB269_9 Depth=1
	v_and_b32_e32 v16, 7, v2
	v_ffbh_u32_e32 v114, v16
	v_min_u32_e32 v116, 32, v114
	v_subrev_u32_e32 v114, 28, v116
	v_lshlrev_b64 v[114:115], v114, v[2:3]
	v_lshrrev_b32_e32 v112, 3, v109
	v_sub_u32_e32 v115, 29, v116
	v_cmp_gt_u32_e64 s[0:1], 8, v109
	v_lshlrev_b32_e32 v2, 8, v2
	s_nop 0
	v_cndmask_b32_e64 v109, v112, v115, s[0:1]
	v_lshl_add_u32 v109, v109, 10, v23
	v_and_b32_e32 v112, 7, v114
	v_and_or_b32 v2, v2, s52, v109
	v_cndmask_b32_e64 v16, v16, v112, s[0:1]
	v_lshlrev_b32_e32 v2, 16, v2
	v_lshl_or_b32 v16, v16, 23, v2
.LBB269_523:                            ;   in Loop: Header=BB269_9 Depth=1
	s_or_b64 exec, exec, s[46:47]
.LBB269_524:                            ;   in Loop: Header=BB269_9 Depth=1
	s_or_b64 exec, exec, s[44:45]
.LBB269_525:                            ;   in Loop: Header=BB269_9 Depth=1
	s_or_b64 exec, exec, s[42:43]
	v_lshrrev_b32_e32 v2, 16, v14
	v_cmp_ne_u16_sdwa s[0:1], v2, v3 src0_sel:BYTE_0 src1_sel:DWORD
	s_and_saveexec_b64 s[42:43], s[0:1]
	s_cbranch_execz .LBB269_531
; %bb.526:                              ;   in Loop: Header=BB269_9 Depth=1
	v_cmp_ne_u16_sdwa s[0:1], v2, s50 src0_sel:BYTE_0 src1_sel:DWORD
	v_mov_b32_e32 v15, 0x8000
	s_and_saveexec_b64 s[44:45], s[0:1]
	s_cbranch_execz .LBB269_530
; %bb.527:                              ;   in Loop: Header=BB269_9 Depth=1
	v_bfe_u32 v109, v14, 16, 7
	v_cmp_ne_u32_e64 s[0:1], s51, v109
	v_mov_b32_e32 v15, 0x7c01
	s_and_saveexec_b64 s[46:47], s[0:1]
	s_cbranch_execz .LBB269_529
; %bb.528:                              ;   in Loop: Header=BB269_9 Depth=1
	v_and_b32_e32 v15, 7, v2
	v_ffbh_u32_e32 v114, v15
	v_min_u32_e32 v116, 32, v114
	v_subrev_u32_e32 v114, 28, v116
	v_lshlrev_b64 v[114:115], v114, v[2:3]
	v_lshrrev_b32_e32 v112, 3, v109
	v_sub_u32_e32 v115, 29, v116
	v_cmp_gt_u32_e64 s[0:1], 8, v109
	v_lshlrev_b32_e32 v2, 8, v2
	s_nop 0
	v_cndmask_b32_e64 v109, v112, v115, s[0:1]
	v_lshl_add_u32 v109, v109, 10, v23
	v_and_b32_e32 v112, 7, v114
	v_and_b32_e32 v109, 0xfc00, v109
	v_cndmask_b32_e64 v15, v15, v112, s[0:1]
	v_and_or_b32 v2, v2, s52, v109
	v_lshl_or_b32 v15, v15, 7, v2
.LBB269_529:                            ;   in Loop: Header=BB269_9 Depth=1
	s_or_b64 exec, exec, s[46:47]
.LBB269_530:                            ;   in Loop: Header=BB269_9 Depth=1
	s_or_b64 exec, exec, s[44:45]
.LBB269_531:                            ;   in Loop: Header=BB269_9 Depth=1
	s_or_b64 exec, exec, s[42:43]
	v_cmp_lt_u32_e64 s[0:1], s53, v14
	v_mov_b32_e32 v109, 0
	v_mov_b32_e32 v112, 0
	s_and_saveexec_b64 s[42:43], s[0:1]
	s_cbranch_execz .LBB269_537
; %bb.532:                              ;   in Loop: Header=BB269_9 Depth=1
	v_lshrrev_b32_e32 v2, 24, v14
	v_cmp_ne_u32_e64 s[0:1], s50, v2
	v_bfrev_b32_e32 v112, 1
	s_and_saveexec_b64 s[44:45], s[0:1]
	s_cbranch_execz .LBB269_536
; %bb.533:                              ;   in Loop: Header=BB269_9 Depth=1
	v_and_b32_e32 v14, 0x7f, v2
	v_cmp_ne_u32_e64 s[0:1], s51, v14
	v_mov_b32_e32 v112, 0x7c010000
	s_and_saveexec_b64 s[46:47], s[0:1]
	s_cbranch_execz .LBB269_535
; %bb.534:                              ;   in Loop: Header=BB269_9 Depth=1
	v_and_b32_e32 v112, 7, v2
	v_ffbh_u32_e32 v114, v112
	v_min_u32_e32 v117, 32, v114
	v_subrev_u32_e32 v114, 28, v117
	v_lshlrev_b64 v[114:115], v114, v[2:3]
	v_lshrrev_b32_e32 v116, 3, v14
	v_sub_u32_e32 v115, 29, v117
	v_cmp_gt_u32_e64 s[0:1], 8, v14
	v_lshlrev_b32_e32 v2, 8, v2
	v_and_b32_e32 v114, 7, v114
	v_cndmask_b32_e64 v14, v116, v115, s[0:1]
	v_lshl_add_u32 v14, v14, 10, v23
	v_and_or_b32 v2, v2, s52, v14
	v_cndmask_b32_e64 v112, v112, v114, s[0:1]
	v_lshlrev_b32_e32 v2, 16, v2
	v_lshl_or_b32 v112, v112, 23, v2
.LBB269_535:                            ;   in Loop: Header=BB269_9 Depth=1
	s_or_b64 exec, exec, s[46:47]
.LBB269_536:                            ;   in Loop: Header=BB269_9 Depth=1
	s_or_b64 exec, exec, s[44:45]
.LBB269_537:                            ;   in Loop: Header=BB269_9 Depth=1
	s_or_b64 exec, exec, s[42:43]
	v_lshl_add_u64 v[12:13], v[12:13], 0, s[40:41]
	v_lshl_add_u64 v[114:115], v[12:13], 0, v[6:7]
	global_load_dword v14, v[114:115], off
	s_waitcnt vmcnt(0)
	v_cmp_ne_u16_sdwa s[0:1], v14, v3 src0_sel:BYTE_0 src1_sel:DWORD
	s_and_saveexec_b64 s[42:43], s[0:1]
	s_cbranch_execz .LBB269_543
; %bb.538:                              ;   in Loop: Header=BB269_9 Depth=1
	v_cmp_ne_u16_sdwa s[0:1], v14, s50 src0_sel:BYTE_0 src1_sel:DWORD
	v_mov_b32_e32 v109, 0x8000
	s_and_saveexec_b64 s[44:45], s[0:1]
	s_cbranch_execz .LBB269_542
; %bb.539:                              ;   in Loop: Header=BB269_9 Depth=1
	v_and_b32_e32 v2, 0x7f, v14
	v_cmp_ne_u32_e64 s[0:1], s51, v2
	v_mov_b32_e32 v109, 0x7c01
	s_and_saveexec_b64 s[46:47], s[0:1]
	s_cbranch_execz .LBB269_541
; %bb.540:                              ;   in Loop: Header=BB269_9 Depth=1
	v_and_b32_e32 v109, 7, v14
	v_ffbh_u32_e32 v114, v109
	v_min_u32_e32 v117, 32, v114
	v_subrev_u32_e32 v114, 28, v117
	v_lshlrev_b64 v[114:115], v114, v[14:15]
	v_lshrrev_b32_e32 v116, 3, v2
	v_sub_u32_e32 v115, 29, v117
	v_cmp_gt_u32_e64 s[0:1], 8, v2
	v_and_b32_e32 v114, 7, v114
	s_nop 0
	v_cndmask_b32_e64 v2, v116, v115, s[0:1]
	v_lshl_add_u32 v2, v2, 10, v23
	v_lshlrev_b32_e32 v115, 8, v14
	v_and_b32_e32 v2, 0xfc00, v2
	v_cndmask_b32_e64 v109, v109, v114, s[0:1]
	v_and_or_b32 v2, v115, s52, v2
	v_lshl_or_b32 v109, v109, 7, v2
.LBB269_541:                            ;   in Loop: Header=BB269_9 Depth=1
	s_or_b64 exec, exec, s[46:47]
.LBB269_542:                            ;   in Loop: Header=BB269_9 Depth=1
	s_or_b64 exec, exec, s[44:45]
.LBB269_543:                            ;   in Loop: Header=BB269_9 Depth=1
	s_or_b64 exec, exec, s[42:43]
	v_lshrrev_b16_e32 v2, 8, v14
	v_cmp_ne_u16_e64 s[0:1], 0, v2
	v_mov_b32_e32 v115, 0
	v_mov_b32_e32 v116, 0
	s_and_saveexec_b64 s[42:43], s[0:1]
	s_cbranch_execz .LBB269_549
; %bb.544:                              ;   in Loop: Header=BB269_9 Depth=1
	v_cmp_ne_u16_e64 s[0:1], s50, v2
	v_bfrev_b32_e32 v116, 1
	s_and_saveexec_b64 s[44:45], s[0:1]
	s_cbranch_execz .LBB269_548
; %bb.545:                              ;   in Loop: Header=BB269_9 Depth=1
	v_and_b32_e32 v114, 0x7f, v2
	v_cmp_ne_u32_e64 s[0:1], s51, v114
	v_mov_b32_e32 v116, 0x7c010000
	s_and_saveexec_b64 s[46:47], s[0:1]
	s_cbranch_execz .LBB269_547
; %bb.546:                              ;   in Loop: Header=BB269_9 Depth=1
	v_and_b32_e32 v118, 7, v2
	v_ffbh_u32_e32 v116, v118
	v_min_u32_e32 v120, 32, v116
	v_subrev_u32_e32 v116, 28, v120
	v_lshlrev_b64 v[116:117], v116, v[2:3]
	v_lshrrev_b32_e32 v119, 3, v114
	v_sub_u32_e32 v117, 29, v120
	v_cmp_gt_u32_e64 s[0:1], 8, v114
	v_lshlrev_b32_e32 v2, 8, v2
	v_and_b32_e32 v116, 7, v116
	v_cndmask_b32_e64 v114, v119, v117, s[0:1]
	v_lshl_add_u32 v114, v114, 10, v23
	v_and_or_b32 v2, v2, s52, v114
	v_cndmask_b32_e64 v116, v118, v116, s[0:1]
	v_lshlrev_b32_e32 v2, 16, v2
	v_lshl_or_b32 v116, v116, 23, v2
.LBB269_547:                            ;   in Loop: Header=BB269_9 Depth=1
	s_or_b64 exec, exec, s[46:47]
.LBB269_548:                            ;   in Loop: Header=BB269_9 Depth=1
	s_or_b64 exec, exec, s[44:45]
.LBB269_549:                            ;   in Loop: Header=BB269_9 Depth=1
	s_or_b64 exec, exec, s[42:43]
	v_lshrrev_b32_e32 v2, 16, v14
	v_cmp_ne_u16_sdwa s[0:1], v2, v3 src0_sel:BYTE_0 src1_sel:DWORD
	s_and_saveexec_b64 s[42:43], s[0:1]
	s_cbranch_execz .LBB269_555
; %bb.550:                              ;   in Loop: Header=BB269_9 Depth=1
	v_cmp_ne_u16_sdwa s[0:1], v2, s50 src0_sel:BYTE_0 src1_sel:DWORD
	v_mov_b32_e32 v115, 0x8000
	s_and_saveexec_b64 s[44:45], s[0:1]
	s_cbranch_execz .LBB269_554
; %bb.551:                              ;   in Loop: Header=BB269_9 Depth=1
	v_bfe_u32 v114, v14, 16, 7
	v_cmp_ne_u32_e64 s[0:1], s51, v114
	v_mov_b32_e32 v115, 0x7c01
	s_and_saveexec_b64 s[46:47], s[0:1]
	s_cbranch_execz .LBB269_553
; %bb.552:                              ;   in Loop: Header=BB269_9 Depth=1
	v_and_b32_e32 v115, 7, v2
	v_ffbh_u32_e32 v118, v115
	v_min_u32_e32 v120, 32, v118
	v_subrev_u32_e32 v118, 28, v120
	v_lshlrev_b64 v[118:119], v118, v[2:3]
	v_lshrrev_b32_e32 v117, 3, v114
	v_sub_u32_e32 v119, 29, v120
	v_cmp_gt_u32_e64 s[0:1], 8, v114
	v_lshlrev_b32_e32 v2, 8, v2
	s_nop 0
	v_cndmask_b32_e64 v114, v117, v119, s[0:1]
	v_lshl_add_u32 v114, v114, 10, v23
	v_and_b32_e32 v117, 7, v118
	v_and_b32_e32 v114, 0xfc00, v114
	v_cndmask_b32_e64 v115, v115, v117, s[0:1]
	v_and_or_b32 v2, v2, s52, v114
	v_lshl_or_b32 v115, v115, 7, v2
.LBB269_553:                            ;   in Loop: Header=BB269_9 Depth=1
	s_or_b64 exec, exec, s[46:47]
.LBB269_554:                            ;   in Loop: Header=BB269_9 Depth=1
	s_or_b64 exec, exec, s[44:45]
.LBB269_555:                            ;   in Loop: Header=BB269_9 Depth=1
	s_or_b64 exec, exec, s[42:43]
	v_cmp_lt_u32_e64 s[0:1], s53, v14
	v_mov_b32_e32 v114, 0
	v_mov_b32_e32 v119, 0
	s_and_saveexec_b64 s[42:43], s[0:1]
	s_cbranch_execz .LBB269_561
; %bb.556:                              ;   in Loop: Header=BB269_9 Depth=1
	v_lshrrev_b32_e32 v2, 24, v14
	v_cmp_ne_u32_e64 s[0:1], s50, v2
	v_bfrev_b32_e32 v119, 1
	s_and_saveexec_b64 s[44:45], s[0:1]
	s_cbranch_execz .LBB269_560
; %bb.557:                              ;   in Loop: Header=BB269_9 Depth=1
	v_and_b32_e32 v14, 0x7f, v2
	v_cmp_ne_u32_e64 s[0:1], s51, v14
	v_mov_b32_e32 v119, 0x7c010000
	s_and_saveexec_b64 s[46:47], s[0:1]
	s_cbranch_execz .LBB269_559
; %bb.558:                              ;   in Loop: Header=BB269_9 Depth=1
	v_and_b32_e32 v117, 7, v2
	v_ffbh_u32_e32 v118, v117
	v_min_u32_e32 v121, 32, v118
	v_subrev_u32_e32 v118, 28, v121
	v_lshlrev_b64 v[118:119], v118, v[2:3]
	v_lshrrev_b32_e32 v120, 3, v14
	v_sub_u32_e32 v119, 29, v121
	v_cmp_gt_u32_e64 s[0:1], 8, v14
	v_lshlrev_b32_e32 v2, 8, v2
	v_and_b32_e32 v118, 7, v118
	v_cndmask_b32_e64 v14, v120, v119, s[0:1]
	v_lshl_add_u32 v14, v14, 10, v23
	v_and_or_b32 v2, v2, s52, v14
	v_cndmask_b32_e64 v117, v117, v118, s[0:1]
	v_lshlrev_b32_e32 v2, 16, v2
	v_lshl_or_b32 v119, v117, 23, v2
.LBB269_559:                            ;   in Loop: Header=BB269_9 Depth=1
	s_or_b64 exec, exec, s[46:47]
.LBB269_560:                            ;   in Loop: Header=BB269_9 Depth=1
	s_or_b64 exec, exec, s[44:45]
.LBB269_561:                            ;   in Loop: Header=BB269_9 Depth=1
	s_or_b64 exec, exec, s[42:43]
	v_lshl_add_u64 v[12:13], v[12:13], 0, v[8:9]
	global_load_dword v12, v[12:13], off
	s_waitcnt vmcnt(0)
	v_cmp_ne_u16_sdwa s[0:1], v12, v3 src0_sel:BYTE_0 src1_sel:DWORD
	s_and_saveexec_b64 s[42:43], s[0:1]
	s_cbranch_execz .LBB269_567
; %bb.562:                              ;   in Loop: Header=BB269_9 Depth=1
	v_cmp_ne_u16_sdwa s[0:1], v12, s50 src0_sel:BYTE_0 src1_sel:DWORD
	v_mov_b32_e32 v114, 0x8000
	s_and_saveexec_b64 s[44:45], s[0:1]
	s_cbranch_execz .LBB269_566
; %bb.563:                              ;   in Loop: Header=BB269_9 Depth=1
	v_and_b32_e32 v2, 0x7f, v12
	v_cmp_ne_u32_e64 s[0:1], s51, v2
	v_mov_b32_e32 v114, 0x7c01
	s_and_saveexec_b64 s[46:47], s[0:1]
	s_cbranch_execz .LBB269_565
; %bb.564:                              ;   in Loop: Header=BB269_9 Depth=1
	v_and_b32_e32 v13, 7, v12
	v_ffbh_u32_e32 v114, v13
	v_min_u32_e32 v114, 32, v114
	v_lshrrev_b32_e32 v14, 3, v2
	v_subrev_u32_e32 v117, 28, v114
	v_sub_u32_e32 v114, 29, v114
	v_cmp_gt_u32_e64 s[0:1], 8, v2
	v_lshlrev_b64 v[120:121], v117, v[12:13]
	s_nop 0
	v_cndmask_b32_e64 v2, v14, v114, s[0:1]
	v_lshl_add_u32 v2, v2, 10, v23
	v_lshlrev_b32_e32 v14, 8, v12
	v_and_b32_e32 v114, 7, v120
	v_and_b32_e32 v2, 0xfc00, v2
	v_cndmask_b32_e64 v13, v13, v114, s[0:1]
	v_and_or_b32 v2, v14, s52, v2
	v_lshl_or_b32 v114, v13, 7, v2
.LBB269_565:                            ;   in Loop: Header=BB269_9 Depth=1
	s_or_b64 exec, exec, s[46:47]
.LBB269_566:                            ;   in Loop: Header=BB269_9 Depth=1
	s_or_b64 exec, exec, s[44:45]
.LBB269_567:                            ;   in Loop: Header=BB269_9 Depth=1
	s_or_b64 exec, exec, s[42:43]
	v_lshrrev_b16_e32 v2, 8, v12
	v_cmp_ne_u16_e64 s[0:1], 0, v2
	v_mov_b32_e32 v117, 0
	v_mov_b32_e32 v118, 0
	s_and_saveexec_b64 s[42:43], s[0:1]
	s_cbranch_execz .LBB269_573
; %bb.568:                              ;   in Loop: Header=BB269_9 Depth=1
	v_cmp_ne_u16_e64 s[0:1], s50, v2
	v_bfrev_b32_e32 v118, 1
	s_and_saveexec_b64 s[44:45], s[0:1]
	s_cbranch_execz .LBB269_572
; %bb.569:                              ;   in Loop: Header=BB269_9 Depth=1
	v_and_b32_e32 v13, 0x7f, v2
	v_cmp_ne_u32_e64 s[0:1], s51, v13
	v_mov_b32_e32 v118, 0x7c010000
	s_and_saveexec_b64 s[46:47], s[0:1]
	s_cbranch_execz .LBB269_571
; %bb.570:                              ;   in Loop: Header=BB269_9 Depth=1
	v_and_b32_e32 v14, 7, v2
	v_ffbh_u32_e32 v120, v14
	v_min_u32_e32 v122, 32, v120
	v_subrev_u32_e32 v120, 28, v122
	v_lshlrev_b64 v[120:121], v120, v[2:3]
	v_lshrrev_b32_e32 v118, 3, v13
	v_sub_u32_e32 v121, 29, v122
	v_cmp_gt_u32_e64 s[0:1], 8, v13
	v_lshlrev_b32_e32 v2, 8, v2
	s_nop 0
	v_cndmask_b32_e64 v13, v118, v121, s[0:1]
	v_lshl_add_u32 v13, v13, 10, v23
	v_and_b32_e32 v118, 7, v120
	v_and_or_b32 v2, v2, s52, v13
	v_cndmask_b32_e64 v14, v14, v118, s[0:1]
	v_lshlrev_b32_e32 v2, 16, v2
	v_lshl_or_b32 v118, v14, 23, v2
.LBB269_571:                            ;   in Loop: Header=BB269_9 Depth=1
	s_or_b64 exec, exec, s[46:47]
.LBB269_572:                            ;   in Loop: Header=BB269_9 Depth=1
	s_or_b64 exec, exec, s[44:45]
.LBB269_573:                            ;   in Loop: Header=BB269_9 Depth=1
	s_or_b64 exec, exec, s[42:43]
	v_lshrrev_b32_e32 v2, 16, v12
	v_cmp_ne_u16_sdwa s[0:1], v2, v3 src0_sel:BYTE_0 src1_sel:DWORD
	s_and_saveexec_b64 s[42:43], s[0:1]
	s_cbranch_execz .LBB269_579
; %bb.574:                              ;   in Loop: Header=BB269_9 Depth=1
	v_cmp_ne_u16_sdwa s[0:1], v2, s50 src0_sel:BYTE_0 src1_sel:DWORD
	v_mov_b32_e32 v117, 0x8000
	s_and_saveexec_b64 s[44:45], s[0:1]
	s_cbranch_execz .LBB269_578
; %bb.575:                              ;   in Loop: Header=BB269_9 Depth=1
	v_bfe_u32 v13, v12, 16, 7
	v_cmp_ne_u32_e64 s[0:1], s51, v13
	v_mov_b32_e32 v117, 0x7c01
	s_and_saveexec_b64 s[46:47], s[0:1]
	s_cbranch_execz .LBB269_577
; %bb.576:                              ;   in Loop: Header=BB269_9 Depth=1
	v_and_b32_e32 v14, 7, v2
	v_ffbh_u32_e32 v120, v14
	v_min_u32_e32 v122, 32, v120
	v_subrev_u32_e32 v120, 28, v122
	v_lshlrev_b64 v[120:121], v120, v[2:3]
	v_lshrrev_b32_e32 v117, 3, v13
	v_sub_u32_e32 v121, 29, v122
	v_cmp_gt_u32_e64 s[0:1], 8, v13
	v_lshlrev_b32_e32 v2, 8, v2
	s_nop 0
	v_cndmask_b32_e64 v13, v117, v121, s[0:1]
	v_lshl_add_u32 v13, v13, 10, v23
	v_and_b32_e32 v117, 7, v120
	v_and_b32_e32 v13, 0xfc00, v13
	v_cndmask_b32_e64 v14, v14, v117, s[0:1]
	v_and_or_b32 v2, v2, s52, v13
	v_lshl_or_b32 v117, v14, 7, v2
.LBB269_577:                            ;   in Loop: Header=BB269_9 Depth=1
	s_or_b64 exec, exec, s[46:47]
.LBB269_578:                            ;   in Loop: Header=BB269_9 Depth=1
	s_or_b64 exec, exec, s[44:45]
.LBB269_579:                            ;   in Loop: Header=BB269_9 Depth=1
	s_or_b64 exec, exec, s[42:43]
	v_cmp_lt_u32_e64 s[0:1], s53, v12
	v_mov_b32_e32 v120, 0
	s_and_saveexec_b64 s[42:43], s[0:1]
	s_cbranch_execz .LBB269_585
; %bb.580:                              ;   in Loop: Header=BB269_9 Depth=1
	v_lshrrev_b32_e32 v2, 24, v12
	v_cmp_ne_u32_e64 s[0:1], s50, v2
	v_bfrev_b32_e32 v120, 1
	s_and_saveexec_b64 s[44:45], s[0:1]
	s_cbranch_execz .LBB269_584
; %bb.581:                              ;   in Loop: Header=BB269_9 Depth=1
	v_and_b32_e32 v12, 0x7f, v2
	v_cmp_ne_u32_e64 s[0:1], s51, v12
	v_mov_b32_e32 v120, 0x7c010000
	s_and_saveexec_b64 s[46:47], s[0:1]
	s_cbranch_execz .LBB269_583
; %bb.582:                              ;   in Loop: Header=BB269_9 Depth=1
	v_and_b32_e32 v13, 7, v2
	v_ffbh_u32_e32 v120, v13
	v_min_u32_e32 v122, 32, v120
	v_subrev_u32_e32 v120, 28, v122
	v_lshlrev_b64 v[120:121], v120, v[2:3]
	v_lshrrev_b32_e32 v14, 3, v12
	v_sub_u32_e32 v121, 29, v122
	v_cmp_gt_u32_e64 s[0:1], 8, v12
	v_lshlrev_b32_e32 v2, 8, v2
	s_nop 0
	v_cndmask_b32_e64 v12, v14, v121, s[0:1]
	v_lshl_add_u32 v12, v12, 10, v23
	v_and_b32_e32 v14, 7, v120
	v_and_or_b32 v2, v2, s52, v12
	v_cndmask_b32_e64 v13, v13, v14, s[0:1]
	v_lshlrev_b32_e32 v2, 16, v2
	v_lshl_or_b32 v120, v13, 23, v2
.LBB269_583:                            ;   in Loop: Header=BB269_9 Depth=1
	s_or_b64 exec, exec, s[46:47]
.LBB269_584:                            ;   in Loop: Header=BB269_9 Depth=1
	s_or_b64 exec, exec, s[44:45]
.LBB269_585:                            ;   in Loop: Header=BB269_9 Depth=1
	s_or_b64 exec, exec, s[42:43]
	v_or_b32_e32 v15, v112, v15
	v_or_b32_e32 v107, v111, v107
	v_or_b32_e32 v2, v116, v109
	v_or_b32_e32 v109, v16, v108
	v_fma_mixlo_f16 v108, v25, v16, 0 op_sel:[0,1,0] op_sel_hi:[0,1,0]
	v_fma_mixlo_f16 v16, v25, v15, 0 op_sel_hi:[0,1,0]
	v_fma_mixlo_f16 v15, v25, v112, 0 op_sel:[0,1,0] op_sel_hi:[0,1,0]
	v_fma_mixlo_f16 v112, v25, v107, 0 op_sel_hi:[0,1,0]
	v_or_b32_e32 v107, v113, v110
	v_or_b32_e32 v103, v105, v103
	v_fma_mixlo_f16 v110, v25, v107, 0 op_sel_hi:[0,1,0]
	v_fma_mixlo_f16 v107, v25, v113, 0 op_sel:[0,1,0] op_sel_hi:[0,1,0]
	v_fma_mixlo_f16 v113, v25, v103, 0 op_sel_hi:[0,1,0]
	v_or_b32_e32 v103, v106, v104
	v_or_b32_e32 v99, v101, v99
	;; [unrolled: 5-line block ×10, first 2 shown]
	v_or_b32_e32 v30, v33, v30
	v_fma_mixlo_f16 v14, v25, v2, 0 op_sel_hi:[0,1,0]
	v_or_b32_e32 v2, v119, v115
	v_fma_mixlo_f16 v72, v25, v71, 0 op_sel_hi:[0,1,0]
	v_fma_mixlo_f16 v71, v25, v74, 0 op_sel:[0,1,0] op_sel_hi:[0,1,0]
	v_fma_mixlo_f16 v74, v25, v67, 0 op_sel_hi:[0,1,0]
	v_or_b32_e32 v67, v70, v68
	v_or_b32_e32 v63, v65, v63
	v_fma_mixlo_f16 v115, v25, v30, 0 op_sel_hi:[0,1,0]
	v_or_b32_e32 v30, v34, v31
	v_fma_mixlo_f16 v13, v25, v116, 0 op_sel:[0,1,0] op_sel_hi:[0,1,0]
	v_fma_mixlo_f16 v68, v25, v67, 0 op_sel_hi:[0,1,0]
	v_fma_mixlo_f16 v67, v25, v70, 0 op_sel:[0,1,0] op_sel_hi:[0,1,0]
	v_fma_mixlo_f16 v70, v25, v63, 0 op_sel_hi:[0,1,0]
	v_or_b32_e32 v63, v66, v64
	v_or_b32_e32 v59, v61, v59
	v_fma_mixlo_f16 v116, v25, v30, 0 op_sel_hi:[0,1,0]
	ds_read_b64 v[30:31], v20
	v_fma_mixlo_f16 v64, v25, v63, 0 op_sel_hi:[0,1,0]
	v_fma_mixlo_f16 v63, v25, v66, 0 op_sel:[0,1,0] op_sel_hi:[0,1,0]
	v_fma_mixlo_f16 v66, v25, v59, 0 op_sel_hi:[0,1,0]
	v_or_b32_e32 v59, v62, v60
	v_or_b32_e32 v55, v57, v55
	v_fma_mixlo_f16 v60, v25, v59, 0 op_sel_hi:[0,1,0]
	v_fma_mixlo_f16 v59, v25, v62, 0 op_sel:[0,1,0] op_sel_hi:[0,1,0]
	v_fma_mixlo_f16 v62, v25, v55, 0 op_sel_hi:[0,1,0]
	v_or_b32_e32 v55, v58, v56
	v_or_b32_e32 v51, v53, v51
	v_fma_mixlo_f16 v56, v25, v55, 0 op_sel_hi:[0,1,0]
	v_fma_mixlo_f16 v55, v25, v58, 0 op_sel:[0,1,0] op_sel_hi:[0,1,0]
	v_fma_mixlo_f16 v58, v25, v51, 0 op_sel_hi:[0,1,0]
	v_or_b32_e32 v51, v54, v52
	v_or_b32_e32 v35, v37, v35
	v_or_b32_e32 v26, v28, v26
	v_fma_mixlo_f16 v12, v25, v2, 0 op_sel_hi:[0,1,0]
	v_fma_mixlo_f16 v2, v25, v119, 0 op_sel:[0,1,0] op_sel_hi:[0,1,0]
	v_fma_mixlo_f16 v52, v25, v51, 0 op_sel_hi:[0,1,0]
	v_fma_mixlo_f16 v51, v25, v54, 0 op_sel:[0,1,0] op_sel_hi:[0,1,0]
	v_fma_mixlo_f16 v54, v25, v35, 0 op_sel_hi:[0,1,0]
	v_or_b32_e32 v35, v38, v36
	v_fma_mixlo_f16 v119, v25, v34, 0 op_sel:[0,1,0] op_sel_hi:[0,1,0]
	v_fma_mixlo_f16 v34, v25, v26, 0 op_sel_hi:[0,1,0]
	v_or_b32_e32 v26, v29, v27
	v_fma_mixlo_f16 v36, v25, v35, 0 op_sel_hi:[0,1,0]
	v_fma_mixlo_f16 v28, v25, v28, 0 op_sel:[0,1,0] op_sel_hi:[0,1,0]
	v_fma_mixlo_f16 v27, v25, v26, 0 op_sel_hi:[0,1,0]
	s_waitcnt lgkmcnt(0)
	v_lshrrev_b32_e32 v35, 16, v30
	v_and_b32_e32 v30, 0xffff, v30
	v_fma_mixlo_f16 v29, v25, v29, 0 op_sel:[0,1,0] op_sel_hi:[0,1,0]
	v_or_b32_e32 v114, v118, v114
	v_fma_mixlo_f16 v26, v25, v118, 0 op_sel:[0,1,0] op_sel_hi:[0,1,0]
	;;#ASMSTART
	v_cvt_f32_f16 v118, v30;
	;;#ASMEND
	v_and_b32_e32 v30, 0xffff, v34
	v_and_b32_e32 v28, 0xffff, v28
	;; [unrolled: 1-line block ×3, first 2 shown]
	;;#ASMSTART
	v_cvt_f32_f16 v121, v35;
	;;#ASMEND
	;;#ASMSTART
	v_cvt_f32_f16 v122, v30;
	;;#ASMEND
	;; [unrolled: 3-line block ×3, first 2 shown]
	v_lshrrev_b32_e32 v28, 16, v31
	v_and_b32_e32 v30, 0xffff, v31
	;;#ASMSTART
	v_cvt_f32_f16 v124, v30;
	;;#ASMEND
	;;#ASMSTART
	v_cvt_f32_f16 v125, v28;
	;;#ASMEND
	;; [unrolled: 3-line block ×3, first 2 shown]
	v_and_b32_e32 v27, 0xffff, v29
	;;#ASMSTART
	v_cvt_f32_f16 v127, v27;
	;;#ASMEND
	ds_read_b64 v[34:35], v20 offset:8
	v_fma_mixlo_f16 v33, v25, v33, 0 op_sel:[0,1,0] op_sel_hi:[0,1,0]
	v_and_b32_e32 v31, 0xffff, v115
	v_and_b32_e32 v33, 0xffff, v33
	v_fma_mixlo_f16 v30, v25, v114, 0 op_sel_hi:[0,1,0]
	s_waitcnt lgkmcnt(0)
	v_lshrrev_b32_e32 v29, 16, v34
	v_and_b32_e32 v28, 0xffff, v34
	;;#ASMSTART
	v_cvt_f32_f16 v28, v28;
	;;#ASMEND
	;;#ASMSTART
	v_cvt_f32_f16 v29, v29;
	;;#ASMEND
	;; [unrolled: 3-line block ×4, first 2 shown]
	v_and_b32_e32 v34, 0xffff, v116
	v_mul_f32_e32 v28, v28, v31
	v_mul_f32_e32 v29, v29, v33
	v_lshrrev_b32_e32 v33, 16, v35
	v_and_b32_e32 v31, 0xffff, v35
	;;#ASMSTART
	v_cvt_f32_f16 v31, v31;
	;;#ASMEND
	;;#ASMSTART
	v_cvt_f32_f16 v33, v33;
	;;#ASMEND
	;; [unrolled: 3-line block ×3, first 2 shown]
	v_and_b32_e32 v34, 0xffff, v119
	;;#ASMSTART
	v_cvt_f32_f16 v115, v34;
	;;#ASMEND
	ds_read_b64 v[34:35], v20 offset:16
	v_mul_f32_e32 v33, v33, v115
	v_fma_mixlo_f16 v37, v25, v37, 0 op_sel:[0,1,0] op_sel_hi:[0,1,0]
	v_mul_f32_e32 v31, v31, v114
	v_fma_mixlo_f16 v38, v25, v38, 0 op_sel:[0,1,0] op_sel_hi:[0,1,0]
	s_waitcnt lgkmcnt(0)
	v_lshrrev_b32_e32 v115, 16, v34
	v_and_b32_e32 v34, 0xffff, v34
	;;#ASMSTART
	v_cvt_f32_f16 v114, v34;
	;;#ASMEND
	v_and_b32_e32 v34, 0xffff, v54
	;;#ASMSTART
	v_cvt_f32_f16 v115, v115;
	;;#ASMEND
	;;#ASMSTART
	v_cvt_f32_f16 v54, v34;
	;;#ASMEND
	v_and_b32_e32 v34, 0xffff, v37
	;;#ASMSTART
	v_cvt_f32_f16 v37, v34;
	;;#ASMEND
	v_lshrrev_b32_e32 v34, 16, v35
	v_or_b32_e32 v27, v120, v117
	v_and_b32_e32 v35, 0xffff, v35
	;;#ASMSTART
	v_cvt_f32_f16 v116, v35;
	;;#ASMEND
	;;#ASMSTART
	v_cvt_f32_f16 v117, v34;
	;;#ASMEND
	v_and_b32_e32 v34, 0xffff, v36
	;;#ASMSTART
	v_cvt_f32_f16 v36, v34;
	;;#ASMEND
	v_and_b32_e32 v34, 0xffff, v38
	;;#ASMSTART
	v_cvt_f32_f16 v38, v34;
	;;#ASMEND
	ds_read_b64 v[34:35], v20 offset:24
	v_or_b32_e32 v39, v41, v39
	v_fmac_f32_e32 v29, v121, v123
	v_fma_mixlo_f16 v39, v25, v39, 0 op_sel_hi:[0,1,0]
	v_fmac_f32_e32 v31, v124, v126
	v_fmac_f32_e32 v29, v115, v37
	s_waitcnt lgkmcnt(0)
	v_lshrrev_b32_e32 v37, 16, v34
	v_and_b32_e32 v34, 0xffff, v34
	v_fma_mixlo_f16 v41, v25, v41, 0 op_sel:[0,1,0] op_sel_hi:[0,1,0]
	v_fmac_f32_e32 v33, v125, v127
	v_fmac_f32_e32 v31, v116, v36
	;;#ASMSTART
	v_cvt_f32_f16 v36, v34;
	;;#ASMEND
	v_and_b32_e32 v34, 0xffff, v39
	v_or_b32_e32 v40, v42, v40
	v_fmac_f32_e32 v33, v117, v38
	;;#ASMSTART
	v_cvt_f32_f16 v37, v37;
	;;#ASMEND
	;;#ASMSTART
	v_cvt_f32_f16 v38, v34;
	;;#ASMEND
	v_and_b32_e32 v34, 0xffff, v41
	v_fma_mixlo_f16 v40, v25, v40, 0 op_sel_hi:[0,1,0]
	v_fmac_f32_e32 v28, v118, v122
	;;#ASMSTART
	v_cvt_f32_f16 v39, v34;
	;;#ASMEND
	v_lshrrev_b32_e32 v34, 16, v35
	v_fma_mixlo_f16 v42, v25, v42, 0 op_sel:[0,1,0] op_sel_hi:[0,1,0]
	v_fmac_f32_e32 v28, v114, v54
	v_and_b32_e32 v35, 0xffff, v35
	;;#ASMSTART
	v_cvt_f32_f16 v41, v35;
	;;#ASMEND
	;;#ASMSTART
	v_cvt_f32_f16 v54, v34;
	;;#ASMEND
	v_and_b32_e32 v34, 0xffff, v40
	;;#ASMSTART
	v_cvt_f32_f16 v40, v34;
	;;#ASMEND
	v_and_b32_e32 v34, 0xffff, v42
	;;#ASMSTART
	v_cvt_f32_f16 v42, v34;
	;;#ASMEND
	ds_read_b64 v[34:35], v20 offset:32
	v_or_b32_e32 v43, v45, v43
	v_fma_mixlo_f16 v43, v25, v43, 0 op_sel_hi:[0,1,0]
	v_fmac_f32_e32 v29, v37, v39
	v_fma_mixlo_f16 v45, v25, v45, 0 op_sel:[0,1,0] op_sel_hi:[0,1,0]
	s_waitcnt lgkmcnt(0)
	v_lshrrev_b32_e32 v37, 16, v34
	v_and_b32_e32 v34, 0xffff, v34
	v_fmac_f32_e32 v28, v36, v38
	;;#ASMSTART
	v_cvt_f32_f16 v36, v34;
	;;#ASMEND
	v_and_b32_e32 v34, 0xffff, v43
	v_or_b32_e32 v44, v46, v44
	;;#ASMSTART
	v_cvt_f32_f16 v37, v37;
	;;#ASMEND
	;;#ASMSTART
	v_cvt_f32_f16 v38, v34;
	;;#ASMEND
	v_and_b32_e32 v34, 0xffff, v45
	v_fma_mixlo_f16 v44, v25, v44, 0 op_sel_hi:[0,1,0]
	;;#ASMSTART
	v_cvt_f32_f16 v39, v34;
	;;#ASMEND
	v_lshrrev_b32_e32 v34, 16, v35
	v_fma_mixlo_f16 v46, v25, v46, 0 op_sel:[0,1,0] op_sel_hi:[0,1,0]
	v_fmac_f32_e32 v31, v41, v40
	v_and_b32_e32 v35, 0xffff, v35
	;;#ASMSTART
	v_cvt_f32_f16 v40, v35;
	;;#ASMEND
	;;#ASMSTART
	v_cvt_f32_f16 v41, v34;
	;;#ASMEND
	v_and_b32_e32 v34, 0xffff, v44
	v_fmac_f32_e32 v33, v54, v42
	;;#ASMSTART
	v_cvt_f32_f16 v42, v34;
	;;#ASMEND
	v_and_b32_e32 v34, 0xffff, v46
	;;#ASMSTART
	v_cvt_f32_f16 v43, v34;
	;;#ASMEND
	ds_read_b64 v[34:35], v20 offset:40
	v_or_b32_e32 v47, v49, v47
	v_fma_mixlo_f16 v47, v25, v47, 0 op_sel_hi:[0,1,0]
	v_fmac_f32_e32 v29, v37, v39
	v_fma_mixlo_f16 v49, v25, v49, 0 op_sel:[0,1,0] op_sel_hi:[0,1,0]
	s_waitcnt lgkmcnt(0)
	v_lshrrev_b32_e32 v37, 16, v34
	v_and_b32_e32 v34, 0xffff, v34
	v_fmac_f32_e32 v28, v36, v38
	;;#ASMSTART
	v_cvt_f32_f16 v36, v34;
	;;#ASMEND
	v_and_b32_e32 v34, 0xffff, v47
	v_or_b32_e32 v48, v50, v48
	;;#ASMSTART
	v_cvt_f32_f16 v37, v37;
	;;#ASMEND
	;;#ASMSTART
	v_cvt_f32_f16 v38, v34;
	;;#ASMEND
	v_and_b32_e32 v34, 0xffff, v49
	v_fma_mixlo_f16 v48, v25, v48, 0 op_sel_hi:[0,1,0]
	;;#ASMSTART
	v_cvt_f32_f16 v39, v34;
	;;#ASMEND
	v_lshrrev_b32_e32 v34, 16, v35
	v_fma_mixlo_f16 v50, v25, v50, 0 op_sel:[0,1,0] op_sel_hi:[0,1,0]
	v_fmac_f32_e32 v31, v40, v42
	v_fmac_f32_e32 v33, v41, v43
	v_and_b32_e32 v35, 0xffff, v35
	;;#ASMSTART
	v_cvt_f32_f16 v40, v35;
	;;#ASMEND
	;;#ASMSTART
	v_cvt_f32_f16 v41, v34;
	;;#ASMEND
	v_and_b32_e32 v34, 0xffff, v48
	;;#ASMSTART
	v_cvt_f32_f16 v42, v34;
	;;#ASMEND
	v_and_b32_e32 v34, 0xffff, v50
	;;#ASMSTART
	v_cvt_f32_f16 v43, v34;
	;;#ASMEND
	ds_read_b64 v[34:35], v20 offset:48
	v_fmac_f32_e32 v29, v37, v39
	v_fma_mixlo_f16 v53, v25, v53, 0 op_sel:[0,1,0] op_sel_hi:[0,1,0]
	v_fmac_f32_e32 v28, v36, v38
	v_fmac_f32_e32 v31, v40, v42
	s_waitcnt lgkmcnt(0)
	v_lshrrev_b32_e32 v37, 16, v34
	v_and_b32_e32 v34, 0xffff, v34
	;;#ASMSTART
	v_cvt_f32_f16 v36, v34;
	;;#ASMEND
	v_and_b32_e32 v34, 0xffff, v58
	;;#ASMSTART
	v_cvt_f32_f16 v37, v37;
	;;#ASMEND
	;;#ASMSTART
	v_cvt_f32_f16 v38, v34;
	;;#ASMEND
	v_and_b32_e32 v34, 0xffff, v53
	;;#ASMSTART
	v_cvt_f32_f16 v39, v34;
	;;#ASMEND
	v_lshrrev_b32_e32 v34, 16, v35
	v_fmac_f32_e32 v33, v41, v43
	v_and_b32_e32 v35, 0xffff, v35
	;;#ASMSTART
	v_cvt_f32_f16 v40, v35;
	;;#ASMEND
	;;#ASMSTART
	v_cvt_f32_f16 v41, v34;
	;;#ASMEND
	v_and_b32_e32 v34, 0xffff, v52
	;;#ASMSTART
	v_cvt_f32_f16 v42, v34;
	;;#ASMEND
	v_and_b32_e32 v34, 0xffff, v51
	;;#ASMSTART
	v_cvt_f32_f16 v43, v34;
	;;#ASMEND
	ds_read_b64 v[34:35], v20 offset:56
	v_fmac_f32_e32 v29, v37, v39
	v_fma_mixlo_f16 v57, v25, v57, 0 op_sel:[0,1,0] op_sel_hi:[0,1,0]
	v_fmac_f32_e32 v28, v36, v38
	v_fmac_f32_e32 v31, v40, v42
	s_waitcnt lgkmcnt(0)
	v_lshrrev_b32_e32 v37, 16, v34
	v_and_b32_e32 v34, 0xffff, v34
	;;#ASMSTART
	v_cvt_f32_f16 v36, v34;
	;;#ASMEND
	v_and_b32_e32 v34, 0xffff, v62
	;;#ASMSTART
	v_cvt_f32_f16 v37, v37;
	;;#ASMEND
	;;#ASMSTART
	v_cvt_f32_f16 v38, v34;
	;;#ASMEND
	v_and_b32_e32 v34, 0xffff, v57
	;;#ASMSTART
	v_cvt_f32_f16 v39, v34;
	;;#ASMEND
	v_lshrrev_b32_e32 v34, 16, v35
	;; [unrolled: 39-line block ×15, first 2 shown]
	v_fmac_f32_e32 v33, v41, v43
	v_and_b32_e32 v35, 0xffff, v35
	;;#ASMSTART
	v_cvt_f32_f16 v40, v35;
	;;#ASMEND
	;;#ASMSTART
	v_cvt_f32_f16 v41, v34;
	;;#ASMEND
	v_and_b32_e32 v34, 0xffff, v110
	;;#ASMSTART
	v_cvt_f32_f16 v42, v34;
	;;#ASMEND
	v_and_b32_e32 v34, 0xffff, v107
	;;#ASMSTART
	v_cvt_f32_f16 v43, v34;
	;;#ASMEND
	ds_read_b64 v[34:35], v20 offset:168
	v_fma_mixlo_f16 v109, v25, v109, 0 op_sel_hi:[0,1,0]
	v_fmac_f32_e32 v29, v37, v39
	v_fmac_f32_e32 v28, v36, v38
	v_and_b32_e32 v16, 0xffff, v16
	s_waitcnt lgkmcnt(0)
	v_lshrrev_b32_e32 v37, 16, v34
	v_and_b32_e32 v34, 0xffff, v34
	;;#ASMSTART
	v_cvt_f32_f16 v36, v34;
	;;#ASMEND
	v_and_b32_e32 v34, 0xffff, v109
	;;#ASMSTART
	v_cvt_f32_f16 v37, v37;
	;;#ASMEND
	;;#ASMSTART
	v_cvt_f32_f16 v38, v34;
	;;#ASMEND
	v_and_b32_e32 v34, 0xffff, v108
	;;#ASMSTART
	v_cvt_f32_f16 v39, v34;
	;;#ASMEND
	v_lshrrev_b32_e32 v34, 16, v35
	v_and_b32_e32 v35, 0xffff, v35
	v_and_b32_e32 v15, 0xffff, v15
	v_fmac_f32_e32 v31, v40, v42
	v_fmac_f32_e32 v33, v41, v43
	;;#ASMSTART
	v_cvt_f32_f16 v40, v35;
	;;#ASMEND
	;;#ASMSTART
	v_cvt_f32_f16 v41, v34;
	;;#ASMEND
	;; [unrolled: 3-line block ×4, first 2 shown]
	ds_read_b64 v[34:35], v20 offset:176
	v_fmac_f32_e32 v31, v40, v16
	v_fmac_f32_e32 v33, v41, v15
	v_and_b32_e32 v14, 0xffff, v14
	v_and_b32_e32 v13, 0xffff, v13
	s_waitcnt lgkmcnt(0)
	v_lshrrev_b32_e32 v16, 16, v34
	v_and_b32_e32 v15, 0xffff, v34
	;;#ASMSTART
	v_cvt_f32_f16 v15, v15;
	;;#ASMEND
	;;#ASMSTART
	v_cvt_f32_f16 v16, v16;
	;;#ASMEND
	;; [unrolled: 3-line block ×4, first 2 shown]
	v_lshrrev_b32_e32 v13, 16, v35
	v_and_b32_e32 v35, 0xffff, v35
	v_and_b32_e32 v12, 0xffff, v12
	;; [unrolled: 1-line block ×3, first 2 shown]
	v_fmac_f32_e32 v28, v36, v38
	v_fmac_f32_e32 v29, v37, v39
	;;#ASMSTART
	v_cvt_f32_f16 v35, v35;
	;;#ASMEND
	;;#ASMSTART
	v_cvt_f32_f16 v36, v13;
	;;#ASMEND
	;; [unrolled: 3-line block ×4, first 2 shown]
	ds_read_b64 v[12:13], v20 offset:184
	v_fmac_f32_e32 v28, v15, v14
	v_fmac_f32_e32 v33, v36, v2
	v_fma_mixlo_f16 v27, v25, v27, 0 op_sel_hi:[0,1,0]
	v_fmac_f32_e32 v29, v16, v34
	s_waitcnt lgkmcnt(0)
	v_lshrrev_b32_e32 v14, 16, v12
	v_and_b32_e32 v2, 0xffff, v12
	;;#ASMSTART
	v_cvt_f32_f16 v2, v2;
	;;#ASMEND
	;;#ASMSTART
	v_cvt_f32_f16 v12, v14;
	;;#ASMEND
	v_and_b32_e32 v14, 0xffff, v30
	;;#ASMSTART
	v_cvt_f32_f16 v14, v14;
	;;#ASMEND
	v_and_b32_e32 v15, 0xffff, v26
	v_fmac_f32_e32 v28, v2, v14
	v_and_b32_e32 v2, 0xffff, v13
	v_fma_mixlo_f16 v25, v25, v120, 0 op_sel:[0,1,0] op_sel_hi:[0,1,0]
	v_fmac_f32_e32 v31, v35, v37
	;;#ASMSTART
	v_cvt_f32_f16 v15, v15;
	;;#ASMEND
	;;#ASMSTART
	v_cvt_f32_f16 v2, v2;
	;;#ASMEND
	v_and_b32_e32 v14, 0xffff, v25
	v_fmac_f32_e32 v29, v12, v15
	v_lshrrev_b32_e32 v12, 16, v13
	v_and_b32_e32 v13, 0xffff, v27
	;;#ASMSTART
	v_cvt_f32_f16 v12, v12;
	;;#ASMEND
	;;#ASMSTART
	v_cvt_f32_f16 v13, v13;
	;;#ASMEND
	;; [unrolled: 3-line block ×3, first 2 shown]
	s_nop 0
	v_fmac_f32_e32 v31, v2, v13
	v_add_f32_e32 v2, v28, v29
	v_fmac_f32_e32 v33, v12, v14
	v_add_f32_e32 v2, v2, v31
	v_add_f32_e32 v13, v33, v2
	v_and_b32_e32 v2, 64, v17
	v_xor_b32_e32 v14, 1, v17
	v_add_u32_e32 v12, 64, v2
	v_cmp_lt_i32_e64 s[0:1], v14, v12
	s_nop 1
	v_cndmask_b32_e64 v14, v17, v14, s[0:1]
	v_lshlrev_b32_e32 v14, 2, v14
	ds_bpermute_b32 v14, v14, v13
	s_and_saveexec_b64 s[42:43], vcc
	s_cbranch_execz .LBB269_8
; %bb.586:                              ;   in Loop: Header=BB269_9 Depth=1
	v_add_u32_e32 v15, s49, v21
	v_cvt_f32_i32_e32 v15, v15
	s_waitcnt lgkmcnt(0)
	v_add_f32_e32 v13, v13, v14
	v_cmp_gt_i32_e64 s[0:1], s33, v21
	v_max_f32_e32 v14, v19, v19
	v_mul_f32_e32 v15, s28, v15
	v_cndmask_b32_e64 v15, 0, v15, s[2:3]
	v_fmac_f32_e32 v15, s29, v13
	v_cndmask_b32_e64 v13, 0, v15, s[0:1]
	ds_write_b32 v22, v13
	v_max_f32_e32 v13, v14, v15
	v_cndmask_b32_e64 v19, v19, v13, s[0:1]
	s_branch .LBB269_8
.LBB269_587:
	s_or_b64 exec, exec, s[14:15]
.LBB269_588:
	s_or_b64 exec, exec, s[30:31]
	v_xor_b32_e32 v3, 32, v17
	v_cmp_lt_i32_e32 vcc, v3, v12
	v_xor_b32_e32 v6, 16, v17
	v_max_f32_e32 v5, v19, v19
	v_cndmask_b32_e32 v3, v17, v3, vcc
	v_lshlrev_b32_e32 v3, 2, v3
	ds_bpermute_b32 v4, v3, v19
	v_cmp_lt_i32_e32 vcc, v6, v12
	v_xor_b32_e32 v7, 8, v17
	v_xor_b32_e32 v8, 4, v17
	;; [unrolled: 1-line block ×3, first 2 shown]
	s_waitcnt lgkmcnt(0)
	v_max_f32_e32 v4, v4, v4
	v_max_f32_e32 v5, v5, v4
	v_cndmask_b32_e32 v4, v17, v6, vcc
	v_lshlrev_b32_e32 v4, 2, v4
	ds_bpermute_b32 v6, v4, v5
	v_cmp_lt_i32_e32 vcc, v7, v12
	v_and_b32_e32 v33, 63, v0
	s_waitcnt lgkmcnt(0)
	v_max_f32_e32 v6, v6, v6
	v_max_f32_e32 v6, v5, v6
	v_cndmask_b32_e32 v5, v17, v7, vcc
	v_lshlrev_b32_e32 v5, 2, v5
	ds_bpermute_b32 v7, v5, v6
	v_cmp_lt_i32_e32 vcc, v8, v12
	s_waitcnt lgkmcnt(0)
	v_max_f32_e32 v7, v7, v7
	v_max_f32_e32 v7, v6, v7
	v_cndmask_b32_e32 v6, v17, v8, vcc
	v_lshlrev_b32_e32 v6, 2, v6
	ds_bpermute_b32 v8, v6, v7
	v_cmp_lt_i32_e32 vcc, v9, v12
	s_waitcnt lgkmcnt(0)
	v_max_f32_e32 v8, v8, v8
	v_max_f32_e32 v8, v7, v8
	v_cndmask_b32_e32 v7, v17, v9, vcc
	v_lshlrev_b32_e32 v34, 2, v7
	ds_bpermute_b32 v9, v34, v8
	v_cmp_eq_u32_e32 vcc, 0, v33
	v_lshlrev_b32_e32 v7, 2, v32
	s_and_saveexec_b64 s[0:1], vcc
	s_cbranch_execz .LBB269_590
; %bb.589:
	s_waitcnt lgkmcnt(0)
	v_max_f32_e32 v9, v9, v9
	v_max_f32_e32 v8, v8, v8
	;; [unrolled: 1-line block ×3, first 2 shown]
	ds_write_b32 v7, v8 offset:384
.LBB269_590:
	s_or_b64 exec, exec, s[0:1]
	v_cmp_gt_u32_e64 s[0:1], 2, v33
	s_waitcnt lgkmcnt(0)
	v_mov_b32_e32 v9, 0xff7fffff
	v_lshlrev_b32_e32 v8, 2, v33
	s_barrier
	s_and_saveexec_b64 s[2:3], s[0:1]
; %bb.591:
	ds_read_b32 v9, v8 offset:384
; %bb.592:
	s_or_b64 exec, exec, s[2:3]
	v_xor_b32_e32 v10, 1, v17
	v_cmp_lt_i32_e64 s[2:3], v10, v12
	v_lshlrev_b32_e32 v2, 2, v2
	s_nop 0
	v_cndmask_b32_e64 v10, v17, v10, s[2:3]
	v_lshlrev_b32_e32 v35, 2, v10
	s_waitcnt lgkmcnt(0)
	ds_bpermute_b32 v10, v35, v9
	v_max_f32_e32 v9, v9, v9
	s_lshl_b32 s2, s19, 5
	s_min_i32 s30, s2, s33
	v_cmp_gt_i32_e64 s[2:3], s30, v0
	s_waitcnt lgkmcnt(0)
	v_max_f32_e32 v10, v10, v10
	v_max_f32_e32 v9, v9, v10
	ds_bpermute_b32 v9, v2, v9
	v_mov_b32_e32 v2, 0
	s_and_saveexec_b64 s[14:15], s[2:3]
	s_cbranch_execz .LBB269_596
; %bb.593:
	v_mov_b32_e32 v2, 0x190
	v_lshl_add_u32 v10, v0, 2, v2
	v_mov_b32_e32 v2, 0
	s_mov_b64 s[28:29], 0
	v_mov_b32_e32 v11, v0
.LBB269_594:                            ; =>This Inner Loop Header: Depth=1
	ds_read_b32 v12, v10
	v_add_u32_e32 v11, 0x80, v11
	v_cmp_le_i32_e64 s[8:9], s30, v11
	s_or_b64 s[28:29], s[8:9], s[28:29]
	s_waitcnt lgkmcnt(0)
	v_sub_f32_e32 v12, v12, v9
	v_mul_f32_e32 v12, 0x3fb8aa3b, v12
	v_exp_f32_e32 v12, v12
	ds_write_b32 v10, v12
	v_add_f32_e32 v2, v2, v12
	v_add_u32_e32 v10, 0x200, v10
	s_andn2_b64 exec, exec, s[28:29]
	s_cbranch_execnz .LBB269_594
; %bb.595:
	s_or_b64 exec, exec, s[28:29]
.LBB269_596:
	s_or_b64 exec, exec, s[14:15]
	ds_bpermute_b32 v3, v3, v2
	s_waitcnt lgkmcnt(0)
	v_add_f32_e32 v2, v2, v3
	ds_bpermute_b32 v3, v4, v2
	s_waitcnt lgkmcnt(0)
	v_add_f32_e32 v2, v2, v3
	;; [unrolled: 3-line block ×6, first 2 shown]
	s_and_saveexec_b64 s[8:9], vcc
; %bb.597:
	ds_write_b32 v7, v2 offset:392
; %bb.598:
	s_or_b64 exec, exec, s[8:9]
	s_waitcnt lgkmcnt(0)
	s_barrier
	s_and_saveexec_b64 s[8:9], s[0:1]
; %bb.599:
	ds_read_b32 v2, v8 offset:392
; %bb.600:
	s_or_b64 exec, exec, s[8:9]
	s_waitcnt lgkmcnt(0)
	ds_bpermute_b32 v3, v35, v2
	v_lshlrev_b32_e32 v4, 2, v17
	s_waitcnt lgkmcnt(0)
	v_add_f32_e32 v2, v2, v3
	v_and_b32_e32 v3, 0xffffff00, v4
	ds_bpermute_b32 v2, v3, v2
	s_and_saveexec_b64 s[0:1], s[2:3]
	s_cbranch_execz .LBB269_613
; %bb.601:
	s_waitcnt lgkmcnt(0)
	v_add_f32_e32 v2, 0x358637bd, v2
	v_div_scale_f32 v3, s[2:3], v2, v2, 1.0
	v_rcp_f32_e32 v4, v3
	v_div_scale_f32 v5, vcc, 1.0, v2, 1.0
	s_movk_i32 s2, 0x7f
	v_fma_f32 v6, -v3, v4, 1.0
	v_fmac_f32_e32 v4, v6, v4
	v_mul_f32_e32 v6, v5, v4
	v_fma_f32 v7, -v3, v6, v5
	v_fmac_f32_e32 v6, v7, v4
	v_fma_f32 v3, -v3, v6, v5
	v_div_fmas_f32 v3, v3, v4, v6
	v_xad_u32 v4, v0, -1, s30
	v_div_fixup_f32 v2, v3, v2, 1.0
	v_cmp_lt_u32_e32 vcc, s2, v4
	s_mov_b64 s[8:9], -1
	v_mov_b32_e32 v3, v0
	s_and_saveexec_b64 s[2:3], vcc
	s_cbranch_execz .LBB269_610
; %bb.602:
	v_lshrrev_b32_e32 v4, 7, v4
	v_add_u32_e32 v6, -1, v4
	v_lshrrev_b32_e32 v5, 1, v6
	v_mov_b32_e32 v3, v2
	v_add_u32_e32 v5, 1, v5
	v_cmp_lt_u32_e32 vcc, 13, v6
	v_mov_b32_e32 v8, 0
	s_and_saveexec_b64 s[8:9], vcc
	s_cbranch_execz .LBB269_606
; %bb.603:
	v_mov_b32_e32 v7, 0x190
	v_and_b32_e32 v6, -8, v5
	v_lshl_add_u32 v7, v0, 2, v7
	s_mov_b32 s28, 0
	s_mov_b64 s[14:15], 0
.LBB269_604:                            ; =>This Inner Loop Header: Depth=1
	ds_read2st64_b32 v[8:9], v7 offset1:2
	ds_read2st64_b32 v[10:11], v7 offset0:4 offset1:6
	ds_read2st64_b32 v[12:13], v7 offset0:8 offset1:10
	;; [unrolled: 1-line block ×3, first 2 shown]
	v_add_u32_e32 v6, -8, v6
	s_waitcnt lgkmcnt(3)
	v_pk_mul_f32 v[8:9], v[2:3], v[8:9]
	s_waitcnt lgkmcnt(2)
	v_pk_mul_f32 v[10:11], v[2:3], v[10:11]
	ds_write2st64_b32 v7, v8, v9 offset1:2
	ds_write2st64_b32 v7, v10, v11 offset0:4 offset1:6
	ds_read2st64_b32 v[10:11], v7 offset0:16 offset1:18
	s_waitcnt lgkmcnt(4)
	v_pk_mul_f32 v[8:9], v[2:3], v[12:13]
	ds_write2st64_b32 v7, v8, v9 offset0:8 offset1:10
	s_waitcnt lgkmcnt(4)
	v_pk_mul_f32 v[8:9], v[2:3], v[14:15]
	ds_write2st64_b32 v7, v8, v9 offset0:12 offset1:14
	ds_read2st64_b32 v[8:9], v7 offset0:20 offset1:22
	s_waitcnt lgkmcnt(3)
	v_pk_mul_f32 v[10:11], v[2:3], v[10:11]
	ds_read2st64_b32 v[12:13], v7 offset0:24 offset1:26
	ds_write2st64_b32 v7, v10, v11 offset0:16 offset1:18
	ds_read2st64_b32 v[10:11], v7 offset0:28 offset1:30
	s_waitcnt lgkmcnt(3)
	v_pk_mul_f32 v[8:9], v[2:3], v[8:9]
	ds_write2st64_b32 v7, v8, v9 offset0:20 offset1:22
	s_waitcnt lgkmcnt(3)
	v_pk_mul_f32 v[8:9], v[2:3], v[12:13]
	ds_write2st64_b32 v7, v8, v9 offset0:24 offset1:26
	s_waitcnt lgkmcnt(2)
	v_pk_mul_f32 v[8:9], v[2:3], v[10:11]
	s_add_i32 s28, s28, 16
	v_cmp_eq_u32_e32 vcc, 0, v6
	ds_write2st64_b32 v7, v8, v9 offset0:28 offset1:30
	v_add_u32_e32 v7, 0x2000, v7
	s_or_b64 s[14:15], vcc, s[14:15]
	v_mov_b32_e32 v8, s28
	s_andn2_b64 exec, exec, s[14:15]
	s_cbranch_execnz .LBB269_604
; %bb.605:
	s_or_b64 exec, exec, s[14:15]
.LBB269_606:
	s_or_b64 exec, exec, s[8:9]
	v_and_b32_e32 v5, 7, v5
	v_cmp_ne_u32_e32 vcc, 0, v5
	s_and_saveexec_b64 s[8:9], vcc
	s_cbranch_execz .LBB269_609
; %bb.607:
	v_lshlrev_b32_e32 v6, 9, v8
	v_lshlrev_b32_e32 v7, 2, v0
	s_movk_i32 s14, 0x190
	v_add3_u32 v6, v6, v7, s14
	s_mov_b64 s[14:15], 0
.LBB269_608:                            ; =>This Inner Loop Header: Depth=1
	ds_read2st64_b32 v[8:9], v6 offset1:2
	v_add_u32_e32 v5, -1, v5
	v_cmp_eq_u32_e32 vcc, 0, v5
	s_or_b64 s[14:15], vcc, s[14:15]
	s_waitcnt lgkmcnt(0)
	v_pk_mul_f32 v[8:9], v[2:3], v[8:9]
	ds_write2st64_b32 v6, v8, v9 offset1:2
	v_add_u32_e32 v6, 0x400, v6
	s_andn2_b64 exec, exec, s[14:15]
	s_cbranch_execnz .LBB269_608
.LBB269_609:
	s_or_b64 exec, exec, s[8:9]
	v_add_u32_e32 v4, 1, v4
	v_and_b32_e32 v5, 0x3fffffe, v4
	v_cmp_ne_u32_e32 vcc, v4, v5
	v_lshl_add_u32 v3, v5, 7, v0
	s_orn2_b64 s[8:9], vcc, exec
.LBB269_610:
	s_or_b64 exec, exec, s[2:3]
	s_and_b64 exec, exec, s[8:9]
	s_cbranch_execz .LBB269_613
; %bb.611:
	v_mov_b32_e32 v4, 0x190
	v_lshl_add_u32 v4, v3, 2, v4
	s_mov_b64 s[2:3], 0
.LBB269_612:                            ; =>This Inner Loop Header: Depth=1
	ds_read_b32 v5, v4
	v_add_u32_e32 v3, 0x80, v3
	v_cmp_le_i32_e32 vcc, s30, v3
	s_or_b64 s[2:3], vcc, s[2:3]
	s_waitcnt lgkmcnt(0)
	v_mul_f32_e32 v5, v2, v5
	ds_write_b32 v4, v5
	v_add_u32_e32 v4, 0x200, v4
	s_andn2_b64 exec, exec, s[2:3]
	s_cbranch_execnz .LBB269_612
.LBB269_613:
	s_or_b64 exec, exec, s[0:1]
	v_mov_b32_e32 v3, 0
	v_and_b32_e32 v36, 3, v0
	s_waitcnt lgkmcnt(0)
	v_mov_b32_e32 v2, 0
	v_mov_b32_e32 v5, 0
	;; [unrolled: 1-line block ×11, first 2 shown]
	s_barrier
	s_and_saveexec_b64 s[2:3], s[6:7]
	s_cbranch_execz .LBB269_1217
; %bb.614:
	s_ashr_i32 s1, s12, 31
	s_add_u32 s0, s26, s12
	s_addc_u32 s1, s27, s1
	v_and_b32_e32 v14, 0x1f8, v1
	v_mov_b32_e32 v15, 0
	s_add_i32 s26, s19, -1
	v_lshl_add_u64 v[16:17], s[0:1], 0, v[14:15]
	s_lshl_b64 s[0:1], s[24:25], 2
	v_and_b32_e32 v2, 24, v1
	v_lshlrev_b32_e32 v1, 5, v36
	s_add_u32 s0, s22, s0
	s_mov_b32 s6, -1
	v_lshl_or_b32 v1, v32, 7, v1
	v_and_b32_e32 v14, 60, v18
	s_addc_u32 s1, s23, s1
	s_mov_b32 s28, s13
	s_mov_b32 s7, 0xffffff
	;; [unrolled: 1-line block ×3, first 2 shown]
	v_lshl_or_b32 v37, v32, 5, v2
	v_add_u32_e32 v38, 0x190, v1
	v_lshl_add_u64 v[18:19], s[0:1], 0, v[14:15]
	s_mov_b64 s[8:9], 0
	s_movk_i32 s24, 0x80
	s_movk_i32 s25, 0x7f
	s_mov_b32 s29, 0x8000
	v_mov_b32_e32 v39, 0x2000
	v_mov_b32_e32 v3, 0
	v_mov_b32_e32 v2, 0
	v_mov_b32_e32 v5, 0
	v_mov_b32_e32 v4, 0
	v_mov_b32_e32 v7, 0
	v_mov_b32_e32 v6, 0
	v_mov_b32_e32 v9, 0
	v_mov_b32_e32 v8, 0
	v_mov_b32_e32 v11, 0
	v_mov_b32_e32 v10, 0
	v_mov_b32_e32 v13, 0
	v_mov_b32_e32 v12, 0
	s_branch .LBB269_616
.LBB269_615:                            ;   in Loop: Header=BB269_616 Depth=1
	s_or_b64 exec, exec, s[12:13]
	v_add_f32_e32 v21, v30, v31
	v_add_f32_e32 v2, v2, v21
	;; [unrolled: 1-line block ×21, first 2 shown]
	;;#ASMSTART
	v_pk_mul_f16 v1, v47, v1;

	;;#ASMEND
	v_add_f32_e32 v12, v12, v21
	;;#ASMSTART
	v_pk_mul_f16 v14, v46, v14;

	;;#ASMEND
	;;#ASMSTART
	v_pk_mul_f16 v21, v45, v23;

	;;#ASMEND
	;;#ASMSTART
	v_pk_mul_f16 v20, v44, v20;

	;;#ASMEND
	v_add_u32_e32 v32, 2, v32
	;;#ASMSTART
	v_pk_add_f16 v1, v1, v14;

	;;#ASMEND
	v_cmp_le_i32_e32 vcc, s19, v32
	;;#ASMSTART
	v_pk_add_f16 v1, v1, v21;

	;;#ASMEND
	v_add_u32_e32 v37, 64, v37
	;;#ASMSTART
	v_pk_add_f16 v1, v1, v20;

	;;#ASMEND
	v_add_u32_e32 v38, 0x100, v38
	v_lshrrev_b32_e32 v14, 16, v1
	v_and_b32_e32 v1, 0xffff, v1
	;;#ASMSTART
	v_cvt_f32_f16 v1, v1;
	;;#ASMEND
	;;#ASMSTART
	v_cvt_f32_f16 v14, v14;
	;;#ASMEND
	s_or_b64 s[8:9], vcc, s[8:9]
	v_add_f32_e32 v1, v1, v14
	v_add_f32_e32 v3, v3, v1
	v_lshl_add_u64 v[18:19], v[18:19], 0, 8
	s_andn2_b64 exec, exec, s[8:9]
	s_cbranch_execz .LBB269_1216
.LBB269_616:                            ; =>This Inner Loop Header: Depth=1
	global_load_dword v1, v[18:19], off
	ds_read2_b64 v[20:23], v38 offset1:1
	ds_read2_b64 v[24:27], v38 offset0:2 offset1:3
	s_waitcnt lgkmcnt(1)
	;;#ASMSTART
	v_cvt_f16_f32 v44, v20;

	;;#ASMEND
	;;#ASMSTART
	v_cvt_f16_f32 v45, v21;

	;;#ASMEND
	;; [unrolled: 4-line block ×4, first 2 shown]
	s_waitcnt lgkmcnt(0)
	;;#ASMSTART
	v_cvt_f16_f32 v52, v24;

	;;#ASMEND
	;;#ASMSTART
	v_cvt_f16_f32 v53, v25;

	;;#ASMEND
	;; [unrolled: 4-line block ×4, first 2 shown]
	s_waitcnt vmcnt(0)
	v_mad_i64_i32 v[20:21], s[0:1], v1, s28, v[16:17]
	global_load_dwordx2 v[24:25], v[20:21], off
	global_load_dword v22, v15, s[10:11]
	v_mov_b32_e32 v1, 0
	s_waitcnt vmcnt(1)
	v_cmp_ne_u16_sdwa s[12:13], v24, v15 src0_sel:BYTE_0 src1_sel:DWORD
	s_and_saveexec_b64 s[0:1], s[12:13]
	s_cbranch_execz .LBB269_622
; %bb.617:                              ;   in Loop: Header=BB269_616 Depth=1
	v_cmp_ne_u16_sdwa s[14:15], v24, s24 src0_sel:BYTE_0 src1_sel:DWORD
	v_mov_b32_e32 v1, 0x8000
	s_and_saveexec_b64 s[12:13], s[14:15]
	s_cbranch_execz .LBB269_621
; %bb.618:                              ;   in Loop: Header=BB269_616 Depth=1
	v_and_b32_e32 v14, 0x7f, v24
	v_cmp_ne_u32_e32 vcc, s25, v14
	v_mov_b32_e32 v1, 0x7c01
	s_and_saveexec_b64 s[14:15], vcc
	s_cbranch_execz .LBB269_620
; %bb.619:                              ;   in Loop: Header=BB269_616 Depth=1
	v_and_b32_e32 v1, 7, v24
	v_ffbh_u32_e32 v26, v1
	v_min_u32_e32 v28, 32, v26
	v_subrev_u32_e32 v26, 28, v28
	v_lshlrev_b64 v[26:27], v26, v[24:25]
	v_lshrrev_b32_e32 v23, 3, v14
	v_sub_u32_e32 v27, 29, v28
	v_cmp_gt_u32_e32 vcc, 8, v14
	v_and_b32_e32 v26, 7, v26
	s_nop 0
	v_cndmask_b32_e32 v14, v23, v27, vcc
	v_lshl_add_u32 v14, v14, 10, v39
	v_lshlrev_b32_e32 v23, 8, v24
	v_and_b32_e32 v14, 0xfc00, v14
	v_cndmask_b32_e32 v1, v1, v26, vcc
	v_and_or_b32 v14, v23, s29, v14
	v_lshl_or_b32 v1, v1, 7, v14
.LBB269_620:                            ;   in Loop: Header=BB269_616 Depth=1
	s_or_b64 exec, exec, s[14:15]
.LBB269_621:                            ;   in Loop: Header=BB269_616 Depth=1
	s_or_b64 exec, exec, s[12:13]
.LBB269_622:                            ;   in Loop: Header=BB269_616 Depth=1
	s_or_b64 exec, exec, s[0:1]
	v_lshrrev_b16_e32 v14, 8, v24
	v_cmp_ne_u16_e32 vcc, 0, v14
	v_mov_b32_e32 v23, 0
	v_mov_b32_e32 v26, 0
	s_and_saveexec_b64 s[0:1], vcc
	s_cbranch_execz .LBB269_628
; %bb.623:                              ;   in Loop: Header=BB269_616 Depth=1
	v_cmp_ne_u16_e32 vcc, s24, v14
	v_bfrev_b32_e32 v26, 1
	s_and_saveexec_b64 s[12:13], vcc
	s_cbranch_execz .LBB269_627
; %bb.624:                              ;   in Loop: Header=BB269_616 Depth=1
	v_and_b32_e32 v27, 0x7f, v14
	v_cmp_ne_u32_e32 vcc, s25, v27
	v_mov_b32_e32 v26, 0x7c010000
	s_and_saveexec_b64 s[14:15], vcc
	s_cbranch_execz .LBB269_626
; %bb.625:                              ;   in Loop: Header=BB269_616 Depth=1
	v_and_b32_e32 v26, 7, v14
	v_ffbh_u32_e32 v28, v26
	v_min_u32_e32 v31, 32, v28
	v_subrev_u32_e32 v28, 28, v31
	v_lshlrev_b64 v[28:29], v28, v[14:15]
	v_lshrrev_b32_e32 v30, 3, v27
	v_sub_u32_e32 v29, 29, v31
	v_cmp_gt_u32_e32 vcc, 8, v27
	v_lshlrev_b32_e32 v14, 8, v14
	v_and_b32_e32 v28, 7, v28
	v_cndmask_b32_e32 v27, v30, v29, vcc
	v_lshl_add_u32 v27, v27, 10, v39
	v_and_or_b32 v14, v14, s29, v27
	v_cndmask_b32_e32 v26, v26, v28, vcc
	v_lshlrev_b32_e32 v14, 16, v14
	v_lshl_or_b32 v26, v26, 23, v14
.LBB269_626:                            ;   in Loop: Header=BB269_616 Depth=1
	s_or_b64 exec, exec, s[14:15]
.LBB269_627:                            ;   in Loop: Header=BB269_616 Depth=1
	s_or_b64 exec, exec, s[12:13]
.LBB269_628:                            ;   in Loop: Header=BB269_616 Depth=1
	s_or_b64 exec, exec, s[0:1]
	v_lshrrev_b32_e32 v14, 16, v24
	v_cmp_ne_u16_sdwa s[12:13], v14, v15 src0_sel:BYTE_0 src1_sel:DWORD
	s_and_saveexec_b64 s[0:1], s[12:13]
	s_cbranch_execz .LBB269_634
; %bb.629:                              ;   in Loop: Header=BB269_616 Depth=1
	v_cmp_ne_u16_sdwa s[14:15], v14, s24 src0_sel:BYTE_0 src1_sel:DWORD
	v_mov_b32_e32 v23, 0x8000
	s_and_saveexec_b64 s[12:13], s[14:15]
	s_cbranch_execz .LBB269_633
; %bb.630:                              ;   in Loop: Header=BB269_616 Depth=1
	v_bfe_u32 v27, v24, 16, 7
	v_cmp_ne_u32_e32 vcc, s25, v27
	v_mov_b32_e32 v23, 0x7c01
	s_and_saveexec_b64 s[14:15], vcc
	s_cbranch_execz .LBB269_632
; %bb.631:                              ;   in Loop: Header=BB269_616 Depth=1
	v_and_b32_e32 v23, 7, v14
	v_ffbh_u32_e32 v28, v23
	v_min_u32_e32 v31, 32, v28
	v_subrev_u32_e32 v28, 28, v31
	v_lshlrev_b64 v[28:29], v28, v[14:15]
	v_lshrrev_b32_e32 v30, 3, v27
	v_sub_u32_e32 v29, 29, v31
	v_cmp_gt_u32_e32 vcc, 8, v27
	v_lshlrev_b32_e32 v14, 8, v14
	v_and_b32_e32 v28, 7, v28
	v_cndmask_b32_e32 v27, v30, v29, vcc
	v_lshl_add_u32 v27, v27, 10, v39
	v_and_b32_e32 v27, 0xfc00, v27
	v_cndmask_b32_e32 v23, v23, v28, vcc
	v_and_or_b32 v14, v14, s29, v27
	v_lshl_or_b32 v23, v23, 7, v14
.LBB269_632:                            ;   in Loop: Header=BB269_616 Depth=1
	s_or_b64 exec, exec, s[14:15]
.LBB269_633:                            ;   in Loop: Header=BB269_616 Depth=1
	s_or_b64 exec, exec, s[12:13]
.LBB269_634:                            ;   in Loop: Header=BB269_616 Depth=1
	s_or_b64 exec, exec, s[0:1]
	v_cmp_lt_u32_e32 vcc, s7, v24
	v_mov_b32_e32 v27, 0
	v_mov_b32_e32 v28, 0
	s_and_saveexec_b64 s[0:1], vcc
	s_cbranch_execz .LBB269_640
; %bb.635:                              ;   in Loop: Header=BB269_616 Depth=1
	v_lshrrev_b32_e32 v14, 24, v24
	v_cmp_ne_u32_e32 vcc, s24, v14
	v_bfrev_b32_e32 v28, 1
	s_and_saveexec_b64 s[12:13], vcc
	s_cbranch_execz .LBB269_639
; %bb.636:                              ;   in Loop: Header=BB269_616 Depth=1
	v_and_b32_e32 v29, 0x7f, v14
	v_cmp_ne_u32_e32 vcc, s25, v29
	v_mov_b32_e32 v28, 0x7c010000
	s_and_saveexec_b64 s[14:15], vcc
	s_cbranch_execz .LBB269_638
; %bb.637:                              ;   in Loop: Header=BB269_616 Depth=1
	v_and_b32_e32 v28, 7, v14
	v_ffbh_u32_e32 v30, v28
	v_min_u32_e32 v41, 32, v30
	v_subrev_u32_e32 v30, 28, v41
	v_lshlrev_b64 v[30:31], v30, v[14:15]
	v_lshrrev_b32_e32 v40, 3, v29
	v_sub_u32_e32 v31, 29, v41
	v_cmp_gt_u32_e32 vcc, 8, v29
	v_lshlrev_b32_e32 v14, 8, v14
	v_and_b32_e32 v30, 7, v30
	v_cndmask_b32_e32 v29, v40, v31, vcc
	v_lshl_add_u32 v29, v29, 10, v39
	v_and_or_b32 v14, v14, s29, v29
	v_cndmask_b32_e32 v28, v28, v30, vcc
	v_lshlrev_b32_e32 v14, 16, v14
	v_lshl_or_b32 v28, v28, 23, v14
.LBB269_638:                            ;   in Loop: Header=BB269_616 Depth=1
	s_or_b64 exec, exec, s[14:15]
.LBB269_639:                            ;   in Loop: Header=BB269_616 Depth=1
	s_or_b64 exec, exec, s[12:13]
.LBB269_640:                            ;   in Loop: Header=BB269_616 Depth=1
	s_or_b64 exec, exec, s[0:1]
	v_mov_b32_e32 v14, v25
	v_cmp_ne_u16_sdwa s[12:13], v25, v15 src0_sel:BYTE_0 src1_sel:DWORD
	s_and_saveexec_b64 s[0:1], s[12:13]
	s_cbranch_execz .LBB269_646
; %bb.641:                              ;   in Loop: Header=BB269_616 Depth=1
	v_cmp_ne_u16_sdwa s[14:15], v25, s24 src0_sel:BYTE_0 src1_sel:DWORD
	v_mov_b32_e32 v27, 0x8000
	s_and_saveexec_b64 s[12:13], s[14:15]
	s_cbranch_execz .LBB269_645
; %bb.642:                              ;   in Loop: Header=BB269_616 Depth=1
	v_and_b32_e32 v29, 0x7f, v25
	v_cmp_ne_u32_e32 vcc, s25, v29
	v_mov_b32_e32 v27, 0x7c01
	s_and_saveexec_b64 s[14:15], vcc
	s_cbranch_execz .LBB269_644
; %bb.643:                              ;   in Loop: Header=BB269_616 Depth=1
	v_and_b32_e32 v27, 7, v25
	v_ffbh_u32_e32 v30, v27
	v_min_u32_e32 v41, 32, v30
	v_subrev_u32_e32 v30, 28, v41
	v_lshlrev_b64 v[30:31], v30, v[14:15]
	v_lshrrev_b32_e32 v40, 3, v29
	v_sub_u32_e32 v31, 29, v41
	v_cmp_gt_u32_e32 vcc, 8, v29
	v_and_b32_e32 v30, 7, v30
	s_nop 0
	v_cndmask_b32_e32 v29, v40, v31, vcc
	v_lshl_add_u32 v29, v29, 10, v39
	v_lshlrev_b32_e32 v31, 8, v25
	v_and_b32_e32 v29, 0xfc00, v29
	v_cndmask_b32_e32 v27, v27, v30, vcc
	v_and_or_b32 v29, v31, s29, v29
	v_lshl_or_b32 v27, v27, 7, v29
.LBB269_644:                            ;   in Loop: Header=BB269_616 Depth=1
	s_or_b64 exec, exec, s[14:15]
.LBB269_645:                            ;   in Loop: Header=BB269_616 Depth=1
	s_or_b64 exec, exec, s[12:13]
.LBB269_646:                            ;   in Loop: Header=BB269_616 Depth=1
	s_or_b64 exec, exec, s[0:1]
	v_lshrrev_b16_e32 v14, 8, v14
	v_cmp_ne_u16_e32 vcc, 0, v14
	v_mov_b32_e32 v30, 0
	v_mov_b32_e32 v29, 0
	s_and_saveexec_b64 s[0:1], vcc
	s_cbranch_execz .LBB269_652
; %bb.647:                              ;   in Loop: Header=BB269_616 Depth=1
	v_cmp_ne_u16_e32 vcc, s24, v14
	v_bfrev_b32_e32 v29, 1
	s_and_saveexec_b64 s[12:13], vcc
	s_cbranch_execz .LBB269_651
; %bb.648:                              ;   in Loop: Header=BB269_616 Depth=1
	v_and_b32_e32 v31, 0x7f, v14
	v_cmp_ne_u32_e32 vcc, s25, v31
	v_mov_b32_e32 v29, 0x7c010000
	s_and_saveexec_b64 s[14:15], vcc
	s_cbranch_execz .LBB269_650
; %bb.649:                              ;   in Loop: Header=BB269_616 Depth=1
	v_and_b32_e32 v29, 7, v14
	v_ffbh_u32_e32 v40, v29
	v_min_u32_e32 v43, 32, v40
	v_subrev_u32_e32 v40, 28, v43
	v_lshlrev_b64 v[40:41], v40, v[14:15]
	v_lshrrev_b32_e32 v42, 3, v31
	v_sub_u32_e32 v41, 29, v43
	v_cmp_gt_u32_e32 vcc, 8, v31
	v_lshlrev_b32_e32 v14, 8, v14
	v_and_b32_e32 v40, 7, v40
	v_cndmask_b32_e32 v31, v42, v41, vcc
	v_lshl_add_u32 v31, v31, 10, v39
	v_and_or_b32 v14, v14, s29, v31
	v_cndmask_b32_e32 v29, v29, v40, vcc
	v_lshlrev_b32_e32 v14, 16, v14
	v_lshl_or_b32 v29, v29, 23, v14
.LBB269_650:                            ;   in Loop: Header=BB269_616 Depth=1
	s_or_b64 exec, exec, s[14:15]
.LBB269_651:                            ;   in Loop: Header=BB269_616 Depth=1
	s_or_b64 exec, exec, s[12:13]
.LBB269_652:                            ;   in Loop: Header=BB269_616 Depth=1
	s_or_b64 exec, exec, s[0:1]
	v_lshrrev_b32_e32 v14, 16, v25
	v_cmp_ne_u16_sdwa s[12:13], v14, v15 src0_sel:BYTE_0 src1_sel:DWORD
	s_and_saveexec_b64 s[0:1], s[12:13]
	s_cbranch_execz .LBB269_658
; %bb.653:                              ;   in Loop: Header=BB269_616 Depth=1
	v_cmp_ne_u16_sdwa s[14:15], v14, s24 src0_sel:BYTE_0 src1_sel:DWORD
	v_mov_b32_e32 v30, 0x8000
	s_and_saveexec_b64 s[12:13], s[14:15]
	s_cbranch_execz .LBB269_657
; %bb.654:                              ;   in Loop: Header=BB269_616 Depth=1
	v_bfe_u32 v31, v25, 16, 7
	v_cmp_ne_u32_e32 vcc, s25, v31
	v_mov_b32_e32 v30, 0x7c01
	s_and_saveexec_b64 s[14:15], vcc
	s_cbranch_execz .LBB269_656
; %bb.655:                              ;   in Loop: Header=BB269_616 Depth=1
	v_and_b32_e32 v30, 7, v14
	v_ffbh_u32_e32 v40, v30
	v_min_u32_e32 v43, 32, v40
	v_subrev_u32_e32 v40, 28, v43
	v_lshlrev_b64 v[40:41], v40, v[14:15]
	v_lshrrev_b32_e32 v42, 3, v31
	v_sub_u32_e32 v41, 29, v43
	v_cmp_gt_u32_e32 vcc, 8, v31
	v_lshlrev_b32_e32 v14, 8, v14
	v_and_b32_e32 v40, 7, v40
	v_cndmask_b32_e32 v31, v42, v41, vcc
	v_lshl_add_u32 v31, v31, 10, v39
	v_and_b32_e32 v31, 0xfc00, v31
	v_cndmask_b32_e32 v30, v30, v40, vcc
	v_and_or_b32 v14, v14, s29, v31
	v_lshl_or_b32 v30, v30, 7, v14
.LBB269_656:                            ;   in Loop: Header=BB269_616 Depth=1
	s_or_b64 exec, exec, s[14:15]
.LBB269_657:                            ;   in Loop: Header=BB269_616 Depth=1
	s_or_b64 exec, exec, s[12:13]
.LBB269_658:                            ;   in Loop: Header=BB269_616 Depth=1
	s_or_b64 exec, exec, s[0:1]
	v_cmp_lt_u64_e32 vcc, s[6:7], v[24:25]
	v_mov_b32_e32 v31, 0
	s_and_saveexec_b64 s[0:1], vcc
	s_cbranch_execz .LBB269_664
; %bb.659:                              ;   in Loop: Header=BB269_616 Depth=1
	v_lshrrev_b32_e32 v14, 24, v25
	v_cmp_ne_u32_e32 vcc, s24, v14
	v_bfrev_b32_e32 v31, 1
	s_and_saveexec_b64 s[12:13], vcc
	s_cbranch_execz .LBB269_663
; %bb.660:                              ;   in Loop: Header=BB269_616 Depth=1
	v_and_b32_e32 v24, 0x7f, v14
	v_cmp_ne_u32_e32 vcc, s25, v24
	v_mov_b32_e32 v31, 0x7c010000
	s_and_saveexec_b64 s[14:15], vcc
	s_cbranch_execz .LBB269_662
; %bb.661:                              ;   in Loop: Header=BB269_616 Depth=1
	v_and_b32_e32 v25, 7, v14
	v_ffbh_u32_e32 v40, v25
	v_min_u32_e32 v42, 32, v40
	v_subrev_u32_e32 v40, 28, v42
	v_lshlrev_b64 v[40:41], v40, v[14:15]
	v_lshrrev_b32_e32 v31, 3, v24
	v_sub_u32_e32 v41, 29, v42
	v_cmp_gt_u32_e32 vcc, 8, v24
	v_lshlrev_b32_e32 v14, 8, v14
	s_nop 0
	v_cndmask_b32_e32 v24, v31, v41, vcc
	v_lshl_add_u32 v24, v24, 10, v39
	v_and_b32_e32 v31, 7, v40
	v_and_or_b32 v14, v14, s29, v24
	v_cndmask_b32_e32 v25, v25, v31, vcc
	v_lshlrev_b32_e32 v14, 16, v14
	v_lshl_or_b32 v31, v25, 23, v14
.LBB269_662:                            ;   in Loop: Header=BB269_616 Depth=1
	s_or_b64 exec, exec, s[14:15]
.LBB269_663:                            ;   in Loop: Header=BB269_616 Depth=1
	s_or_b64 exec, exec, s[12:13]
.LBB269_664:                            ;   in Loop: Header=BB269_616 Depth=1
	s_or_b64 exec, exec, s[0:1]
	v_cvt_f32_f16_sdwa v25, v26 dst_sel:DWORD dst_unused:UNUSED_PAD src0_sel:WORD_1
	v_cvt_f32_f16_sdwa v24, v28 dst_sel:DWORD dst_unused:UNUSED_PAD src0_sel:WORD_1
	v_or_b32_e32 v1, v26, v1
	v_or_b32_e32 v14, v28, v23
	v_cvt_f32_f16_e32 v40, v14
	v_cvt_f32_f16_e32 v41, v1
	s_waitcnt vmcnt(0)
	v_pk_mul_f32 v[24:25], v[22:23], v[24:25] op_sel_hi:[0,1]
	v_cvt_pk_f16_f32 v1, v24, v25
	v_and_b32_e32 v23, 0xffff0000, v1
	v_pk_mul_f32 v[40:41], v[22:23], v[40:41] op_sel_hi:[0,1]
	v_or_b32_e32 v14, v29, v27
	v_or_b32_e32 v27, v31, v30
	v_lshlrev_b32_e32 v24, 16, v1
	v_cvt_pk_f16_f32 v1, v40, v41
	v_cvt_f32_f16_e32 v40, v27
	v_cvt_f32_f16_e32 v41, v14
	v_cvt_f32_f16_sdwa v29, v29 dst_sel:DWORD dst_unused:UNUSED_PAD src0_sel:WORD_1
	v_cvt_f32_f16_sdwa v28, v31 dst_sel:DWORD dst_unused:UNUSED_PAD src0_sel:WORD_1
	v_lshrrev_b32_e32 v25, 16, v1
	v_pk_mul_f32 v[30:31], v[22:23], v[40:41] op_sel_hi:[0,1]
	v_cvt_pk_f16_f32 v30, v30, v31
	v_pk_mul_f32 v[28:29], v[22:23], v[28:29] op_sel_hi:[0,1]
	v_cvt_pk_f16_f32 v22, v28, v29
	v_and_b32_e32 v26, 0xffff, v1
	v_and_b32_e32 v27, 0xffff0000, v22
	v_lshlrev_b32_e32 v22, 16, v22
	v_lshrrev_b32_e32 v31, 16, v30
	v_and_b32_e32 v30, 0xffff, v30
	v_cmp_eq_u32_e64 s[0:1], s26, v32
	v_or_b32_e32 v1, v23, v25
	v_or_b32_e32 v14, v24, v26
	;; [unrolled: 1-line block ×4, first 2 shown]
	v_add_u32_e32 v50, 2, v37
	v_or_b32_e32 v49, 1, v37
	v_or_b32_e32 v48, 3, v37
	;; [unrolled: 1-line block ×6, first 2 shown]
	s_and_saveexec_b64 s[12:13], s[0:1]
	s_cbranch_execz .LBB269_666
; %bb.665:                              ;   in Loop: Header=BB269_616 Depth=1
	v_cmp_gt_i32_e32 vcc, s27, v37
	s_nop 1
	v_cndmask_b32_e32 v1, 0, v25, vcc
	v_cmp_gt_i32_e32 vcc, s33, v50
	s_nop 1
	v_cndmask_b32_e32 v14, 0, v26, vcc
	;; [unrolled: 3-line block ×3, first 2 shown]
	v_cmp_gt_i32_e32 vcc, s33, v48
	v_or_b32_e32 v1, v23, v1
	s_nop 0
	v_cndmask_b32_e32 v24, 0, v24, vcc
	v_cmp_gt_i32_e32 vcc, s27, v43
	v_or_b32_e32 v14, v24, v14
	s_nop 0
	v_cndmask_b32_e32 v23, 0, v31, vcc
	v_cmp_gt_i32_e32 vcc, s33, v42
	s_nop 1
	v_cndmask_b32_e32 v24, 0, v30, vcc
	v_cmp_gt_i32_e32 vcc, s27, v41
	;; [unrolled: 3-line block ×3, first 2 shown]
	v_or_b32_e32 v29, v25, v23
	s_nop 0
	v_cndmask_b32_e32 v22, 0, v22, vcc
	v_or_b32_e32 v28, v22, v24
.LBB269_666:                            ;   in Loop: Header=BB269_616 Depth=1
	s_or_b64 exec, exec, s[12:13]
	v_and_b32_e32 v22, 0xffff, v44
	v_lshl_or_b32 v47, v45, 16, v22
	v_and_b32_e32 v22, 0xffff, v46
	v_lshl_or_b32 v46, v51, 16, v22
	;; [unrolled: 2-line block ×3, first 2 shown]
	v_and_b32_e32 v22, 0xffff, v54
	;;#ASMSTART
	v_pk_mul_f16 v1, v47, v1;

	;;#ASMEND
	v_lshl_or_b32 v44, v55, 16, v22
	;;#ASMSTART
	v_pk_mul_f16 v14, v46, v14;

	;;#ASMEND
	;;#ASMSTART
	v_pk_mul_f16 v22, v45, v29;

	;;#ASMEND
	;;#ASMSTART
	v_pk_mul_f16 v23, v44, v28;

	;;#ASMEND
	s_nop 0
	;;#ASMSTART
	v_pk_add_f16 v1, v1, v14;

	;;#ASMEND
	s_nop 0
	;;#ASMSTART
	v_pk_add_f16 v1, v1, v22;

	;;#ASMEND
	;; [unrolled: 5-line block ×3, first 2 shown]
	v_mov_b32_e32 v23, 0
	v_lshrrev_b32_e32 v14, 16, v1
	v_and_b32_e32 v1, 0xffff, v1
	;;#ASMSTART
	v_cvt_f32_f16 v51, v1;
	;;#ASMEND
	;;#ASMSTART
	v_cvt_f32_f16 v52, v14;
	;;#ASMEND
	global_load_dwordx2 v[24:25], v[20:21], off offset:512
	v_mov_b32_e32 v1, 0
	global_load_dword v22, v1, s[10:11]
	s_waitcnt vmcnt(1)
	v_cmp_ne_u16_sdwa s[14:15], v24, v15 src0_sel:BYTE_0 src1_sel:DWORD
	s_and_saveexec_b64 s[12:13], s[14:15]
	s_cbranch_execz .LBB269_672
; %bb.667:                              ;   in Loop: Header=BB269_616 Depth=1
	v_cmp_ne_u16_sdwa s[22:23], v24, s24 src0_sel:BYTE_0 src1_sel:DWORD
	v_mov_b32_e32 v23, 0x8000
	s_and_saveexec_b64 s[14:15], s[22:23]
	s_cbranch_execz .LBB269_671
; %bb.668:                              ;   in Loop: Header=BB269_616 Depth=1
	v_and_b32_e32 v14, 0x7f, v24
	v_cmp_ne_u32_e32 vcc, s25, v14
	v_mov_b32_e32 v23, 0x7c01
	s_and_saveexec_b64 s[22:23], vcc
	s_cbranch_execz .LBB269_670
; %bb.669:                              ;   in Loop: Header=BB269_616 Depth=1
	v_and_b32_e32 v23, 7, v24
	v_ffbh_u32_e32 v26, v23
	v_min_u32_e32 v29, 32, v26
	v_subrev_u32_e32 v26, 28, v29
	v_lshlrev_b64 v[26:27], v26, v[24:25]
	v_lshrrev_b32_e32 v28, 3, v14
	v_sub_u32_e32 v27, 29, v29
	v_cmp_gt_u32_e32 vcc, 8, v14
	v_and_b32_e32 v26, 7, v26
	s_nop 0
	v_cndmask_b32_e32 v14, v28, v27, vcc
	v_lshl_add_u32 v14, v14, 10, v39
	v_lshlrev_b32_e32 v27, 8, v24
	v_and_b32_e32 v14, 0xfc00, v14
	v_cndmask_b32_e32 v23, v23, v26, vcc
	v_and_or_b32 v14, v27, s29, v14
	v_lshl_or_b32 v23, v23, 7, v14
.LBB269_670:                            ;   in Loop: Header=BB269_616 Depth=1
	s_or_b64 exec, exec, s[22:23]
.LBB269_671:                            ;   in Loop: Header=BB269_616 Depth=1
	s_or_b64 exec, exec, s[14:15]
.LBB269_672:                            ;   in Loop: Header=BB269_616 Depth=1
	s_or_b64 exec, exec, s[12:13]
	v_lshrrev_b16_e32 v14, 8, v24
	v_cmp_ne_u16_e32 vcc, 0, v14
	s_and_saveexec_b64 s[12:13], vcc
	s_cbranch_execz .LBB269_678
; %bb.673:                              ;   in Loop: Header=BB269_616 Depth=1
	v_cmp_ne_u16_e32 vcc, s24, v14
	v_bfrev_b32_e32 v1, 1
	s_and_saveexec_b64 s[14:15], vcc
	s_cbranch_execz .LBB269_677
; %bb.674:                              ;   in Loop: Header=BB269_616 Depth=1
	v_and_b32_e32 v26, 0x7f, v14
	v_cmp_ne_u32_e32 vcc, s25, v26
	v_mov_b32_e32 v1, 0x7c010000
	s_and_saveexec_b64 s[22:23], vcc
	s_cbranch_execz .LBB269_676
; %bb.675:                              ;   in Loop: Header=BB269_616 Depth=1
	v_and_b32_e32 v1, 7, v14
	v_ffbh_u32_e32 v28, v1
	v_min_u32_e32 v30, 32, v28
	v_subrev_u32_e32 v28, 28, v30
	v_lshlrev_b64 v[28:29], v28, v[14:15]
	v_lshrrev_b32_e32 v27, 3, v26
	v_sub_u32_e32 v29, 29, v30
	v_cmp_gt_u32_e32 vcc, 8, v26
	v_lshlrev_b32_e32 v14, 8, v14
	s_nop 0
	v_cndmask_b32_e32 v26, v27, v29, vcc
	v_lshl_add_u32 v26, v26, 10, v39
	v_and_b32_e32 v27, 7, v28
	v_and_or_b32 v14, v14, s29, v26
	v_cndmask_b32_e32 v1, v1, v27, vcc
	v_lshlrev_b32_e32 v14, 16, v14
	v_lshl_or_b32 v1, v1, 23, v14
.LBB269_676:                            ;   in Loop: Header=BB269_616 Depth=1
	s_or_b64 exec, exec, s[22:23]
.LBB269_677:                            ;   in Loop: Header=BB269_616 Depth=1
	s_or_b64 exec, exec, s[14:15]
.LBB269_678:                            ;   in Loop: Header=BB269_616 Depth=1
	s_or_b64 exec, exec, s[12:13]
	v_lshrrev_b32_e32 v14, 16, v24
	v_cmp_ne_u16_sdwa s[14:15], v14, v15 src0_sel:BYTE_0 src1_sel:DWORD
	v_mov_b32_e32 v27, 0
	v_mov_b32_e32 v26, 0
	s_and_saveexec_b64 s[12:13], s[14:15]
	s_cbranch_execz .LBB269_684
; %bb.679:                              ;   in Loop: Header=BB269_616 Depth=1
	v_cmp_ne_u16_sdwa s[22:23], v14, s24 src0_sel:BYTE_0 src1_sel:DWORD
	v_mov_b32_e32 v26, 0x8000
	s_and_saveexec_b64 s[14:15], s[22:23]
	s_cbranch_execz .LBB269_683
; %bb.680:                              ;   in Loop: Header=BB269_616 Depth=1
	v_bfe_u32 v28, v24, 16, 7
	v_cmp_ne_u32_e32 vcc, s25, v28
	v_mov_b32_e32 v26, 0x7c01
	s_and_saveexec_b64 s[22:23], vcc
	s_cbranch_execz .LBB269_682
; %bb.681:                              ;   in Loop: Header=BB269_616 Depth=1
	v_and_b32_e32 v26, 7, v14
	v_ffbh_u32_e32 v30, v26
	v_min_u32_e32 v53, 32, v30
	v_subrev_u32_e32 v30, 28, v53
	v_lshlrev_b64 v[30:31], v30, v[14:15]
	v_lshrrev_b32_e32 v29, 3, v28
	v_sub_u32_e32 v31, 29, v53
	v_cmp_gt_u32_e32 vcc, 8, v28
	v_lshlrev_b32_e32 v14, 8, v14
	s_nop 0
	v_cndmask_b32_e32 v28, v29, v31, vcc
	v_lshl_add_u32 v28, v28, 10, v39
	v_and_b32_e32 v29, 7, v30
	v_and_b32_e32 v28, 0xfc00, v28
	v_cndmask_b32_e32 v26, v26, v29, vcc
	v_and_or_b32 v14, v14, s29, v28
	v_lshl_or_b32 v26, v26, 7, v14
.LBB269_682:                            ;   in Loop: Header=BB269_616 Depth=1
	s_or_b64 exec, exec, s[22:23]
.LBB269_683:                            ;   in Loop: Header=BB269_616 Depth=1
	s_or_b64 exec, exec, s[14:15]
.LBB269_684:                            ;   in Loop: Header=BB269_616 Depth=1
	s_or_b64 exec, exec, s[12:13]
	v_cmp_lt_u32_e32 vcc, s7, v24
	s_and_saveexec_b64 s[12:13], vcc
	s_cbranch_execz .LBB269_690
; %bb.685:                              ;   in Loop: Header=BB269_616 Depth=1
	v_lshrrev_b32_e32 v14, 24, v24
	v_cmp_ne_u32_e32 vcc, s24, v14
	v_bfrev_b32_e32 v27, 1
	s_and_saveexec_b64 s[14:15], vcc
	s_cbranch_execz .LBB269_689
; %bb.686:                              ;   in Loop: Header=BB269_616 Depth=1
	v_and_b32_e32 v28, 0x7f, v14
	v_cmp_ne_u32_e32 vcc, s25, v28
	v_mov_b32_e32 v27, 0x7c010000
	s_and_saveexec_b64 s[22:23], vcc
	s_cbranch_execz .LBB269_688
; %bb.687:                              ;   in Loop: Header=BB269_616 Depth=1
	v_and_b32_e32 v27, 7, v14
	v_ffbh_u32_e32 v30, v27
	v_min_u32_e32 v53, 32, v30
	v_subrev_u32_e32 v30, 28, v53
	v_lshlrev_b64 v[30:31], v30, v[14:15]
	v_lshrrev_b32_e32 v29, 3, v28
	v_sub_u32_e32 v31, 29, v53
	v_cmp_gt_u32_e32 vcc, 8, v28
	v_lshlrev_b32_e32 v14, 8, v14
	s_nop 0
	v_cndmask_b32_e32 v28, v29, v31, vcc
	v_lshl_add_u32 v28, v28, 10, v39
	v_and_b32_e32 v29, 7, v30
	v_and_or_b32 v14, v14, s29, v28
	v_cndmask_b32_e32 v27, v27, v29, vcc
	v_lshlrev_b32_e32 v14, 16, v14
	v_lshl_or_b32 v27, v27, 23, v14
.LBB269_688:                            ;   in Loop: Header=BB269_616 Depth=1
	s_or_b64 exec, exec, s[22:23]
.LBB269_689:                            ;   in Loop: Header=BB269_616 Depth=1
	s_or_b64 exec, exec, s[14:15]
.LBB269_690:                            ;   in Loop: Header=BB269_616 Depth=1
	s_or_b64 exec, exec, s[12:13]
	v_mov_b32_e32 v14, v25
	v_cmp_ne_u16_sdwa s[14:15], v25, v15 src0_sel:BYTE_0 src1_sel:DWORD
	v_mov_b32_e32 v28, 0
	v_mov_b32_e32 v29, 0
	s_and_saveexec_b64 s[12:13], s[14:15]
	s_cbranch_execz .LBB269_696
; %bb.691:                              ;   in Loop: Header=BB269_616 Depth=1
	v_cmp_ne_u16_sdwa s[22:23], v25, s24 src0_sel:BYTE_0 src1_sel:DWORD
	v_mov_b32_e32 v29, 0x8000
	s_and_saveexec_b64 s[14:15], s[22:23]
	s_cbranch_execz .LBB269_695
; %bb.692:                              ;   in Loop: Header=BB269_616 Depth=1
	v_and_b32_e32 v30, 0x7f, v25
	v_cmp_ne_u32_e32 vcc, s25, v30
	v_mov_b32_e32 v29, 0x7c01
	s_and_saveexec_b64 s[22:23], vcc
	s_cbranch_execz .LBB269_694
; %bb.693:                              ;   in Loop: Header=BB269_616 Depth=1
	v_and_b32_e32 v29, 7, v25
	v_ffbh_u32_e32 v53, v29
	v_min_u32_e32 v53, 32, v53
	v_lshrrev_b32_e32 v31, 3, v30
	v_subrev_u32_e32 v54, 28, v53
	v_sub_u32_e32 v53, 29, v53
	v_cmp_gt_u32_e32 vcc, 8, v30
	v_lshlrev_b64 v[54:55], v54, v[14:15]
	s_nop 0
	v_cndmask_b32_e32 v30, v31, v53, vcc
	v_lshl_add_u32 v30, v30, 10, v39
	v_lshlrev_b32_e32 v31, 8, v25
	v_and_b32_e32 v53, 7, v54
	v_and_b32_e32 v30, 0xfc00, v30
	v_cndmask_b32_e32 v29, v29, v53, vcc
	v_and_or_b32 v30, v31, s29, v30
	v_lshl_or_b32 v29, v29, 7, v30
.LBB269_694:                            ;   in Loop: Header=BB269_616 Depth=1
	s_or_b64 exec, exec, s[22:23]
.LBB269_695:                            ;   in Loop: Header=BB269_616 Depth=1
	s_or_b64 exec, exec, s[14:15]
.LBB269_696:                            ;   in Loop: Header=BB269_616 Depth=1
	s_or_b64 exec, exec, s[12:13]
	v_lshrrev_b16_e32 v14, 8, v14
	v_cmp_ne_u16_e32 vcc, 0, v14
	v_mov_b32_e32 v30, 0
	s_and_saveexec_b64 s[12:13], vcc
	s_cbranch_execz .LBB269_702
; %bb.697:                              ;   in Loop: Header=BB269_616 Depth=1
	v_cmp_ne_u16_e32 vcc, s24, v14
	v_bfrev_b32_e32 v30, 1
	s_and_saveexec_b64 s[14:15], vcc
	s_cbranch_execz .LBB269_701
; %bb.698:                              ;   in Loop: Header=BB269_616 Depth=1
	v_and_b32_e32 v31, 0x7f, v14
	v_cmp_ne_u32_e32 vcc, s25, v31
	v_mov_b32_e32 v30, 0x7c010000
	s_and_saveexec_b64 s[22:23], vcc
	s_cbranch_execz .LBB269_700
; %bb.699:                              ;   in Loop: Header=BB269_616 Depth=1
	v_and_b32_e32 v30, 7, v14
	v_ffbh_u32_e32 v54, v30
	v_min_u32_e32 v56, 32, v54
	v_subrev_u32_e32 v54, 28, v56
	v_lshlrev_b64 v[54:55], v54, v[14:15]
	v_lshrrev_b32_e32 v53, 3, v31
	v_sub_u32_e32 v55, 29, v56
	v_cmp_gt_u32_e32 vcc, 8, v31
	v_lshlrev_b32_e32 v14, 8, v14
	s_nop 0
	v_cndmask_b32_e32 v31, v53, v55, vcc
	v_lshl_add_u32 v31, v31, 10, v39
	v_and_b32_e32 v53, 7, v54
	v_and_or_b32 v14, v14, s29, v31
	v_cndmask_b32_e32 v30, v30, v53, vcc
	v_lshlrev_b32_e32 v14, 16, v14
	v_lshl_or_b32 v30, v30, 23, v14
.LBB269_700:                            ;   in Loop: Header=BB269_616 Depth=1
	s_or_b64 exec, exec, s[22:23]
.LBB269_701:                            ;   in Loop: Header=BB269_616 Depth=1
	s_or_b64 exec, exec, s[14:15]
.LBB269_702:                            ;   in Loop: Header=BB269_616 Depth=1
	s_or_b64 exec, exec, s[12:13]
	v_lshrrev_b32_e32 v14, 16, v25
	v_cmp_ne_u16_sdwa s[14:15], v14, v15 src0_sel:BYTE_0 src1_sel:DWORD
	s_and_saveexec_b64 s[12:13], s[14:15]
	s_cbranch_execz .LBB269_708
; %bb.703:                              ;   in Loop: Header=BB269_616 Depth=1
	v_cmp_ne_u16_sdwa s[22:23], v14, s24 src0_sel:BYTE_0 src1_sel:DWORD
	v_mov_b32_e32 v28, 0x8000
	s_and_saveexec_b64 s[14:15], s[22:23]
	s_cbranch_execz .LBB269_707
; %bb.704:                              ;   in Loop: Header=BB269_616 Depth=1
	v_bfe_u32 v31, v25, 16, 7
	v_cmp_ne_u32_e32 vcc, s25, v31
	v_mov_b32_e32 v28, 0x7c01
	s_and_saveexec_b64 s[22:23], vcc
	s_cbranch_execz .LBB269_706
; %bb.705:                              ;   in Loop: Header=BB269_616 Depth=1
	v_and_b32_e32 v28, 7, v14
	v_ffbh_u32_e32 v54, v28
	v_min_u32_e32 v56, 32, v54
	v_subrev_u32_e32 v54, 28, v56
	v_lshlrev_b64 v[54:55], v54, v[14:15]
	v_lshrrev_b32_e32 v53, 3, v31
	v_sub_u32_e32 v55, 29, v56
	v_cmp_gt_u32_e32 vcc, 8, v31
	v_lshlrev_b32_e32 v14, 8, v14
	s_nop 0
	v_cndmask_b32_e32 v31, v53, v55, vcc
	v_lshl_add_u32 v31, v31, 10, v39
	v_and_b32_e32 v53, 7, v54
	v_and_b32_e32 v31, 0xfc00, v31
	v_cndmask_b32_e32 v28, v28, v53, vcc
	v_and_or_b32 v14, v14, s29, v31
	v_lshl_or_b32 v28, v28, 7, v14
.LBB269_706:                            ;   in Loop: Header=BB269_616 Depth=1
	s_or_b64 exec, exec, s[22:23]
.LBB269_707:                            ;   in Loop: Header=BB269_616 Depth=1
	s_or_b64 exec, exec, s[14:15]
.LBB269_708:                            ;   in Loop: Header=BB269_616 Depth=1
	s_or_b64 exec, exec, s[12:13]
	v_cmp_lt_u64_e32 vcc, s[6:7], v[24:25]
	v_mov_b32_e32 v24, 0
	s_and_saveexec_b64 s[12:13], vcc
	s_cbranch_execz .LBB269_714
; %bb.709:                              ;   in Loop: Header=BB269_616 Depth=1
	v_lshrrev_b32_e32 v14, 24, v25
	v_cmp_ne_u32_e32 vcc, s24, v14
	v_bfrev_b32_e32 v24, 1
	s_and_saveexec_b64 s[14:15], vcc
	s_cbranch_execz .LBB269_713
; %bb.710:                              ;   in Loop: Header=BB269_616 Depth=1
	v_and_b32_e32 v25, 0x7f, v14
	v_cmp_ne_u32_e32 vcc, s25, v25
	v_mov_b32_e32 v24, 0x7c010000
	s_and_saveexec_b64 s[22:23], vcc
	s_cbranch_execz .LBB269_712
; %bb.711:                              ;   in Loop: Header=BB269_616 Depth=1
	v_and_b32_e32 v24, 7, v14
	v_ffbh_u32_e32 v53, v24
	v_min_u32_e32 v53, 32, v53
	v_lshrrev_b32_e32 v31, 3, v25
	v_subrev_u32_e32 v54, 28, v53
	v_sub_u32_e32 v53, 29, v53
	v_cmp_gt_u32_e32 vcc, 8, v25
	v_lshlrev_b64 v[54:55], v54, v[14:15]
	v_lshlrev_b32_e32 v14, 8, v14
	v_cndmask_b32_e32 v25, v31, v53, vcc
	v_lshl_add_u32 v25, v25, 10, v39
	v_and_b32_e32 v31, 7, v54
	v_and_or_b32 v14, v14, s29, v25
	v_cndmask_b32_e32 v24, v24, v31, vcc
	v_lshlrev_b32_e32 v14, 16, v14
	v_lshl_or_b32 v24, v24, 23, v14
.LBB269_712:                            ;   in Loop: Header=BB269_616 Depth=1
	s_or_b64 exec, exec, s[22:23]
.LBB269_713:                            ;   in Loop: Header=BB269_616 Depth=1
	s_or_b64 exec, exec, s[14:15]
.LBB269_714:                            ;   in Loop: Header=BB269_616 Depth=1
	s_or_b64 exec, exec, s[12:13]
	v_cvt_f32_f16_sdwa v55, v1 dst_sel:DWORD dst_unused:UNUSED_PAD src0_sel:WORD_1
	v_cvt_f32_f16_sdwa v54, v27 dst_sel:DWORD dst_unused:UNUSED_PAD src0_sel:WORD_1
	v_or_b32_e32 v1, v1, v23
	v_or_b32_e32 v14, v27, v26
	;; [unrolled: 1-line block ×3, first 2 shown]
	s_waitcnt vmcnt(0)
	v_pk_mul_f32 v[26:27], v[22:23], v[54:55] op_sel_hi:[0,1]
	v_cvt_f32_f16_e32 v54, v14
	v_cvt_f32_f16_e32 v55, v1
	v_cvt_pk_f16_f32 v1, v26, v27
	v_and_b32_e32 v23, 0xffff0000, v1
	v_lshlrev_b32_e32 v14, 16, v1
	v_pk_mul_f32 v[26:27], v[22:23], v[54:55] op_sel_hi:[0,1]
	v_cvt_pk_f16_f32 v1, v26, v27
	v_or_b32_e32 v27, v30, v29
	v_cvt_f32_f16_e32 v28, v28
	v_cvt_f32_f16_e32 v29, v27
	v_cvt_f32_f16_sdwa v31, v30 dst_sel:DWORD dst_unused:UNUSED_PAD src0_sel:WORD_1
	v_cvt_f32_f16_sdwa v30, v24 dst_sel:DWORD dst_unused:UNUSED_PAD src0_sel:WORD_1
	v_lshrrev_b32_e32 v25, 16, v1
	v_pk_mul_f32 v[28:29], v[22:23], v[28:29] op_sel_hi:[0,1]
	v_cvt_pk_f16_f32 v53, v28, v29
	v_pk_mul_f32 v[28:29], v[22:23], v[30:31] op_sel_hi:[0,1]
	v_cvt_pk_f16_f32 v22, v28, v29
	v_and_b32_e32 v26, 0xffff, v1
	v_and_b32_e32 v27, 0xffff0000, v22
	v_lshlrev_b32_e32 v22, 16, v22
	v_lshrrev_b32_e32 v29, 16, v53
	v_and_b32_e32 v28, 0xffff, v53
	v_or_b32_e32 v1, v23, v25
	v_or_b32_e32 v24, v14, v26
	;; [unrolled: 1-line block ×4, first 2 shown]
	s_and_saveexec_b64 s[12:13], s[0:1]
	s_cbranch_execz .LBB269_716
; %bb.715:                              ;   in Loop: Header=BB269_616 Depth=1
	v_cmp_gt_i32_e32 vcc, s27, v37
	s_nop 1
	v_cndmask_b32_e32 v1, 0, v25, vcc
	v_cmp_gt_i32_e32 vcc, s33, v50
	s_nop 1
	v_cndmask_b32_e32 v24, 0, v26, vcc
	;; [unrolled: 3-line block ×3, first 2 shown]
	v_cmp_gt_i32_e32 vcc, s33, v48
	v_or_b32_e32 v1, v23, v1
	s_nop 0
	v_cndmask_b32_e32 v14, 0, v14, vcc
	v_cmp_gt_i32_e32 vcc, s27, v43
	v_or_b32_e32 v24, v14, v24
	s_nop 0
	v_cndmask_b32_e32 v14, 0, v29, vcc
	v_cmp_gt_i32_e32 vcc, s33, v42
	s_nop 1
	v_cndmask_b32_e32 v23, 0, v28, vcc
	v_cmp_gt_i32_e32 vcc, s27, v41
	;; [unrolled: 3-line block ×3, first 2 shown]
	v_or_b32_e32 v31, v25, v14
	s_nop 0
	v_cndmask_b32_e32 v22, 0, v22, vcc
	v_or_b32_e32 v30, v22, v23
.LBB269_716:                            ;   in Loop: Header=BB269_616 Depth=1
	s_or_b64 exec, exec, s[12:13]
	;;#ASMSTART
	v_pk_mul_f16 v1, v47, v1;

	;;#ASMEND
	;;#ASMSTART
	v_pk_mul_f16 v14, v46, v24;

	;;#ASMEND
	;; [unrolled: 4-line block ×4, first 2 shown]
	s_nop 0
	;;#ASMSTART
	v_pk_add_f16 v1, v1, v14;

	;;#ASMEND
	s_nop 0
	;;#ASMSTART
	v_pk_add_f16 v1, v1, v22;

	;;#ASMEND
	;; [unrolled: 5-line block ×3, first 2 shown]
	v_mov_b32_e32 v23, 0
	v_lshrrev_b32_e32 v14, 16, v1
	v_and_b32_e32 v1, 0xffff, v1
	;;#ASMSTART
	v_cvt_f32_f16 v53, v1;
	;;#ASMEND
	;;#ASMSTART
	v_cvt_f32_f16 v54, v14;
	;;#ASMEND
	global_load_dwordx2 v[24:25], v[20:21], off offset:1024
	v_mov_b32_e32 v1, 0
	global_load_dword v22, v1, s[10:11]
	s_waitcnt vmcnt(1)
	v_cmp_ne_u16_sdwa s[14:15], v24, v15 src0_sel:BYTE_0 src1_sel:DWORD
	s_and_saveexec_b64 s[12:13], s[14:15]
	s_cbranch_execz .LBB269_722
; %bb.717:                              ;   in Loop: Header=BB269_616 Depth=1
	v_cmp_ne_u16_sdwa s[22:23], v24, s24 src0_sel:BYTE_0 src1_sel:DWORD
	v_mov_b32_e32 v23, 0x8000
	s_and_saveexec_b64 s[14:15], s[22:23]
	s_cbranch_execz .LBB269_721
; %bb.718:                              ;   in Loop: Header=BB269_616 Depth=1
	v_and_b32_e32 v14, 0x7f, v24
	v_cmp_ne_u32_e32 vcc, s25, v14
	v_mov_b32_e32 v23, 0x7c01
	s_and_saveexec_b64 s[22:23], vcc
	s_cbranch_execz .LBB269_720
; %bb.719:                              ;   in Loop: Header=BB269_616 Depth=1
	v_and_b32_e32 v23, 7, v24
	v_ffbh_u32_e32 v26, v23
	v_min_u32_e32 v29, 32, v26
	v_subrev_u32_e32 v26, 28, v29
	v_lshlrev_b64 v[26:27], v26, v[24:25]
	v_lshrrev_b32_e32 v28, 3, v14
	v_sub_u32_e32 v27, 29, v29
	v_cmp_gt_u32_e32 vcc, 8, v14
	v_and_b32_e32 v26, 7, v26
	s_nop 0
	v_cndmask_b32_e32 v14, v28, v27, vcc
	v_lshl_add_u32 v14, v14, 10, v39
	v_lshlrev_b32_e32 v27, 8, v24
	v_and_b32_e32 v14, 0xfc00, v14
	v_cndmask_b32_e32 v23, v23, v26, vcc
	v_and_or_b32 v14, v27, s29, v14
	v_lshl_or_b32 v23, v23, 7, v14
.LBB269_720:                            ;   in Loop: Header=BB269_616 Depth=1
	s_or_b64 exec, exec, s[22:23]
.LBB269_721:                            ;   in Loop: Header=BB269_616 Depth=1
	s_or_b64 exec, exec, s[14:15]
.LBB269_722:                            ;   in Loop: Header=BB269_616 Depth=1
	s_or_b64 exec, exec, s[12:13]
	v_lshrrev_b16_e32 v14, 8, v24
	v_cmp_ne_u16_e32 vcc, 0, v14
	s_and_saveexec_b64 s[12:13], vcc
	s_cbranch_execz .LBB269_728
; %bb.723:                              ;   in Loop: Header=BB269_616 Depth=1
	v_cmp_ne_u16_e32 vcc, s24, v14
	v_bfrev_b32_e32 v1, 1
	s_and_saveexec_b64 s[14:15], vcc
	s_cbranch_execz .LBB269_727
; %bb.724:                              ;   in Loop: Header=BB269_616 Depth=1
	v_and_b32_e32 v26, 0x7f, v14
	v_cmp_ne_u32_e32 vcc, s25, v26
	v_mov_b32_e32 v1, 0x7c010000
	s_and_saveexec_b64 s[22:23], vcc
	s_cbranch_execz .LBB269_726
; %bb.725:                              ;   in Loop: Header=BB269_616 Depth=1
	v_and_b32_e32 v1, 7, v14
	v_ffbh_u32_e32 v28, v1
	v_min_u32_e32 v30, 32, v28
	v_subrev_u32_e32 v28, 28, v30
	v_lshlrev_b64 v[28:29], v28, v[14:15]
	v_lshrrev_b32_e32 v27, 3, v26
	v_sub_u32_e32 v29, 29, v30
	v_cmp_gt_u32_e32 vcc, 8, v26
	v_lshlrev_b32_e32 v14, 8, v14
	s_nop 0
	v_cndmask_b32_e32 v26, v27, v29, vcc
	v_lshl_add_u32 v26, v26, 10, v39
	v_and_b32_e32 v27, 7, v28
	v_and_or_b32 v14, v14, s29, v26
	v_cndmask_b32_e32 v1, v1, v27, vcc
	v_lshlrev_b32_e32 v14, 16, v14
	v_lshl_or_b32 v1, v1, 23, v14
.LBB269_726:                            ;   in Loop: Header=BB269_616 Depth=1
	s_or_b64 exec, exec, s[22:23]
.LBB269_727:                            ;   in Loop: Header=BB269_616 Depth=1
	s_or_b64 exec, exec, s[14:15]
.LBB269_728:                            ;   in Loop: Header=BB269_616 Depth=1
	s_or_b64 exec, exec, s[12:13]
	v_lshrrev_b32_e32 v14, 16, v24
	v_cmp_ne_u16_sdwa s[14:15], v14, v15 src0_sel:BYTE_0 src1_sel:DWORD
	v_mov_b32_e32 v27, 0
	v_mov_b32_e32 v26, 0
	s_and_saveexec_b64 s[12:13], s[14:15]
	s_cbranch_execz .LBB269_734
; %bb.729:                              ;   in Loop: Header=BB269_616 Depth=1
	v_cmp_ne_u16_sdwa s[22:23], v14, s24 src0_sel:BYTE_0 src1_sel:DWORD
	v_mov_b32_e32 v26, 0x8000
	s_and_saveexec_b64 s[14:15], s[22:23]
	s_cbranch_execz .LBB269_733
; %bb.730:                              ;   in Loop: Header=BB269_616 Depth=1
	v_bfe_u32 v28, v24, 16, 7
	v_cmp_ne_u32_e32 vcc, s25, v28
	v_mov_b32_e32 v26, 0x7c01
	s_and_saveexec_b64 s[22:23], vcc
	s_cbranch_execz .LBB269_732
; %bb.731:                              ;   in Loop: Header=BB269_616 Depth=1
	v_and_b32_e32 v26, 7, v14
	v_ffbh_u32_e32 v30, v26
	v_min_u32_e32 v55, 32, v30
	v_subrev_u32_e32 v30, 28, v55
	v_lshlrev_b64 v[30:31], v30, v[14:15]
	v_lshrrev_b32_e32 v29, 3, v28
	v_sub_u32_e32 v31, 29, v55
	v_cmp_gt_u32_e32 vcc, 8, v28
	v_lshlrev_b32_e32 v14, 8, v14
	s_nop 0
	v_cndmask_b32_e32 v28, v29, v31, vcc
	v_lshl_add_u32 v28, v28, 10, v39
	v_and_b32_e32 v29, 7, v30
	v_and_b32_e32 v28, 0xfc00, v28
	v_cndmask_b32_e32 v26, v26, v29, vcc
	v_and_or_b32 v14, v14, s29, v28
	v_lshl_or_b32 v26, v26, 7, v14
.LBB269_732:                            ;   in Loop: Header=BB269_616 Depth=1
	s_or_b64 exec, exec, s[22:23]
.LBB269_733:                            ;   in Loop: Header=BB269_616 Depth=1
	s_or_b64 exec, exec, s[14:15]
.LBB269_734:                            ;   in Loop: Header=BB269_616 Depth=1
	s_or_b64 exec, exec, s[12:13]
	v_cmp_lt_u32_e32 vcc, s7, v24
	s_and_saveexec_b64 s[12:13], vcc
	s_cbranch_execz .LBB269_740
; %bb.735:                              ;   in Loop: Header=BB269_616 Depth=1
	v_lshrrev_b32_e32 v14, 24, v24
	v_cmp_ne_u32_e32 vcc, s24, v14
	v_bfrev_b32_e32 v27, 1
	s_and_saveexec_b64 s[14:15], vcc
	s_cbranch_execz .LBB269_739
; %bb.736:                              ;   in Loop: Header=BB269_616 Depth=1
	v_and_b32_e32 v28, 0x7f, v14
	v_cmp_ne_u32_e32 vcc, s25, v28
	v_mov_b32_e32 v27, 0x7c010000
	s_and_saveexec_b64 s[22:23], vcc
	s_cbranch_execz .LBB269_738
; %bb.737:                              ;   in Loop: Header=BB269_616 Depth=1
	v_and_b32_e32 v27, 7, v14
	v_ffbh_u32_e32 v30, v27
	v_min_u32_e32 v55, 32, v30
	v_subrev_u32_e32 v30, 28, v55
	v_lshlrev_b64 v[30:31], v30, v[14:15]
	v_lshrrev_b32_e32 v29, 3, v28
	v_sub_u32_e32 v31, 29, v55
	v_cmp_gt_u32_e32 vcc, 8, v28
	v_lshlrev_b32_e32 v14, 8, v14
	s_nop 0
	v_cndmask_b32_e32 v28, v29, v31, vcc
	v_lshl_add_u32 v28, v28, 10, v39
	v_and_b32_e32 v29, 7, v30
	v_and_or_b32 v14, v14, s29, v28
	v_cndmask_b32_e32 v27, v27, v29, vcc
	v_lshlrev_b32_e32 v14, 16, v14
	v_lshl_or_b32 v27, v27, 23, v14
.LBB269_738:                            ;   in Loop: Header=BB269_616 Depth=1
	s_or_b64 exec, exec, s[22:23]
.LBB269_739:                            ;   in Loop: Header=BB269_616 Depth=1
	s_or_b64 exec, exec, s[14:15]
.LBB269_740:                            ;   in Loop: Header=BB269_616 Depth=1
	s_or_b64 exec, exec, s[12:13]
	v_mov_b32_e32 v14, v25
	v_cmp_ne_u16_sdwa s[14:15], v25, v15 src0_sel:BYTE_0 src1_sel:DWORD
	v_mov_b32_e32 v28, 0
	v_mov_b32_e32 v29, 0
	s_and_saveexec_b64 s[12:13], s[14:15]
	s_cbranch_execz .LBB269_746
; %bb.741:                              ;   in Loop: Header=BB269_616 Depth=1
	v_cmp_ne_u16_sdwa s[22:23], v25, s24 src0_sel:BYTE_0 src1_sel:DWORD
	v_mov_b32_e32 v29, 0x8000
	s_and_saveexec_b64 s[14:15], s[22:23]
	s_cbranch_execz .LBB269_745
; %bb.742:                              ;   in Loop: Header=BB269_616 Depth=1
	v_and_b32_e32 v30, 0x7f, v25
	v_cmp_ne_u32_e32 vcc, s25, v30
	v_mov_b32_e32 v29, 0x7c01
	s_and_saveexec_b64 s[22:23], vcc
	s_cbranch_execz .LBB269_744
; %bb.743:                              ;   in Loop: Header=BB269_616 Depth=1
	v_and_b32_e32 v29, 7, v25
	v_ffbh_u32_e32 v55, v29
	v_min_u32_e32 v55, 32, v55
	v_lshrrev_b32_e32 v31, 3, v30
	v_subrev_u32_e32 v56, 28, v55
	v_sub_u32_e32 v55, 29, v55
	v_cmp_gt_u32_e32 vcc, 8, v30
	v_lshlrev_b64 v[56:57], v56, v[14:15]
	s_nop 0
	v_cndmask_b32_e32 v30, v31, v55, vcc
	v_lshl_add_u32 v30, v30, 10, v39
	v_lshlrev_b32_e32 v31, 8, v25
	v_and_b32_e32 v55, 7, v56
	v_and_b32_e32 v30, 0xfc00, v30
	v_cndmask_b32_e32 v29, v29, v55, vcc
	v_and_or_b32 v30, v31, s29, v30
	v_lshl_or_b32 v29, v29, 7, v30
.LBB269_744:                            ;   in Loop: Header=BB269_616 Depth=1
	s_or_b64 exec, exec, s[22:23]
.LBB269_745:                            ;   in Loop: Header=BB269_616 Depth=1
	s_or_b64 exec, exec, s[14:15]
.LBB269_746:                            ;   in Loop: Header=BB269_616 Depth=1
	s_or_b64 exec, exec, s[12:13]
	v_lshrrev_b16_e32 v14, 8, v14
	v_cmp_ne_u16_e32 vcc, 0, v14
	v_mov_b32_e32 v30, 0
	s_and_saveexec_b64 s[12:13], vcc
	s_cbranch_execz .LBB269_752
; %bb.747:                              ;   in Loop: Header=BB269_616 Depth=1
	v_cmp_ne_u16_e32 vcc, s24, v14
	v_bfrev_b32_e32 v30, 1
	s_and_saveexec_b64 s[14:15], vcc
	s_cbranch_execz .LBB269_751
; %bb.748:                              ;   in Loop: Header=BB269_616 Depth=1
	v_and_b32_e32 v31, 0x7f, v14
	v_cmp_ne_u32_e32 vcc, s25, v31
	v_mov_b32_e32 v30, 0x7c010000
	s_and_saveexec_b64 s[22:23], vcc
	s_cbranch_execz .LBB269_750
; %bb.749:                              ;   in Loop: Header=BB269_616 Depth=1
	v_and_b32_e32 v30, 7, v14
	v_ffbh_u32_e32 v56, v30
	v_min_u32_e32 v58, 32, v56
	v_subrev_u32_e32 v56, 28, v58
	v_lshlrev_b64 v[56:57], v56, v[14:15]
	v_lshrrev_b32_e32 v55, 3, v31
	v_sub_u32_e32 v57, 29, v58
	v_cmp_gt_u32_e32 vcc, 8, v31
	v_lshlrev_b32_e32 v14, 8, v14
	s_nop 0
	v_cndmask_b32_e32 v31, v55, v57, vcc
	v_lshl_add_u32 v31, v31, 10, v39
	v_and_b32_e32 v55, 7, v56
	v_and_or_b32 v14, v14, s29, v31
	v_cndmask_b32_e32 v30, v30, v55, vcc
	v_lshlrev_b32_e32 v14, 16, v14
	v_lshl_or_b32 v30, v30, 23, v14
.LBB269_750:                            ;   in Loop: Header=BB269_616 Depth=1
	s_or_b64 exec, exec, s[22:23]
.LBB269_751:                            ;   in Loop: Header=BB269_616 Depth=1
	s_or_b64 exec, exec, s[14:15]
.LBB269_752:                            ;   in Loop: Header=BB269_616 Depth=1
	s_or_b64 exec, exec, s[12:13]
	v_lshrrev_b32_e32 v14, 16, v25
	v_cmp_ne_u16_sdwa s[14:15], v14, v15 src0_sel:BYTE_0 src1_sel:DWORD
	s_and_saveexec_b64 s[12:13], s[14:15]
	s_cbranch_execz .LBB269_758
; %bb.753:                              ;   in Loop: Header=BB269_616 Depth=1
	v_cmp_ne_u16_sdwa s[22:23], v14, s24 src0_sel:BYTE_0 src1_sel:DWORD
	v_mov_b32_e32 v28, 0x8000
	s_and_saveexec_b64 s[14:15], s[22:23]
	s_cbranch_execz .LBB269_757
; %bb.754:                              ;   in Loop: Header=BB269_616 Depth=1
	v_bfe_u32 v31, v25, 16, 7
	v_cmp_ne_u32_e32 vcc, s25, v31
	v_mov_b32_e32 v28, 0x7c01
	s_and_saveexec_b64 s[22:23], vcc
	s_cbranch_execz .LBB269_756
; %bb.755:                              ;   in Loop: Header=BB269_616 Depth=1
	v_and_b32_e32 v28, 7, v14
	v_ffbh_u32_e32 v56, v28
	v_min_u32_e32 v58, 32, v56
	v_subrev_u32_e32 v56, 28, v58
	v_lshlrev_b64 v[56:57], v56, v[14:15]
	v_lshrrev_b32_e32 v55, 3, v31
	v_sub_u32_e32 v57, 29, v58
	v_cmp_gt_u32_e32 vcc, 8, v31
	v_lshlrev_b32_e32 v14, 8, v14
	s_nop 0
	v_cndmask_b32_e32 v31, v55, v57, vcc
	v_lshl_add_u32 v31, v31, 10, v39
	v_and_b32_e32 v55, 7, v56
	v_and_b32_e32 v31, 0xfc00, v31
	v_cndmask_b32_e32 v28, v28, v55, vcc
	v_and_or_b32 v14, v14, s29, v31
	v_lshl_or_b32 v28, v28, 7, v14
.LBB269_756:                            ;   in Loop: Header=BB269_616 Depth=1
	s_or_b64 exec, exec, s[22:23]
.LBB269_757:                            ;   in Loop: Header=BB269_616 Depth=1
	s_or_b64 exec, exec, s[14:15]
.LBB269_758:                            ;   in Loop: Header=BB269_616 Depth=1
	s_or_b64 exec, exec, s[12:13]
	v_cmp_lt_u64_e32 vcc, s[6:7], v[24:25]
	v_mov_b32_e32 v24, 0
	s_and_saveexec_b64 s[12:13], vcc
	s_cbranch_execz .LBB269_764
; %bb.759:                              ;   in Loop: Header=BB269_616 Depth=1
	v_lshrrev_b32_e32 v14, 24, v25
	v_cmp_ne_u32_e32 vcc, s24, v14
	v_bfrev_b32_e32 v24, 1
	s_and_saveexec_b64 s[14:15], vcc
	s_cbranch_execz .LBB269_763
; %bb.760:                              ;   in Loop: Header=BB269_616 Depth=1
	v_and_b32_e32 v25, 0x7f, v14
	v_cmp_ne_u32_e32 vcc, s25, v25
	v_mov_b32_e32 v24, 0x7c010000
	s_and_saveexec_b64 s[22:23], vcc
	s_cbranch_execz .LBB269_762
; %bb.761:                              ;   in Loop: Header=BB269_616 Depth=1
	v_and_b32_e32 v24, 7, v14
	v_ffbh_u32_e32 v55, v24
	v_min_u32_e32 v55, 32, v55
	v_lshrrev_b32_e32 v31, 3, v25
	v_subrev_u32_e32 v56, 28, v55
	v_sub_u32_e32 v55, 29, v55
	v_cmp_gt_u32_e32 vcc, 8, v25
	v_lshlrev_b64 v[56:57], v56, v[14:15]
	v_lshlrev_b32_e32 v14, 8, v14
	v_cndmask_b32_e32 v25, v31, v55, vcc
	v_lshl_add_u32 v25, v25, 10, v39
	v_and_b32_e32 v31, 7, v56
	v_and_or_b32 v14, v14, s29, v25
	v_cndmask_b32_e32 v24, v24, v31, vcc
	v_lshlrev_b32_e32 v14, 16, v14
	v_lshl_or_b32 v24, v24, 23, v14
.LBB269_762:                            ;   in Loop: Header=BB269_616 Depth=1
	s_or_b64 exec, exec, s[22:23]
.LBB269_763:                            ;   in Loop: Header=BB269_616 Depth=1
	s_or_b64 exec, exec, s[14:15]
.LBB269_764:                            ;   in Loop: Header=BB269_616 Depth=1
	s_or_b64 exec, exec, s[12:13]
	v_cvt_f32_f16_sdwa v57, v1 dst_sel:DWORD dst_unused:UNUSED_PAD src0_sel:WORD_1
	v_cvt_f32_f16_sdwa v56, v27 dst_sel:DWORD dst_unused:UNUSED_PAD src0_sel:WORD_1
	v_or_b32_e32 v1, v1, v23
	v_or_b32_e32 v14, v27, v26
	;; [unrolled: 1-line block ×3, first 2 shown]
	s_waitcnt vmcnt(0)
	v_pk_mul_f32 v[26:27], v[22:23], v[56:57] op_sel_hi:[0,1]
	v_cvt_f32_f16_e32 v56, v14
	v_cvt_f32_f16_e32 v57, v1
	v_cvt_pk_f16_f32 v1, v26, v27
	v_and_b32_e32 v23, 0xffff0000, v1
	v_lshlrev_b32_e32 v14, 16, v1
	v_pk_mul_f32 v[26:27], v[22:23], v[56:57] op_sel_hi:[0,1]
	v_cvt_pk_f16_f32 v1, v26, v27
	v_or_b32_e32 v27, v30, v29
	v_cvt_f32_f16_e32 v28, v28
	v_cvt_f32_f16_e32 v29, v27
	v_cvt_f32_f16_sdwa v31, v30 dst_sel:DWORD dst_unused:UNUSED_PAD src0_sel:WORD_1
	v_cvt_f32_f16_sdwa v30, v24 dst_sel:DWORD dst_unused:UNUSED_PAD src0_sel:WORD_1
	v_lshrrev_b32_e32 v25, 16, v1
	v_pk_mul_f32 v[28:29], v[22:23], v[28:29] op_sel_hi:[0,1]
	v_cvt_pk_f16_f32 v55, v28, v29
	v_pk_mul_f32 v[28:29], v[22:23], v[30:31] op_sel_hi:[0,1]
	v_cvt_pk_f16_f32 v22, v28, v29
	v_and_b32_e32 v26, 0xffff, v1
	v_and_b32_e32 v27, 0xffff0000, v22
	v_lshlrev_b32_e32 v22, 16, v22
	v_lshrrev_b32_e32 v29, 16, v55
	v_and_b32_e32 v28, 0xffff, v55
	v_or_b32_e32 v1, v23, v25
	v_or_b32_e32 v24, v14, v26
	;; [unrolled: 1-line block ×4, first 2 shown]
	s_and_saveexec_b64 s[12:13], s[0:1]
	s_cbranch_execz .LBB269_766
; %bb.765:                              ;   in Loop: Header=BB269_616 Depth=1
	v_cmp_gt_i32_e32 vcc, s27, v37
	s_nop 1
	v_cndmask_b32_e32 v1, 0, v25, vcc
	v_cmp_gt_i32_e32 vcc, s33, v50
	s_nop 1
	v_cndmask_b32_e32 v24, 0, v26, vcc
	;; [unrolled: 3-line block ×3, first 2 shown]
	v_cmp_gt_i32_e32 vcc, s33, v48
	v_or_b32_e32 v1, v23, v1
	s_nop 0
	v_cndmask_b32_e32 v14, 0, v14, vcc
	v_cmp_gt_i32_e32 vcc, s27, v43
	v_or_b32_e32 v24, v14, v24
	s_nop 0
	v_cndmask_b32_e32 v14, 0, v29, vcc
	v_cmp_gt_i32_e32 vcc, s33, v42
	s_nop 1
	v_cndmask_b32_e32 v23, 0, v28, vcc
	v_cmp_gt_i32_e32 vcc, s27, v41
	;; [unrolled: 3-line block ×3, first 2 shown]
	v_or_b32_e32 v31, v25, v14
	s_nop 0
	v_cndmask_b32_e32 v22, 0, v22, vcc
	v_or_b32_e32 v30, v22, v23
.LBB269_766:                            ;   in Loop: Header=BB269_616 Depth=1
	s_or_b64 exec, exec, s[12:13]
	;;#ASMSTART
	v_pk_mul_f16 v1, v47, v1;

	;;#ASMEND
	;;#ASMSTART
	v_pk_mul_f16 v14, v46, v24;

	;;#ASMEND
	;; [unrolled: 4-line block ×4, first 2 shown]
	s_nop 0
	;;#ASMSTART
	v_pk_add_f16 v1, v1, v14;

	;;#ASMEND
	s_nop 0
	;;#ASMSTART
	v_pk_add_f16 v1, v1, v22;

	;;#ASMEND
	;; [unrolled: 5-line block ×3, first 2 shown]
	v_mov_b32_e32 v23, 0
	v_lshrrev_b32_e32 v14, 16, v1
	v_and_b32_e32 v1, 0xffff, v1
	;;#ASMSTART
	v_cvt_f32_f16 v55, v1;
	;;#ASMEND
	;;#ASMSTART
	v_cvt_f32_f16 v56, v14;
	;;#ASMEND
	global_load_dwordx2 v[24:25], v[20:21], off offset:1536
	v_mov_b32_e32 v1, 0
	global_load_dword v22, v1, s[10:11]
	s_waitcnt vmcnt(1)
	v_cmp_ne_u16_sdwa s[14:15], v24, v15 src0_sel:BYTE_0 src1_sel:DWORD
	s_and_saveexec_b64 s[12:13], s[14:15]
	s_cbranch_execz .LBB269_772
; %bb.767:                              ;   in Loop: Header=BB269_616 Depth=1
	v_cmp_ne_u16_sdwa s[22:23], v24, s24 src0_sel:BYTE_0 src1_sel:DWORD
	v_mov_b32_e32 v23, 0x8000
	s_and_saveexec_b64 s[14:15], s[22:23]
	s_cbranch_execz .LBB269_771
; %bb.768:                              ;   in Loop: Header=BB269_616 Depth=1
	v_and_b32_e32 v14, 0x7f, v24
	v_cmp_ne_u32_e32 vcc, s25, v14
	v_mov_b32_e32 v23, 0x7c01
	s_and_saveexec_b64 s[22:23], vcc
	s_cbranch_execz .LBB269_770
; %bb.769:                              ;   in Loop: Header=BB269_616 Depth=1
	v_and_b32_e32 v23, 7, v24
	v_ffbh_u32_e32 v26, v23
	v_min_u32_e32 v29, 32, v26
	v_subrev_u32_e32 v26, 28, v29
	v_lshlrev_b64 v[26:27], v26, v[24:25]
	v_lshrrev_b32_e32 v28, 3, v14
	v_sub_u32_e32 v27, 29, v29
	v_cmp_gt_u32_e32 vcc, 8, v14
	v_and_b32_e32 v26, 7, v26
	s_nop 0
	v_cndmask_b32_e32 v14, v28, v27, vcc
	v_lshl_add_u32 v14, v14, 10, v39
	v_lshlrev_b32_e32 v27, 8, v24
	v_and_b32_e32 v14, 0xfc00, v14
	v_cndmask_b32_e32 v23, v23, v26, vcc
	v_and_or_b32 v14, v27, s29, v14
	v_lshl_or_b32 v23, v23, 7, v14
.LBB269_770:                            ;   in Loop: Header=BB269_616 Depth=1
	s_or_b64 exec, exec, s[22:23]
.LBB269_771:                            ;   in Loop: Header=BB269_616 Depth=1
	s_or_b64 exec, exec, s[14:15]
.LBB269_772:                            ;   in Loop: Header=BB269_616 Depth=1
	s_or_b64 exec, exec, s[12:13]
	v_lshrrev_b16_e32 v14, 8, v24
	v_cmp_ne_u16_e32 vcc, 0, v14
	s_and_saveexec_b64 s[12:13], vcc
	s_cbranch_execz .LBB269_778
; %bb.773:                              ;   in Loop: Header=BB269_616 Depth=1
	v_cmp_ne_u16_e32 vcc, s24, v14
	v_bfrev_b32_e32 v1, 1
	s_and_saveexec_b64 s[14:15], vcc
	s_cbranch_execz .LBB269_777
; %bb.774:                              ;   in Loop: Header=BB269_616 Depth=1
	v_and_b32_e32 v26, 0x7f, v14
	v_cmp_ne_u32_e32 vcc, s25, v26
	v_mov_b32_e32 v1, 0x7c010000
	s_and_saveexec_b64 s[22:23], vcc
	s_cbranch_execz .LBB269_776
; %bb.775:                              ;   in Loop: Header=BB269_616 Depth=1
	v_and_b32_e32 v1, 7, v14
	v_ffbh_u32_e32 v28, v1
	v_min_u32_e32 v30, 32, v28
	v_subrev_u32_e32 v28, 28, v30
	v_lshlrev_b64 v[28:29], v28, v[14:15]
	v_lshrrev_b32_e32 v27, 3, v26
	v_sub_u32_e32 v29, 29, v30
	v_cmp_gt_u32_e32 vcc, 8, v26
	v_lshlrev_b32_e32 v14, 8, v14
	s_nop 0
	v_cndmask_b32_e32 v26, v27, v29, vcc
	v_lshl_add_u32 v26, v26, 10, v39
	v_and_b32_e32 v27, 7, v28
	v_and_or_b32 v14, v14, s29, v26
	v_cndmask_b32_e32 v1, v1, v27, vcc
	v_lshlrev_b32_e32 v14, 16, v14
	v_lshl_or_b32 v1, v1, 23, v14
.LBB269_776:                            ;   in Loop: Header=BB269_616 Depth=1
	s_or_b64 exec, exec, s[22:23]
.LBB269_777:                            ;   in Loop: Header=BB269_616 Depth=1
	s_or_b64 exec, exec, s[14:15]
.LBB269_778:                            ;   in Loop: Header=BB269_616 Depth=1
	s_or_b64 exec, exec, s[12:13]
	v_lshrrev_b32_e32 v14, 16, v24
	v_cmp_ne_u16_sdwa s[14:15], v14, v15 src0_sel:BYTE_0 src1_sel:DWORD
	v_mov_b32_e32 v27, 0
	v_mov_b32_e32 v26, 0
	s_and_saveexec_b64 s[12:13], s[14:15]
	s_cbranch_execz .LBB269_784
; %bb.779:                              ;   in Loop: Header=BB269_616 Depth=1
	v_cmp_ne_u16_sdwa s[22:23], v14, s24 src0_sel:BYTE_0 src1_sel:DWORD
	v_mov_b32_e32 v26, 0x8000
	s_and_saveexec_b64 s[14:15], s[22:23]
	s_cbranch_execz .LBB269_783
; %bb.780:                              ;   in Loop: Header=BB269_616 Depth=1
	v_bfe_u32 v28, v24, 16, 7
	v_cmp_ne_u32_e32 vcc, s25, v28
	v_mov_b32_e32 v26, 0x7c01
	s_and_saveexec_b64 s[22:23], vcc
	s_cbranch_execz .LBB269_782
; %bb.781:                              ;   in Loop: Header=BB269_616 Depth=1
	v_and_b32_e32 v26, 7, v14
	v_ffbh_u32_e32 v30, v26
	v_min_u32_e32 v57, 32, v30
	v_subrev_u32_e32 v30, 28, v57
	v_lshlrev_b64 v[30:31], v30, v[14:15]
	v_lshrrev_b32_e32 v29, 3, v28
	v_sub_u32_e32 v31, 29, v57
	v_cmp_gt_u32_e32 vcc, 8, v28
	v_lshlrev_b32_e32 v14, 8, v14
	s_nop 0
	v_cndmask_b32_e32 v28, v29, v31, vcc
	v_lshl_add_u32 v28, v28, 10, v39
	v_and_b32_e32 v29, 7, v30
	v_and_b32_e32 v28, 0xfc00, v28
	v_cndmask_b32_e32 v26, v26, v29, vcc
	v_and_or_b32 v14, v14, s29, v28
	v_lshl_or_b32 v26, v26, 7, v14
.LBB269_782:                            ;   in Loop: Header=BB269_616 Depth=1
	s_or_b64 exec, exec, s[22:23]
.LBB269_783:                            ;   in Loop: Header=BB269_616 Depth=1
	s_or_b64 exec, exec, s[14:15]
.LBB269_784:                            ;   in Loop: Header=BB269_616 Depth=1
	s_or_b64 exec, exec, s[12:13]
	v_cmp_lt_u32_e32 vcc, s7, v24
	s_and_saveexec_b64 s[12:13], vcc
	s_cbranch_execz .LBB269_790
; %bb.785:                              ;   in Loop: Header=BB269_616 Depth=1
	v_lshrrev_b32_e32 v14, 24, v24
	v_cmp_ne_u32_e32 vcc, s24, v14
	v_bfrev_b32_e32 v27, 1
	s_and_saveexec_b64 s[14:15], vcc
	s_cbranch_execz .LBB269_789
; %bb.786:                              ;   in Loop: Header=BB269_616 Depth=1
	v_and_b32_e32 v28, 0x7f, v14
	v_cmp_ne_u32_e32 vcc, s25, v28
	v_mov_b32_e32 v27, 0x7c010000
	s_and_saveexec_b64 s[22:23], vcc
	s_cbranch_execz .LBB269_788
; %bb.787:                              ;   in Loop: Header=BB269_616 Depth=1
	v_and_b32_e32 v27, 7, v14
	v_ffbh_u32_e32 v30, v27
	v_min_u32_e32 v57, 32, v30
	v_subrev_u32_e32 v30, 28, v57
	v_lshlrev_b64 v[30:31], v30, v[14:15]
	v_lshrrev_b32_e32 v29, 3, v28
	v_sub_u32_e32 v31, 29, v57
	v_cmp_gt_u32_e32 vcc, 8, v28
	v_lshlrev_b32_e32 v14, 8, v14
	s_nop 0
	v_cndmask_b32_e32 v28, v29, v31, vcc
	v_lshl_add_u32 v28, v28, 10, v39
	v_and_b32_e32 v29, 7, v30
	v_and_or_b32 v14, v14, s29, v28
	v_cndmask_b32_e32 v27, v27, v29, vcc
	v_lshlrev_b32_e32 v14, 16, v14
	v_lshl_or_b32 v27, v27, 23, v14
.LBB269_788:                            ;   in Loop: Header=BB269_616 Depth=1
	s_or_b64 exec, exec, s[22:23]
.LBB269_789:                            ;   in Loop: Header=BB269_616 Depth=1
	s_or_b64 exec, exec, s[14:15]
.LBB269_790:                            ;   in Loop: Header=BB269_616 Depth=1
	s_or_b64 exec, exec, s[12:13]
	v_mov_b32_e32 v14, v25
	v_cmp_ne_u16_sdwa s[14:15], v25, v15 src0_sel:BYTE_0 src1_sel:DWORD
	v_mov_b32_e32 v28, 0
	v_mov_b32_e32 v29, 0
	s_and_saveexec_b64 s[12:13], s[14:15]
	s_cbranch_execz .LBB269_796
; %bb.791:                              ;   in Loop: Header=BB269_616 Depth=1
	v_cmp_ne_u16_sdwa s[22:23], v25, s24 src0_sel:BYTE_0 src1_sel:DWORD
	v_mov_b32_e32 v29, 0x8000
	s_and_saveexec_b64 s[14:15], s[22:23]
	s_cbranch_execz .LBB269_795
; %bb.792:                              ;   in Loop: Header=BB269_616 Depth=1
	v_and_b32_e32 v30, 0x7f, v25
	v_cmp_ne_u32_e32 vcc, s25, v30
	v_mov_b32_e32 v29, 0x7c01
	s_and_saveexec_b64 s[22:23], vcc
	s_cbranch_execz .LBB269_794
; %bb.793:                              ;   in Loop: Header=BB269_616 Depth=1
	v_and_b32_e32 v29, 7, v25
	v_ffbh_u32_e32 v57, v29
	v_min_u32_e32 v57, 32, v57
	v_lshrrev_b32_e32 v31, 3, v30
	v_subrev_u32_e32 v58, 28, v57
	v_sub_u32_e32 v57, 29, v57
	v_cmp_gt_u32_e32 vcc, 8, v30
	v_lshlrev_b64 v[58:59], v58, v[14:15]
	s_nop 0
	v_cndmask_b32_e32 v30, v31, v57, vcc
	v_lshl_add_u32 v30, v30, 10, v39
	v_lshlrev_b32_e32 v31, 8, v25
	v_and_b32_e32 v57, 7, v58
	v_and_b32_e32 v30, 0xfc00, v30
	v_cndmask_b32_e32 v29, v29, v57, vcc
	v_and_or_b32 v30, v31, s29, v30
	v_lshl_or_b32 v29, v29, 7, v30
.LBB269_794:                            ;   in Loop: Header=BB269_616 Depth=1
	s_or_b64 exec, exec, s[22:23]
.LBB269_795:                            ;   in Loop: Header=BB269_616 Depth=1
	s_or_b64 exec, exec, s[14:15]
.LBB269_796:                            ;   in Loop: Header=BB269_616 Depth=1
	s_or_b64 exec, exec, s[12:13]
	v_lshrrev_b16_e32 v14, 8, v14
	v_cmp_ne_u16_e32 vcc, 0, v14
	v_mov_b32_e32 v30, 0
	s_and_saveexec_b64 s[12:13], vcc
	s_cbranch_execz .LBB269_802
; %bb.797:                              ;   in Loop: Header=BB269_616 Depth=1
	v_cmp_ne_u16_e32 vcc, s24, v14
	v_bfrev_b32_e32 v30, 1
	s_and_saveexec_b64 s[14:15], vcc
	s_cbranch_execz .LBB269_801
; %bb.798:                              ;   in Loop: Header=BB269_616 Depth=1
	v_and_b32_e32 v31, 0x7f, v14
	v_cmp_ne_u32_e32 vcc, s25, v31
	v_mov_b32_e32 v30, 0x7c010000
	s_and_saveexec_b64 s[22:23], vcc
	s_cbranch_execz .LBB269_800
; %bb.799:                              ;   in Loop: Header=BB269_616 Depth=1
	v_and_b32_e32 v30, 7, v14
	v_ffbh_u32_e32 v58, v30
	v_min_u32_e32 v60, 32, v58
	v_subrev_u32_e32 v58, 28, v60
	v_lshlrev_b64 v[58:59], v58, v[14:15]
	v_lshrrev_b32_e32 v57, 3, v31
	v_sub_u32_e32 v59, 29, v60
	v_cmp_gt_u32_e32 vcc, 8, v31
	v_lshlrev_b32_e32 v14, 8, v14
	s_nop 0
	v_cndmask_b32_e32 v31, v57, v59, vcc
	v_lshl_add_u32 v31, v31, 10, v39
	v_and_b32_e32 v57, 7, v58
	v_and_or_b32 v14, v14, s29, v31
	v_cndmask_b32_e32 v30, v30, v57, vcc
	v_lshlrev_b32_e32 v14, 16, v14
	v_lshl_or_b32 v30, v30, 23, v14
.LBB269_800:                            ;   in Loop: Header=BB269_616 Depth=1
	s_or_b64 exec, exec, s[22:23]
.LBB269_801:                            ;   in Loop: Header=BB269_616 Depth=1
	s_or_b64 exec, exec, s[14:15]
.LBB269_802:                            ;   in Loop: Header=BB269_616 Depth=1
	s_or_b64 exec, exec, s[12:13]
	v_lshrrev_b32_e32 v14, 16, v25
	v_cmp_ne_u16_sdwa s[14:15], v14, v15 src0_sel:BYTE_0 src1_sel:DWORD
	s_and_saveexec_b64 s[12:13], s[14:15]
	s_cbranch_execz .LBB269_808
; %bb.803:                              ;   in Loop: Header=BB269_616 Depth=1
	v_cmp_ne_u16_sdwa s[22:23], v14, s24 src0_sel:BYTE_0 src1_sel:DWORD
	v_mov_b32_e32 v28, 0x8000
	s_and_saveexec_b64 s[14:15], s[22:23]
	s_cbranch_execz .LBB269_807
; %bb.804:                              ;   in Loop: Header=BB269_616 Depth=1
	v_bfe_u32 v31, v25, 16, 7
	v_cmp_ne_u32_e32 vcc, s25, v31
	v_mov_b32_e32 v28, 0x7c01
	s_and_saveexec_b64 s[22:23], vcc
	s_cbranch_execz .LBB269_806
; %bb.805:                              ;   in Loop: Header=BB269_616 Depth=1
	v_and_b32_e32 v28, 7, v14
	v_ffbh_u32_e32 v58, v28
	v_min_u32_e32 v60, 32, v58
	v_subrev_u32_e32 v58, 28, v60
	v_lshlrev_b64 v[58:59], v58, v[14:15]
	v_lshrrev_b32_e32 v57, 3, v31
	v_sub_u32_e32 v59, 29, v60
	v_cmp_gt_u32_e32 vcc, 8, v31
	v_lshlrev_b32_e32 v14, 8, v14
	s_nop 0
	v_cndmask_b32_e32 v31, v57, v59, vcc
	v_lshl_add_u32 v31, v31, 10, v39
	v_and_b32_e32 v57, 7, v58
	v_and_b32_e32 v31, 0xfc00, v31
	v_cndmask_b32_e32 v28, v28, v57, vcc
	v_and_or_b32 v14, v14, s29, v31
	v_lshl_or_b32 v28, v28, 7, v14
.LBB269_806:                            ;   in Loop: Header=BB269_616 Depth=1
	s_or_b64 exec, exec, s[22:23]
.LBB269_807:                            ;   in Loop: Header=BB269_616 Depth=1
	s_or_b64 exec, exec, s[14:15]
.LBB269_808:                            ;   in Loop: Header=BB269_616 Depth=1
	s_or_b64 exec, exec, s[12:13]
	v_cmp_lt_u64_e32 vcc, s[6:7], v[24:25]
	v_mov_b32_e32 v24, 0
	s_and_saveexec_b64 s[12:13], vcc
	s_cbranch_execz .LBB269_814
; %bb.809:                              ;   in Loop: Header=BB269_616 Depth=1
	v_lshrrev_b32_e32 v14, 24, v25
	v_cmp_ne_u32_e32 vcc, s24, v14
	v_bfrev_b32_e32 v24, 1
	s_and_saveexec_b64 s[14:15], vcc
	s_cbranch_execz .LBB269_813
; %bb.810:                              ;   in Loop: Header=BB269_616 Depth=1
	v_and_b32_e32 v25, 0x7f, v14
	v_cmp_ne_u32_e32 vcc, s25, v25
	v_mov_b32_e32 v24, 0x7c010000
	s_and_saveexec_b64 s[22:23], vcc
	s_cbranch_execz .LBB269_812
; %bb.811:                              ;   in Loop: Header=BB269_616 Depth=1
	v_and_b32_e32 v24, 7, v14
	v_ffbh_u32_e32 v57, v24
	v_min_u32_e32 v57, 32, v57
	v_lshrrev_b32_e32 v31, 3, v25
	v_subrev_u32_e32 v58, 28, v57
	v_sub_u32_e32 v57, 29, v57
	v_cmp_gt_u32_e32 vcc, 8, v25
	v_lshlrev_b64 v[58:59], v58, v[14:15]
	v_lshlrev_b32_e32 v14, 8, v14
	v_cndmask_b32_e32 v25, v31, v57, vcc
	v_lshl_add_u32 v25, v25, 10, v39
	v_and_b32_e32 v31, 7, v58
	v_and_or_b32 v14, v14, s29, v25
	v_cndmask_b32_e32 v24, v24, v31, vcc
	v_lshlrev_b32_e32 v14, 16, v14
	v_lshl_or_b32 v24, v24, 23, v14
.LBB269_812:                            ;   in Loop: Header=BB269_616 Depth=1
	s_or_b64 exec, exec, s[22:23]
.LBB269_813:                            ;   in Loop: Header=BB269_616 Depth=1
	s_or_b64 exec, exec, s[14:15]
.LBB269_814:                            ;   in Loop: Header=BB269_616 Depth=1
	s_or_b64 exec, exec, s[12:13]
	v_cvt_f32_f16_sdwa v59, v1 dst_sel:DWORD dst_unused:UNUSED_PAD src0_sel:WORD_1
	v_cvt_f32_f16_sdwa v58, v27 dst_sel:DWORD dst_unused:UNUSED_PAD src0_sel:WORD_1
	v_or_b32_e32 v1, v1, v23
	v_or_b32_e32 v14, v27, v26
	v_or_b32_e32 v28, v24, v28
	s_waitcnt vmcnt(0)
	v_pk_mul_f32 v[26:27], v[22:23], v[58:59] op_sel_hi:[0,1]
	v_cvt_f32_f16_e32 v58, v14
	v_cvt_f32_f16_e32 v59, v1
	v_cvt_pk_f16_f32 v1, v26, v27
	v_and_b32_e32 v23, 0xffff0000, v1
	v_lshlrev_b32_e32 v14, 16, v1
	v_pk_mul_f32 v[26:27], v[22:23], v[58:59] op_sel_hi:[0,1]
	v_cvt_pk_f16_f32 v1, v26, v27
	v_or_b32_e32 v27, v30, v29
	v_cvt_f32_f16_e32 v28, v28
	v_cvt_f32_f16_e32 v29, v27
	v_cvt_f32_f16_sdwa v31, v30 dst_sel:DWORD dst_unused:UNUSED_PAD src0_sel:WORD_1
	v_cvt_f32_f16_sdwa v30, v24 dst_sel:DWORD dst_unused:UNUSED_PAD src0_sel:WORD_1
	v_lshrrev_b32_e32 v25, 16, v1
	v_pk_mul_f32 v[28:29], v[22:23], v[28:29] op_sel_hi:[0,1]
	v_cvt_pk_f16_f32 v57, v28, v29
	v_pk_mul_f32 v[28:29], v[22:23], v[30:31] op_sel_hi:[0,1]
	v_cvt_pk_f16_f32 v22, v28, v29
	v_and_b32_e32 v26, 0xffff, v1
	v_and_b32_e32 v27, 0xffff0000, v22
	v_lshlrev_b32_e32 v22, 16, v22
	v_lshrrev_b32_e32 v29, 16, v57
	v_and_b32_e32 v28, 0xffff, v57
	v_or_b32_e32 v1, v23, v25
	v_or_b32_e32 v24, v14, v26
	v_or_b32_e32 v31, v27, v29
	v_or_b32_e32 v30, v22, v28
	s_and_saveexec_b64 s[12:13], s[0:1]
	s_cbranch_execz .LBB269_816
; %bb.815:                              ;   in Loop: Header=BB269_616 Depth=1
	v_cmp_gt_i32_e32 vcc, s27, v37
	s_nop 1
	v_cndmask_b32_e32 v1, 0, v25, vcc
	v_cmp_gt_i32_e32 vcc, s33, v50
	s_nop 1
	v_cndmask_b32_e32 v24, 0, v26, vcc
	;; [unrolled: 3-line block ×3, first 2 shown]
	v_cmp_gt_i32_e32 vcc, s33, v48
	v_or_b32_e32 v1, v23, v1
	s_nop 0
	v_cndmask_b32_e32 v14, 0, v14, vcc
	v_cmp_gt_i32_e32 vcc, s27, v43
	v_or_b32_e32 v24, v14, v24
	s_nop 0
	v_cndmask_b32_e32 v14, 0, v29, vcc
	v_cmp_gt_i32_e32 vcc, s33, v42
	s_nop 1
	v_cndmask_b32_e32 v23, 0, v28, vcc
	v_cmp_gt_i32_e32 vcc, s27, v41
	;; [unrolled: 3-line block ×3, first 2 shown]
	v_or_b32_e32 v31, v25, v14
	s_nop 0
	v_cndmask_b32_e32 v22, 0, v22, vcc
	v_or_b32_e32 v30, v22, v23
.LBB269_816:                            ;   in Loop: Header=BB269_616 Depth=1
	s_or_b64 exec, exec, s[12:13]
	;;#ASMSTART
	v_pk_mul_f16 v1, v47, v1;

	;;#ASMEND
	;;#ASMSTART
	v_pk_mul_f16 v14, v46, v24;

	;;#ASMEND
	;; [unrolled: 4-line block ×4, first 2 shown]
	s_nop 0
	;;#ASMSTART
	v_pk_add_f16 v1, v1, v14;

	;;#ASMEND
	s_nop 0
	;;#ASMSTART
	v_pk_add_f16 v1, v1, v22;

	;;#ASMEND
	;; [unrolled: 5-line block ×3, first 2 shown]
	v_mov_b32_e32 v23, 0
	v_lshrrev_b32_e32 v14, 16, v1
	v_and_b32_e32 v1, 0xffff, v1
	;;#ASMSTART
	v_cvt_f32_f16 v57, v1;
	;;#ASMEND
	;;#ASMSTART
	v_cvt_f32_f16 v58, v14;
	;;#ASMEND
	global_load_dwordx2 v[24:25], v[20:21], off offset:2048
	v_mov_b32_e32 v1, 0
	global_load_dword v22, v1, s[10:11]
	s_waitcnt vmcnt(1)
	v_cmp_ne_u16_sdwa s[14:15], v24, v15 src0_sel:BYTE_0 src1_sel:DWORD
	s_and_saveexec_b64 s[12:13], s[14:15]
	s_cbranch_execz .LBB269_822
; %bb.817:                              ;   in Loop: Header=BB269_616 Depth=1
	v_cmp_ne_u16_sdwa s[22:23], v24, s24 src0_sel:BYTE_0 src1_sel:DWORD
	v_mov_b32_e32 v23, 0x8000
	s_and_saveexec_b64 s[14:15], s[22:23]
	s_cbranch_execz .LBB269_821
; %bb.818:                              ;   in Loop: Header=BB269_616 Depth=1
	v_and_b32_e32 v14, 0x7f, v24
	v_cmp_ne_u32_e32 vcc, s25, v14
	v_mov_b32_e32 v23, 0x7c01
	s_and_saveexec_b64 s[22:23], vcc
	s_cbranch_execz .LBB269_820
; %bb.819:                              ;   in Loop: Header=BB269_616 Depth=1
	v_and_b32_e32 v23, 7, v24
	v_ffbh_u32_e32 v26, v23
	v_min_u32_e32 v29, 32, v26
	v_subrev_u32_e32 v26, 28, v29
	v_lshlrev_b64 v[26:27], v26, v[24:25]
	v_lshrrev_b32_e32 v28, 3, v14
	v_sub_u32_e32 v27, 29, v29
	v_cmp_gt_u32_e32 vcc, 8, v14
	v_and_b32_e32 v26, 7, v26
	s_nop 0
	v_cndmask_b32_e32 v14, v28, v27, vcc
	v_lshl_add_u32 v14, v14, 10, v39
	v_lshlrev_b32_e32 v27, 8, v24
	v_and_b32_e32 v14, 0xfc00, v14
	v_cndmask_b32_e32 v23, v23, v26, vcc
	v_and_or_b32 v14, v27, s29, v14
	v_lshl_or_b32 v23, v23, 7, v14
.LBB269_820:                            ;   in Loop: Header=BB269_616 Depth=1
	s_or_b64 exec, exec, s[22:23]
.LBB269_821:                            ;   in Loop: Header=BB269_616 Depth=1
	s_or_b64 exec, exec, s[14:15]
.LBB269_822:                            ;   in Loop: Header=BB269_616 Depth=1
	s_or_b64 exec, exec, s[12:13]
	v_lshrrev_b16_e32 v14, 8, v24
	v_cmp_ne_u16_e32 vcc, 0, v14
	s_and_saveexec_b64 s[12:13], vcc
	s_cbranch_execz .LBB269_828
; %bb.823:                              ;   in Loop: Header=BB269_616 Depth=1
	v_cmp_ne_u16_e32 vcc, s24, v14
	v_bfrev_b32_e32 v1, 1
	s_and_saveexec_b64 s[14:15], vcc
	s_cbranch_execz .LBB269_827
; %bb.824:                              ;   in Loop: Header=BB269_616 Depth=1
	v_and_b32_e32 v26, 0x7f, v14
	v_cmp_ne_u32_e32 vcc, s25, v26
	v_mov_b32_e32 v1, 0x7c010000
	s_and_saveexec_b64 s[22:23], vcc
	s_cbranch_execz .LBB269_826
; %bb.825:                              ;   in Loop: Header=BB269_616 Depth=1
	v_and_b32_e32 v1, 7, v14
	v_ffbh_u32_e32 v28, v1
	v_min_u32_e32 v30, 32, v28
	v_subrev_u32_e32 v28, 28, v30
	v_lshlrev_b64 v[28:29], v28, v[14:15]
	v_lshrrev_b32_e32 v27, 3, v26
	v_sub_u32_e32 v29, 29, v30
	v_cmp_gt_u32_e32 vcc, 8, v26
	v_lshlrev_b32_e32 v14, 8, v14
	s_nop 0
	v_cndmask_b32_e32 v26, v27, v29, vcc
	v_lshl_add_u32 v26, v26, 10, v39
	v_and_b32_e32 v27, 7, v28
	v_and_or_b32 v14, v14, s29, v26
	v_cndmask_b32_e32 v1, v1, v27, vcc
	v_lshlrev_b32_e32 v14, 16, v14
	v_lshl_or_b32 v1, v1, 23, v14
.LBB269_826:                            ;   in Loop: Header=BB269_616 Depth=1
	s_or_b64 exec, exec, s[22:23]
.LBB269_827:                            ;   in Loop: Header=BB269_616 Depth=1
	s_or_b64 exec, exec, s[14:15]
.LBB269_828:                            ;   in Loop: Header=BB269_616 Depth=1
	s_or_b64 exec, exec, s[12:13]
	v_lshrrev_b32_e32 v14, 16, v24
	v_cmp_ne_u16_sdwa s[14:15], v14, v15 src0_sel:BYTE_0 src1_sel:DWORD
	v_mov_b32_e32 v27, 0
	v_mov_b32_e32 v26, 0
	s_and_saveexec_b64 s[12:13], s[14:15]
	s_cbranch_execz .LBB269_834
; %bb.829:                              ;   in Loop: Header=BB269_616 Depth=1
	v_cmp_ne_u16_sdwa s[22:23], v14, s24 src0_sel:BYTE_0 src1_sel:DWORD
	v_mov_b32_e32 v26, 0x8000
	s_and_saveexec_b64 s[14:15], s[22:23]
	s_cbranch_execz .LBB269_833
; %bb.830:                              ;   in Loop: Header=BB269_616 Depth=1
	v_bfe_u32 v28, v24, 16, 7
	v_cmp_ne_u32_e32 vcc, s25, v28
	v_mov_b32_e32 v26, 0x7c01
	s_and_saveexec_b64 s[22:23], vcc
	s_cbranch_execz .LBB269_832
; %bb.831:                              ;   in Loop: Header=BB269_616 Depth=1
	v_and_b32_e32 v26, 7, v14
	v_ffbh_u32_e32 v30, v26
	v_min_u32_e32 v59, 32, v30
	v_subrev_u32_e32 v30, 28, v59
	v_lshlrev_b64 v[30:31], v30, v[14:15]
	v_lshrrev_b32_e32 v29, 3, v28
	v_sub_u32_e32 v31, 29, v59
	v_cmp_gt_u32_e32 vcc, 8, v28
	v_lshlrev_b32_e32 v14, 8, v14
	s_nop 0
	v_cndmask_b32_e32 v28, v29, v31, vcc
	v_lshl_add_u32 v28, v28, 10, v39
	v_and_b32_e32 v29, 7, v30
	v_and_b32_e32 v28, 0xfc00, v28
	v_cndmask_b32_e32 v26, v26, v29, vcc
	v_and_or_b32 v14, v14, s29, v28
	v_lshl_or_b32 v26, v26, 7, v14
.LBB269_832:                            ;   in Loop: Header=BB269_616 Depth=1
	s_or_b64 exec, exec, s[22:23]
.LBB269_833:                            ;   in Loop: Header=BB269_616 Depth=1
	s_or_b64 exec, exec, s[14:15]
.LBB269_834:                            ;   in Loop: Header=BB269_616 Depth=1
	s_or_b64 exec, exec, s[12:13]
	v_cmp_lt_u32_e32 vcc, s7, v24
	s_and_saveexec_b64 s[12:13], vcc
	s_cbranch_execz .LBB269_840
; %bb.835:                              ;   in Loop: Header=BB269_616 Depth=1
	v_lshrrev_b32_e32 v14, 24, v24
	v_cmp_ne_u32_e32 vcc, s24, v14
	v_bfrev_b32_e32 v27, 1
	s_and_saveexec_b64 s[14:15], vcc
	s_cbranch_execz .LBB269_839
; %bb.836:                              ;   in Loop: Header=BB269_616 Depth=1
	v_and_b32_e32 v28, 0x7f, v14
	v_cmp_ne_u32_e32 vcc, s25, v28
	v_mov_b32_e32 v27, 0x7c010000
	s_and_saveexec_b64 s[22:23], vcc
	s_cbranch_execz .LBB269_838
; %bb.837:                              ;   in Loop: Header=BB269_616 Depth=1
	v_and_b32_e32 v27, 7, v14
	v_ffbh_u32_e32 v30, v27
	v_min_u32_e32 v59, 32, v30
	v_subrev_u32_e32 v30, 28, v59
	v_lshlrev_b64 v[30:31], v30, v[14:15]
	v_lshrrev_b32_e32 v29, 3, v28
	v_sub_u32_e32 v31, 29, v59
	v_cmp_gt_u32_e32 vcc, 8, v28
	v_lshlrev_b32_e32 v14, 8, v14
	s_nop 0
	v_cndmask_b32_e32 v28, v29, v31, vcc
	v_lshl_add_u32 v28, v28, 10, v39
	v_and_b32_e32 v29, 7, v30
	v_and_or_b32 v14, v14, s29, v28
	v_cndmask_b32_e32 v27, v27, v29, vcc
	v_lshlrev_b32_e32 v14, 16, v14
	v_lshl_or_b32 v27, v27, 23, v14
.LBB269_838:                            ;   in Loop: Header=BB269_616 Depth=1
	s_or_b64 exec, exec, s[22:23]
.LBB269_839:                            ;   in Loop: Header=BB269_616 Depth=1
	s_or_b64 exec, exec, s[14:15]
.LBB269_840:                            ;   in Loop: Header=BB269_616 Depth=1
	s_or_b64 exec, exec, s[12:13]
	v_mov_b32_e32 v14, v25
	v_cmp_ne_u16_sdwa s[14:15], v25, v15 src0_sel:BYTE_0 src1_sel:DWORD
	v_mov_b32_e32 v28, 0
	v_mov_b32_e32 v29, 0
	s_and_saveexec_b64 s[12:13], s[14:15]
	s_cbranch_execz .LBB269_846
; %bb.841:                              ;   in Loop: Header=BB269_616 Depth=1
	v_cmp_ne_u16_sdwa s[22:23], v25, s24 src0_sel:BYTE_0 src1_sel:DWORD
	v_mov_b32_e32 v29, 0x8000
	s_and_saveexec_b64 s[14:15], s[22:23]
	s_cbranch_execz .LBB269_845
; %bb.842:                              ;   in Loop: Header=BB269_616 Depth=1
	v_and_b32_e32 v30, 0x7f, v25
	v_cmp_ne_u32_e32 vcc, s25, v30
	v_mov_b32_e32 v29, 0x7c01
	s_and_saveexec_b64 s[22:23], vcc
	s_cbranch_execz .LBB269_844
; %bb.843:                              ;   in Loop: Header=BB269_616 Depth=1
	v_and_b32_e32 v29, 7, v25
	v_ffbh_u32_e32 v59, v29
	v_min_u32_e32 v59, 32, v59
	v_lshrrev_b32_e32 v31, 3, v30
	v_subrev_u32_e32 v60, 28, v59
	v_sub_u32_e32 v59, 29, v59
	v_cmp_gt_u32_e32 vcc, 8, v30
	v_lshlrev_b64 v[60:61], v60, v[14:15]
	s_nop 0
	v_cndmask_b32_e32 v30, v31, v59, vcc
	v_lshl_add_u32 v30, v30, 10, v39
	v_lshlrev_b32_e32 v31, 8, v25
	v_and_b32_e32 v59, 7, v60
	v_and_b32_e32 v30, 0xfc00, v30
	v_cndmask_b32_e32 v29, v29, v59, vcc
	v_and_or_b32 v30, v31, s29, v30
	v_lshl_or_b32 v29, v29, 7, v30
.LBB269_844:                            ;   in Loop: Header=BB269_616 Depth=1
	s_or_b64 exec, exec, s[22:23]
.LBB269_845:                            ;   in Loop: Header=BB269_616 Depth=1
	s_or_b64 exec, exec, s[14:15]
.LBB269_846:                            ;   in Loop: Header=BB269_616 Depth=1
	s_or_b64 exec, exec, s[12:13]
	v_lshrrev_b16_e32 v14, 8, v14
	v_cmp_ne_u16_e32 vcc, 0, v14
	v_mov_b32_e32 v30, 0
	s_and_saveexec_b64 s[12:13], vcc
	s_cbranch_execz .LBB269_852
; %bb.847:                              ;   in Loop: Header=BB269_616 Depth=1
	v_cmp_ne_u16_e32 vcc, s24, v14
	v_bfrev_b32_e32 v30, 1
	s_and_saveexec_b64 s[14:15], vcc
	s_cbranch_execz .LBB269_851
; %bb.848:                              ;   in Loop: Header=BB269_616 Depth=1
	v_and_b32_e32 v31, 0x7f, v14
	v_cmp_ne_u32_e32 vcc, s25, v31
	v_mov_b32_e32 v30, 0x7c010000
	s_and_saveexec_b64 s[22:23], vcc
	s_cbranch_execz .LBB269_850
; %bb.849:                              ;   in Loop: Header=BB269_616 Depth=1
	v_and_b32_e32 v30, 7, v14
	v_ffbh_u32_e32 v60, v30
	v_min_u32_e32 v62, 32, v60
	v_subrev_u32_e32 v60, 28, v62
	v_lshlrev_b64 v[60:61], v60, v[14:15]
	v_lshrrev_b32_e32 v59, 3, v31
	v_sub_u32_e32 v61, 29, v62
	v_cmp_gt_u32_e32 vcc, 8, v31
	v_lshlrev_b32_e32 v14, 8, v14
	s_nop 0
	v_cndmask_b32_e32 v31, v59, v61, vcc
	v_lshl_add_u32 v31, v31, 10, v39
	v_and_b32_e32 v59, 7, v60
	v_and_or_b32 v14, v14, s29, v31
	v_cndmask_b32_e32 v30, v30, v59, vcc
	v_lshlrev_b32_e32 v14, 16, v14
	v_lshl_or_b32 v30, v30, 23, v14
.LBB269_850:                            ;   in Loop: Header=BB269_616 Depth=1
	s_or_b64 exec, exec, s[22:23]
.LBB269_851:                            ;   in Loop: Header=BB269_616 Depth=1
	s_or_b64 exec, exec, s[14:15]
.LBB269_852:                            ;   in Loop: Header=BB269_616 Depth=1
	s_or_b64 exec, exec, s[12:13]
	v_lshrrev_b32_e32 v14, 16, v25
	v_cmp_ne_u16_sdwa s[14:15], v14, v15 src0_sel:BYTE_0 src1_sel:DWORD
	s_and_saveexec_b64 s[12:13], s[14:15]
	s_cbranch_execz .LBB269_858
; %bb.853:                              ;   in Loop: Header=BB269_616 Depth=1
	v_cmp_ne_u16_sdwa s[22:23], v14, s24 src0_sel:BYTE_0 src1_sel:DWORD
	v_mov_b32_e32 v28, 0x8000
	s_and_saveexec_b64 s[14:15], s[22:23]
	s_cbranch_execz .LBB269_857
; %bb.854:                              ;   in Loop: Header=BB269_616 Depth=1
	v_bfe_u32 v31, v25, 16, 7
	v_cmp_ne_u32_e32 vcc, s25, v31
	v_mov_b32_e32 v28, 0x7c01
	s_and_saveexec_b64 s[22:23], vcc
	s_cbranch_execz .LBB269_856
; %bb.855:                              ;   in Loop: Header=BB269_616 Depth=1
	v_and_b32_e32 v28, 7, v14
	v_ffbh_u32_e32 v60, v28
	v_min_u32_e32 v62, 32, v60
	v_subrev_u32_e32 v60, 28, v62
	v_lshlrev_b64 v[60:61], v60, v[14:15]
	v_lshrrev_b32_e32 v59, 3, v31
	v_sub_u32_e32 v61, 29, v62
	v_cmp_gt_u32_e32 vcc, 8, v31
	v_lshlrev_b32_e32 v14, 8, v14
	s_nop 0
	v_cndmask_b32_e32 v31, v59, v61, vcc
	v_lshl_add_u32 v31, v31, 10, v39
	v_and_b32_e32 v59, 7, v60
	v_and_b32_e32 v31, 0xfc00, v31
	v_cndmask_b32_e32 v28, v28, v59, vcc
	v_and_or_b32 v14, v14, s29, v31
	v_lshl_or_b32 v28, v28, 7, v14
.LBB269_856:                            ;   in Loop: Header=BB269_616 Depth=1
	s_or_b64 exec, exec, s[22:23]
.LBB269_857:                            ;   in Loop: Header=BB269_616 Depth=1
	s_or_b64 exec, exec, s[14:15]
.LBB269_858:                            ;   in Loop: Header=BB269_616 Depth=1
	s_or_b64 exec, exec, s[12:13]
	v_cmp_lt_u64_e32 vcc, s[6:7], v[24:25]
	v_mov_b32_e32 v24, 0
	s_and_saveexec_b64 s[12:13], vcc
	s_cbranch_execz .LBB269_864
; %bb.859:                              ;   in Loop: Header=BB269_616 Depth=1
	v_lshrrev_b32_e32 v14, 24, v25
	v_cmp_ne_u32_e32 vcc, s24, v14
	v_bfrev_b32_e32 v24, 1
	s_and_saveexec_b64 s[14:15], vcc
	s_cbranch_execz .LBB269_863
; %bb.860:                              ;   in Loop: Header=BB269_616 Depth=1
	v_and_b32_e32 v25, 0x7f, v14
	v_cmp_ne_u32_e32 vcc, s25, v25
	v_mov_b32_e32 v24, 0x7c010000
	s_and_saveexec_b64 s[22:23], vcc
	s_cbranch_execz .LBB269_862
; %bb.861:                              ;   in Loop: Header=BB269_616 Depth=1
	v_and_b32_e32 v24, 7, v14
	v_ffbh_u32_e32 v59, v24
	v_min_u32_e32 v59, 32, v59
	v_lshrrev_b32_e32 v31, 3, v25
	v_subrev_u32_e32 v60, 28, v59
	v_sub_u32_e32 v59, 29, v59
	v_cmp_gt_u32_e32 vcc, 8, v25
	v_lshlrev_b64 v[60:61], v60, v[14:15]
	v_lshlrev_b32_e32 v14, 8, v14
	v_cndmask_b32_e32 v25, v31, v59, vcc
	v_lshl_add_u32 v25, v25, 10, v39
	v_and_b32_e32 v31, 7, v60
	v_and_or_b32 v14, v14, s29, v25
	v_cndmask_b32_e32 v24, v24, v31, vcc
	v_lshlrev_b32_e32 v14, 16, v14
	v_lshl_or_b32 v24, v24, 23, v14
.LBB269_862:                            ;   in Loop: Header=BB269_616 Depth=1
	s_or_b64 exec, exec, s[22:23]
.LBB269_863:                            ;   in Loop: Header=BB269_616 Depth=1
	s_or_b64 exec, exec, s[14:15]
.LBB269_864:                            ;   in Loop: Header=BB269_616 Depth=1
	s_or_b64 exec, exec, s[12:13]
	v_cvt_f32_f16_sdwa v61, v1 dst_sel:DWORD dst_unused:UNUSED_PAD src0_sel:WORD_1
	v_cvt_f32_f16_sdwa v60, v27 dst_sel:DWORD dst_unused:UNUSED_PAD src0_sel:WORD_1
	v_or_b32_e32 v1, v1, v23
	v_or_b32_e32 v14, v27, v26
	;; [unrolled: 1-line block ×3, first 2 shown]
	s_waitcnt vmcnt(0)
	v_pk_mul_f32 v[26:27], v[22:23], v[60:61] op_sel_hi:[0,1]
	v_cvt_f32_f16_e32 v60, v14
	v_cvt_f32_f16_e32 v61, v1
	v_cvt_pk_f16_f32 v1, v26, v27
	v_and_b32_e32 v23, 0xffff0000, v1
	v_lshlrev_b32_e32 v14, 16, v1
	v_pk_mul_f32 v[26:27], v[22:23], v[60:61] op_sel_hi:[0,1]
	v_cvt_pk_f16_f32 v1, v26, v27
	v_or_b32_e32 v27, v30, v29
	v_cvt_f32_f16_e32 v28, v28
	v_cvt_f32_f16_e32 v29, v27
	v_cvt_f32_f16_sdwa v31, v30 dst_sel:DWORD dst_unused:UNUSED_PAD src0_sel:WORD_1
	v_cvt_f32_f16_sdwa v30, v24 dst_sel:DWORD dst_unused:UNUSED_PAD src0_sel:WORD_1
	v_lshrrev_b32_e32 v25, 16, v1
	v_pk_mul_f32 v[28:29], v[22:23], v[28:29] op_sel_hi:[0,1]
	v_cvt_pk_f16_f32 v59, v28, v29
	v_pk_mul_f32 v[28:29], v[22:23], v[30:31] op_sel_hi:[0,1]
	v_cvt_pk_f16_f32 v22, v28, v29
	v_and_b32_e32 v26, 0xffff, v1
	v_and_b32_e32 v27, 0xffff0000, v22
	v_lshlrev_b32_e32 v22, 16, v22
	v_lshrrev_b32_e32 v29, 16, v59
	v_and_b32_e32 v28, 0xffff, v59
	v_or_b32_e32 v1, v23, v25
	v_or_b32_e32 v24, v14, v26
	;; [unrolled: 1-line block ×4, first 2 shown]
	s_and_saveexec_b64 s[12:13], s[0:1]
	s_cbranch_execz .LBB269_866
; %bb.865:                              ;   in Loop: Header=BB269_616 Depth=1
	v_cmp_gt_i32_e32 vcc, s27, v37
	s_nop 1
	v_cndmask_b32_e32 v1, 0, v25, vcc
	v_cmp_gt_i32_e32 vcc, s33, v50
	s_nop 1
	v_cndmask_b32_e32 v24, 0, v26, vcc
	;; [unrolled: 3-line block ×3, first 2 shown]
	v_cmp_gt_i32_e32 vcc, s33, v48
	v_or_b32_e32 v1, v23, v1
	s_nop 0
	v_cndmask_b32_e32 v14, 0, v14, vcc
	v_cmp_gt_i32_e32 vcc, s27, v43
	v_or_b32_e32 v24, v14, v24
	s_nop 0
	v_cndmask_b32_e32 v14, 0, v29, vcc
	v_cmp_gt_i32_e32 vcc, s33, v42
	s_nop 1
	v_cndmask_b32_e32 v23, 0, v28, vcc
	v_cmp_gt_i32_e32 vcc, s27, v41
	;; [unrolled: 3-line block ×3, first 2 shown]
	v_or_b32_e32 v31, v25, v14
	s_nop 0
	v_cndmask_b32_e32 v22, 0, v22, vcc
	v_or_b32_e32 v30, v22, v23
.LBB269_866:                            ;   in Loop: Header=BB269_616 Depth=1
	s_or_b64 exec, exec, s[12:13]
	;;#ASMSTART
	v_pk_mul_f16 v1, v47, v1;

	;;#ASMEND
	;;#ASMSTART
	v_pk_mul_f16 v14, v46, v24;

	;;#ASMEND
	;; [unrolled: 4-line block ×4, first 2 shown]
	s_nop 0
	;;#ASMSTART
	v_pk_add_f16 v1, v1, v14;

	;;#ASMEND
	s_nop 0
	;;#ASMSTART
	v_pk_add_f16 v1, v1, v22;

	;;#ASMEND
	;; [unrolled: 5-line block ×3, first 2 shown]
	v_mov_b32_e32 v23, 0
	v_lshrrev_b32_e32 v14, 16, v1
	v_and_b32_e32 v1, 0xffff, v1
	;;#ASMSTART
	v_cvt_f32_f16 v59, v1;
	;;#ASMEND
	;;#ASMSTART
	v_cvt_f32_f16 v60, v14;
	;;#ASMEND
	global_load_dwordx2 v[24:25], v[20:21], off offset:2560
	v_mov_b32_e32 v1, 0
	global_load_dword v22, v1, s[10:11]
	s_waitcnt vmcnt(1)
	v_cmp_ne_u16_sdwa s[14:15], v24, v15 src0_sel:BYTE_0 src1_sel:DWORD
	s_and_saveexec_b64 s[12:13], s[14:15]
	s_cbranch_execz .LBB269_872
; %bb.867:                              ;   in Loop: Header=BB269_616 Depth=1
	v_cmp_ne_u16_sdwa s[22:23], v24, s24 src0_sel:BYTE_0 src1_sel:DWORD
	v_mov_b32_e32 v23, 0x8000
	s_and_saveexec_b64 s[14:15], s[22:23]
	s_cbranch_execz .LBB269_871
; %bb.868:                              ;   in Loop: Header=BB269_616 Depth=1
	v_and_b32_e32 v14, 0x7f, v24
	v_cmp_ne_u32_e32 vcc, s25, v14
	v_mov_b32_e32 v23, 0x7c01
	s_and_saveexec_b64 s[22:23], vcc
	s_cbranch_execz .LBB269_870
; %bb.869:                              ;   in Loop: Header=BB269_616 Depth=1
	v_and_b32_e32 v23, 7, v24
	v_ffbh_u32_e32 v26, v23
	v_min_u32_e32 v29, 32, v26
	v_subrev_u32_e32 v26, 28, v29
	v_lshlrev_b64 v[26:27], v26, v[24:25]
	v_lshrrev_b32_e32 v28, 3, v14
	v_sub_u32_e32 v27, 29, v29
	v_cmp_gt_u32_e32 vcc, 8, v14
	v_and_b32_e32 v26, 7, v26
	s_nop 0
	v_cndmask_b32_e32 v14, v28, v27, vcc
	v_lshl_add_u32 v14, v14, 10, v39
	v_lshlrev_b32_e32 v27, 8, v24
	v_and_b32_e32 v14, 0xfc00, v14
	v_cndmask_b32_e32 v23, v23, v26, vcc
	v_and_or_b32 v14, v27, s29, v14
	v_lshl_or_b32 v23, v23, 7, v14
.LBB269_870:                            ;   in Loop: Header=BB269_616 Depth=1
	s_or_b64 exec, exec, s[22:23]
.LBB269_871:                            ;   in Loop: Header=BB269_616 Depth=1
	s_or_b64 exec, exec, s[14:15]
.LBB269_872:                            ;   in Loop: Header=BB269_616 Depth=1
	s_or_b64 exec, exec, s[12:13]
	v_lshrrev_b16_e32 v14, 8, v24
	v_cmp_ne_u16_e32 vcc, 0, v14
	s_and_saveexec_b64 s[12:13], vcc
	s_cbranch_execz .LBB269_878
; %bb.873:                              ;   in Loop: Header=BB269_616 Depth=1
	v_cmp_ne_u16_e32 vcc, s24, v14
	v_bfrev_b32_e32 v1, 1
	s_and_saveexec_b64 s[14:15], vcc
	s_cbranch_execz .LBB269_877
; %bb.874:                              ;   in Loop: Header=BB269_616 Depth=1
	v_and_b32_e32 v26, 0x7f, v14
	v_cmp_ne_u32_e32 vcc, s25, v26
	v_mov_b32_e32 v1, 0x7c010000
	s_and_saveexec_b64 s[22:23], vcc
	s_cbranch_execz .LBB269_876
; %bb.875:                              ;   in Loop: Header=BB269_616 Depth=1
	v_and_b32_e32 v1, 7, v14
	v_ffbh_u32_e32 v28, v1
	v_min_u32_e32 v30, 32, v28
	v_subrev_u32_e32 v28, 28, v30
	v_lshlrev_b64 v[28:29], v28, v[14:15]
	v_lshrrev_b32_e32 v27, 3, v26
	v_sub_u32_e32 v29, 29, v30
	v_cmp_gt_u32_e32 vcc, 8, v26
	v_lshlrev_b32_e32 v14, 8, v14
	s_nop 0
	v_cndmask_b32_e32 v26, v27, v29, vcc
	v_lshl_add_u32 v26, v26, 10, v39
	v_and_b32_e32 v27, 7, v28
	v_and_or_b32 v14, v14, s29, v26
	v_cndmask_b32_e32 v1, v1, v27, vcc
	v_lshlrev_b32_e32 v14, 16, v14
	v_lshl_or_b32 v1, v1, 23, v14
.LBB269_876:                            ;   in Loop: Header=BB269_616 Depth=1
	s_or_b64 exec, exec, s[22:23]
.LBB269_877:                            ;   in Loop: Header=BB269_616 Depth=1
	s_or_b64 exec, exec, s[14:15]
.LBB269_878:                            ;   in Loop: Header=BB269_616 Depth=1
	s_or_b64 exec, exec, s[12:13]
	v_lshrrev_b32_e32 v14, 16, v24
	v_cmp_ne_u16_sdwa s[14:15], v14, v15 src0_sel:BYTE_0 src1_sel:DWORD
	v_mov_b32_e32 v27, 0
	v_mov_b32_e32 v26, 0
	s_and_saveexec_b64 s[12:13], s[14:15]
	s_cbranch_execz .LBB269_884
; %bb.879:                              ;   in Loop: Header=BB269_616 Depth=1
	v_cmp_ne_u16_sdwa s[22:23], v14, s24 src0_sel:BYTE_0 src1_sel:DWORD
	v_mov_b32_e32 v26, 0x8000
	s_and_saveexec_b64 s[14:15], s[22:23]
	s_cbranch_execz .LBB269_883
; %bb.880:                              ;   in Loop: Header=BB269_616 Depth=1
	v_bfe_u32 v28, v24, 16, 7
	v_cmp_ne_u32_e32 vcc, s25, v28
	v_mov_b32_e32 v26, 0x7c01
	s_and_saveexec_b64 s[22:23], vcc
	s_cbranch_execz .LBB269_882
; %bb.881:                              ;   in Loop: Header=BB269_616 Depth=1
	v_and_b32_e32 v26, 7, v14
	v_ffbh_u32_e32 v30, v26
	v_min_u32_e32 v61, 32, v30
	v_subrev_u32_e32 v30, 28, v61
	v_lshlrev_b64 v[30:31], v30, v[14:15]
	v_lshrrev_b32_e32 v29, 3, v28
	v_sub_u32_e32 v31, 29, v61
	v_cmp_gt_u32_e32 vcc, 8, v28
	v_lshlrev_b32_e32 v14, 8, v14
	s_nop 0
	v_cndmask_b32_e32 v28, v29, v31, vcc
	v_lshl_add_u32 v28, v28, 10, v39
	v_and_b32_e32 v29, 7, v30
	v_and_b32_e32 v28, 0xfc00, v28
	v_cndmask_b32_e32 v26, v26, v29, vcc
	v_and_or_b32 v14, v14, s29, v28
	v_lshl_or_b32 v26, v26, 7, v14
.LBB269_882:                            ;   in Loop: Header=BB269_616 Depth=1
	s_or_b64 exec, exec, s[22:23]
.LBB269_883:                            ;   in Loop: Header=BB269_616 Depth=1
	s_or_b64 exec, exec, s[14:15]
.LBB269_884:                            ;   in Loop: Header=BB269_616 Depth=1
	s_or_b64 exec, exec, s[12:13]
	v_cmp_lt_u32_e32 vcc, s7, v24
	s_and_saveexec_b64 s[12:13], vcc
	s_cbranch_execz .LBB269_890
; %bb.885:                              ;   in Loop: Header=BB269_616 Depth=1
	v_lshrrev_b32_e32 v14, 24, v24
	v_cmp_ne_u32_e32 vcc, s24, v14
	v_bfrev_b32_e32 v27, 1
	s_and_saveexec_b64 s[14:15], vcc
	s_cbranch_execz .LBB269_889
; %bb.886:                              ;   in Loop: Header=BB269_616 Depth=1
	v_and_b32_e32 v28, 0x7f, v14
	v_cmp_ne_u32_e32 vcc, s25, v28
	v_mov_b32_e32 v27, 0x7c010000
	s_and_saveexec_b64 s[22:23], vcc
	s_cbranch_execz .LBB269_888
; %bb.887:                              ;   in Loop: Header=BB269_616 Depth=1
	v_and_b32_e32 v27, 7, v14
	v_ffbh_u32_e32 v30, v27
	v_min_u32_e32 v61, 32, v30
	v_subrev_u32_e32 v30, 28, v61
	v_lshlrev_b64 v[30:31], v30, v[14:15]
	v_lshrrev_b32_e32 v29, 3, v28
	v_sub_u32_e32 v31, 29, v61
	v_cmp_gt_u32_e32 vcc, 8, v28
	v_lshlrev_b32_e32 v14, 8, v14
	s_nop 0
	v_cndmask_b32_e32 v28, v29, v31, vcc
	v_lshl_add_u32 v28, v28, 10, v39
	v_and_b32_e32 v29, 7, v30
	v_and_or_b32 v14, v14, s29, v28
	v_cndmask_b32_e32 v27, v27, v29, vcc
	v_lshlrev_b32_e32 v14, 16, v14
	v_lshl_or_b32 v27, v27, 23, v14
.LBB269_888:                            ;   in Loop: Header=BB269_616 Depth=1
	s_or_b64 exec, exec, s[22:23]
.LBB269_889:                            ;   in Loop: Header=BB269_616 Depth=1
	s_or_b64 exec, exec, s[14:15]
.LBB269_890:                            ;   in Loop: Header=BB269_616 Depth=1
	s_or_b64 exec, exec, s[12:13]
	v_mov_b32_e32 v14, v25
	v_cmp_ne_u16_sdwa s[14:15], v25, v15 src0_sel:BYTE_0 src1_sel:DWORD
	v_mov_b32_e32 v28, 0
	v_mov_b32_e32 v29, 0
	s_and_saveexec_b64 s[12:13], s[14:15]
	s_cbranch_execz .LBB269_896
; %bb.891:                              ;   in Loop: Header=BB269_616 Depth=1
	v_cmp_ne_u16_sdwa s[22:23], v25, s24 src0_sel:BYTE_0 src1_sel:DWORD
	v_mov_b32_e32 v29, 0x8000
	s_and_saveexec_b64 s[14:15], s[22:23]
	s_cbranch_execz .LBB269_895
; %bb.892:                              ;   in Loop: Header=BB269_616 Depth=1
	v_and_b32_e32 v30, 0x7f, v25
	v_cmp_ne_u32_e32 vcc, s25, v30
	v_mov_b32_e32 v29, 0x7c01
	s_and_saveexec_b64 s[22:23], vcc
	s_cbranch_execz .LBB269_894
; %bb.893:                              ;   in Loop: Header=BB269_616 Depth=1
	v_and_b32_e32 v29, 7, v25
	v_ffbh_u32_e32 v61, v29
	v_min_u32_e32 v61, 32, v61
	v_lshrrev_b32_e32 v31, 3, v30
	v_subrev_u32_e32 v62, 28, v61
	v_sub_u32_e32 v61, 29, v61
	v_cmp_gt_u32_e32 vcc, 8, v30
	v_lshlrev_b64 v[62:63], v62, v[14:15]
	s_nop 0
	v_cndmask_b32_e32 v30, v31, v61, vcc
	v_lshl_add_u32 v30, v30, 10, v39
	v_lshlrev_b32_e32 v31, 8, v25
	v_and_b32_e32 v61, 7, v62
	v_and_b32_e32 v30, 0xfc00, v30
	v_cndmask_b32_e32 v29, v29, v61, vcc
	v_and_or_b32 v30, v31, s29, v30
	v_lshl_or_b32 v29, v29, 7, v30
.LBB269_894:                            ;   in Loop: Header=BB269_616 Depth=1
	s_or_b64 exec, exec, s[22:23]
.LBB269_895:                            ;   in Loop: Header=BB269_616 Depth=1
	s_or_b64 exec, exec, s[14:15]
.LBB269_896:                            ;   in Loop: Header=BB269_616 Depth=1
	s_or_b64 exec, exec, s[12:13]
	v_lshrrev_b16_e32 v14, 8, v14
	v_cmp_ne_u16_e32 vcc, 0, v14
	v_mov_b32_e32 v30, 0
	s_and_saveexec_b64 s[12:13], vcc
	s_cbranch_execz .LBB269_902
; %bb.897:                              ;   in Loop: Header=BB269_616 Depth=1
	v_cmp_ne_u16_e32 vcc, s24, v14
	v_bfrev_b32_e32 v30, 1
	s_and_saveexec_b64 s[14:15], vcc
	s_cbranch_execz .LBB269_901
; %bb.898:                              ;   in Loop: Header=BB269_616 Depth=1
	v_and_b32_e32 v31, 0x7f, v14
	v_cmp_ne_u32_e32 vcc, s25, v31
	v_mov_b32_e32 v30, 0x7c010000
	s_and_saveexec_b64 s[22:23], vcc
	s_cbranch_execz .LBB269_900
; %bb.899:                              ;   in Loop: Header=BB269_616 Depth=1
	v_and_b32_e32 v30, 7, v14
	v_ffbh_u32_e32 v62, v30
	v_min_u32_e32 v64, 32, v62
	v_subrev_u32_e32 v62, 28, v64
	v_lshlrev_b64 v[62:63], v62, v[14:15]
	v_lshrrev_b32_e32 v61, 3, v31
	v_sub_u32_e32 v63, 29, v64
	v_cmp_gt_u32_e32 vcc, 8, v31
	v_lshlrev_b32_e32 v14, 8, v14
	s_nop 0
	v_cndmask_b32_e32 v31, v61, v63, vcc
	v_lshl_add_u32 v31, v31, 10, v39
	v_and_b32_e32 v61, 7, v62
	v_and_or_b32 v14, v14, s29, v31
	v_cndmask_b32_e32 v30, v30, v61, vcc
	v_lshlrev_b32_e32 v14, 16, v14
	v_lshl_or_b32 v30, v30, 23, v14
.LBB269_900:                            ;   in Loop: Header=BB269_616 Depth=1
	s_or_b64 exec, exec, s[22:23]
.LBB269_901:                            ;   in Loop: Header=BB269_616 Depth=1
	s_or_b64 exec, exec, s[14:15]
.LBB269_902:                            ;   in Loop: Header=BB269_616 Depth=1
	s_or_b64 exec, exec, s[12:13]
	v_lshrrev_b32_e32 v14, 16, v25
	v_cmp_ne_u16_sdwa s[14:15], v14, v15 src0_sel:BYTE_0 src1_sel:DWORD
	s_and_saveexec_b64 s[12:13], s[14:15]
	s_cbranch_execz .LBB269_908
; %bb.903:                              ;   in Loop: Header=BB269_616 Depth=1
	v_cmp_ne_u16_sdwa s[22:23], v14, s24 src0_sel:BYTE_0 src1_sel:DWORD
	v_mov_b32_e32 v28, 0x8000
	s_and_saveexec_b64 s[14:15], s[22:23]
	s_cbranch_execz .LBB269_907
; %bb.904:                              ;   in Loop: Header=BB269_616 Depth=1
	v_bfe_u32 v31, v25, 16, 7
	v_cmp_ne_u32_e32 vcc, s25, v31
	v_mov_b32_e32 v28, 0x7c01
	s_and_saveexec_b64 s[22:23], vcc
	s_cbranch_execz .LBB269_906
; %bb.905:                              ;   in Loop: Header=BB269_616 Depth=1
	v_and_b32_e32 v28, 7, v14
	v_ffbh_u32_e32 v62, v28
	v_min_u32_e32 v64, 32, v62
	v_subrev_u32_e32 v62, 28, v64
	v_lshlrev_b64 v[62:63], v62, v[14:15]
	v_lshrrev_b32_e32 v61, 3, v31
	v_sub_u32_e32 v63, 29, v64
	v_cmp_gt_u32_e32 vcc, 8, v31
	v_lshlrev_b32_e32 v14, 8, v14
	s_nop 0
	v_cndmask_b32_e32 v31, v61, v63, vcc
	v_lshl_add_u32 v31, v31, 10, v39
	v_and_b32_e32 v61, 7, v62
	v_and_b32_e32 v31, 0xfc00, v31
	v_cndmask_b32_e32 v28, v28, v61, vcc
	v_and_or_b32 v14, v14, s29, v31
	v_lshl_or_b32 v28, v28, 7, v14
.LBB269_906:                            ;   in Loop: Header=BB269_616 Depth=1
	s_or_b64 exec, exec, s[22:23]
.LBB269_907:                            ;   in Loop: Header=BB269_616 Depth=1
	s_or_b64 exec, exec, s[14:15]
.LBB269_908:                            ;   in Loop: Header=BB269_616 Depth=1
	s_or_b64 exec, exec, s[12:13]
	v_cmp_lt_u64_e32 vcc, s[6:7], v[24:25]
	v_mov_b32_e32 v24, 0
	s_and_saveexec_b64 s[12:13], vcc
	s_cbranch_execz .LBB269_914
; %bb.909:                              ;   in Loop: Header=BB269_616 Depth=1
	v_lshrrev_b32_e32 v14, 24, v25
	v_cmp_ne_u32_e32 vcc, s24, v14
	v_bfrev_b32_e32 v24, 1
	s_and_saveexec_b64 s[14:15], vcc
	s_cbranch_execz .LBB269_913
; %bb.910:                              ;   in Loop: Header=BB269_616 Depth=1
	v_and_b32_e32 v25, 0x7f, v14
	v_cmp_ne_u32_e32 vcc, s25, v25
	v_mov_b32_e32 v24, 0x7c010000
	s_and_saveexec_b64 s[22:23], vcc
	s_cbranch_execz .LBB269_912
; %bb.911:                              ;   in Loop: Header=BB269_616 Depth=1
	v_and_b32_e32 v24, 7, v14
	v_ffbh_u32_e32 v61, v24
	v_min_u32_e32 v61, 32, v61
	v_lshrrev_b32_e32 v31, 3, v25
	v_subrev_u32_e32 v62, 28, v61
	v_sub_u32_e32 v61, 29, v61
	v_cmp_gt_u32_e32 vcc, 8, v25
	v_lshlrev_b64 v[62:63], v62, v[14:15]
	v_lshlrev_b32_e32 v14, 8, v14
	v_cndmask_b32_e32 v25, v31, v61, vcc
	v_lshl_add_u32 v25, v25, 10, v39
	v_and_b32_e32 v31, 7, v62
	v_and_or_b32 v14, v14, s29, v25
	v_cndmask_b32_e32 v24, v24, v31, vcc
	v_lshlrev_b32_e32 v14, 16, v14
	v_lshl_or_b32 v24, v24, 23, v14
.LBB269_912:                            ;   in Loop: Header=BB269_616 Depth=1
	s_or_b64 exec, exec, s[22:23]
.LBB269_913:                            ;   in Loop: Header=BB269_616 Depth=1
	s_or_b64 exec, exec, s[14:15]
.LBB269_914:                            ;   in Loop: Header=BB269_616 Depth=1
	s_or_b64 exec, exec, s[12:13]
	v_cvt_f32_f16_sdwa v63, v1 dst_sel:DWORD dst_unused:UNUSED_PAD src0_sel:WORD_1
	v_cvt_f32_f16_sdwa v62, v27 dst_sel:DWORD dst_unused:UNUSED_PAD src0_sel:WORD_1
	v_or_b32_e32 v1, v1, v23
	v_or_b32_e32 v14, v27, v26
	;; [unrolled: 1-line block ×3, first 2 shown]
	s_waitcnt vmcnt(0)
	v_pk_mul_f32 v[26:27], v[22:23], v[62:63] op_sel_hi:[0,1]
	v_cvt_f32_f16_e32 v62, v14
	v_cvt_f32_f16_e32 v63, v1
	v_cvt_pk_f16_f32 v1, v26, v27
	v_and_b32_e32 v23, 0xffff0000, v1
	v_lshlrev_b32_e32 v14, 16, v1
	v_pk_mul_f32 v[26:27], v[22:23], v[62:63] op_sel_hi:[0,1]
	v_cvt_pk_f16_f32 v1, v26, v27
	v_or_b32_e32 v27, v30, v29
	v_cvt_f32_f16_e32 v28, v28
	v_cvt_f32_f16_e32 v29, v27
	v_cvt_f32_f16_sdwa v31, v30 dst_sel:DWORD dst_unused:UNUSED_PAD src0_sel:WORD_1
	v_cvt_f32_f16_sdwa v30, v24 dst_sel:DWORD dst_unused:UNUSED_PAD src0_sel:WORD_1
	v_lshrrev_b32_e32 v25, 16, v1
	v_pk_mul_f32 v[28:29], v[22:23], v[28:29] op_sel_hi:[0,1]
	v_cvt_pk_f16_f32 v61, v28, v29
	v_pk_mul_f32 v[28:29], v[22:23], v[30:31] op_sel_hi:[0,1]
	v_cvt_pk_f16_f32 v22, v28, v29
	v_and_b32_e32 v26, 0xffff, v1
	v_and_b32_e32 v27, 0xffff0000, v22
	v_lshlrev_b32_e32 v22, 16, v22
	v_lshrrev_b32_e32 v29, 16, v61
	v_and_b32_e32 v28, 0xffff, v61
	v_or_b32_e32 v1, v23, v25
	v_or_b32_e32 v24, v14, v26
	;; [unrolled: 1-line block ×4, first 2 shown]
	s_and_saveexec_b64 s[12:13], s[0:1]
	s_cbranch_execz .LBB269_916
; %bb.915:                              ;   in Loop: Header=BB269_616 Depth=1
	v_cmp_gt_i32_e32 vcc, s27, v37
	s_nop 1
	v_cndmask_b32_e32 v1, 0, v25, vcc
	v_cmp_gt_i32_e32 vcc, s33, v50
	s_nop 1
	v_cndmask_b32_e32 v24, 0, v26, vcc
	;; [unrolled: 3-line block ×3, first 2 shown]
	v_cmp_gt_i32_e32 vcc, s33, v48
	v_or_b32_e32 v1, v23, v1
	s_nop 0
	v_cndmask_b32_e32 v14, 0, v14, vcc
	v_cmp_gt_i32_e32 vcc, s27, v43
	v_or_b32_e32 v24, v14, v24
	s_nop 0
	v_cndmask_b32_e32 v14, 0, v29, vcc
	v_cmp_gt_i32_e32 vcc, s33, v42
	s_nop 1
	v_cndmask_b32_e32 v23, 0, v28, vcc
	v_cmp_gt_i32_e32 vcc, s27, v41
	;; [unrolled: 3-line block ×3, first 2 shown]
	v_or_b32_e32 v31, v25, v14
	s_nop 0
	v_cndmask_b32_e32 v22, 0, v22, vcc
	v_or_b32_e32 v30, v22, v23
.LBB269_916:                            ;   in Loop: Header=BB269_616 Depth=1
	s_or_b64 exec, exec, s[12:13]
	;;#ASMSTART
	v_pk_mul_f16 v1, v47, v1;

	;;#ASMEND
	;;#ASMSTART
	v_pk_mul_f16 v14, v46, v24;

	;;#ASMEND
	;; [unrolled: 4-line block ×4, first 2 shown]
	s_nop 0
	;;#ASMSTART
	v_pk_add_f16 v1, v1, v14;

	;;#ASMEND
	s_nop 0
	;;#ASMSTART
	v_pk_add_f16 v1, v1, v22;

	;;#ASMEND
	;; [unrolled: 5-line block ×3, first 2 shown]
	v_mov_b32_e32 v23, 0
	v_lshrrev_b32_e32 v14, 16, v1
	v_and_b32_e32 v1, 0xffff, v1
	;;#ASMSTART
	v_cvt_f32_f16 v61, v1;
	;;#ASMEND
	;;#ASMSTART
	v_cvt_f32_f16 v62, v14;
	;;#ASMEND
	global_load_dwordx2 v[24:25], v[20:21], off offset:3072
	v_mov_b32_e32 v1, 0
	global_load_dword v22, v1, s[10:11]
	s_waitcnt vmcnt(1)
	v_cmp_ne_u16_sdwa s[14:15], v24, v15 src0_sel:BYTE_0 src1_sel:DWORD
	s_and_saveexec_b64 s[12:13], s[14:15]
	s_cbranch_execz .LBB269_922
; %bb.917:                              ;   in Loop: Header=BB269_616 Depth=1
	v_cmp_ne_u16_sdwa s[22:23], v24, s24 src0_sel:BYTE_0 src1_sel:DWORD
	v_mov_b32_e32 v23, 0x8000
	s_and_saveexec_b64 s[14:15], s[22:23]
	s_cbranch_execz .LBB269_921
; %bb.918:                              ;   in Loop: Header=BB269_616 Depth=1
	v_and_b32_e32 v14, 0x7f, v24
	v_cmp_ne_u32_e32 vcc, s25, v14
	v_mov_b32_e32 v23, 0x7c01
	s_and_saveexec_b64 s[22:23], vcc
	s_cbranch_execz .LBB269_920
; %bb.919:                              ;   in Loop: Header=BB269_616 Depth=1
	v_and_b32_e32 v23, 7, v24
	v_ffbh_u32_e32 v26, v23
	v_min_u32_e32 v29, 32, v26
	v_subrev_u32_e32 v26, 28, v29
	v_lshlrev_b64 v[26:27], v26, v[24:25]
	v_lshrrev_b32_e32 v28, 3, v14
	v_sub_u32_e32 v27, 29, v29
	v_cmp_gt_u32_e32 vcc, 8, v14
	v_and_b32_e32 v26, 7, v26
	s_nop 0
	v_cndmask_b32_e32 v14, v28, v27, vcc
	v_lshl_add_u32 v14, v14, 10, v39
	v_lshlrev_b32_e32 v27, 8, v24
	v_and_b32_e32 v14, 0xfc00, v14
	v_cndmask_b32_e32 v23, v23, v26, vcc
	v_and_or_b32 v14, v27, s29, v14
	v_lshl_or_b32 v23, v23, 7, v14
.LBB269_920:                            ;   in Loop: Header=BB269_616 Depth=1
	s_or_b64 exec, exec, s[22:23]
.LBB269_921:                            ;   in Loop: Header=BB269_616 Depth=1
	s_or_b64 exec, exec, s[14:15]
.LBB269_922:                            ;   in Loop: Header=BB269_616 Depth=1
	s_or_b64 exec, exec, s[12:13]
	v_lshrrev_b16_e32 v14, 8, v24
	v_cmp_ne_u16_e32 vcc, 0, v14
	s_and_saveexec_b64 s[12:13], vcc
	s_cbranch_execz .LBB269_928
; %bb.923:                              ;   in Loop: Header=BB269_616 Depth=1
	v_cmp_ne_u16_e32 vcc, s24, v14
	v_bfrev_b32_e32 v1, 1
	s_and_saveexec_b64 s[14:15], vcc
	s_cbranch_execz .LBB269_927
; %bb.924:                              ;   in Loop: Header=BB269_616 Depth=1
	v_and_b32_e32 v26, 0x7f, v14
	v_cmp_ne_u32_e32 vcc, s25, v26
	v_mov_b32_e32 v1, 0x7c010000
	s_and_saveexec_b64 s[22:23], vcc
	s_cbranch_execz .LBB269_926
; %bb.925:                              ;   in Loop: Header=BB269_616 Depth=1
	v_and_b32_e32 v1, 7, v14
	v_ffbh_u32_e32 v28, v1
	v_min_u32_e32 v30, 32, v28
	v_subrev_u32_e32 v28, 28, v30
	v_lshlrev_b64 v[28:29], v28, v[14:15]
	v_lshrrev_b32_e32 v27, 3, v26
	v_sub_u32_e32 v29, 29, v30
	v_cmp_gt_u32_e32 vcc, 8, v26
	v_lshlrev_b32_e32 v14, 8, v14
	s_nop 0
	v_cndmask_b32_e32 v26, v27, v29, vcc
	v_lshl_add_u32 v26, v26, 10, v39
	v_and_b32_e32 v27, 7, v28
	v_and_or_b32 v14, v14, s29, v26
	v_cndmask_b32_e32 v1, v1, v27, vcc
	v_lshlrev_b32_e32 v14, 16, v14
	v_lshl_or_b32 v1, v1, 23, v14
.LBB269_926:                            ;   in Loop: Header=BB269_616 Depth=1
	s_or_b64 exec, exec, s[22:23]
.LBB269_927:                            ;   in Loop: Header=BB269_616 Depth=1
	s_or_b64 exec, exec, s[14:15]
.LBB269_928:                            ;   in Loop: Header=BB269_616 Depth=1
	s_or_b64 exec, exec, s[12:13]
	v_lshrrev_b32_e32 v14, 16, v24
	v_cmp_ne_u16_sdwa s[14:15], v14, v15 src0_sel:BYTE_0 src1_sel:DWORD
	v_mov_b32_e32 v27, 0
	v_mov_b32_e32 v26, 0
	s_and_saveexec_b64 s[12:13], s[14:15]
	s_cbranch_execz .LBB269_934
; %bb.929:                              ;   in Loop: Header=BB269_616 Depth=1
	v_cmp_ne_u16_sdwa s[22:23], v14, s24 src0_sel:BYTE_0 src1_sel:DWORD
	v_mov_b32_e32 v26, 0x8000
	s_and_saveexec_b64 s[14:15], s[22:23]
	s_cbranch_execz .LBB269_933
; %bb.930:                              ;   in Loop: Header=BB269_616 Depth=1
	v_bfe_u32 v28, v24, 16, 7
	v_cmp_ne_u32_e32 vcc, s25, v28
	v_mov_b32_e32 v26, 0x7c01
	s_and_saveexec_b64 s[22:23], vcc
	s_cbranch_execz .LBB269_932
; %bb.931:                              ;   in Loop: Header=BB269_616 Depth=1
	v_and_b32_e32 v26, 7, v14
	v_ffbh_u32_e32 v30, v26
	v_min_u32_e32 v63, 32, v30
	v_subrev_u32_e32 v30, 28, v63
	v_lshlrev_b64 v[30:31], v30, v[14:15]
	v_lshrrev_b32_e32 v29, 3, v28
	v_sub_u32_e32 v31, 29, v63
	v_cmp_gt_u32_e32 vcc, 8, v28
	v_lshlrev_b32_e32 v14, 8, v14
	s_nop 0
	v_cndmask_b32_e32 v28, v29, v31, vcc
	v_lshl_add_u32 v28, v28, 10, v39
	v_and_b32_e32 v29, 7, v30
	v_and_b32_e32 v28, 0xfc00, v28
	v_cndmask_b32_e32 v26, v26, v29, vcc
	v_and_or_b32 v14, v14, s29, v28
	v_lshl_or_b32 v26, v26, 7, v14
.LBB269_932:                            ;   in Loop: Header=BB269_616 Depth=1
	s_or_b64 exec, exec, s[22:23]
.LBB269_933:                            ;   in Loop: Header=BB269_616 Depth=1
	s_or_b64 exec, exec, s[14:15]
.LBB269_934:                            ;   in Loop: Header=BB269_616 Depth=1
	s_or_b64 exec, exec, s[12:13]
	v_cmp_lt_u32_e32 vcc, s7, v24
	s_and_saveexec_b64 s[12:13], vcc
	s_cbranch_execz .LBB269_940
; %bb.935:                              ;   in Loop: Header=BB269_616 Depth=1
	v_lshrrev_b32_e32 v14, 24, v24
	v_cmp_ne_u32_e32 vcc, s24, v14
	v_bfrev_b32_e32 v27, 1
	s_and_saveexec_b64 s[14:15], vcc
	s_cbranch_execz .LBB269_939
; %bb.936:                              ;   in Loop: Header=BB269_616 Depth=1
	v_and_b32_e32 v28, 0x7f, v14
	v_cmp_ne_u32_e32 vcc, s25, v28
	v_mov_b32_e32 v27, 0x7c010000
	s_and_saveexec_b64 s[22:23], vcc
	s_cbranch_execz .LBB269_938
; %bb.937:                              ;   in Loop: Header=BB269_616 Depth=1
	v_and_b32_e32 v27, 7, v14
	v_ffbh_u32_e32 v30, v27
	v_min_u32_e32 v63, 32, v30
	v_subrev_u32_e32 v30, 28, v63
	v_lshlrev_b64 v[30:31], v30, v[14:15]
	v_lshrrev_b32_e32 v29, 3, v28
	v_sub_u32_e32 v31, 29, v63
	v_cmp_gt_u32_e32 vcc, 8, v28
	v_lshlrev_b32_e32 v14, 8, v14
	s_nop 0
	v_cndmask_b32_e32 v28, v29, v31, vcc
	v_lshl_add_u32 v28, v28, 10, v39
	v_and_b32_e32 v29, 7, v30
	v_and_or_b32 v14, v14, s29, v28
	v_cndmask_b32_e32 v27, v27, v29, vcc
	v_lshlrev_b32_e32 v14, 16, v14
	v_lshl_or_b32 v27, v27, 23, v14
.LBB269_938:                            ;   in Loop: Header=BB269_616 Depth=1
	s_or_b64 exec, exec, s[22:23]
.LBB269_939:                            ;   in Loop: Header=BB269_616 Depth=1
	s_or_b64 exec, exec, s[14:15]
.LBB269_940:                            ;   in Loop: Header=BB269_616 Depth=1
	s_or_b64 exec, exec, s[12:13]
	v_mov_b32_e32 v14, v25
	v_cmp_ne_u16_sdwa s[14:15], v25, v15 src0_sel:BYTE_0 src1_sel:DWORD
	v_mov_b32_e32 v28, 0
	v_mov_b32_e32 v29, 0
	s_and_saveexec_b64 s[12:13], s[14:15]
	s_cbranch_execz .LBB269_946
; %bb.941:                              ;   in Loop: Header=BB269_616 Depth=1
	v_cmp_ne_u16_sdwa s[22:23], v25, s24 src0_sel:BYTE_0 src1_sel:DWORD
	v_mov_b32_e32 v29, 0x8000
	s_and_saveexec_b64 s[14:15], s[22:23]
	s_cbranch_execz .LBB269_945
; %bb.942:                              ;   in Loop: Header=BB269_616 Depth=1
	v_and_b32_e32 v30, 0x7f, v25
	v_cmp_ne_u32_e32 vcc, s25, v30
	v_mov_b32_e32 v29, 0x7c01
	s_and_saveexec_b64 s[22:23], vcc
	s_cbranch_execz .LBB269_944
; %bb.943:                              ;   in Loop: Header=BB269_616 Depth=1
	v_and_b32_e32 v29, 7, v25
	v_ffbh_u32_e32 v63, v29
	v_min_u32_e32 v63, 32, v63
	v_lshrrev_b32_e32 v31, 3, v30
	v_subrev_u32_e32 v64, 28, v63
	v_sub_u32_e32 v63, 29, v63
	v_cmp_gt_u32_e32 vcc, 8, v30
	v_lshlrev_b64 v[64:65], v64, v[14:15]
	s_nop 0
	v_cndmask_b32_e32 v30, v31, v63, vcc
	v_lshl_add_u32 v30, v30, 10, v39
	v_lshlrev_b32_e32 v31, 8, v25
	v_and_b32_e32 v63, 7, v64
	v_and_b32_e32 v30, 0xfc00, v30
	v_cndmask_b32_e32 v29, v29, v63, vcc
	v_and_or_b32 v30, v31, s29, v30
	v_lshl_or_b32 v29, v29, 7, v30
.LBB269_944:                            ;   in Loop: Header=BB269_616 Depth=1
	s_or_b64 exec, exec, s[22:23]
.LBB269_945:                            ;   in Loop: Header=BB269_616 Depth=1
	s_or_b64 exec, exec, s[14:15]
.LBB269_946:                            ;   in Loop: Header=BB269_616 Depth=1
	s_or_b64 exec, exec, s[12:13]
	v_lshrrev_b16_e32 v14, 8, v14
	v_cmp_ne_u16_e32 vcc, 0, v14
	v_mov_b32_e32 v30, 0
	s_and_saveexec_b64 s[12:13], vcc
	s_cbranch_execz .LBB269_952
; %bb.947:                              ;   in Loop: Header=BB269_616 Depth=1
	v_cmp_ne_u16_e32 vcc, s24, v14
	v_bfrev_b32_e32 v30, 1
	s_and_saveexec_b64 s[14:15], vcc
	s_cbranch_execz .LBB269_951
; %bb.948:                              ;   in Loop: Header=BB269_616 Depth=1
	v_and_b32_e32 v31, 0x7f, v14
	v_cmp_ne_u32_e32 vcc, s25, v31
	v_mov_b32_e32 v30, 0x7c010000
	s_and_saveexec_b64 s[22:23], vcc
	s_cbranch_execz .LBB269_950
; %bb.949:                              ;   in Loop: Header=BB269_616 Depth=1
	v_and_b32_e32 v30, 7, v14
	v_ffbh_u32_e32 v64, v30
	v_min_u32_e32 v66, 32, v64
	v_subrev_u32_e32 v64, 28, v66
	v_lshlrev_b64 v[64:65], v64, v[14:15]
	v_lshrrev_b32_e32 v63, 3, v31
	v_sub_u32_e32 v65, 29, v66
	v_cmp_gt_u32_e32 vcc, 8, v31
	v_lshlrev_b32_e32 v14, 8, v14
	s_nop 0
	v_cndmask_b32_e32 v31, v63, v65, vcc
	v_lshl_add_u32 v31, v31, 10, v39
	v_and_b32_e32 v63, 7, v64
	v_and_or_b32 v14, v14, s29, v31
	v_cndmask_b32_e32 v30, v30, v63, vcc
	v_lshlrev_b32_e32 v14, 16, v14
	v_lshl_or_b32 v30, v30, 23, v14
.LBB269_950:                            ;   in Loop: Header=BB269_616 Depth=1
	s_or_b64 exec, exec, s[22:23]
.LBB269_951:                            ;   in Loop: Header=BB269_616 Depth=1
	s_or_b64 exec, exec, s[14:15]
.LBB269_952:                            ;   in Loop: Header=BB269_616 Depth=1
	s_or_b64 exec, exec, s[12:13]
	v_lshrrev_b32_e32 v14, 16, v25
	v_cmp_ne_u16_sdwa s[14:15], v14, v15 src0_sel:BYTE_0 src1_sel:DWORD
	s_and_saveexec_b64 s[12:13], s[14:15]
	s_cbranch_execz .LBB269_958
; %bb.953:                              ;   in Loop: Header=BB269_616 Depth=1
	v_cmp_ne_u16_sdwa s[22:23], v14, s24 src0_sel:BYTE_0 src1_sel:DWORD
	v_mov_b32_e32 v28, 0x8000
	s_and_saveexec_b64 s[14:15], s[22:23]
	s_cbranch_execz .LBB269_957
; %bb.954:                              ;   in Loop: Header=BB269_616 Depth=1
	v_bfe_u32 v31, v25, 16, 7
	v_cmp_ne_u32_e32 vcc, s25, v31
	v_mov_b32_e32 v28, 0x7c01
	s_and_saveexec_b64 s[22:23], vcc
	s_cbranch_execz .LBB269_956
; %bb.955:                              ;   in Loop: Header=BB269_616 Depth=1
	v_and_b32_e32 v28, 7, v14
	v_ffbh_u32_e32 v64, v28
	v_min_u32_e32 v66, 32, v64
	v_subrev_u32_e32 v64, 28, v66
	v_lshlrev_b64 v[64:65], v64, v[14:15]
	v_lshrrev_b32_e32 v63, 3, v31
	v_sub_u32_e32 v65, 29, v66
	v_cmp_gt_u32_e32 vcc, 8, v31
	v_lshlrev_b32_e32 v14, 8, v14
	s_nop 0
	v_cndmask_b32_e32 v31, v63, v65, vcc
	v_lshl_add_u32 v31, v31, 10, v39
	v_and_b32_e32 v63, 7, v64
	v_and_b32_e32 v31, 0xfc00, v31
	v_cndmask_b32_e32 v28, v28, v63, vcc
	v_and_or_b32 v14, v14, s29, v31
	v_lshl_or_b32 v28, v28, 7, v14
.LBB269_956:                            ;   in Loop: Header=BB269_616 Depth=1
	s_or_b64 exec, exec, s[22:23]
.LBB269_957:                            ;   in Loop: Header=BB269_616 Depth=1
	s_or_b64 exec, exec, s[14:15]
.LBB269_958:                            ;   in Loop: Header=BB269_616 Depth=1
	s_or_b64 exec, exec, s[12:13]
	v_cmp_lt_u64_e32 vcc, s[6:7], v[24:25]
	v_mov_b32_e32 v24, 0
	s_and_saveexec_b64 s[12:13], vcc
	s_cbranch_execz .LBB269_964
; %bb.959:                              ;   in Loop: Header=BB269_616 Depth=1
	v_lshrrev_b32_e32 v14, 24, v25
	v_cmp_ne_u32_e32 vcc, s24, v14
	v_bfrev_b32_e32 v24, 1
	s_and_saveexec_b64 s[14:15], vcc
	s_cbranch_execz .LBB269_963
; %bb.960:                              ;   in Loop: Header=BB269_616 Depth=1
	v_and_b32_e32 v25, 0x7f, v14
	v_cmp_ne_u32_e32 vcc, s25, v25
	v_mov_b32_e32 v24, 0x7c010000
	s_and_saveexec_b64 s[22:23], vcc
	s_cbranch_execz .LBB269_962
; %bb.961:                              ;   in Loop: Header=BB269_616 Depth=1
	v_and_b32_e32 v24, 7, v14
	v_ffbh_u32_e32 v63, v24
	v_min_u32_e32 v63, 32, v63
	v_lshrrev_b32_e32 v31, 3, v25
	v_subrev_u32_e32 v64, 28, v63
	v_sub_u32_e32 v63, 29, v63
	v_cmp_gt_u32_e32 vcc, 8, v25
	v_lshlrev_b64 v[64:65], v64, v[14:15]
	v_lshlrev_b32_e32 v14, 8, v14
	v_cndmask_b32_e32 v25, v31, v63, vcc
	v_lshl_add_u32 v25, v25, 10, v39
	v_and_b32_e32 v31, 7, v64
	v_and_or_b32 v14, v14, s29, v25
	v_cndmask_b32_e32 v24, v24, v31, vcc
	v_lshlrev_b32_e32 v14, 16, v14
	v_lshl_or_b32 v24, v24, 23, v14
.LBB269_962:                            ;   in Loop: Header=BB269_616 Depth=1
	s_or_b64 exec, exec, s[22:23]
.LBB269_963:                            ;   in Loop: Header=BB269_616 Depth=1
	s_or_b64 exec, exec, s[14:15]
.LBB269_964:                            ;   in Loop: Header=BB269_616 Depth=1
	s_or_b64 exec, exec, s[12:13]
	v_cvt_f32_f16_sdwa v65, v1 dst_sel:DWORD dst_unused:UNUSED_PAD src0_sel:WORD_1
	v_cvt_f32_f16_sdwa v64, v27 dst_sel:DWORD dst_unused:UNUSED_PAD src0_sel:WORD_1
	v_or_b32_e32 v1, v1, v23
	v_or_b32_e32 v14, v27, v26
	;; [unrolled: 1-line block ×3, first 2 shown]
	s_waitcnt vmcnt(0)
	v_pk_mul_f32 v[26:27], v[22:23], v[64:65] op_sel_hi:[0,1]
	v_cvt_f32_f16_e32 v64, v14
	v_cvt_f32_f16_e32 v65, v1
	v_cvt_pk_f16_f32 v1, v26, v27
	v_and_b32_e32 v23, 0xffff0000, v1
	v_lshlrev_b32_e32 v14, 16, v1
	v_pk_mul_f32 v[26:27], v[22:23], v[64:65] op_sel_hi:[0,1]
	v_cvt_pk_f16_f32 v1, v26, v27
	v_or_b32_e32 v27, v30, v29
	v_cvt_f32_f16_e32 v28, v28
	v_cvt_f32_f16_e32 v29, v27
	v_cvt_f32_f16_sdwa v31, v30 dst_sel:DWORD dst_unused:UNUSED_PAD src0_sel:WORD_1
	v_cvt_f32_f16_sdwa v30, v24 dst_sel:DWORD dst_unused:UNUSED_PAD src0_sel:WORD_1
	v_lshrrev_b32_e32 v25, 16, v1
	v_pk_mul_f32 v[28:29], v[22:23], v[28:29] op_sel_hi:[0,1]
	v_cvt_pk_f16_f32 v63, v28, v29
	v_pk_mul_f32 v[28:29], v[22:23], v[30:31] op_sel_hi:[0,1]
	v_cvt_pk_f16_f32 v22, v28, v29
	v_and_b32_e32 v26, 0xffff, v1
	v_and_b32_e32 v27, 0xffff0000, v22
	v_lshlrev_b32_e32 v22, 16, v22
	v_lshrrev_b32_e32 v29, 16, v63
	v_and_b32_e32 v28, 0xffff, v63
	v_or_b32_e32 v1, v23, v25
	v_or_b32_e32 v24, v14, v26
	;; [unrolled: 1-line block ×4, first 2 shown]
	s_and_saveexec_b64 s[12:13], s[0:1]
	s_cbranch_execz .LBB269_966
; %bb.965:                              ;   in Loop: Header=BB269_616 Depth=1
	v_cmp_gt_i32_e32 vcc, s27, v37
	s_nop 1
	v_cndmask_b32_e32 v1, 0, v25, vcc
	v_cmp_gt_i32_e32 vcc, s33, v50
	s_nop 1
	v_cndmask_b32_e32 v24, 0, v26, vcc
	;; [unrolled: 3-line block ×3, first 2 shown]
	v_cmp_gt_i32_e32 vcc, s33, v48
	v_or_b32_e32 v1, v23, v1
	s_nop 0
	v_cndmask_b32_e32 v14, 0, v14, vcc
	v_cmp_gt_i32_e32 vcc, s27, v43
	v_or_b32_e32 v24, v14, v24
	s_nop 0
	v_cndmask_b32_e32 v14, 0, v29, vcc
	v_cmp_gt_i32_e32 vcc, s33, v42
	s_nop 1
	v_cndmask_b32_e32 v23, 0, v28, vcc
	v_cmp_gt_i32_e32 vcc, s27, v41
	;; [unrolled: 3-line block ×3, first 2 shown]
	v_or_b32_e32 v31, v25, v14
	s_nop 0
	v_cndmask_b32_e32 v22, 0, v22, vcc
	v_or_b32_e32 v30, v22, v23
.LBB269_966:                            ;   in Loop: Header=BB269_616 Depth=1
	s_or_b64 exec, exec, s[12:13]
	;;#ASMSTART
	v_pk_mul_f16 v1, v47, v1;

	;;#ASMEND
	;;#ASMSTART
	v_pk_mul_f16 v14, v46, v24;

	;;#ASMEND
	;;#ASMSTART
	v_pk_mul_f16 v22, v45, v31;

	;;#ASMEND
	;;#ASMSTART
	v_pk_mul_f16 v23, v44, v30;

	;;#ASMEND
	s_nop 0
	;;#ASMSTART
	v_pk_add_f16 v1, v1, v14;

	;;#ASMEND
	s_nop 0
	;;#ASMSTART
	v_pk_add_f16 v1, v1, v22;

	;;#ASMEND
	;; [unrolled: 5-line block ×3, first 2 shown]
	v_mov_b32_e32 v23, 0
	v_lshrrev_b32_e32 v14, 16, v1
	v_and_b32_e32 v1, 0xffff, v1
	;;#ASMSTART
	v_cvt_f32_f16 v63, v1;
	;;#ASMEND
	;;#ASMSTART
	v_cvt_f32_f16 v64, v14;
	;;#ASMEND
	global_load_dwordx2 v[24:25], v[20:21], off offset:3584
	v_mov_b32_e32 v1, 0
	global_load_dword v22, v1, s[10:11]
	s_waitcnt vmcnt(1)
	v_cmp_ne_u16_sdwa s[14:15], v24, v15 src0_sel:BYTE_0 src1_sel:DWORD
	s_and_saveexec_b64 s[12:13], s[14:15]
	s_cbranch_execz .LBB269_972
; %bb.967:                              ;   in Loop: Header=BB269_616 Depth=1
	v_cmp_ne_u16_sdwa s[22:23], v24, s24 src0_sel:BYTE_0 src1_sel:DWORD
	v_mov_b32_e32 v23, 0x8000
	s_and_saveexec_b64 s[14:15], s[22:23]
	s_cbranch_execz .LBB269_971
; %bb.968:                              ;   in Loop: Header=BB269_616 Depth=1
	v_and_b32_e32 v14, 0x7f, v24
	v_cmp_ne_u32_e32 vcc, s25, v14
	v_mov_b32_e32 v23, 0x7c01
	s_and_saveexec_b64 s[22:23], vcc
	s_cbranch_execz .LBB269_970
; %bb.969:                              ;   in Loop: Header=BB269_616 Depth=1
	v_and_b32_e32 v23, 7, v24
	v_ffbh_u32_e32 v26, v23
	v_min_u32_e32 v29, 32, v26
	v_subrev_u32_e32 v26, 28, v29
	v_lshlrev_b64 v[26:27], v26, v[24:25]
	v_lshrrev_b32_e32 v28, 3, v14
	v_sub_u32_e32 v27, 29, v29
	v_cmp_gt_u32_e32 vcc, 8, v14
	v_and_b32_e32 v26, 7, v26
	s_nop 0
	v_cndmask_b32_e32 v14, v28, v27, vcc
	v_lshl_add_u32 v14, v14, 10, v39
	v_lshlrev_b32_e32 v27, 8, v24
	v_and_b32_e32 v14, 0xfc00, v14
	v_cndmask_b32_e32 v23, v23, v26, vcc
	v_and_or_b32 v14, v27, s29, v14
	v_lshl_or_b32 v23, v23, 7, v14
.LBB269_970:                            ;   in Loop: Header=BB269_616 Depth=1
	s_or_b64 exec, exec, s[22:23]
.LBB269_971:                            ;   in Loop: Header=BB269_616 Depth=1
	s_or_b64 exec, exec, s[14:15]
.LBB269_972:                            ;   in Loop: Header=BB269_616 Depth=1
	s_or_b64 exec, exec, s[12:13]
	v_lshrrev_b16_e32 v14, 8, v24
	v_cmp_ne_u16_e32 vcc, 0, v14
	s_and_saveexec_b64 s[12:13], vcc
	s_cbranch_execz .LBB269_978
; %bb.973:                              ;   in Loop: Header=BB269_616 Depth=1
	v_cmp_ne_u16_e32 vcc, s24, v14
	v_bfrev_b32_e32 v1, 1
	s_and_saveexec_b64 s[14:15], vcc
	s_cbranch_execz .LBB269_977
; %bb.974:                              ;   in Loop: Header=BB269_616 Depth=1
	v_and_b32_e32 v26, 0x7f, v14
	v_cmp_ne_u32_e32 vcc, s25, v26
	v_mov_b32_e32 v1, 0x7c010000
	s_and_saveexec_b64 s[22:23], vcc
	s_cbranch_execz .LBB269_976
; %bb.975:                              ;   in Loop: Header=BB269_616 Depth=1
	v_and_b32_e32 v1, 7, v14
	v_ffbh_u32_e32 v28, v1
	v_min_u32_e32 v30, 32, v28
	v_subrev_u32_e32 v28, 28, v30
	v_lshlrev_b64 v[28:29], v28, v[14:15]
	v_lshrrev_b32_e32 v27, 3, v26
	v_sub_u32_e32 v29, 29, v30
	v_cmp_gt_u32_e32 vcc, 8, v26
	v_lshlrev_b32_e32 v14, 8, v14
	s_nop 0
	v_cndmask_b32_e32 v26, v27, v29, vcc
	v_lshl_add_u32 v26, v26, 10, v39
	v_and_b32_e32 v27, 7, v28
	v_and_or_b32 v14, v14, s29, v26
	v_cndmask_b32_e32 v1, v1, v27, vcc
	v_lshlrev_b32_e32 v14, 16, v14
	v_lshl_or_b32 v1, v1, 23, v14
.LBB269_976:                            ;   in Loop: Header=BB269_616 Depth=1
	s_or_b64 exec, exec, s[22:23]
.LBB269_977:                            ;   in Loop: Header=BB269_616 Depth=1
	s_or_b64 exec, exec, s[14:15]
.LBB269_978:                            ;   in Loop: Header=BB269_616 Depth=1
	s_or_b64 exec, exec, s[12:13]
	v_lshrrev_b32_e32 v14, 16, v24
	v_cmp_ne_u16_sdwa s[14:15], v14, v15 src0_sel:BYTE_0 src1_sel:DWORD
	v_mov_b32_e32 v27, 0
	v_mov_b32_e32 v26, 0
	s_and_saveexec_b64 s[12:13], s[14:15]
	s_cbranch_execz .LBB269_984
; %bb.979:                              ;   in Loop: Header=BB269_616 Depth=1
	v_cmp_ne_u16_sdwa s[22:23], v14, s24 src0_sel:BYTE_0 src1_sel:DWORD
	v_mov_b32_e32 v26, 0x8000
	s_and_saveexec_b64 s[14:15], s[22:23]
	s_cbranch_execz .LBB269_983
; %bb.980:                              ;   in Loop: Header=BB269_616 Depth=1
	v_bfe_u32 v28, v24, 16, 7
	v_cmp_ne_u32_e32 vcc, s25, v28
	v_mov_b32_e32 v26, 0x7c01
	s_and_saveexec_b64 s[22:23], vcc
	s_cbranch_execz .LBB269_982
; %bb.981:                              ;   in Loop: Header=BB269_616 Depth=1
	v_and_b32_e32 v26, 7, v14
	v_ffbh_u32_e32 v30, v26
	v_min_u32_e32 v65, 32, v30
	v_subrev_u32_e32 v30, 28, v65
	v_lshlrev_b64 v[30:31], v30, v[14:15]
	v_lshrrev_b32_e32 v29, 3, v28
	v_sub_u32_e32 v31, 29, v65
	v_cmp_gt_u32_e32 vcc, 8, v28
	v_lshlrev_b32_e32 v14, 8, v14
	s_nop 0
	v_cndmask_b32_e32 v28, v29, v31, vcc
	v_lshl_add_u32 v28, v28, 10, v39
	v_and_b32_e32 v29, 7, v30
	v_and_b32_e32 v28, 0xfc00, v28
	v_cndmask_b32_e32 v26, v26, v29, vcc
	v_and_or_b32 v14, v14, s29, v28
	v_lshl_or_b32 v26, v26, 7, v14
.LBB269_982:                            ;   in Loop: Header=BB269_616 Depth=1
	s_or_b64 exec, exec, s[22:23]
.LBB269_983:                            ;   in Loop: Header=BB269_616 Depth=1
	s_or_b64 exec, exec, s[14:15]
.LBB269_984:                            ;   in Loop: Header=BB269_616 Depth=1
	s_or_b64 exec, exec, s[12:13]
	v_cmp_lt_u32_e32 vcc, s7, v24
	s_and_saveexec_b64 s[12:13], vcc
	s_cbranch_execz .LBB269_990
; %bb.985:                              ;   in Loop: Header=BB269_616 Depth=1
	v_lshrrev_b32_e32 v14, 24, v24
	v_cmp_ne_u32_e32 vcc, s24, v14
	v_bfrev_b32_e32 v27, 1
	s_and_saveexec_b64 s[14:15], vcc
	s_cbranch_execz .LBB269_989
; %bb.986:                              ;   in Loop: Header=BB269_616 Depth=1
	v_and_b32_e32 v28, 0x7f, v14
	v_cmp_ne_u32_e32 vcc, s25, v28
	v_mov_b32_e32 v27, 0x7c010000
	s_and_saveexec_b64 s[22:23], vcc
	s_cbranch_execz .LBB269_988
; %bb.987:                              ;   in Loop: Header=BB269_616 Depth=1
	v_and_b32_e32 v27, 7, v14
	v_ffbh_u32_e32 v30, v27
	v_min_u32_e32 v65, 32, v30
	v_subrev_u32_e32 v30, 28, v65
	v_lshlrev_b64 v[30:31], v30, v[14:15]
	v_lshrrev_b32_e32 v29, 3, v28
	v_sub_u32_e32 v31, 29, v65
	v_cmp_gt_u32_e32 vcc, 8, v28
	v_lshlrev_b32_e32 v14, 8, v14
	s_nop 0
	v_cndmask_b32_e32 v28, v29, v31, vcc
	v_lshl_add_u32 v28, v28, 10, v39
	v_and_b32_e32 v29, 7, v30
	v_and_or_b32 v14, v14, s29, v28
	v_cndmask_b32_e32 v27, v27, v29, vcc
	v_lshlrev_b32_e32 v14, 16, v14
	v_lshl_or_b32 v27, v27, 23, v14
.LBB269_988:                            ;   in Loop: Header=BB269_616 Depth=1
	s_or_b64 exec, exec, s[22:23]
.LBB269_989:                            ;   in Loop: Header=BB269_616 Depth=1
	s_or_b64 exec, exec, s[14:15]
.LBB269_990:                            ;   in Loop: Header=BB269_616 Depth=1
	s_or_b64 exec, exec, s[12:13]
	v_mov_b32_e32 v14, v25
	v_cmp_ne_u16_sdwa s[14:15], v25, v15 src0_sel:BYTE_0 src1_sel:DWORD
	v_mov_b32_e32 v28, 0
	v_mov_b32_e32 v29, 0
	s_and_saveexec_b64 s[12:13], s[14:15]
	s_cbranch_execz .LBB269_996
; %bb.991:                              ;   in Loop: Header=BB269_616 Depth=1
	v_cmp_ne_u16_sdwa s[22:23], v25, s24 src0_sel:BYTE_0 src1_sel:DWORD
	v_mov_b32_e32 v29, 0x8000
	s_and_saveexec_b64 s[14:15], s[22:23]
	s_cbranch_execz .LBB269_995
; %bb.992:                              ;   in Loop: Header=BB269_616 Depth=1
	v_and_b32_e32 v30, 0x7f, v25
	v_cmp_ne_u32_e32 vcc, s25, v30
	v_mov_b32_e32 v29, 0x7c01
	s_and_saveexec_b64 s[22:23], vcc
	s_cbranch_execz .LBB269_994
; %bb.993:                              ;   in Loop: Header=BB269_616 Depth=1
	v_and_b32_e32 v29, 7, v25
	v_ffbh_u32_e32 v65, v29
	v_min_u32_e32 v65, 32, v65
	v_lshrrev_b32_e32 v31, 3, v30
	v_subrev_u32_e32 v66, 28, v65
	v_sub_u32_e32 v65, 29, v65
	v_cmp_gt_u32_e32 vcc, 8, v30
	v_lshlrev_b64 v[66:67], v66, v[14:15]
	s_nop 0
	v_cndmask_b32_e32 v30, v31, v65, vcc
	v_lshl_add_u32 v30, v30, 10, v39
	v_lshlrev_b32_e32 v31, 8, v25
	v_and_b32_e32 v65, 7, v66
	v_and_b32_e32 v30, 0xfc00, v30
	v_cndmask_b32_e32 v29, v29, v65, vcc
	v_and_or_b32 v30, v31, s29, v30
	v_lshl_or_b32 v29, v29, 7, v30
.LBB269_994:                            ;   in Loop: Header=BB269_616 Depth=1
	s_or_b64 exec, exec, s[22:23]
.LBB269_995:                            ;   in Loop: Header=BB269_616 Depth=1
	s_or_b64 exec, exec, s[14:15]
.LBB269_996:                            ;   in Loop: Header=BB269_616 Depth=1
	s_or_b64 exec, exec, s[12:13]
	v_lshrrev_b16_e32 v14, 8, v14
	v_cmp_ne_u16_e32 vcc, 0, v14
	v_mov_b32_e32 v30, 0
	s_and_saveexec_b64 s[12:13], vcc
	s_cbranch_execz .LBB269_1002
; %bb.997:                              ;   in Loop: Header=BB269_616 Depth=1
	v_cmp_ne_u16_e32 vcc, s24, v14
	v_bfrev_b32_e32 v30, 1
	s_and_saveexec_b64 s[14:15], vcc
	s_cbranch_execz .LBB269_1001
; %bb.998:                              ;   in Loop: Header=BB269_616 Depth=1
	v_and_b32_e32 v31, 0x7f, v14
	v_cmp_ne_u32_e32 vcc, s25, v31
	v_mov_b32_e32 v30, 0x7c010000
	s_and_saveexec_b64 s[22:23], vcc
	s_cbranch_execz .LBB269_1000
; %bb.999:                              ;   in Loop: Header=BB269_616 Depth=1
	v_and_b32_e32 v30, 7, v14
	v_ffbh_u32_e32 v66, v30
	v_min_u32_e32 v68, 32, v66
	v_subrev_u32_e32 v66, 28, v68
	v_lshlrev_b64 v[66:67], v66, v[14:15]
	v_lshrrev_b32_e32 v65, 3, v31
	v_sub_u32_e32 v67, 29, v68
	v_cmp_gt_u32_e32 vcc, 8, v31
	v_lshlrev_b32_e32 v14, 8, v14
	s_nop 0
	v_cndmask_b32_e32 v31, v65, v67, vcc
	v_lshl_add_u32 v31, v31, 10, v39
	v_and_b32_e32 v65, 7, v66
	v_and_or_b32 v14, v14, s29, v31
	v_cndmask_b32_e32 v30, v30, v65, vcc
	v_lshlrev_b32_e32 v14, 16, v14
	v_lshl_or_b32 v30, v30, 23, v14
.LBB269_1000:                           ;   in Loop: Header=BB269_616 Depth=1
	s_or_b64 exec, exec, s[22:23]
.LBB269_1001:                           ;   in Loop: Header=BB269_616 Depth=1
	s_or_b64 exec, exec, s[14:15]
.LBB269_1002:                           ;   in Loop: Header=BB269_616 Depth=1
	s_or_b64 exec, exec, s[12:13]
	v_lshrrev_b32_e32 v14, 16, v25
	v_cmp_ne_u16_sdwa s[14:15], v14, v15 src0_sel:BYTE_0 src1_sel:DWORD
	s_and_saveexec_b64 s[12:13], s[14:15]
	s_cbranch_execz .LBB269_1008
; %bb.1003:                             ;   in Loop: Header=BB269_616 Depth=1
	v_cmp_ne_u16_sdwa s[22:23], v14, s24 src0_sel:BYTE_0 src1_sel:DWORD
	v_mov_b32_e32 v28, 0x8000
	s_and_saveexec_b64 s[14:15], s[22:23]
	s_cbranch_execz .LBB269_1007
; %bb.1004:                             ;   in Loop: Header=BB269_616 Depth=1
	v_bfe_u32 v31, v25, 16, 7
	v_cmp_ne_u32_e32 vcc, s25, v31
	v_mov_b32_e32 v28, 0x7c01
	s_and_saveexec_b64 s[22:23], vcc
	s_cbranch_execz .LBB269_1006
; %bb.1005:                             ;   in Loop: Header=BB269_616 Depth=1
	v_and_b32_e32 v28, 7, v14
	v_ffbh_u32_e32 v66, v28
	v_min_u32_e32 v68, 32, v66
	v_subrev_u32_e32 v66, 28, v68
	v_lshlrev_b64 v[66:67], v66, v[14:15]
	v_lshrrev_b32_e32 v65, 3, v31
	v_sub_u32_e32 v67, 29, v68
	v_cmp_gt_u32_e32 vcc, 8, v31
	v_lshlrev_b32_e32 v14, 8, v14
	s_nop 0
	v_cndmask_b32_e32 v31, v65, v67, vcc
	v_lshl_add_u32 v31, v31, 10, v39
	v_and_b32_e32 v65, 7, v66
	v_and_b32_e32 v31, 0xfc00, v31
	v_cndmask_b32_e32 v28, v28, v65, vcc
	v_and_or_b32 v14, v14, s29, v31
	v_lshl_or_b32 v28, v28, 7, v14
.LBB269_1006:                           ;   in Loop: Header=BB269_616 Depth=1
	s_or_b64 exec, exec, s[22:23]
.LBB269_1007:                           ;   in Loop: Header=BB269_616 Depth=1
	s_or_b64 exec, exec, s[14:15]
.LBB269_1008:                           ;   in Loop: Header=BB269_616 Depth=1
	s_or_b64 exec, exec, s[12:13]
	v_cmp_lt_u64_e32 vcc, s[6:7], v[24:25]
	v_mov_b32_e32 v24, 0
	s_and_saveexec_b64 s[12:13], vcc
	s_cbranch_execz .LBB269_1014
; %bb.1009:                             ;   in Loop: Header=BB269_616 Depth=1
	v_lshrrev_b32_e32 v14, 24, v25
	v_cmp_ne_u32_e32 vcc, s24, v14
	v_bfrev_b32_e32 v24, 1
	s_and_saveexec_b64 s[14:15], vcc
	s_cbranch_execz .LBB269_1013
; %bb.1010:                             ;   in Loop: Header=BB269_616 Depth=1
	v_and_b32_e32 v25, 0x7f, v14
	v_cmp_ne_u32_e32 vcc, s25, v25
	v_mov_b32_e32 v24, 0x7c010000
	s_and_saveexec_b64 s[22:23], vcc
	s_cbranch_execz .LBB269_1012
; %bb.1011:                             ;   in Loop: Header=BB269_616 Depth=1
	v_and_b32_e32 v24, 7, v14
	v_ffbh_u32_e32 v65, v24
	v_min_u32_e32 v65, 32, v65
	v_lshrrev_b32_e32 v31, 3, v25
	v_subrev_u32_e32 v66, 28, v65
	v_sub_u32_e32 v65, 29, v65
	v_cmp_gt_u32_e32 vcc, 8, v25
	v_lshlrev_b64 v[66:67], v66, v[14:15]
	v_lshlrev_b32_e32 v14, 8, v14
	v_cndmask_b32_e32 v25, v31, v65, vcc
	v_lshl_add_u32 v25, v25, 10, v39
	v_and_b32_e32 v31, 7, v66
	v_and_or_b32 v14, v14, s29, v25
	v_cndmask_b32_e32 v24, v24, v31, vcc
	v_lshlrev_b32_e32 v14, 16, v14
	v_lshl_or_b32 v24, v24, 23, v14
.LBB269_1012:                           ;   in Loop: Header=BB269_616 Depth=1
	s_or_b64 exec, exec, s[22:23]
.LBB269_1013:                           ;   in Loop: Header=BB269_616 Depth=1
	s_or_b64 exec, exec, s[14:15]
.LBB269_1014:                           ;   in Loop: Header=BB269_616 Depth=1
	s_or_b64 exec, exec, s[12:13]
	v_cvt_f32_f16_sdwa v67, v1 dst_sel:DWORD dst_unused:UNUSED_PAD src0_sel:WORD_1
	v_cvt_f32_f16_sdwa v66, v27 dst_sel:DWORD dst_unused:UNUSED_PAD src0_sel:WORD_1
	v_or_b32_e32 v1, v1, v23
	v_or_b32_e32 v14, v27, v26
	;; [unrolled: 1-line block ×3, first 2 shown]
	s_waitcnt vmcnt(0)
	v_pk_mul_f32 v[26:27], v[22:23], v[66:67] op_sel_hi:[0,1]
	v_cvt_f32_f16_e32 v66, v14
	v_cvt_f32_f16_e32 v67, v1
	v_cvt_pk_f16_f32 v1, v26, v27
	v_and_b32_e32 v23, 0xffff0000, v1
	v_lshlrev_b32_e32 v14, 16, v1
	v_pk_mul_f32 v[26:27], v[22:23], v[66:67] op_sel_hi:[0,1]
	v_cvt_pk_f16_f32 v1, v26, v27
	v_or_b32_e32 v27, v30, v29
	v_cvt_f32_f16_e32 v28, v28
	v_cvt_f32_f16_e32 v29, v27
	v_cvt_f32_f16_sdwa v31, v30 dst_sel:DWORD dst_unused:UNUSED_PAD src0_sel:WORD_1
	v_cvt_f32_f16_sdwa v30, v24 dst_sel:DWORD dst_unused:UNUSED_PAD src0_sel:WORD_1
	v_lshrrev_b32_e32 v25, 16, v1
	v_pk_mul_f32 v[28:29], v[22:23], v[28:29] op_sel_hi:[0,1]
	v_cvt_pk_f16_f32 v65, v28, v29
	v_pk_mul_f32 v[28:29], v[22:23], v[30:31] op_sel_hi:[0,1]
	v_cvt_pk_f16_f32 v22, v28, v29
	v_and_b32_e32 v26, 0xffff, v1
	v_and_b32_e32 v27, 0xffff0000, v22
	v_lshlrev_b32_e32 v22, 16, v22
	v_lshrrev_b32_e32 v29, 16, v65
	v_and_b32_e32 v28, 0xffff, v65
	v_or_b32_e32 v1, v23, v25
	v_or_b32_e32 v24, v14, v26
	;; [unrolled: 1-line block ×4, first 2 shown]
	s_and_saveexec_b64 s[12:13], s[0:1]
	s_cbranch_execz .LBB269_1016
; %bb.1015:                             ;   in Loop: Header=BB269_616 Depth=1
	v_cmp_gt_i32_e32 vcc, s27, v37
	s_nop 1
	v_cndmask_b32_e32 v1, 0, v25, vcc
	v_cmp_gt_i32_e32 vcc, s33, v50
	s_nop 1
	v_cndmask_b32_e32 v24, 0, v26, vcc
	;; [unrolled: 3-line block ×3, first 2 shown]
	v_cmp_gt_i32_e32 vcc, s33, v48
	v_or_b32_e32 v1, v23, v1
	s_nop 0
	v_cndmask_b32_e32 v14, 0, v14, vcc
	v_cmp_gt_i32_e32 vcc, s27, v43
	v_or_b32_e32 v24, v14, v24
	s_nop 0
	v_cndmask_b32_e32 v14, 0, v29, vcc
	v_cmp_gt_i32_e32 vcc, s33, v42
	s_nop 1
	v_cndmask_b32_e32 v23, 0, v28, vcc
	v_cmp_gt_i32_e32 vcc, s27, v41
	s_nop 1
	v_cndmask_b32_e32 v25, 0, v27, vcc
	v_cmp_gt_i32_e32 vcc, s33, v40
	v_or_b32_e32 v31, v25, v14
	s_nop 0
	v_cndmask_b32_e32 v22, 0, v22, vcc
	v_or_b32_e32 v30, v22, v23
.LBB269_1016:                           ;   in Loop: Header=BB269_616 Depth=1
	s_or_b64 exec, exec, s[12:13]
	;;#ASMSTART
	v_pk_mul_f16 v1, v47, v1;

	;;#ASMEND
	;;#ASMSTART
	v_pk_mul_f16 v14, v46, v24;

	;;#ASMEND
	;; [unrolled: 4-line block ×4, first 2 shown]
	s_nop 0
	;;#ASMSTART
	v_pk_add_f16 v1, v1, v14;

	;;#ASMEND
	s_nop 0
	;;#ASMSTART
	v_pk_add_f16 v1, v1, v22;

	;;#ASMEND
	v_add_co_u32_e32 v22, vcc, 0x1000, v20
	;;#ASMSTART
	v_pk_add_f16 v1, v1, v23;

	;;#ASMEND
	s_nop 0
	v_lshrrev_b32_e32 v14, 16, v1
	v_and_b32_e32 v1, 0xffff, v1
	v_addc_co_u32_e32 v23, vcc, 0, v21, vcc
	;;#ASMSTART
	v_cvt_f32_f16 v65, v1;
	;;#ASMEND
	;;#ASMSTART
	v_cvt_f32_f16 v66, v14;
	;;#ASMEND
	global_load_dwordx2 v[24:25], v[22:23], off
	v_mov_b32_e32 v1, 0
	global_load_dword v22, v1, s[10:11]
	v_mov_b32_e32 v23, 0
	s_waitcnt vmcnt(1)
	v_cmp_ne_u16_sdwa s[14:15], v24, v15 src0_sel:BYTE_0 src1_sel:DWORD
	s_and_saveexec_b64 s[12:13], s[14:15]
	s_cbranch_execz .LBB269_1022
; %bb.1017:                             ;   in Loop: Header=BB269_616 Depth=1
	v_cmp_ne_u16_sdwa s[22:23], v24, s24 src0_sel:BYTE_0 src1_sel:DWORD
	v_mov_b32_e32 v23, 0x8000
	s_and_saveexec_b64 s[14:15], s[22:23]
	s_cbranch_execz .LBB269_1021
; %bb.1018:                             ;   in Loop: Header=BB269_616 Depth=1
	v_and_b32_e32 v14, 0x7f, v24
	v_cmp_ne_u32_e32 vcc, s25, v14
	v_mov_b32_e32 v23, 0x7c01
	s_and_saveexec_b64 s[22:23], vcc
	s_cbranch_execz .LBB269_1020
; %bb.1019:                             ;   in Loop: Header=BB269_616 Depth=1
	v_and_b32_e32 v23, 7, v24
	v_ffbh_u32_e32 v26, v23
	v_min_u32_e32 v29, 32, v26
	v_subrev_u32_e32 v26, 28, v29
	v_lshlrev_b64 v[26:27], v26, v[24:25]
	v_lshrrev_b32_e32 v28, 3, v14
	v_sub_u32_e32 v27, 29, v29
	v_cmp_gt_u32_e32 vcc, 8, v14
	v_and_b32_e32 v26, 7, v26
	s_nop 0
	v_cndmask_b32_e32 v14, v28, v27, vcc
	v_lshl_add_u32 v14, v14, 10, v39
	v_lshlrev_b32_e32 v27, 8, v24
	v_and_b32_e32 v14, 0xfc00, v14
	v_cndmask_b32_e32 v23, v23, v26, vcc
	v_and_or_b32 v14, v27, s29, v14
	v_lshl_or_b32 v23, v23, 7, v14
.LBB269_1020:                           ;   in Loop: Header=BB269_616 Depth=1
	s_or_b64 exec, exec, s[22:23]
.LBB269_1021:                           ;   in Loop: Header=BB269_616 Depth=1
	s_or_b64 exec, exec, s[14:15]
.LBB269_1022:                           ;   in Loop: Header=BB269_616 Depth=1
	s_or_b64 exec, exec, s[12:13]
	v_lshrrev_b16_e32 v14, 8, v24
	v_cmp_ne_u16_e32 vcc, 0, v14
	s_and_saveexec_b64 s[12:13], vcc
	s_cbranch_execz .LBB269_1028
; %bb.1023:                             ;   in Loop: Header=BB269_616 Depth=1
	v_cmp_ne_u16_e32 vcc, s24, v14
	v_bfrev_b32_e32 v1, 1
	s_and_saveexec_b64 s[14:15], vcc
	s_cbranch_execz .LBB269_1027
; %bb.1024:                             ;   in Loop: Header=BB269_616 Depth=1
	v_and_b32_e32 v26, 0x7f, v14
	v_cmp_ne_u32_e32 vcc, s25, v26
	v_mov_b32_e32 v1, 0x7c010000
	s_and_saveexec_b64 s[22:23], vcc
	s_cbranch_execz .LBB269_1026
; %bb.1025:                             ;   in Loop: Header=BB269_616 Depth=1
	v_and_b32_e32 v1, 7, v14
	v_ffbh_u32_e32 v28, v1
	v_min_u32_e32 v30, 32, v28
	v_subrev_u32_e32 v28, 28, v30
	v_lshlrev_b64 v[28:29], v28, v[14:15]
	v_lshrrev_b32_e32 v27, 3, v26
	v_sub_u32_e32 v29, 29, v30
	v_cmp_gt_u32_e32 vcc, 8, v26
	v_lshlrev_b32_e32 v14, 8, v14
	s_nop 0
	v_cndmask_b32_e32 v26, v27, v29, vcc
	v_lshl_add_u32 v26, v26, 10, v39
	v_and_b32_e32 v27, 7, v28
	v_and_or_b32 v14, v14, s29, v26
	v_cndmask_b32_e32 v1, v1, v27, vcc
	v_lshlrev_b32_e32 v14, 16, v14
	v_lshl_or_b32 v1, v1, 23, v14
.LBB269_1026:                           ;   in Loop: Header=BB269_616 Depth=1
	s_or_b64 exec, exec, s[22:23]
.LBB269_1027:                           ;   in Loop: Header=BB269_616 Depth=1
	s_or_b64 exec, exec, s[14:15]
.LBB269_1028:                           ;   in Loop: Header=BB269_616 Depth=1
	s_or_b64 exec, exec, s[12:13]
	v_lshrrev_b32_e32 v14, 16, v24
	v_cmp_ne_u16_sdwa s[14:15], v14, v15 src0_sel:BYTE_0 src1_sel:DWORD
	v_mov_b32_e32 v27, 0
	v_mov_b32_e32 v26, 0
	s_and_saveexec_b64 s[12:13], s[14:15]
	s_cbranch_execz .LBB269_1034
; %bb.1029:                             ;   in Loop: Header=BB269_616 Depth=1
	v_cmp_ne_u16_sdwa s[22:23], v14, s24 src0_sel:BYTE_0 src1_sel:DWORD
	v_mov_b32_e32 v26, 0x8000
	s_and_saveexec_b64 s[14:15], s[22:23]
	s_cbranch_execz .LBB269_1033
; %bb.1030:                             ;   in Loop: Header=BB269_616 Depth=1
	v_bfe_u32 v28, v24, 16, 7
	v_cmp_ne_u32_e32 vcc, s25, v28
	v_mov_b32_e32 v26, 0x7c01
	s_and_saveexec_b64 s[22:23], vcc
	s_cbranch_execz .LBB269_1032
; %bb.1031:                             ;   in Loop: Header=BB269_616 Depth=1
	v_and_b32_e32 v26, 7, v14
	v_ffbh_u32_e32 v30, v26
	v_min_u32_e32 v67, 32, v30
	v_subrev_u32_e32 v30, 28, v67
	v_lshlrev_b64 v[30:31], v30, v[14:15]
	v_lshrrev_b32_e32 v29, 3, v28
	v_sub_u32_e32 v31, 29, v67
	v_cmp_gt_u32_e32 vcc, 8, v28
	v_lshlrev_b32_e32 v14, 8, v14
	s_nop 0
	v_cndmask_b32_e32 v28, v29, v31, vcc
	v_lshl_add_u32 v28, v28, 10, v39
	v_and_b32_e32 v29, 7, v30
	v_and_b32_e32 v28, 0xfc00, v28
	v_cndmask_b32_e32 v26, v26, v29, vcc
	v_and_or_b32 v14, v14, s29, v28
	v_lshl_or_b32 v26, v26, 7, v14
.LBB269_1032:                           ;   in Loop: Header=BB269_616 Depth=1
	s_or_b64 exec, exec, s[22:23]
.LBB269_1033:                           ;   in Loop: Header=BB269_616 Depth=1
	s_or_b64 exec, exec, s[14:15]
.LBB269_1034:                           ;   in Loop: Header=BB269_616 Depth=1
	s_or_b64 exec, exec, s[12:13]
	v_cmp_lt_u32_e32 vcc, s7, v24
	s_and_saveexec_b64 s[12:13], vcc
	s_cbranch_execz .LBB269_1040
; %bb.1035:                             ;   in Loop: Header=BB269_616 Depth=1
	v_lshrrev_b32_e32 v14, 24, v24
	v_cmp_ne_u32_e32 vcc, s24, v14
	v_bfrev_b32_e32 v27, 1
	s_and_saveexec_b64 s[14:15], vcc
	s_cbranch_execz .LBB269_1039
; %bb.1036:                             ;   in Loop: Header=BB269_616 Depth=1
	v_and_b32_e32 v28, 0x7f, v14
	v_cmp_ne_u32_e32 vcc, s25, v28
	v_mov_b32_e32 v27, 0x7c010000
	s_and_saveexec_b64 s[22:23], vcc
	s_cbranch_execz .LBB269_1038
; %bb.1037:                             ;   in Loop: Header=BB269_616 Depth=1
	v_and_b32_e32 v27, 7, v14
	v_ffbh_u32_e32 v30, v27
	v_min_u32_e32 v67, 32, v30
	v_subrev_u32_e32 v30, 28, v67
	v_lshlrev_b64 v[30:31], v30, v[14:15]
	v_lshrrev_b32_e32 v29, 3, v28
	v_sub_u32_e32 v31, 29, v67
	v_cmp_gt_u32_e32 vcc, 8, v28
	v_lshlrev_b32_e32 v14, 8, v14
	s_nop 0
	v_cndmask_b32_e32 v28, v29, v31, vcc
	v_lshl_add_u32 v28, v28, 10, v39
	v_and_b32_e32 v29, 7, v30
	v_and_or_b32 v14, v14, s29, v28
	v_cndmask_b32_e32 v27, v27, v29, vcc
	v_lshlrev_b32_e32 v14, 16, v14
	v_lshl_or_b32 v27, v27, 23, v14
.LBB269_1038:                           ;   in Loop: Header=BB269_616 Depth=1
	s_or_b64 exec, exec, s[22:23]
.LBB269_1039:                           ;   in Loop: Header=BB269_616 Depth=1
	s_or_b64 exec, exec, s[14:15]
.LBB269_1040:                           ;   in Loop: Header=BB269_616 Depth=1
	s_or_b64 exec, exec, s[12:13]
	v_mov_b32_e32 v14, v25
	v_cmp_ne_u16_sdwa s[14:15], v25, v15 src0_sel:BYTE_0 src1_sel:DWORD
	v_mov_b32_e32 v28, 0
	v_mov_b32_e32 v29, 0
	s_and_saveexec_b64 s[12:13], s[14:15]
	s_cbranch_execz .LBB269_1046
; %bb.1041:                             ;   in Loop: Header=BB269_616 Depth=1
	v_cmp_ne_u16_sdwa s[22:23], v25, s24 src0_sel:BYTE_0 src1_sel:DWORD
	v_mov_b32_e32 v29, 0x8000
	s_and_saveexec_b64 s[14:15], s[22:23]
	s_cbranch_execz .LBB269_1045
; %bb.1042:                             ;   in Loop: Header=BB269_616 Depth=1
	v_and_b32_e32 v30, 0x7f, v25
	v_cmp_ne_u32_e32 vcc, s25, v30
	v_mov_b32_e32 v29, 0x7c01
	s_and_saveexec_b64 s[22:23], vcc
	s_cbranch_execz .LBB269_1044
; %bb.1043:                             ;   in Loop: Header=BB269_616 Depth=1
	v_and_b32_e32 v29, 7, v25
	v_ffbh_u32_e32 v67, v29
	v_min_u32_e32 v67, 32, v67
	v_lshrrev_b32_e32 v31, 3, v30
	v_subrev_u32_e32 v68, 28, v67
	v_sub_u32_e32 v67, 29, v67
	v_cmp_gt_u32_e32 vcc, 8, v30
	v_lshlrev_b64 v[68:69], v68, v[14:15]
	s_nop 0
	v_cndmask_b32_e32 v30, v31, v67, vcc
	v_lshl_add_u32 v30, v30, 10, v39
	v_lshlrev_b32_e32 v31, 8, v25
	v_and_b32_e32 v67, 7, v68
	v_and_b32_e32 v30, 0xfc00, v30
	v_cndmask_b32_e32 v29, v29, v67, vcc
	v_and_or_b32 v30, v31, s29, v30
	v_lshl_or_b32 v29, v29, 7, v30
.LBB269_1044:                           ;   in Loop: Header=BB269_616 Depth=1
	s_or_b64 exec, exec, s[22:23]
.LBB269_1045:                           ;   in Loop: Header=BB269_616 Depth=1
	s_or_b64 exec, exec, s[14:15]
.LBB269_1046:                           ;   in Loop: Header=BB269_616 Depth=1
	s_or_b64 exec, exec, s[12:13]
	v_lshrrev_b16_e32 v14, 8, v14
	v_cmp_ne_u16_e32 vcc, 0, v14
	v_mov_b32_e32 v30, 0
	s_and_saveexec_b64 s[12:13], vcc
	s_cbranch_execz .LBB269_1052
; %bb.1047:                             ;   in Loop: Header=BB269_616 Depth=1
	v_cmp_ne_u16_e32 vcc, s24, v14
	v_bfrev_b32_e32 v30, 1
	s_and_saveexec_b64 s[14:15], vcc
	s_cbranch_execz .LBB269_1051
; %bb.1048:                             ;   in Loop: Header=BB269_616 Depth=1
	v_and_b32_e32 v31, 0x7f, v14
	v_cmp_ne_u32_e32 vcc, s25, v31
	v_mov_b32_e32 v30, 0x7c010000
	s_and_saveexec_b64 s[22:23], vcc
	s_cbranch_execz .LBB269_1050
; %bb.1049:                             ;   in Loop: Header=BB269_616 Depth=1
	v_and_b32_e32 v30, 7, v14
	v_ffbh_u32_e32 v68, v30
	v_min_u32_e32 v70, 32, v68
	v_subrev_u32_e32 v68, 28, v70
	v_lshlrev_b64 v[68:69], v68, v[14:15]
	v_lshrrev_b32_e32 v67, 3, v31
	v_sub_u32_e32 v69, 29, v70
	v_cmp_gt_u32_e32 vcc, 8, v31
	v_lshlrev_b32_e32 v14, 8, v14
	s_nop 0
	v_cndmask_b32_e32 v31, v67, v69, vcc
	v_lshl_add_u32 v31, v31, 10, v39
	v_and_b32_e32 v67, 7, v68
	v_and_or_b32 v14, v14, s29, v31
	v_cndmask_b32_e32 v30, v30, v67, vcc
	v_lshlrev_b32_e32 v14, 16, v14
	v_lshl_or_b32 v30, v30, 23, v14
.LBB269_1050:                           ;   in Loop: Header=BB269_616 Depth=1
	s_or_b64 exec, exec, s[22:23]
.LBB269_1051:                           ;   in Loop: Header=BB269_616 Depth=1
	s_or_b64 exec, exec, s[14:15]
.LBB269_1052:                           ;   in Loop: Header=BB269_616 Depth=1
	s_or_b64 exec, exec, s[12:13]
	v_lshrrev_b32_e32 v14, 16, v25
	v_cmp_ne_u16_sdwa s[14:15], v14, v15 src0_sel:BYTE_0 src1_sel:DWORD
	s_and_saveexec_b64 s[12:13], s[14:15]
	s_cbranch_execz .LBB269_1058
; %bb.1053:                             ;   in Loop: Header=BB269_616 Depth=1
	v_cmp_ne_u16_sdwa s[22:23], v14, s24 src0_sel:BYTE_0 src1_sel:DWORD
	v_mov_b32_e32 v28, 0x8000
	s_and_saveexec_b64 s[14:15], s[22:23]
	s_cbranch_execz .LBB269_1057
; %bb.1054:                             ;   in Loop: Header=BB269_616 Depth=1
	v_bfe_u32 v31, v25, 16, 7
	v_cmp_ne_u32_e32 vcc, s25, v31
	v_mov_b32_e32 v28, 0x7c01
	s_and_saveexec_b64 s[22:23], vcc
	s_cbranch_execz .LBB269_1056
; %bb.1055:                             ;   in Loop: Header=BB269_616 Depth=1
	v_and_b32_e32 v28, 7, v14
	v_ffbh_u32_e32 v68, v28
	v_min_u32_e32 v70, 32, v68
	v_subrev_u32_e32 v68, 28, v70
	v_lshlrev_b64 v[68:69], v68, v[14:15]
	v_lshrrev_b32_e32 v67, 3, v31
	v_sub_u32_e32 v69, 29, v70
	v_cmp_gt_u32_e32 vcc, 8, v31
	v_lshlrev_b32_e32 v14, 8, v14
	s_nop 0
	v_cndmask_b32_e32 v31, v67, v69, vcc
	v_lshl_add_u32 v31, v31, 10, v39
	v_and_b32_e32 v67, 7, v68
	v_and_b32_e32 v31, 0xfc00, v31
	v_cndmask_b32_e32 v28, v28, v67, vcc
	v_and_or_b32 v14, v14, s29, v31
	v_lshl_or_b32 v28, v28, 7, v14
.LBB269_1056:                           ;   in Loop: Header=BB269_616 Depth=1
	s_or_b64 exec, exec, s[22:23]
.LBB269_1057:                           ;   in Loop: Header=BB269_616 Depth=1
	s_or_b64 exec, exec, s[14:15]
.LBB269_1058:                           ;   in Loop: Header=BB269_616 Depth=1
	s_or_b64 exec, exec, s[12:13]
	v_cmp_lt_u64_e32 vcc, s[6:7], v[24:25]
	v_mov_b32_e32 v24, 0
	s_and_saveexec_b64 s[12:13], vcc
	s_cbranch_execz .LBB269_1064
; %bb.1059:                             ;   in Loop: Header=BB269_616 Depth=1
	v_lshrrev_b32_e32 v14, 24, v25
	v_cmp_ne_u32_e32 vcc, s24, v14
	v_bfrev_b32_e32 v24, 1
	s_and_saveexec_b64 s[14:15], vcc
	s_cbranch_execz .LBB269_1063
; %bb.1060:                             ;   in Loop: Header=BB269_616 Depth=1
	v_and_b32_e32 v25, 0x7f, v14
	v_cmp_ne_u32_e32 vcc, s25, v25
	v_mov_b32_e32 v24, 0x7c010000
	s_and_saveexec_b64 s[22:23], vcc
	s_cbranch_execz .LBB269_1062
; %bb.1061:                             ;   in Loop: Header=BB269_616 Depth=1
	v_and_b32_e32 v24, 7, v14
	v_ffbh_u32_e32 v67, v24
	v_min_u32_e32 v67, 32, v67
	v_lshrrev_b32_e32 v31, 3, v25
	v_subrev_u32_e32 v68, 28, v67
	v_sub_u32_e32 v67, 29, v67
	v_cmp_gt_u32_e32 vcc, 8, v25
	v_lshlrev_b64 v[68:69], v68, v[14:15]
	v_lshlrev_b32_e32 v14, 8, v14
	v_cndmask_b32_e32 v25, v31, v67, vcc
	v_lshl_add_u32 v25, v25, 10, v39
	v_and_b32_e32 v31, 7, v68
	v_and_or_b32 v14, v14, s29, v25
	v_cndmask_b32_e32 v24, v24, v31, vcc
	v_lshlrev_b32_e32 v14, 16, v14
	v_lshl_or_b32 v24, v24, 23, v14
.LBB269_1062:                           ;   in Loop: Header=BB269_616 Depth=1
	s_or_b64 exec, exec, s[22:23]
.LBB269_1063:                           ;   in Loop: Header=BB269_616 Depth=1
	s_or_b64 exec, exec, s[14:15]
.LBB269_1064:                           ;   in Loop: Header=BB269_616 Depth=1
	s_or_b64 exec, exec, s[12:13]
	v_cvt_f32_f16_sdwa v69, v1 dst_sel:DWORD dst_unused:UNUSED_PAD src0_sel:WORD_1
	v_cvt_f32_f16_sdwa v68, v27 dst_sel:DWORD dst_unused:UNUSED_PAD src0_sel:WORD_1
	v_or_b32_e32 v1, v1, v23
	v_or_b32_e32 v14, v27, v26
	;; [unrolled: 1-line block ×3, first 2 shown]
	s_waitcnt vmcnt(0)
	v_pk_mul_f32 v[26:27], v[22:23], v[68:69] op_sel_hi:[0,1]
	v_cvt_f32_f16_e32 v68, v14
	v_cvt_f32_f16_e32 v69, v1
	v_cvt_pk_f16_f32 v1, v26, v27
	v_and_b32_e32 v23, 0xffff0000, v1
	v_lshlrev_b32_e32 v14, 16, v1
	v_pk_mul_f32 v[26:27], v[22:23], v[68:69] op_sel_hi:[0,1]
	v_cvt_pk_f16_f32 v1, v26, v27
	v_or_b32_e32 v27, v30, v29
	v_cvt_f32_f16_e32 v28, v28
	v_cvt_f32_f16_e32 v29, v27
	v_cvt_f32_f16_sdwa v31, v30 dst_sel:DWORD dst_unused:UNUSED_PAD src0_sel:WORD_1
	v_cvt_f32_f16_sdwa v30, v24 dst_sel:DWORD dst_unused:UNUSED_PAD src0_sel:WORD_1
	v_lshrrev_b32_e32 v25, 16, v1
	v_pk_mul_f32 v[28:29], v[22:23], v[28:29] op_sel_hi:[0,1]
	v_cvt_pk_f16_f32 v67, v28, v29
	v_pk_mul_f32 v[28:29], v[22:23], v[30:31] op_sel_hi:[0,1]
	v_cvt_pk_f16_f32 v22, v28, v29
	v_and_b32_e32 v26, 0xffff, v1
	v_and_b32_e32 v27, 0xffff0000, v22
	v_lshlrev_b32_e32 v22, 16, v22
	v_lshrrev_b32_e32 v29, 16, v67
	v_and_b32_e32 v28, 0xffff, v67
	v_or_b32_e32 v1, v23, v25
	v_or_b32_e32 v24, v14, v26
	;; [unrolled: 1-line block ×4, first 2 shown]
	s_and_saveexec_b64 s[12:13], s[0:1]
	s_cbranch_execz .LBB269_1066
; %bb.1065:                             ;   in Loop: Header=BB269_616 Depth=1
	v_cmp_gt_i32_e32 vcc, s27, v37
	s_nop 1
	v_cndmask_b32_e32 v1, 0, v25, vcc
	v_cmp_gt_i32_e32 vcc, s33, v50
	s_nop 1
	v_cndmask_b32_e32 v24, 0, v26, vcc
	;; [unrolled: 3-line block ×3, first 2 shown]
	v_cmp_gt_i32_e32 vcc, s33, v48
	v_or_b32_e32 v1, v23, v1
	s_nop 0
	v_cndmask_b32_e32 v14, 0, v14, vcc
	v_cmp_gt_i32_e32 vcc, s27, v43
	v_or_b32_e32 v24, v14, v24
	s_nop 0
	v_cndmask_b32_e32 v14, 0, v29, vcc
	v_cmp_gt_i32_e32 vcc, s33, v42
	s_nop 1
	v_cndmask_b32_e32 v23, 0, v28, vcc
	v_cmp_gt_i32_e32 vcc, s27, v41
	;; [unrolled: 3-line block ×3, first 2 shown]
	v_or_b32_e32 v31, v25, v14
	s_nop 0
	v_cndmask_b32_e32 v22, 0, v22, vcc
	v_or_b32_e32 v30, v22, v23
.LBB269_1066:                           ;   in Loop: Header=BB269_616 Depth=1
	s_or_b64 exec, exec, s[12:13]
	;;#ASMSTART
	v_pk_mul_f16 v1, v47, v1;

	;;#ASMEND
	;;#ASMSTART
	v_pk_mul_f16 v14, v46, v24;

	;;#ASMEND
	;; [unrolled: 4-line block ×4, first 2 shown]
	s_nop 0
	;;#ASMSTART
	v_pk_add_f16 v1, v1, v14;

	;;#ASMEND
	s_nop 0
	;;#ASMSTART
	v_pk_add_f16 v1, v1, v22;

	;;#ASMEND
	v_add_co_u32_e32 v22, vcc, 0x1000, v20
	;;#ASMSTART
	v_pk_add_f16 v1, v1, v23;

	;;#ASMEND
	s_nop 0
	v_lshrrev_b32_e32 v14, 16, v1
	v_and_b32_e32 v1, 0xffff, v1
	v_addc_co_u32_e32 v23, vcc, 0, v21, vcc
	;;#ASMSTART
	v_cvt_f32_f16 v67, v1;
	;;#ASMEND
	;;#ASMSTART
	v_cvt_f32_f16 v68, v14;
	;;#ASMEND
	global_load_dwordx2 v[24:25], v[22:23], off offset:512
	v_mov_b32_e32 v1, 0
	global_load_dword v22, v1, s[10:11]
	v_mov_b32_e32 v23, 0
	s_waitcnt vmcnt(1)
	v_cmp_ne_u16_sdwa s[14:15], v24, v15 src0_sel:BYTE_0 src1_sel:DWORD
	s_and_saveexec_b64 s[12:13], s[14:15]
	s_cbranch_execz .LBB269_1072
; %bb.1067:                             ;   in Loop: Header=BB269_616 Depth=1
	v_cmp_ne_u16_sdwa s[22:23], v24, s24 src0_sel:BYTE_0 src1_sel:DWORD
	v_mov_b32_e32 v23, 0x8000
	s_and_saveexec_b64 s[14:15], s[22:23]
	s_cbranch_execz .LBB269_1071
; %bb.1068:                             ;   in Loop: Header=BB269_616 Depth=1
	v_and_b32_e32 v14, 0x7f, v24
	v_cmp_ne_u32_e32 vcc, s25, v14
	v_mov_b32_e32 v23, 0x7c01
	s_and_saveexec_b64 s[22:23], vcc
	s_cbranch_execz .LBB269_1070
; %bb.1069:                             ;   in Loop: Header=BB269_616 Depth=1
	v_and_b32_e32 v23, 7, v24
	v_ffbh_u32_e32 v26, v23
	v_min_u32_e32 v29, 32, v26
	v_subrev_u32_e32 v26, 28, v29
	v_lshlrev_b64 v[26:27], v26, v[24:25]
	v_lshrrev_b32_e32 v28, 3, v14
	v_sub_u32_e32 v27, 29, v29
	v_cmp_gt_u32_e32 vcc, 8, v14
	v_and_b32_e32 v26, 7, v26
	s_nop 0
	v_cndmask_b32_e32 v14, v28, v27, vcc
	v_lshl_add_u32 v14, v14, 10, v39
	v_lshlrev_b32_e32 v27, 8, v24
	v_and_b32_e32 v14, 0xfc00, v14
	v_cndmask_b32_e32 v23, v23, v26, vcc
	v_and_or_b32 v14, v27, s29, v14
	v_lshl_or_b32 v23, v23, 7, v14
.LBB269_1070:                           ;   in Loop: Header=BB269_616 Depth=1
	s_or_b64 exec, exec, s[22:23]
.LBB269_1071:                           ;   in Loop: Header=BB269_616 Depth=1
	s_or_b64 exec, exec, s[14:15]
.LBB269_1072:                           ;   in Loop: Header=BB269_616 Depth=1
	s_or_b64 exec, exec, s[12:13]
	v_lshrrev_b16_e32 v14, 8, v24
	v_cmp_ne_u16_e32 vcc, 0, v14
	s_and_saveexec_b64 s[12:13], vcc
	s_cbranch_execz .LBB269_1078
; %bb.1073:                             ;   in Loop: Header=BB269_616 Depth=1
	v_cmp_ne_u16_e32 vcc, s24, v14
	v_bfrev_b32_e32 v1, 1
	s_and_saveexec_b64 s[14:15], vcc
	s_cbranch_execz .LBB269_1077
; %bb.1074:                             ;   in Loop: Header=BB269_616 Depth=1
	v_and_b32_e32 v26, 0x7f, v14
	v_cmp_ne_u32_e32 vcc, s25, v26
	v_mov_b32_e32 v1, 0x7c010000
	s_and_saveexec_b64 s[22:23], vcc
	s_cbranch_execz .LBB269_1076
; %bb.1075:                             ;   in Loop: Header=BB269_616 Depth=1
	v_and_b32_e32 v1, 7, v14
	v_ffbh_u32_e32 v28, v1
	v_min_u32_e32 v30, 32, v28
	v_subrev_u32_e32 v28, 28, v30
	v_lshlrev_b64 v[28:29], v28, v[14:15]
	v_lshrrev_b32_e32 v27, 3, v26
	v_sub_u32_e32 v29, 29, v30
	v_cmp_gt_u32_e32 vcc, 8, v26
	v_lshlrev_b32_e32 v14, 8, v14
	s_nop 0
	v_cndmask_b32_e32 v26, v27, v29, vcc
	v_lshl_add_u32 v26, v26, 10, v39
	v_and_b32_e32 v27, 7, v28
	v_and_or_b32 v14, v14, s29, v26
	v_cndmask_b32_e32 v1, v1, v27, vcc
	v_lshlrev_b32_e32 v14, 16, v14
	v_lshl_or_b32 v1, v1, 23, v14
.LBB269_1076:                           ;   in Loop: Header=BB269_616 Depth=1
	s_or_b64 exec, exec, s[22:23]
.LBB269_1077:                           ;   in Loop: Header=BB269_616 Depth=1
	s_or_b64 exec, exec, s[14:15]
.LBB269_1078:                           ;   in Loop: Header=BB269_616 Depth=1
	s_or_b64 exec, exec, s[12:13]
	v_lshrrev_b32_e32 v14, 16, v24
	v_cmp_ne_u16_sdwa s[14:15], v14, v15 src0_sel:BYTE_0 src1_sel:DWORD
	v_mov_b32_e32 v27, 0
	v_mov_b32_e32 v26, 0
	s_and_saveexec_b64 s[12:13], s[14:15]
	s_cbranch_execz .LBB269_1084
; %bb.1079:                             ;   in Loop: Header=BB269_616 Depth=1
	v_cmp_ne_u16_sdwa s[22:23], v14, s24 src0_sel:BYTE_0 src1_sel:DWORD
	v_mov_b32_e32 v26, 0x8000
	s_and_saveexec_b64 s[14:15], s[22:23]
	s_cbranch_execz .LBB269_1083
; %bb.1080:                             ;   in Loop: Header=BB269_616 Depth=1
	v_bfe_u32 v28, v24, 16, 7
	v_cmp_ne_u32_e32 vcc, s25, v28
	v_mov_b32_e32 v26, 0x7c01
	s_and_saveexec_b64 s[22:23], vcc
	s_cbranch_execz .LBB269_1082
; %bb.1081:                             ;   in Loop: Header=BB269_616 Depth=1
	v_and_b32_e32 v26, 7, v14
	v_ffbh_u32_e32 v30, v26
	v_min_u32_e32 v69, 32, v30
	v_subrev_u32_e32 v30, 28, v69
	v_lshlrev_b64 v[30:31], v30, v[14:15]
	v_lshrrev_b32_e32 v29, 3, v28
	v_sub_u32_e32 v31, 29, v69
	v_cmp_gt_u32_e32 vcc, 8, v28
	v_lshlrev_b32_e32 v14, 8, v14
	s_nop 0
	v_cndmask_b32_e32 v28, v29, v31, vcc
	v_lshl_add_u32 v28, v28, 10, v39
	v_and_b32_e32 v29, 7, v30
	v_and_b32_e32 v28, 0xfc00, v28
	v_cndmask_b32_e32 v26, v26, v29, vcc
	v_and_or_b32 v14, v14, s29, v28
	v_lshl_or_b32 v26, v26, 7, v14
.LBB269_1082:                           ;   in Loop: Header=BB269_616 Depth=1
	s_or_b64 exec, exec, s[22:23]
.LBB269_1083:                           ;   in Loop: Header=BB269_616 Depth=1
	s_or_b64 exec, exec, s[14:15]
.LBB269_1084:                           ;   in Loop: Header=BB269_616 Depth=1
	s_or_b64 exec, exec, s[12:13]
	v_cmp_lt_u32_e32 vcc, s7, v24
	s_and_saveexec_b64 s[12:13], vcc
	s_cbranch_execz .LBB269_1090
; %bb.1085:                             ;   in Loop: Header=BB269_616 Depth=1
	v_lshrrev_b32_e32 v14, 24, v24
	v_cmp_ne_u32_e32 vcc, s24, v14
	v_bfrev_b32_e32 v27, 1
	s_and_saveexec_b64 s[14:15], vcc
	s_cbranch_execz .LBB269_1089
; %bb.1086:                             ;   in Loop: Header=BB269_616 Depth=1
	v_and_b32_e32 v28, 0x7f, v14
	v_cmp_ne_u32_e32 vcc, s25, v28
	v_mov_b32_e32 v27, 0x7c010000
	s_and_saveexec_b64 s[22:23], vcc
	s_cbranch_execz .LBB269_1088
; %bb.1087:                             ;   in Loop: Header=BB269_616 Depth=1
	v_and_b32_e32 v27, 7, v14
	v_ffbh_u32_e32 v30, v27
	v_min_u32_e32 v69, 32, v30
	v_subrev_u32_e32 v30, 28, v69
	v_lshlrev_b64 v[30:31], v30, v[14:15]
	v_lshrrev_b32_e32 v29, 3, v28
	v_sub_u32_e32 v31, 29, v69
	v_cmp_gt_u32_e32 vcc, 8, v28
	v_lshlrev_b32_e32 v14, 8, v14
	s_nop 0
	v_cndmask_b32_e32 v28, v29, v31, vcc
	v_lshl_add_u32 v28, v28, 10, v39
	v_and_b32_e32 v29, 7, v30
	v_and_or_b32 v14, v14, s29, v28
	v_cndmask_b32_e32 v27, v27, v29, vcc
	v_lshlrev_b32_e32 v14, 16, v14
	v_lshl_or_b32 v27, v27, 23, v14
.LBB269_1088:                           ;   in Loop: Header=BB269_616 Depth=1
	s_or_b64 exec, exec, s[22:23]
.LBB269_1089:                           ;   in Loop: Header=BB269_616 Depth=1
	s_or_b64 exec, exec, s[14:15]
.LBB269_1090:                           ;   in Loop: Header=BB269_616 Depth=1
	s_or_b64 exec, exec, s[12:13]
	v_mov_b32_e32 v14, v25
	v_cmp_ne_u16_sdwa s[14:15], v25, v15 src0_sel:BYTE_0 src1_sel:DWORD
	v_mov_b32_e32 v28, 0
	v_mov_b32_e32 v29, 0
	s_and_saveexec_b64 s[12:13], s[14:15]
	s_cbranch_execz .LBB269_1096
; %bb.1091:                             ;   in Loop: Header=BB269_616 Depth=1
	v_cmp_ne_u16_sdwa s[22:23], v25, s24 src0_sel:BYTE_0 src1_sel:DWORD
	v_mov_b32_e32 v29, 0x8000
	s_and_saveexec_b64 s[14:15], s[22:23]
	s_cbranch_execz .LBB269_1095
; %bb.1092:                             ;   in Loop: Header=BB269_616 Depth=1
	v_and_b32_e32 v30, 0x7f, v25
	v_cmp_ne_u32_e32 vcc, s25, v30
	v_mov_b32_e32 v29, 0x7c01
	s_and_saveexec_b64 s[22:23], vcc
	s_cbranch_execz .LBB269_1094
; %bb.1093:                             ;   in Loop: Header=BB269_616 Depth=1
	v_and_b32_e32 v29, 7, v25
	v_ffbh_u32_e32 v69, v29
	v_min_u32_e32 v69, 32, v69
	v_lshrrev_b32_e32 v31, 3, v30
	v_subrev_u32_e32 v70, 28, v69
	v_sub_u32_e32 v69, 29, v69
	v_cmp_gt_u32_e32 vcc, 8, v30
	v_lshlrev_b64 v[70:71], v70, v[14:15]
	s_nop 0
	v_cndmask_b32_e32 v30, v31, v69, vcc
	v_lshl_add_u32 v30, v30, 10, v39
	v_lshlrev_b32_e32 v31, 8, v25
	v_and_b32_e32 v69, 7, v70
	v_and_b32_e32 v30, 0xfc00, v30
	v_cndmask_b32_e32 v29, v29, v69, vcc
	v_and_or_b32 v30, v31, s29, v30
	v_lshl_or_b32 v29, v29, 7, v30
.LBB269_1094:                           ;   in Loop: Header=BB269_616 Depth=1
	s_or_b64 exec, exec, s[22:23]
.LBB269_1095:                           ;   in Loop: Header=BB269_616 Depth=1
	s_or_b64 exec, exec, s[14:15]
.LBB269_1096:                           ;   in Loop: Header=BB269_616 Depth=1
	s_or_b64 exec, exec, s[12:13]
	v_lshrrev_b16_e32 v14, 8, v14
	v_cmp_ne_u16_e32 vcc, 0, v14
	v_mov_b32_e32 v30, 0
	s_and_saveexec_b64 s[12:13], vcc
	s_cbranch_execz .LBB269_1102
; %bb.1097:                             ;   in Loop: Header=BB269_616 Depth=1
	v_cmp_ne_u16_e32 vcc, s24, v14
	v_bfrev_b32_e32 v30, 1
	s_and_saveexec_b64 s[14:15], vcc
	s_cbranch_execz .LBB269_1101
; %bb.1098:                             ;   in Loop: Header=BB269_616 Depth=1
	v_and_b32_e32 v31, 0x7f, v14
	v_cmp_ne_u32_e32 vcc, s25, v31
	v_mov_b32_e32 v30, 0x7c010000
	s_and_saveexec_b64 s[22:23], vcc
	s_cbranch_execz .LBB269_1100
; %bb.1099:                             ;   in Loop: Header=BB269_616 Depth=1
	v_and_b32_e32 v30, 7, v14
	v_ffbh_u32_e32 v70, v30
	v_min_u32_e32 v72, 32, v70
	v_subrev_u32_e32 v70, 28, v72
	v_lshlrev_b64 v[70:71], v70, v[14:15]
	v_lshrrev_b32_e32 v69, 3, v31
	v_sub_u32_e32 v71, 29, v72
	v_cmp_gt_u32_e32 vcc, 8, v31
	v_lshlrev_b32_e32 v14, 8, v14
	s_nop 0
	v_cndmask_b32_e32 v31, v69, v71, vcc
	v_lshl_add_u32 v31, v31, 10, v39
	v_and_b32_e32 v69, 7, v70
	v_and_or_b32 v14, v14, s29, v31
	v_cndmask_b32_e32 v30, v30, v69, vcc
	v_lshlrev_b32_e32 v14, 16, v14
	v_lshl_or_b32 v30, v30, 23, v14
.LBB269_1100:                           ;   in Loop: Header=BB269_616 Depth=1
	s_or_b64 exec, exec, s[22:23]
.LBB269_1101:                           ;   in Loop: Header=BB269_616 Depth=1
	s_or_b64 exec, exec, s[14:15]
.LBB269_1102:                           ;   in Loop: Header=BB269_616 Depth=1
	s_or_b64 exec, exec, s[12:13]
	v_lshrrev_b32_e32 v14, 16, v25
	v_cmp_ne_u16_sdwa s[14:15], v14, v15 src0_sel:BYTE_0 src1_sel:DWORD
	s_and_saveexec_b64 s[12:13], s[14:15]
	s_cbranch_execz .LBB269_1108
; %bb.1103:                             ;   in Loop: Header=BB269_616 Depth=1
	v_cmp_ne_u16_sdwa s[22:23], v14, s24 src0_sel:BYTE_0 src1_sel:DWORD
	v_mov_b32_e32 v28, 0x8000
	s_and_saveexec_b64 s[14:15], s[22:23]
	s_cbranch_execz .LBB269_1107
; %bb.1104:                             ;   in Loop: Header=BB269_616 Depth=1
	v_bfe_u32 v31, v25, 16, 7
	v_cmp_ne_u32_e32 vcc, s25, v31
	v_mov_b32_e32 v28, 0x7c01
	s_and_saveexec_b64 s[22:23], vcc
	s_cbranch_execz .LBB269_1106
; %bb.1105:                             ;   in Loop: Header=BB269_616 Depth=1
	v_and_b32_e32 v28, 7, v14
	v_ffbh_u32_e32 v70, v28
	v_min_u32_e32 v72, 32, v70
	v_subrev_u32_e32 v70, 28, v72
	v_lshlrev_b64 v[70:71], v70, v[14:15]
	v_lshrrev_b32_e32 v69, 3, v31
	v_sub_u32_e32 v71, 29, v72
	v_cmp_gt_u32_e32 vcc, 8, v31
	v_lshlrev_b32_e32 v14, 8, v14
	s_nop 0
	v_cndmask_b32_e32 v31, v69, v71, vcc
	v_lshl_add_u32 v31, v31, 10, v39
	v_and_b32_e32 v69, 7, v70
	v_and_b32_e32 v31, 0xfc00, v31
	v_cndmask_b32_e32 v28, v28, v69, vcc
	v_and_or_b32 v14, v14, s29, v31
	v_lshl_or_b32 v28, v28, 7, v14
.LBB269_1106:                           ;   in Loop: Header=BB269_616 Depth=1
	s_or_b64 exec, exec, s[22:23]
.LBB269_1107:                           ;   in Loop: Header=BB269_616 Depth=1
	s_or_b64 exec, exec, s[14:15]
.LBB269_1108:                           ;   in Loop: Header=BB269_616 Depth=1
	s_or_b64 exec, exec, s[12:13]
	v_cmp_lt_u64_e32 vcc, s[6:7], v[24:25]
	v_mov_b32_e32 v24, 0
	s_and_saveexec_b64 s[12:13], vcc
	s_cbranch_execz .LBB269_1114
; %bb.1109:                             ;   in Loop: Header=BB269_616 Depth=1
	v_lshrrev_b32_e32 v14, 24, v25
	v_cmp_ne_u32_e32 vcc, s24, v14
	v_bfrev_b32_e32 v24, 1
	s_and_saveexec_b64 s[14:15], vcc
	s_cbranch_execz .LBB269_1113
; %bb.1110:                             ;   in Loop: Header=BB269_616 Depth=1
	v_and_b32_e32 v25, 0x7f, v14
	v_cmp_ne_u32_e32 vcc, s25, v25
	v_mov_b32_e32 v24, 0x7c010000
	s_and_saveexec_b64 s[22:23], vcc
	s_cbranch_execz .LBB269_1112
; %bb.1111:                             ;   in Loop: Header=BB269_616 Depth=1
	v_and_b32_e32 v24, 7, v14
	v_ffbh_u32_e32 v69, v24
	v_min_u32_e32 v69, 32, v69
	v_lshrrev_b32_e32 v31, 3, v25
	v_subrev_u32_e32 v70, 28, v69
	v_sub_u32_e32 v69, 29, v69
	v_cmp_gt_u32_e32 vcc, 8, v25
	v_lshlrev_b64 v[70:71], v70, v[14:15]
	v_lshlrev_b32_e32 v14, 8, v14
	v_cndmask_b32_e32 v25, v31, v69, vcc
	v_lshl_add_u32 v25, v25, 10, v39
	v_and_b32_e32 v31, 7, v70
	v_and_or_b32 v14, v14, s29, v25
	v_cndmask_b32_e32 v24, v24, v31, vcc
	v_lshlrev_b32_e32 v14, 16, v14
	v_lshl_or_b32 v24, v24, 23, v14
.LBB269_1112:                           ;   in Loop: Header=BB269_616 Depth=1
	s_or_b64 exec, exec, s[22:23]
.LBB269_1113:                           ;   in Loop: Header=BB269_616 Depth=1
	s_or_b64 exec, exec, s[14:15]
.LBB269_1114:                           ;   in Loop: Header=BB269_616 Depth=1
	s_or_b64 exec, exec, s[12:13]
	v_cvt_f32_f16_sdwa v71, v1 dst_sel:DWORD dst_unused:UNUSED_PAD src0_sel:WORD_1
	v_cvt_f32_f16_sdwa v70, v27 dst_sel:DWORD dst_unused:UNUSED_PAD src0_sel:WORD_1
	v_or_b32_e32 v1, v1, v23
	v_or_b32_e32 v14, v27, v26
	;; [unrolled: 1-line block ×3, first 2 shown]
	s_waitcnt vmcnt(0)
	v_pk_mul_f32 v[26:27], v[22:23], v[70:71] op_sel_hi:[0,1]
	v_cvt_f32_f16_e32 v70, v14
	v_cvt_f32_f16_e32 v71, v1
	v_cvt_pk_f16_f32 v1, v26, v27
	v_and_b32_e32 v23, 0xffff0000, v1
	v_lshlrev_b32_e32 v14, 16, v1
	v_pk_mul_f32 v[26:27], v[22:23], v[70:71] op_sel_hi:[0,1]
	v_cvt_pk_f16_f32 v1, v26, v27
	v_or_b32_e32 v27, v30, v29
	v_cvt_f32_f16_e32 v28, v28
	v_cvt_f32_f16_e32 v29, v27
	v_cvt_f32_f16_sdwa v31, v30 dst_sel:DWORD dst_unused:UNUSED_PAD src0_sel:WORD_1
	v_cvt_f32_f16_sdwa v30, v24 dst_sel:DWORD dst_unused:UNUSED_PAD src0_sel:WORD_1
	v_lshrrev_b32_e32 v25, 16, v1
	v_pk_mul_f32 v[28:29], v[22:23], v[28:29] op_sel_hi:[0,1]
	v_cvt_pk_f16_f32 v69, v28, v29
	v_pk_mul_f32 v[28:29], v[22:23], v[30:31] op_sel_hi:[0,1]
	v_cvt_pk_f16_f32 v22, v28, v29
	v_and_b32_e32 v26, 0xffff, v1
	v_and_b32_e32 v27, 0xffff0000, v22
	v_lshlrev_b32_e32 v22, 16, v22
	v_lshrrev_b32_e32 v29, 16, v69
	v_and_b32_e32 v28, 0xffff, v69
	v_or_b32_e32 v1, v23, v25
	v_or_b32_e32 v24, v14, v26
	;; [unrolled: 1-line block ×4, first 2 shown]
	s_and_saveexec_b64 s[12:13], s[0:1]
	s_cbranch_execz .LBB269_1116
; %bb.1115:                             ;   in Loop: Header=BB269_616 Depth=1
	v_cmp_gt_i32_e32 vcc, s27, v37
	s_nop 1
	v_cndmask_b32_e32 v1, 0, v25, vcc
	v_cmp_gt_i32_e32 vcc, s33, v50
	s_nop 1
	v_cndmask_b32_e32 v24, 0, v26, vcc
	;; [unrolled: 3-line block ×3, first 2 shown]
	v_cmp_gt_i32_e32 vcc, s33, v48
	v_or_b32_e32 v1, v23, v1
	s_nop 0
	v_cndmask_b32_e32 v14, 0, v14, vcc
	v_cmp_gt_i32_e32 vcc, s27, v43
	v_or_b32_e32 v24, v14, v24
	s_nop 0
	v_cndmask_b32_e32 v14, 0, v29, vcc
	v_cmp_gt_i32_e32 vcc, s33, v42
	s_nop 1
	v_cndmask_b32_e32 v23, 0, v28, vcc
	v_cmp_gt_i32_e32 vcc, s27, v41
	;; [unrolled: 3-line block ×3, first 2 shown]
	v_or_b32_e32 v31, v25, v14
	s_nop 0
	v_cndmask_b32_e32 v22, 0, v22, vcc
	v_or_b32_e32 v30, v22, v23
.LBB269_1116:                           ;   in Loop: Header=BB269_616 Depth=1
	s_or_b64 exec, exec, s[12:13]
	;;#ASMSTART
	v_pk_mul_f16 v1, v47, v1;

	;;#ASMEND
	;;#ASMSTART
	v_pk_mul_f16 v14, v46, v24;

	;;#ASMEND
	;; [unrolled: 4-line block ×4, first 2 shown]
	s_nop 0
	;;#ASMSTART
	v_pk_add_f16 v1, v1, v14;

	;;#ASMEND
	s_nop 0
	;;#ASMSTART
	v_pk_add_f16 v1, v1, v22;

	;;#ASMEND
	v_add_co_u32_e32 v22, vcc, 0x1000, v20
	;;#ASMSTART
	v_pk_add_f16 v1, v1, v23;

	;;#ASMEND
	s_nop 0
	v_lshrrev_b32_e32 v14, 16, v1
	v_and_b32_e32 v1, 0xffff, v1
	v_addc_co_u32_e32 v23, vcc, 0, v21, vcc
	;;#ASMSTART
	v_cvt_f32_f16 v69, v1;
	;;#ASMEND
	;;#ASMSTART
	v_cvt_f32_f16 v70, v14;
	;;#ASMEND
	global_load_dwordx2 v[24:25], v[22:23], off offset:1024
	v_mov_b32_e32 v1, 0
	global_load_dword v22, v1, s[10:11]
	v_mov_b32_e32 v23, 0
	s_waitcnt vmcnt(1)
	v_cmp_ne_u16_sdwa s[14:15], v24, v15 src0_sel:BYTE_0 src1_sel:DWORD
	s_and_saveexec_b64 s[12:13], s[14:15]
	s_cbranch_execz .LBB269_1122
; %bb.1117:                             ;   in Loop: Header=BB269_616 Depth=1
	v_cmp_ne_u16_sdwa s[22:23], v24, s24 src0_sel:BYTE_0 src1_sel:DWORD
	v_mov_b32_e32 v23, 0x8000
	s_and_saveexec_b64 s[14:15], s[22:23]
	s_cbranch_execz .LBB269_1121
; %bb.1118:                             ;   in Loop: Header=BB269_616 Depth=1
	v_and_b32_e32 v14, 0x7f, v24
	v_cmp_ne_u32_e32 vcc, s25, v14
	v_mov_b32_e32 v23, 0x7c01
	s_and_saveexec_b64 s[22:23], vcc
	s_cbranch_execz .LBB269_1120
; %bb.1119:                             ;   in Loop: Header=BB269_616 Depth=1
	v_and_b32_e32 v23, 7, v24
	v_ffbh_u32_e32 v26, v23
	v_min_u32_e32 v29, 32, v26
	v_subrev_u32_e32 v26, 28, v29
	v_lshlrev_b64 v[26:27], v26, v[24:25]
	v_lshrrev_b32_e32 v28, 3, v14
	v_sub_u32_e32 v27, 29, v29
	v_cmp_gt_u32_e32 vcc, 8, v14
	v_and_b32_e32 v26, 7, v26
	s_nop 0
	v_cndmask_b32_e32 v14, v28, v27, vcc
	v_lshl_add_u32 v14, v14, 10, v39
	v_lshlrev_b32_e32 v27, 8, v24
	v_and_b32_e32 v14, 0xfc00, v14
	v_cndmask_b32_e32 v23, v23, v26, vcc
	v_and_or_b32 v14, v27, s29, v14
	v_lshl_or_b32 v23, v23, 7, v14
.LBB269_1120:                           ;   in Loop: Header=BB269_616 Depth=1
	s_or_b64 exec, exec, s[22:23]
.LBB269_1121:                           ;   in Loop: Header=BB269_616 Depth=1
	s_or_b64 exec, exec, s[14:15]
.LBB269_1122:                           ;   in Loop: Header=BB269_616 Depth=1
	s_or_b64 exec, exec, s[12:13]
	v_lshrrev_b16_e32 v14, 8, v24
	v_cmp_ne_u16_e32 vcc, 0, v14
	s_and_saveexec_b64 s[12:13], vcc
	s_cbranch_execz .LBB269_1128
; %bb.1123:                             ;   in Loop: Header=BB269_616 Depth=1
	v_cmp_ne_u16_e32 vcc, s24, v14
	v_bfrev_b32_e32 v1, 1
	s_and_saveexec_b64 s[14:15], vcc
	s_cbranch_execz .LBB269_1127
; %bb.1124:                             ;   in Loop: Header=BB269_616 Depth=1
	v_and_b32_e32 v26, 0x7f, v14
	v_cmp_ne_u32_e32 vcc, s25, v26
	v_mov_b32_e32 v1, 0x7c010000
	s_and_saveexec_b64 s[22:23], vcc
	s_cbranch_execz .LBB269_1126
; %bb.1125:                             ;   in Loop: Header=BB269_616 Depth=1
	v_and_b32_e32 v1, 7, v14
	v_ffbh_u32_e32 v28, v1
	v_min_u32_e32 v30, 32, v28
	v_subrev_u32_e32 v28, 28, v30
	v_lshlrev_b64 v[28:29], v28, v[14:15]
	v_lshrrev_b32_e32 v27, 3, v26
	v_sub_u32_e32 v29, 29, v30
	v_cmp_gt_u32_e32 vcc, 8, v26
	v_lshlrev_b32_e32 v14, 8, v14
	s_nop 0
	v_cndmask_b32_e32 v26, v27, v29, vcc
	v_lshl_add_u32 v26, v26, 10, v39
	v_and_b32_e32 v27, 7, v28
	v_and_or_b32 v14, v14, s29, v26
	v_cndmask_b32_e32 v1, v1, v27, vcc
	v_lshlrev_b32_e32 v14, 16, v14
	v_lshl_or_b32 v1, v1, 23, v14
.LBB269_1126:                           ;   in Loop: Header=BB269_616 Depth=1
	s_or_b64 exec, exec, s[22:23]
.LBB269_1127:                           ;   in Loop: Header=BB269_616 Depth=1
	s_or_b64 exec, exec, s[14:15]
.LBB269_1128:                           ;   in Loop: Header=BB269_616 Depth=1
	s_or_b64 exec, exec, s[12:13]
	v_lshrrev_b32_e32 v14, 16, v24
	v_cmp_ne_u16_sdwa s[14:15], v14, v15 src0_sel:BYTE_0 src1_sel:DWORD
	v_mov_b32_e32 v27, 0
	v_mov_b32_e32 v26, 0
	s_and_saveexec_b64 s[12:13], s[14:15]
	s_cbranch_execz .LBB269_1134
; %bb.1129:                             ;   in Loop: Header=BB269_616 Depth=1
	v_cmp_ne_u16_sdwa s[22:23], v14, s24 src0_sel:BYTE_0 src1_sel:DWORD
	v_mov_b32_e32 v26, 0x8000
	s_and_saveexec_b64 s[14:15], s[22:23]
	s_cbranch_execz .LBB269_1133
; %bb.1130:                             ;   in Loop: Header=BB269_616 Depth=1
	v_bfe_u32 v28, v24, 16, 7
	v_cmp_ne_u32_e32 vcc, s25, v28
	v_mov_b32_e32 v26, 0x7c01
	s_and_saveexec_b64 s[22:23], vcc
	s_cbranch_execz .LBB269_1132
; %bb.1131:                             ;   in Loop: Header=BB269_616 Depth=1
	v_and_b32_e32 v26, 7, v14
	v_ffbh_u32_e32 v30, v26
	v_min_u32_e32 v71, 32, v30
	v_subrev_u32_e32 v30, 28, v71
	v_lshlrev_b64 v[30:31], v30, v[14:15]
	v_lshrrev_b32_e32 v29, 3, v28
	v_sub_u32_e32 v31, 29, v71
	v_cmp_gt_u32_e32 vcc, 8, v28
	v_lshlrev_b32_e32 v14, 8, v14
	s_nop 0
	v_cndmask_b32_e32 v28, v29, v31, vcc
	v_lshl_add_u32 v28, v28, 10, v39
	v_and_b32_e32 v29, 7, v30
	v_and_b32_e32 v28, 0xfc00, v28
	v_cndmask_b32_e32 v26, v26, v29, vcc
	v_and_or_b32 v14, v14, s29, v28
	v_lshl_or_b32 v26, v26, 7, v14
.LBB269_1132:                           ;   in Loop: Header=BB269_616 Depth=1
	s_or_b64 exec, exec, s[22:23]
.LBB269_1133:                           ;   in Loop: Header=BB269_616 Depth=1
	s_or_b64 exec, exec, s[14:15]
.LBB269_1134:                           ;   in Loop: Header=BB269_616 Depth=1
	s_or_b64 exec, exec, s[12:13]
	v_cmp_lt_u32_e32 vcc, s7, v24
	s_and_saveexec_b64 s[12:13], vcc
	s_cbranch_execz .LBB269_1140
; %bb.1135:                             ;   in Loop: Header=BB269_616 Depth=1
	v_lshrrev_b32_e32 v14, 24, v24
	v_cmp_ne_u32_e32 vcc, s24, v14
	v_bfrev_b32_e32 v27, 1
	s_and_saveexec_b64 s[14:15], vcc
	s_cbranch_execz .LBB269_1139
; %bb.1136:                             ;   in Loop: Header=BB269_616 Depth=1
	v_and_b32_e32 v28, 0x7f, v14
	v_cmp_ne_u32_e32 vcc, s25, v28
	v_mov_b32_e32 v27, 0x7c010000
	s_and_saveexec_b64 s[22:23], vcc
	s_cbranch_execz .LBB269_1138
; %bb.1137:                             ;   in Loop: Header=BB269_616 Depth=1
	v_and_b32_e32 v27, 7, v14
	v_ffbh_u32_e32 v30, v27
	v_min_u32_e32 v71, 32, v30
	v_subrev_u32_e32 v30, 28, v71
	v_lshlrev_b64 v[30:31], v30, v[14:15]
	v_lshrrev_b32_e32 v29, 3, v28
	v_sub_u32_e32 v31, 29, v71
	v_cmp_gt_u32_e32 vcc, 8, v28
	v_lshlrev_b32_e32 v14, 8, v14
	s_nop 0
	v_cndmask_b32_e32 v28, v29, v31, vcc
	v_lshl_add_u32 v28, v28, 10, v39
	v_and_b32_e32 v29, 7, v30
	v_and_or_b32 v14, v14, s29, v28
	v_cndmask_b32_e32 v27, v27, v29, vcc
	v_lshlrev_b32_e32 v14, 16, v14
	v_lshl_or_b32 v27, v27, 23, v14
.LBB269_1138:                           ;   in Loop: Header=BB269_616 Depth=1
	s_or_b64 exec, exec, s[22:23]
.LBB269_1139:                           ;   in Loop: Header=BB269_616 Depth=1
	s_or_b64 exec, exec, s[14:15]
.LBB269_1140:                           ;   in Loop: Header=BB269_616 Depth=1
	s_or_b64 exec, exec, s[12:13]
	v_mov_b32_e32 v14, v25
	v_cmp_ne_u16_sdwa s[14:15], v25, v15 src0_sel:BYTE_0 src1_sel:DWORD
	v_mov_b32_e32 v28, 0
	v_mov_b32_e32 v29, 0
	s_and_saveexec_b64 s[12:13], s[14:15]
	s_cbranch_execz .LBB269_1146
; %bb.1141:                             ;   in Loop: Header=BB269_616 Depth=1
	v_cmp_ne_u16_sdwa s[22:23], v25, s24 src0_sel:BYTE_0 src1_sel:DWORD
	v_mov_b32_e32 v29, 0x8000
	s_and_saveexec_b64 s[14:15], s[22:23]
	s_cbranch_execz .LBB269_1145
; %bb.1142:                             ;   in Loop: Header=BB269_616 Depth=1
	v_and_b32_e32 v30, 0x7f, v25
	v_cmp_ne_u32_e32 vcc, s25, v30
	v_mov_b32_e32 v29, 0x7c01
	s_and_saveexec_b64 s[22:23], vcc
	s_cbranch_execz .LBB269_1144
; %bb.1143:                             ;   in Loop: Header=BB269_616 Depth=1
	v_and_b32_e32 v29, 7, v25
	v_ffbh_u32_e32 v71, v29
	v_min_u32_e32 v71, 32, v71
	v_lshrrev_b32_e32 v31, 3, v30
	v_subrev_u32_e32 v72, 28, v71
	v_sub_u32_e32 v71, 29, v71
	v_cmp_gt_u32_e32 vcc, 8, v30
	v_lshlrev_b64 v[72:73], v72, v[14:15]
	s_nop 0
	v_cndmask_b32_e32 v30, v31, v71, vcc
	v_lshl_add_u32 v30, v30, 10, v39
	v_lshlrev_b32_e32 v31, 8, v25
	v_and_b32_e32 v71, 7, v72
	v_and_b32_e32 v30, 0xfc00, v30
	v_cndmask_b32_e32 v29, v29, v71, vcc
	v_and_or_b32 v30, v31, s29, v30
	v_lshl_or_b32 v29, v29, 7, v30
.LBB269_1144:                           ;   in Loop: Header=BB269_616 Depth=1
	s_or_b64 exec, exec, s[22:23]
.LBB269_1145:                           ;   in Loop: Header=BB269_616 Depth=1
	s_or_b64 exec, exec, s[14:15]
.LBB269_1146:                           ;   in Loop: Header=BB269_616 Depth=1
	s_or_b64 exec, exec, s[12:13]
	v_lshrrev_b16_e32 v14, 8, v14
	v_cmp_ne_u16_e32 vcc, 0, v14
	v_mov_b32_e32 v30, 0
	s_and_saveexec_b64 s[12:13], vcc
	s_cbranch_execz .LBB269_1152
; %bb.1147:                             ;   in Loop: Header=BB269_616 Depth=1
	v_cmp_ne_u16_e32 vcc, s24, v14
	v_bfrev_b32_e32 v30, 1
	s_and_saveexec_b64 s[14:15], vcc
	s_cbranch_execz .LBB269_1151
; %bb.1148:                             ;   in Loop: Header=BB269_616 Depth=1
	v_and_b32_e32 v31, 0x7f, v14
	v_cmp_ne_u32_e32 vcc, s25, v31
	v_mov_b32_e32 v30, 0x7c010000
	s_and_saveexec_b64 s[22:23], vcc
	s_cbranch_execz .LBB269_1150
; %bb.1149:                             ;   in Loop: Header=BB269_616 Depth=1
	v_and_b32_e32 v30, 7, v14
	v_ffbh_u32_e32 v72, v30
	v_min_u32_e32 v74, 32, v72
	v_subrev_u32_e32 v72, 28, v74
	v_lshlrev_b64 v[72:73], v72, v[14:15]
	v_lshrrev_b32_e32 v71, 3, v31
	v_sub_u32_e32 v73, 29, v74
	v_cmp_gt_u32_e32 vcc, 8, v31
	v_lshlrev_b32_e32 v14, 8, v14
	s_nop 0
	v_cndmask_b32_e32 v31, v71, v73, vcc
	v_lshl_add_u32 v31, v31, 10, v39
	v_and_b32_e32 v71, 7, v72
	v_and_or_b32 v14, v14, s29, v31
	v_cndmask_b32_e32 v30, v30, v71, vcc
	v_lshlrev_b32_e32 v14, 16, v14
	v_lshl_or_b32 v30, v30, 23, v14
.LBB269_1150:                           ;   in Loop: Header=BB269_616 Depth=1
	s_or_b64 exec, exec, s[22:23]
.LBB269_1151:                           ;   in Loop: Header=BB269_616 Depth=1
	s_or_b64 exec, exec, s[14:15]
.LBB269_1152:                           ;   in Loop: Header=BB269_616 Depth=1
	s_or_b64 exec, exec, s[12:13]
	v_lshrrev_b32_e32 v14, 16, v25
	v_cmp_ne_u16_sdwa s[14:15], v14, v15 src0_sel:BYTE_0 src1_sel:DWORD
	s_and_saveexec_b64 s[12:13], s[14:15]
	s_cbranch_execz .LBB269_1158
; %bb.1153:                             ;   in Loop: Header=BB269_616 Depth=1
	v_cmp_ne_u16_sdwa s[22:23], v14, s24 src0_sel:BYTE_0 src1_sel:DWORD
	v_mov_b32_e32 v28, 0x8000
	s_and_saveexec_b64 s[14:15], s[22:23]
	s_cbranch_execz .LBB269_1157
; %bb.1154:                             ;   in Loop: Header=BB269_616 Depth=1
	v_bfe_u32 v31, v25, 16, 7
	v_cmp_ne_u32_e32 vcc, s25, v31
	v_mov_b32_e32 v28, 0x7c01
	s_and_saveexec_b64 s[22:23], vcc
	s_cbranch_execz .LBB269_1156
; %bb.1155:                             ;   in Loop: Header=BB269_616 Depth=1
	v_and_b32_e32 v28, 7, v14
	v_ffbh_u32_e32 v72, v28
	v_min_u32_e32 v74, 32, v72
	v_subrev_u32_e32 v72, 28, v74
	v_lshlrev_b64 v[72:73], v72, v[14:15]
	v_lshrrev_b32_e32 v71, 3, v31
	v_sub_u32_e32 v73, 29, v74
	v_cmp_gt_u32_e32 vcc, 8, v31
	v_lshlrev_b32_e32 v14, 8, v14
	s_nop 0
	v_cndmask_b32_e32 v31, v71, v73, vcc
	v_lshl_add_u32 v31, v31, 10, v39
	v_and_b32_e32 v71, 7, v72
	v_and_b32_e32 v31, 0xfc00, v31
	v_cndmask_b32_e32 v28, v28, v71, vcc
	v_and_or_b32 v14, v14, s29, v31
	v_lshl_or_b32 v28, v28, 7, v14
.LBB269_1156:                           ;   in Loop: Header=BB269_616 Depth=1
	s_or_b64 exec, exec, s[22:23]
.LBB269_1157:                           ;   in Loop: Header=BB269_616 Depth=1
	s_or_b64 exec, exec, s[14:15]
.LBB269_1158:                           ;   in Loop: Header=BB269_616 Depth=1
	s_or_b64 exec, exec, s[12:13]
	v_cmp_lt_u64_e32 vcc, s[6:7], v[24:25]
	v_mov_b32_e32 v24, 0
	s_and_saveexec_b64 s[12:13], vcc
	s_cbranch_execz .LBB269_1164
; %bb.1159:                             ;   in Loop: Header=BB269_616 Depth=1
	v_lshrrev_b32_e32 v14, 24, v25
	v_cmp_ne_u32_e32 vcc, s24, v14
	v_bfrev_b32_e32 v24, 1
	s_and_saveexec_b64 s[14:15], vcc
	s_cbranch_execz .LBB269_1163
; %bb.1160:                             ;   in Loop: Header=BB269_616 Depth=1
	v_and_b32_e32 v25, 0x7f, v14
	v_cmp_ne_u32_e32 vcc, s25, v25
	v_mov_b32_e32 v24, 0x7c010000
	s_and_saveexec_b64 s[22:23], vcc
	s_cbranch_execz .LBB269_1162
; %bb.1161:                             ;   in Loop: Header=BB269_616 Depth=1
	v_and_b32_e32 v24, 7, v14
	v_ffbh_u32_e32 v71, v24
	v_min_u32_e32 v71, 32, v71
	v_lshrrev_b32_e32 v31, 3, v25
	v_subrev_u32_e32 v72, 28, v71
	v_sub_u32_e32 v71, 29, v71
	v_cmp_gt_u32_e32 vcc, 8, v25
	v_lshlrev_b64 v[72:73], v72, v[14:15]
	v_lshlrev_b32_e32 v14, 8, v14
	v_cndmask_b32_e32 v25, v31, v71, vcc
	v_lshl_add_u32 v25, v25, 10, v39
	v_and_b32_e32 v31, 7, v72
	v_and_or_b32 v14, v14, s29, v25
	v_cndmask_b32_e32 v24, v24, v31, vcc
	v_lshlrev_b32_e32 v14, 16, v14
	v_lshl_or_b32 v24, v24, 23, v14
.LBB269_1162:                           ;   in Loop: Header=BB269_616 Depth=1
	s_or_b64 exec, exec, s[22:23]
.LBB269_1163:                           ;   in Loop: Header=BB269_616 Depth=1
	s_or_b64 exec, exec, s[14:15]
.LBB269_1164:                           ;   in Loop: Header=BB269_616 Depth=1
	s_or_b64 exec, exec, s[12:13]
	v_cvt_f32_f16_sdwa v73, v1 dst_sel:DWORD dst_unused:UNUSED_PAD src0_sel:WORD_1
	v_cvt_f32_f16_sdwa v72, v27 dst_sel:DWORD dst_unused:UNUSED_PAD src0_sel:WORD_1
	v_or_b32_e32 v1, v1, v23
	v_or_b32_e32 v14, v27, v26
	;; [unrolled: 1-line block ×3, first 2 shown]
	s_waitcnt vmcnt(0)
	v_pk_mul_f32 v[26:27], v[22:23], v[72:73] op_sel_hi:[0,1]
	v_cvt_f32_f16_e32 v72, v14
	v_cvt_f32_f16_e32 v73, v1
	v_cvt_pk_f16_f32 v1, v26, v27
	v_and_b32_e32 v23, 0xffff0000, v1
	v_lshlrev_b32_e32 v14, 16, v1
	v_pk_mul_f32 v[26:27], v[22:23], v[72:73] op_sel_hi:[0,1]
	v_cvt_pk_f16_f32 v1, v26, v27
	v_or_b32_e32 v27, v30, v29
	v_cvt_f32_f16_e32 v28, v28
	v_cvt_f32_f16_e32 v29, v27
	v_cvt_f32_f16_sdwa v31, v30 dst_sel:DWORD dst_unused:UNUSED_PAD src0_sel:WORD_1
	v_cvt_f32_f16_sdwa v30, v24 dst_sel:DWORD dst_unused:UNUSED_PAD src0_sel:WORD_1
	v_lshrrev_b32_e32 v25, 16, v1
	v_pk_mul_f32 v[28:29], v[22:23], v[28:29] op_sel_hi:[0,1]
	v_cvt_pk_f16_f32 v71, v28, v29
	v_pk_mul_f32 v[28:29], v[22:23], v[30:31] op_sel_hi:[0,1]
	v_cvt_pk_f16_f32 v22, v28, v29
	v_and_b32_e32 v26, 0xffff, v1
	v_and_b32_e32 v27, 0xffff0000, v22
	v_lshlrev_b32_e32 v22, 16, v22
	v_lshrrev_b32_e32 v29, 16, v71
	v_and_b32_e32 v28, 0xffff, v71
	v_or_b32_e32 v1, v23, v25
	v_or_b32_e32 v24, v14, v26
	;; [unrolled: 1-line block ×4, first 2 shown]
	s_and_saveexec_b64 s[12:13], s[0:1]
	s_cbranch_execz .LBB269_1166
; %bb.1165:                             ;   in Loop: Header=BB269_616 Depth=1
	v_cmp_gt_i32_e32 vcc, s27, v37
	s_nop 1
	v_cndmask_b32_e32 v1, 0, v25, vcc
	v_cmp_gt_i32_e32 vcc, s33, v50
	s_nop 1
	v_cndmask_b32_e32 v24, 0, v26, vcc
	;; [unrolled: 3-line block ×3, first 2 shown]
	v_cmp_gt_i32_e32 vcc, s33, v48
	v_or_b32_e32 v1, v23, v1
	s_nop 0
	v_cndmask_b32_e32 v14, 0, v14, vcc
	v_cmp_gt_i32_e32 vcc, s27, v43
	v_or_b32_e32 v24, v14, v24
	s_nop 0
	v_cndmask_b32_e32 v14, 0, v29, vcc
	v_cmp_gt_i32_e32 vcc, s33, v42
	s_nop 1
	v_cndmask_b32_e32 v23, 0, v28, vcc
	v_cmp_gt_i32_e32 vcc, s27, v41
	;; [unrolled: 3-line block ×3, first 2 shown]
	v_or_b32_e32 v31, v25, v14
	s_nop 0
	v_cndmask_b32_e32 v22, 0, v22, vcc
	v_or_b32_e32 v30, v22, v23
.LBB269_1166:                           ;   in Loop: Header=BB269_616 Depth=1
	s_or_b64 exec, exec, s[12:13]
	;;#ASMSTART
	v_pk_mul_f16 v1, v47, v1;

	;;#ASMEND
	;;#ASMSTART
	v_pk_mul_f16 v14, v46, v24;

	;;#ASMEND
	;; [unrolled: 4-line block ×4, first 2 shown]
	v_add_co_u32_e32 v20, vcc, 0x1000, v20
	;;#ASMSTART
	v_pk_add_f16 v1, v1, v14;

	;;#ASMEND
	s_nop 0
	;;#ASMSTART
	v_pk_add_f16 v1, v1, v22;

	;;#ASMEND
	s_nop 0
	v_addc_co_u32_e32 v21, vcc, 0, v21, vcc
	;;#ASMSTART
	v_pk_add_f16 v1, v1, v23;

	;;#ASMEND
	s_nop 0
	v_lshrrev_b32_e32 v14, 16, v1
	v_and_b32_e32 v1, 0xffff, v1
	;;#ASMSTART
	v_cvt_f32_f16 v30, v1;
	;;#ASMEND
	;;#ASMSTART
	v_cvt_f32_f16 v31, v14;
	;;#ASMEND
	global_load_dwordx2 v[22:23], v[20:21], off offset:1536
	v_mov_b32_e32 v1, 0
	global_load_dword v20, v1, s[10:11]
	v_mov_b32_e32 v21, 0
	s_waitcnt vmcnt(1)
	v_cmp_ne_u16_sdwa s[14:15], v22, v15 src0_sel:BYTE_0 src1_sel:DWORD
	s_and_saveexec_b64 s[12:13], s[14:15]
	s_cbranch_execz .LBB269_1172
; %bb.1167:                             ;   in Loop: Header=BB269_616 Depth=1
	v_cmp_ne_u16_sdwa s[22:23], v22, s24 src0_sel:BYTE_0 src1_sel:DWORD
	v_mov_b32_e32 v21, 0x8000
	s_and_saveexec_b64 s[14:15], s[22:23]
	s_cbranch_execz .LBB269_1171
; %bb.1168:                             ;   in Loop: Header=BB269_616 Depth=1
	v_and_b32_e32 v14, 0x7f, v22
	v_cmp_ne_u32_e32 vcc, s25, v14
	v_mov_b32_e32 v21, 0x7c01
	s_and_saveexec_b64 s[22:23], vcc
	s_cbranch_execz .LBB269_1170
; %bb.1169:                             ;   in Loop: Header=BB269_616 Depth=1
	v_and_b32_e32 v21, 7, v22
	v_ffbh_u32_e32 v24, v21
	v_min_u32_e32 v27, 32, v24
	v_subrev_u32_e32 v24, 28, v27
	v_lshlrev_b64 v[24:25], v24, v[22:23]
	v_lshrrev_b32_e32 v26, 3, v14
	v_sub_u32_e32 v25, 29, v27
	v_cmp_gt_u32_e32 vcc, 8, v14
	v_and_b32_e32 v24, 7, v24
	s_nop 0
	v_cndmask_b32_e32 v14, v26, v25, vcc
	v_lshl_add_u32 v14, v14, 10, v39
	v_lshlrev_b32_e32 v25, 8, v22
	v_and_b32_e32 v14, 0xfc00, v14
	v_cndmask_b32_e32 v21, v21, v24, vcc
	v_and_or_b32 v14, v25, s29, v14
	v_lshl_or_b32 v21, v21, 7, v14
.LBB269_1170:                           ;   in Loop: Header=BB269_616 Depth=1
	s_or_b64 exec, exec, s[22:23]
.LBB269_1171:                           ;   in Loop: Header=BB269_616 Depth=1
	s_or_b64 exec, exec, s[14:15]
.LBB269_1172:                           ;   in Loop: Header=BB269_616 Depth=1
	s_or_b64 exec, exec, s[12:13]
	v_lshrrev_b16_e32 v14, 8, v22
	v_cmp_ne_u16_e32 vcc, 0, v14
	s_and_saveexec_b64 s[12:13], vcc
	s_cbranch_execz .LBB269_1178
; %bb.1173:                             ;   in Loop: Header=BB269_616 Depth=1
	v_cmp_ne_u16_e32 vcc, s24, v14
	v_bfrev_b32_e32 v1, 1
	s_and_saveexec_b64 s[14:15], vcc
	s_cbranch_execz .LBB269_1177
; %bb.1174:                             ;   in Loop: Header=BB269_616 Depth=1
	v_and_b32_e32 v24, 0x7f, v14
	v_cmp_ne_u32_e32 vcc, s25, v24
	v_mov_b32_e32 v1, 0x7c010000
	s_and_saveexec_b64 s[22:23], vcc
	s_cbranch_execz .LBB269_1176
; %bb.1175:                             ;   in Loop: Header=BB269_616 Depth=1
	v_and_b32_e32 v1, 7, v14
	v_ffbh_u32_e32 v26, v1
	v_min_u32_e32 v28, 32, v26
	v_subrev_u32_e32 v26, 28, v28
	v_lshlrev_b64 v[26:27], v26, v[14:15]
	v_lshrrev_b32_e32 v25, 3, v24
	v_sub_u32_e32 v27, 29, v28
	v_cmp_gt_u32_e32 vcc, 8, v24
	v_lshlrev_b32_e32 v14, 8, v14
	s_nop 0
	v_cndmask_b32_e32 v24, v25, v27, vcc
	v_lshl_add_u32 v24, v24, 10, v39
	v_and_b32_e32 v25, 7, v26
	v_and_or_b32 v14, v14, s29, v24
	v_cndmask_b32_e32 v1, v1, v25, vcc
	v_lshlrev_b32_e32 v14, 16, v14
	v_lshl_or_b32 v1, v1, 23, v14
.LBB269_1176:                           ;   in Loop: Header=BB269_616 Depth=1
	s_or_b64 exec, exec, s[22:23]
.LBB269_1177:                           ;   in Loop: Header=BB269_616 Depth=1
	s_or_b64 exec, exec, s[14:15]
.LBB269_1178:                           ;   in Loop: Header=BB269_616 Depth=1
	s_or_b64 exec, exec, s[12:13]
	v_lshrrev_b32_e32 v14, 16, v22
	v_cmp_ne_u16_sdwa s[14:15], v14, v15 src0_sel:BYTE_0 src1_sel:DWORD
	v_mov_b32_e32 v25, 0
	v_mov_b32_e32 v24, 0
	s_and_saveexec_b64 s[12:13], s[14:15]
	s_cbranch_execz .LBB269_1184
; %bb.1179:                             ;   in Loop: Header=BB269_616 Depth=1
	v_cmp_ne_u16_sdwa s[22:23], v14, s24 src0_sel:BYTE_0 src1_sel:DWORD
	v_mov_b32_e32 v24, 0x8000
	s_and_saveexec_b64 s[14:15], s[22:23]
	s_cbranch_execz .LBB269_1183
; %bb.1180:                             ;   in Loop: Header=BB269_616 Depth=1
	v_bfe_u32 v26, v22, 16, 7
	v_cmp_ne_u32_e32 vcc, s25, v26
	v_mov_b32_e32 v24, 0x7c01
	s_and_saveexec_b64 s[22:23], vcc
	s_cbranch_execz .LBB269_1182
; %bb.1181:                             ;   in Loop: Header=BB269_616 Depth=1
	v_and_b32_e32 v24, 7, v14
	v_ffbh_u32_e32 v28, v24
	v_min_u32_e32 v71, 32, v28
	v_subrev_u32_e32 v28, 28, v71
	v_lshlrev_b64 v[28:29], v28, v[14:15]
	v_lshrrev_b32_e32 v27, 3, v26
	v_sub_u32_e32 v29, 29, v71
	v_cmp_gt_u32_e32 vcc, 8, v26
	v_lshlrev_b32_e32 v14, 8, v14
	s_nop 0
	v_cndmask_b32_e32 v26, v27, v29, vcc
	v_lshl_add_u32 v26, v26, 10, v39
	v_and_b32_e32 v27, 7, v28
	v_and_b32_e32 v26, 0xfc00, v26
	v_cndmask_b32_e32 v24, v24, v27, vcc
	v_and_or_b32 v14, v14, s29, v26
	v_lshl_or_b32 v24, v24, 7, v14
.LBB269_1182:                           ;   in Loop: Header=BB269_616 Depth=1
	s_or_b64 exec, exec, s[22:23]
.LBB269_1183:                           ;   in Loop: Header=BB269_616 Depth=1
	s_or_b64 exec, exec, s[14:15]
.LBB269_1184:                           ;   in Loop: Header=BB269_616 Depth=1
	s_or_b64 exec, exec, s[12:13]
	v_cmp_lt_u32_e32 vcc, s7, v22
	s_and_saveexec_b64 s[12:13], vcc
	s_cbranch_execz .LBB269_1190
; %bb.1185:                             ;   in Loop: Header=BB269_616 Depth=1
	v_lshrrev_b32_e32 v14, 24, v22
	v_cmp_ne_u32_e32 vcc, s24, v14
	v_bfrev_b32_e32 v25, 1
	s_and_saveexec_b64 s[14:15], vcc
	s_cbranch_execz .LBB269_1189
; %bb.1186:                             ;   in Loop: Header=BB269_616 Depth=1
	v_and_b32_e32 v26, 0x7f, v14
	v_cmp_ne_u32_e32 vcc, s25, v26
	v_mov_b32_e32 v25, 0x7c010000
	s_and_saveexec_b64 s[22:23], vcc
	s_cbranch_execz .LBB269_1188
; %bb.1187:                             ;   in Loop: Header=BB269_616 Depth=1
	v_and_b32_e32 v25, 7, v14
	v_ffbh_u32_e32 v28, v25
	v_min_u32_e32 v71, 32, v28
	v_subrev_u32_e32 v28, 28, v71
	v_lshlrev_b64 v[28:29], v28, v[14:15]
	v_lshrrev_b32_e32 v27, 3, v26
	v_sub_u32_e32 v29, 29, v71
	v_cmp_gt_u32_e32 vcc, 8, v26
	v_lshlrev_b32_e32 v14, 8, v14
	s_nop 0
	v_cndmask_b32_e32 v26, v27, v29, vcc
	v_lshl_add_u32 v26, v26, 10, v39
	v_and_b32_e32 v27, 7, v28
	v_and_or_b32 v14, v14, s29, v26
	v_cndmask_b32_e32 v25, v25, v27, vcc
	v_lshlrev_b32_e32 v14, 16, v14
	v_lshl_or_b32 v25, v25, 23, v14
.LBB269_1188:                           ;   in Loop: Header=BB269_616 Depth=1
	s_or_b64 exec, exec, s[22:23]
.LBB269_1189:                           ;   in Loop: Header=BB269_616 Depth=1
	s_or_b64 exec, exec, s[14:15]
.LBB269_1190:                           ;   in Loop: Header=BB269_616 Depth=1
	s_or_b64 exec, exec, s[12:13]
	v_mov_b32_e32 v14, v23
	v_cmp_ne_u16_sdwa s[14:15], v23, v15 src0_sel:BYTE_0 src1_sel:DWORD
	v_mov_b32_e32 v26, 0
	v_mov_b32_e32 v27, 0
	s_and_saveexec_b64 s[12:13], s[14:15]
	s_cbranch_execz .LBB269_1196
; %bb.1191:                             ;   in Loop: Header=BB269_616 Depth=1
	v_cmp_ne_u16_sdwa s[22:23], v23, s24 src0_sel:BYTE_0 src1_sel:DWORD
	v_mov_b32_e32 v27, 0x8000
	s_and_saveexec_b64 s[14:15], s[22:23]
	s_cbranch_execz .LBB269_1195
; %bb.1192:                             ;   in Loop: Header=BB269_616 Depth=1
	v_and_b32_e32 v28, 0x7f, v23
	v_cmp_ne_u32_e32 vcc, s25, v28
	v_mov_b32_e32 v27, 0x7c01
	s_and_saveexec_b64 s[22:23], vcc
	s_cbranch_execz .LBB269_1194
; %bb.1193:                             ;   in Loop: Header=BB269_616 Depth=1
	v_and_b32_e32 v27, 7, v23
	v_ffbh_u32_e32 v71, v27
	v_min_u32_e32 v71, 32, v71
	v_lshrrev_b32_e32 v29, 3, v28
	v_subrev_u32_e32 v72, 28, v71
	v_sub_u32_e32 v71, 29, v71
	v_cmp_gt_u32_e32 vcc, 8, v28
	v_lshlrev_b64 v[72:73], v72, v[14:15]
	s_nop 0
	v_cndmask_b32_e32 v28, v29, v71, vcc
	v_lshl_add_u32 v28, v28, 10, v39
	v_lshlrev_b32_e32 v29, 8, v23
	v_and_b32_e32 v71, 7, v72
	v_and_b32_e32 v28, 0xfc00, v28
	v_cndmask_b32_e32 v27, v27, v71, vcc
	v_and_or_b32 v28, v29, s29, v28
	v_lshl_or_b32 v27, v27, 7, v28
.LBB269_1194:                           ;   in Loop: Header=BB269_616 Depth=1
	s_or_b64 exec, exec, s[22:23]
.LBB269_1195:                           ;   in Loop: Header=BB269_616 Depth=1
	s_or_b64 exec, exec, s[14:15]
.LBB269_1196:                           ;   in Loop: Header=BB269_616 Depth=1
	s_or_b64 exec, exec, s[12:13]
	v_lshrrev_b16_e32 v14, 8, v14
	v_cmp_ne_u16_e32 vcc, 0, v14
	v_mov_b32_e32 v28, 0
	s_and_saveexec_b64 s[12:13], vcc
	s_cbranch_execz .LBB269_1202
; %bb.1197:                             ;   in Loop: Header=BB269_616 Depth=1
	v_cmp_ne_u16_e32 vcc, s24, v14
	v_bfrev_b32_e32 v28, 1
	s_and_saveexec_b64 s[14:15], vcc
	s_cbranch_execz .LBB269_1201
; %bb.1198:                             ;   in Loop: Header=BB269_616 Depth=1
	v_and_b32_e32 v29, 0x7f, v14
	v_cmp_ne_u32_e32 vcc, s25, v29
	v_mov_b32_e32 v28, 0x7c010000
	s_and_saveexec_b64 s[22:23], vcc
	s_cbranch_execz .LBB269_1200
; %bb.1199:                             ;   in Loop: Header=BB269_616 Depth=1
	v_and_b32_e32 v28, 7, v14
	v_ffbh_u32_e32 v72, v28
	v_min_u32_e32 v74, 32, v72
	v_subrev_u32_e32 v72, 28, v74
	v_lshlrev_b64 v[72:73], v72, v[14:15]
	v_lshrrev_b32_e32 v71, 3, v29
	v_sub_u32_e32 v73, 29, v74
	v_cmp_gt_u32_e32 vcc, 8, v29
	v_lshlrev_b32_e32 v14, 8, v14
	s_nop 0
	v_cndmask_b32_e32 v29, v71, v73, vcc
	v_lshl_add_u32 v29, v29, 10, v39
	v_and_b32_e32 v71, 7, v72
	v_and_or_b32 v14, v14, s29, v29
	v_cndmask_b32_e32 v28, v28, v71, vcc
	v_lshlrev_b32_e32 v14, 16, v14
	v_lshl_or_b32 v28, v28, 23, v14
.LBB269_1200:                           ;   in Loop: Header=BB269_616 Depth=1
	s_or_b64 exec, exec, s[22:23]
.LBB269_1201:                           ;   in Loop: Header=BB269_616 Depth=1
	s_or_b64 exec, exec, s[14:15]
.LBB269_1202:                           ;   in Loop: Header=BB269_616 Depth=1
	s_or_b64 exec, exec, s[12:13]
	v_lshrrev_b32_e32 v14, 16, v23
	v_cmp_ne_u16_sdwa s[14:15], v14, v15 src0_sel:BYTE_0 src1_sel:DWORD
	s_and_saveexec_b64 s[12:13], s[14:15]
	s_cbranch_execz .LBB269_1208
; %bb.1203:                             ;   in Loop: Header=BB269_616 Depth=1
	v_cmp_ne_u16_sdwa s[22:23], v14, s24 src0_sel:BYTE_0 src1_sel:DWORD
	v_mov_b32_e32 v26, 0x8000
	s_and_saveexec_b64 s[14:15], s[22:23]
	s_cbranch_execz .LBB269_1207
; %bb.1204:                             ;   in Loop: Header=BB269_616 Depth=1
	v_bfe_u32 v29, v23, 16, 7
	v_cmp_ne_u32_e32 vcc, s25, v29
	v_mov_b32_e32 v26, 0x7c01
	s_and_saveexec_b64 s[22:23], vcc
	s_cbranch_execz .LBB269_1206
; %bb.1205:                             ;   in Loop: Header=BB269_616 Depth=1
	v_and_b32_e32 v26, 7, v14
	v_ffbh_u32_e32 v72, v26
	v_min_u32_e32 v74, 32, v72
	v_subrev_u32_e32 v72, 28, v74
	v_lshlrev_b64 v[72:73], v72, v[14:15]
	v_lshrrev_b32_e32 v71, 3, v29
	v_sub_u32_e32 v73, 29, v74
	v_cmp_gt_u32_e32 vcc, 8, v29
	v_lshlrev_b32_e32 v14, 8, v14
	s_nop 0
	v_cndmask_b32_e32 v29, v71, v73, vcc
	v_lshl_add_u32 v29, v29, 10, v39
	v_and_b32_e32 v71, 7, v72
	v_and_b32_e32 v29, 0xfc00, v29
	v_cndmask_b32_e32 v26, v26, v71, vcc
	v_and_or_b32 v14, v14, s29, v29
	v_lshl_or_b32 v26, v26, 7, v14
.LBB269_1206:                           ;   in Loop: Header=BB269_616 Depth=1
	s_or_b64 exec, exec, s[22:23]
.LBB269_1207:                           ;   in Loop: Header=BB269_616 Depth=1
	s_or_b64 exec, exec, s[14:15]
.LBB269_1208:                           ;   in Loop: Header=BB269_616 Depth=1
	s_or_b64 exec, exec, s[12:13]
	v_cmp_lt_u64_e32 vcc, s[6:7], v[22:23]
	v_mov_b32_e32 v29, 0
	s_and_saveexec_b64 s[12:13], vcc
	s_cbranch_execz .LBB269_1214
; %bb.1209:                             ;   in Loop: Header=BB269_616 Depth=1
	v_lshrrev_b32_e32 v14, 24, v23
	v_cmp_ne_u32_e32 vcc, s24, v14
	v_bfrev_b32_e32 v29, 1
	s_and_saveexec_b64 s[14:15], vcc
	s_cbranch_execz .LBB269_1213
; %bb.1210:                             ;   in Loop: Header=BB269_616 Depth=1
	v_and_b32_e32 v22, 0x7f, v14
	v_cmp_ne_u32_e32 vcc, s25, v22
	v_mov_b32_e32 v29, 0x7c010000
	s_and_saveexec_b64 s[22:23], vcc
	s_cbranch_execz .LBB269_1212
; %bb.1211:                             ;   in Loop: Header=BB269_616 Depth=1
	v_and_b32_e32 v23, 7, v14
	v_ffbh_u32_e32 v71, v23
	v_min_u32_e32 v71, 32, v71
	v_lshrrev_b32_e32 v29, 3, v22
	v_subrev_u32_e32 v72, 28, v71
	v_sub_u32_e32 v71, 29, v71
	v_cmp_gt_u32_e32 vcc, 8, v22
	v_lshlrev_b64 v[72:73], v72, v[14:15]
	v_lshlrev_b32_e32 v14, 8, v14
	v_cndmask_b32_e32 v22, v29, v71, vcc
	v_lshl_add_u32 v22, v22, 10, v39
	v_and_b32_e32 v29, 7, v72
	v_and_or_b32 v14, v14, s29, v22
	v_cndmask_b32_e32 v23, v23, v29, vcc
	v_lshlrev_b32_e32 v14, 16, v14
	v_lshl_or_b32 v29, v23, 23, v14
.LBB269_1212:                           ;   in Loop: Header=BB269_616 Depth=1
	s_or_b64 exec, exec, s[22:23]
.LBB269_1213:                           ;   in Loop: Header=BB269_616 Depth=1
	s_or_b64 exec, exec, s[14:15]
.LBB269_1214:                           ;   in Loop: Header=BB269_616 Depth=1
	s_or_b64 exec, exec, s[12:13]
	v_cvt_f32_f16_sdwa v23, v1 dst_sel:DWORD dst_unused:UNUSED_PAD src0_sel:WORD_1
	v_cvt_f32_f16_sdwa v22, v25 dst_sel:DWORD dst_unused:UNUSED_PAD src0_sel:WORD_1
	v_or_b32_e32 v1, v1, v21
	v_or_b32_e32 v14, v25, v24
	v_cvt_f32_f16_e32 v24, v14
	s_waitcnt vmcnt(0)
	v_pk_mul_f32 v[22:23], v[20:21], v[22:23] op_sel_hi:[0,1]
	v_cvt_f32_f16_e32 v25, v1
	v_cvt_pk_f16_f32 v1, v22, v23
	v_or_b32_e32 v14, v28, v27
	v_or_b32_e32 v23, v29, v26
	v_cvt_f32_f16_e32 v26, v23
	v_cvt_f32_f16_e32 v27, v14
	v_cvt_f32_f16_sdwa v73, v28 dst_sel:DWORD dst_unused:UNUSED_PAD src0_sel:WORD_1
	v_cvt_f32_f16_sdwa v72, v29 dst_sel:DWORD dst_unused:UNUSED_PAD src0_sel:WORD_1
	v_and_b32_e32 v21, 0xffff0000, v1
	v_pk_mul_f32 v[26:27], v[20:21], v[26:27] op_sel_hi:[0,1]
	v_pk_mul_f32 v[24:25], v[20:21], v[24:25] op_sel_hi:[0,1]
	v_cvt_pk_f16_f32 v23, v26, v27
	v_pk_mul_f32 v[26:27], v[20:21], v[72:73] op_sel_hi:[0,1]
	v_lshlrev_b32_e32 v22, 16, v1
	v_cvt_pk_f16_f32 v1, v24, v25
	v_cvt_pk_f16_f32 v20, v26, v27
	v_lshrrev_b32_e32 v25, 16, v1
	v_and_b32_e32 v24, 0xffff, v1
	v_and_b32_e32 v27, 0xffff0000, v20
	v_lshlrev_b32_e32 v26, 16, v20
	v_lshrrev_b32_e32 v29, 16, v23
	v_and_b32_e32 v28, 0xffff, v23
	v_or_b32_e32 v1, v21, v25
	v_or_b32_e32 v14, v22, v24
	;; [unrolled: 1-line block ×4, first 2 shown]
	s_and_saveexec_b64 s[12:13], s[0:1]
	s_cbranch_execz .LBB269_615
; %bb.1215:                             ;   in Loop: Header=BB269_616 Depth=1
	v_cmp_gt_i32_e32 vcc, s27, v37
	s_nop 1
	v_cndmask_b32_e32 v1, 0, v25, vcc
	v_cmp_gt_i32_e32 vcc, s33, v50
	s_nop 1
	v_cndmask_b32_e32 v14, 0, v24, vcc
	;; [unrolled: 3-line block ×3, first 2 shown]
	v_cmp_gt_i32_e32 vcc, s33, v48
	v_or_b32_e32 v1, v20, v1
	s_nop 0
	v_cndmask_b32_e32 v21, 0, v22, vcc
	v_cmp_gt_i32_e32 vcc, s27, v43
	v_or_b32_e32 v14, v21, v14
	s_nop 0
	v_cndmask_b32_e32 v20, 0, v29, vcc
	v_cmp_gt_i32_e32 vcc, s33, v42
	s_nop 1
	v_cndmask_b32_e32 v21, 0, v28, vcc
	v_cmp_gt_i32_e32 vcc, s27, v41
	s_nop 1
	v_cndmask_b32_e32 v22, 0, v27, vcc
	v_cmp_gt_i32_e32 vcc, s33, v40
	v_or_b32_e32 v23, v22, v20
	s_nop 0
	v_cndmask_b32_e32 v24, 0, v26, vcc
	v_or_b32_e32 v20, v24, v21
	s_branch .LBB269_615
.LBB269_1216:
	s_or_b64 exec, exec, s[8:9]
.LBB269_1217:
	s_or_b64 exec, exec, s[2:3]
	ds_bpermute_b32 v14, v34, v12
	ds_bpermute_b32 v15, v34, v13
	;; [unrolled: 1-line block ×6, first 2 shown]
	s_waitcnt lgkmcnt(4)
	v_pk_add_f32 v[12:13], v[12:13], v[14:15]
	ds_bpermute_b32 v14, v35, v12
	ds_bpermute_b32 v15, v35, v13
	s_waitcnt lgkmcnt(4)
	v_pk_add_f32 v[16:17], v[10:11], v[16:17]
	s_waitcnt lgkmcnt(2)
	v_pk_add_f32 v[8:9], v[8:9], v[18:19]
	ds_bpermute_b32 v18, v34, v4
	ds_bpermute_b32 v19, v34, v5
	s_waitcnt lgkmcnt(2)
	v_pk_add_f32 v[10:11], v[12:13], v[14:15]
	ds_bpermute_b32 v12, v34, v6
	ds_bpermute_b32 v13, v34, v7
	ds_bpermute_b32 v24, v34, v2
	ds_bpermute_b32 v25, v34, v3
	ds_bpermute_b32 v14, v35, v8
	ds_bpermute_b32 v15, v35, v9
	s_waitcnt lgkmcnt(4)
	v_pk_add_f32 v[6:7], v[6:7], v[12:13]
	v_pk_add_f32 v[4:5], v[4:5], v[18:19]
	ds_bpermute_b32 v20, v35, v16
	ds_bpermute_b32 v21, v35, v17
	;; [unrolled: 1-line block ×6, first 2 shown]
	s_waitcnt lgkmcnt(8)
	v_pk_add_f32 v[2:3], v[2:3], v[24:25]
	s_waitcnt lgkmcnt(6)
	v_pk_add_f32 v[8:9], v[8:9], v[14:15]
	ds_bpermute_b32 v14, v35, v2
	ds_bpermute_b32 v15, v35, v3
	v_and_b32_e32 v1, 0x3c3, v0
	s_waitcnt lgkmcnt(6)
	v_pk_add_f32 v[12:13], v[16:17], v[20:21]
	s_waitcnt lgkmcnt(4)
	v_pk_add_f32 v[6:7], v[6:7], v[22:23]
	;; [unrolled: 2-line block ×3, first 2 shown]
	v_cmp_ne_u32_e32 vcc, 64, v1
	s_waitcnt lgkmcnt(0)
	s_barrier
	s_and_saveexec_b64 s[0:1], vcc
	s_xor_b64 s[0:1], exec, s[0:1]
; %bb.1218:
                                        ; implicit-def: $vgpr33
; %bb.1219:
	s_or_saveexec_b64 s[0:1], s[0:1]
	v_pk_add_f32 v[2:3], v[2:3], v[14:15]
	s_xor_b64 exec, exec, s[0:1]
	s_cbranch_execz .LBB269_1221
; %bb.1220:
	v_add_u32_e32 v14, 0x190, v33
	ds_write2_b32 v14, v10, v11 offset1:16
	ds_write2_b32 v14, v12, v13 offset0:32 offset1:48
	ds_write2_b32 v14, v8, v9 offset0:64 offset1:80
	;; [unrolled: 1-line block ×5, first 2 shown]
.LBB269_1221:
	s_or_b64 exec, exec, s[0:1]
	v_cmp_gt_u32_e32 vcc, 64, v0
	v_lshrrev_b32_e32 v0, 2, v0
	s_waitcnt lgkmcnt(0)
	s_barrier
	s_and_saveexec_b64 s[0:1], vcc
	s_cbranch_execz .LBB269_1236
; %bb.1222:
	v_mov_b32_e32 v14, 0x190
	v_cmp_eq_u32_e32 vcc, 0, v36
	v_lshl_add_u32 v14, v0, 2, v14
	s_and_saveexec_b64 s[2:3], vcc
	s_cbranch_execnz .LBB269_1239
; %bb.1223:
	s_or_b64 exec, exec, s[2:3]
	s_and_saveexec_b64 s[2:3], vcc
	s_cbranch_execnz .LBB269_1240
.LBB269_1224:
	s_or_b64 exec, exec, s[2:3]
	s_and_saveexec_b64 s[2:3], vcc
	s_cbranch_execnz .LBB269_1241
.LBB269_1225:
	s_or_b64 exec, exec, s[2:3]
	s_and_saveexec_b64 s[2:3], vcc
	s_cbranch_execnz .LBB269_1242
.LBB269_1226:
	s_or_b64 exec, exec, s[2:3]
	s_and_saveexec_b64 s[2:3], vcc
	s_cbranch_execnz .LBB269_1243
.LBB269_1227:
	s_or_b64 exec, exec, s[2:3]
	s_and_saveexec_b64 s[2:3], vcc
	s_cbranch_execnz .LBB269_1244
.LBB269_1228:
	s_or_b64 exec, exec, s[2:3]
	s_and_saveexec_b64 s[2:3], vcc
	s_cbranch_execnz .LBB269_1245
.LBB269_1229:
	s_or_b64 exec, exec, s[2:3]
	s_and_saveexec_b64 s[2:3], vcc
	s_cbranch_execnz .LBB269_1246
.LBB269_1230:
	s_or_b64 exec, exec, s[2:3]
	s_and_saveexec_b64 s[2:3], vcc
	s_cbranch_execnz .LBB269_1247
.LBB269_1231:
	s_or_b64 exec, exec, s[2:3]
	s_and_saveexec_b64 s[2:3], vcc
	s_cbranch_execnz .LBB269_1248
.LBB269_1232:
	s_or_b64 exec, exec, s[2:3]
	s_and_saveexec_b64 s[2:3], vcc
	s_cbranch_execnz .LBB269_1249
.LBB269_1233:
	s_or_b64 exec, exec, s[2:3]
	s_and_saveexec_b64 s[2:3], vcc
	s_cbranch_execz .LBB269_1235
.LBB269_1234:
	ds_read_b32 v14, v14 offset:704
	s_waitcnt lgkmcnt(0)
	v_add_f32_e32 v3, v3, v14
.LBB269_1235:
	s_or_b64 exec, exec, s[2:3]
.LBB269_1236:
	s_or_b64 exec, exec, s[0:1]
	v_cmp_eq_u32_e32 vcc, 0, v1
	s_barrier
	s_and_saveexec_b64 s[0:1], vcc
	s_cbranch_execz .LBB269_1238
; %bb.1237:
	s_mul_i32 s0, s16, s17
	s_mul_i32 s0, s0, s5
	s_mulk_i32 s0, 0xc0
	s_ashr_i32 s1, s0, 31
	s_lshl_b64 s[0:1], s[0:1], 1
	s_add_u32 s2, s20, s0
	s_mul_i32 s0, s17, s18
	s_addc_u32 s3, s21, s1
	s_ashr_i32 s1, s0, 31
	s_lshl_b64 s[0:1], s[0:1], 1
	s_add_u32 s2, s2, s0
	s_mul_i32 s0, s4, 0xc0
	s_addc_u32 s3, s3, s1
	s_ashr_i32 s1, s0, 31
	s_lshl_b64 s[0:1], s[0:1], 1
	s_add_u32 s0, s2, s0
	s_addc_u32 s1, s3, s1
	v_lshlrev_b32_e32 v0, 1, v0
	;;#ASMSTART
	v_cvt_f16_f32 v1, v10;

	;;#ASMEND
	global_store_short v0, v1, s[0:1]
	;;#ASMSTART
	v_cvt_f16_f32 v1, v11;

	;;#ASMEND
	global_store_short v0, v1, s[0:1] offset:32
	;;#ASMSTART
	v_cvt_f16_f32 v1, v12;

	;;#ASMEND
	global_store_short v0, v1, s[0:1] offset:64
	;; [unrolled: 5-line block ×11, first 2 shown]
.LBB269_1238:
	s_endpgm
.LBB269_1239:
	ds_read_b32 v15, v14
	s_waitcnt lgkmcnt(0)
	v_add_f32_e32 v10, v10, v15
	s_or_b64 exec, exec, s[2:3]
	s_and_saveexec_b64 s[2:3], vcc
	s_cbranch_execz .LBB269_1224
.LBB269_1240:
	ds_read_b32 v15, v14 offset:64
	s_waitcnt lgkmcnt(0)
	v_add_f32_e32 v11, v11, v15
	s_or_b64 exec, exec, s[2:3]
	s_and_saveexec_b64 s[2:3], vcc
	s_cbranch_execz .LBB269_1225
.LBB269_1241:
	ds_read_b32 v15, v14 offset:128
	s_waitcnt lgkmcnt(0)
	v_add_f32_e32 v12, v12, v15
	s_or_b64 exec, exec, s[2:3]
	s_and_saveexec_b64 s[2:3], vcc
	s_cbranch_execz .LBB269_1226
.LBB269_1242:
	ds_read_b32 v15, v14 offset:192
	s_waitcnt lgkmcnt(0)
	v_add_f32_e32 v13, v13, v15
	s_or_b64 exec, exec, s[2:3]
	s_and_saveexec_b64 s[2:3], vcc
	s_cbranch_execz .LBB269_1227
.LBB269_1243:
	ds_read_b32 v15, v14 offset:256
	s_waitcnt lgkmcnt(0)
	v_add_f32_e32 v8, v8, v15
	s_or_b64 exec, exec, s[2:3]
	s_and_saveexec_b64 s[2:3], vcc
	s_cbranch_execz .LBB269_1228
.LBB269_1244:
	ds_read_b32 v15, v14 offset:320
	s_waitcnt lgkmcnt(0)
	v_add_f32_e32 v9, v9, v15
	s_or_b64 exec, exec, s[2:3]
	s_and_saveexec_b64 s[2:3], vcc
	s_cbranch_execz .LBB269_1229
.LBB269_1245:
	ds_read_b32 v15, v14 offset:384
	s_waitcnt lgkmcnt(0)
	v_add_f32_e32 v6, v6, v15
	s_or_b64 exec, exec, s[2:3]
	s_and_saveexec_b64 s[2:3], vcc
	s_cbranch_execz .LBB269_1230
.LBB269_1246:
	ds_read_b32 v15, v14 offset:448
	s_waitcnt lgkmcnt(0)
	v_add_f32_e32 v7, v7, v15
	s_or_b64 exec, exec, s[2:3]
	s_and_saveexec_b64 s[2:3], vcc
	s_cbranch_execz .LBB269_1231
.LBB269_1247:
	ds_read_b32 v15, v14 offset:512
	s_waitcnt lgkmcnt(0)
	v_add_f32_e32 v4, v4, v15
	s_or_b64 exec, exec, s[2:3]
	s_and_saveexec_b64 s[2:3], vcc
	s_cbranch_execz .LBB269_1232
.LBB269_1248:
	ds_read_b32 v15, v14 offset:576
	s_waitcnt lgkmcnt(0)
	v_add_f32_e32 v5, v5, v15
	s_or_b64 exec, exec, s[2:3]
	s_and_saveexec_b64 s[2:3], vcc
	s_cbranch_execz .LBB269_1233
.LBB269_1249:
	ds_read_b32 v15, v14 offset:640
	s_waitcnt lgkmcnt(0)
	v_add_f32_e32 v2, v2, v15
	s_or_b64 exec, exec, s[2:3]
	s_and_saveexec_b64 s[2:3], vcc
	s_cbranch_execnz .LBB269_1234
	s_branch .LBB269_1235
	.section	.rodata,"a",@progbits
	.p2align	6, 0x0
	.amdhsa_kernel _ZN4vllm25paged_attention_v1_kernelIthLi192ELi32ELi128ELNS_18Fp8KVCacheDataTypeE1ELb0EEEvPT_PKS2_PKT0_S8_ifPKiSA_iPKfiiiSC_SC_iiiii
		.amdhsa_group_segment_fixed_size 400
		.amdhsa_private_segment_fixed_size 0
		.amdhsa_kernarg_size 384
		.amdhsa_user_sgpr_count 2
		.amdhsa_user_sgpr_dispatch_ptr 0
		.amdhsa_user_sgpr_queue_ptr 0
		.amdhsa_user_sgpr_kernarg_segment_ptr 1
		.amdhsa_user_sgpr_dispatch_id 0
		.amdhsa_user_sgpr_kernarg_preload_length 0
		.amdhsa_user_sgpr_kernarg_preload_offset 0
		.amdhsa_user_sgpr_private_segment_size 0
		.amdhsa_uses_dynamic_stack 0
		.amdhsa_enable_private_segment 0
		.amdhsa_system_sgpr_workgroup_id_x 1
		.amdhsa_system_sgpr_workgroup_id_y 1
		.amdhsa_system_sgpr_workgroup_id_z 1
		.amdhsa_system_sgpr_workgroup_info 0
		.amdhsa_system_vgpr_workitem_id 0
		.amdhsa_next_free_vgpr 128
		.amdhsa_next_free_sgpr 54
		.amdhsa_accum_offset 128
		.amdhsa_reserve_vcc 1
		.amdhsa_float_round_mode_32 0
		.amdhsa_float_round_mode_16_64 0
		.amdhsa_float_denorm_mode_32 3
		.amdhsa_float_denorm_mode_16_64 3
		.amdhsa_dx10_clamp 1
		.amdhsa_ieee_mode 1
		.amdhsa_fp16_overflow 0
		.amdhsa_tg_split 0
		.amdhsa_exception_fp_ieee_invalid_op 0
		.amdhsa_exception_fp_denorm_src 0
		.amdhsa_exception_fp_ieee_div_zero 0
		.amdhsa_exception_fp_ieee_overflow 0
		.amdhsa_exception_fp_ieee_underflow 0
		.amdhsa_exception_fp_ieee_inexact 0
		.amdhsa_exception_int_div_zero 0
	.end_amdhsa_kernel
	.section	.text._ZN4vllm25paged_attention_v1_kernelIthLi192ELi32ELi128ELNS_18Fp8KVCacheDataTypeE1ELb0EEEvPT_PKS2_PKT0_S8_ifPKiSA_iPKfiiiSC_SC_iiiii,"axG",@progbits,_ZN4vllm25paged_attention_v1_kernelIthLi192ELi32ELi128ELNS_18Fp8KVCacheDataTypeE1ELb0EEEvPT_PKS2_PKT0_S8_ifPKiSA_iPKfiiiSC_SC_iiiii,comdat
.Lfunc_end269:
	.size	_ZN4vllm25paged_attention_v1_kernelIthLi192ELi32ELi128ELNS_18Fp8KVCacheDataTypeE1ELb0EEEvPT_PKS2_PKT0_S8_ifPKiSA_iPKfiiiSC_SC_iiiii, .Lfunc_end269-_ZN4vllm25paged_attention_v1_kernelIthLi192ELi32ELi128ELNS_18Fp8KVCacheDataTypeE1ELb0EEEvPT_PKS2_PKT0_S8_ifPKiSA_iPKfiiiSC_SC_iiiii
                                        ; -- End function
	.set _ZN4vllm25paged_attention_v1_kernelIthLi192ELi32ELi128ELNS_18Fp8KVCacheDataTypeE1ELb0EEEvPT_PKS2_PKT0_S8_ifPKiSA_iPKfiiiSC_SC_iiiii.num_vgpr, 128
	.set _ZN4vllm25paged_attention_v1_kernelIthLi192ELi32ELi128ELNS_18Fp8KVCacheDataTypeE1ELb0EEEvPT_PKS2_PKT0_S8_ifPKiSA_iPKfiiiSC_SC_iiiii.num_agpr, 0
	.set _ZN4vllm25paged_attention_v1_kernelIthLi192ELi32ELi128ELNS_18Fp8KVCacheDataTypeE1ELb0EEEvPT_PKS2_PKT0_S8_ifPKiSA_iPKfiiiSC_SC_iiiii.numbered_sgpr, 54
	.set _ZN4vllm25paged_attention_v1_kernelIthLi192ELi32ELi128ELNS_18Fp8KVCacheDataTypeE1ELb0EEEvPT_PKS2_PKT0_S8_ifPKiSA_iPKfiiiSC_SC_iiiii.num_named_barrier, 0
	.set _ZN4vllm25paged_attention_v1_kernelIthLi192ELi32ELi128ELNS_18Fp8KVCacheDataTypeE1ELb0EEEvPT_PKS2_PKT0_S8_ifPKiSA_iPKfiiiSC_SC_iiiii.private_seg_size, 0
	.set _ZN4vllm25paged_attention_v1_kernelIthLi192ELi32ELi128ELNS_18Fp8KVCacheDataTypeE1ELb0EEEvPT_PKS2_PKT0_S8_ifPKiSA_iPKfiiiSC_SC_iiiii.uses_vcc, 1
	.set _ZN4vllm25paged_attention_v1_kernelIthLi192ELi32ELi128ELNS_18Fp8KVCacheDataTypeE1ELb0EEEvPT_PKS2_PKT0_S8_ifPKiSA_iPKfiiiSC_SC_iiiii.uses_flat_scratch, 0
	.set _ZN4vllm25paged_attention_v1_kernelIthLi192ELi32ELi128ELNS_18Fp8KVCacheDataTypeE1ELb0EEEvPT_PKS2_PKT0_S8_ifPKiSA_iPKfiiiSC_SC_iiiii.has_dyn_sized_stack, 0
	.set _ZN4vllm25paged_attention_v1_kernelIthLi192ELi32ELi128ELNS_18Fp8KVCacheDataTypeE1ELb0EEEvPT_PKS2_PKT0_S8_ifPKiSA_iPKfiiiSC_SC_iiiii.has_recursion, 0
	.set _ZN4vllm25paged_attention_v1_kernelIthLi192ELi32ELi128ELNS_18Fp8KVCacheDataTypeE1ELb0EEEvPT_PKS2_PKT0_S8_ifPKiSA_iPKfiiiSC_SC_iiiii.has_indirect_call, 0
	.section	.AMDGPU.csdata,"",@progbits
; Kernel info:
; codeLenInByte = 50872
; TotalNumSgprs: 60
; NumVgprs: 128
; NumAgprs: 0
; TotalNumVgprs: 128
; ScratchSize: 0
; MemoryBound: 0
; FloatMode: 240
; IeeeMode: 1
; LDSByteSize: 400 bytes/workgroup (compile time only)
; SGPRBlocks: 7
; VGPRBlocks: 15
; NumSGPRsForWavesPerEU: 60
; NumVGPRsForWavesPerEU: 128
; AccumOffset: 128
; Occupancy: 4
; WaveLimiterHint : 1
; COMPUTE_PGM_RSRC2:SCRATCH_EN: 0
; COMPUTE_PGM_RSRC2:USER_SGPR: 2
; COMPUTE_PGM_RSRC2:TRAP_HANDLER: 0
; COMPUTE_PGM_RSRC2:TGID_X_EN: 1
; COMPUTE_PGM_RSRC2:TGID_Y_EN: 1
; COMPUTE_PGM_RSRC2:TGID_Z_EN: 1
; COMPUTE_PGM_RSRC2:TIDIG_COMP_CNT: 0
; COMPUTE_PGM_RSRC3_GFX90A:ACCUM_OFFSET: 31
; COMPUTE_PGM_RSRC3_GFX90A:TG_SPLIT: 0
	.text
	.p2align	2                               ; -- Begin function _ZN4vllm22paged_attention_kernelIthLi256ELi32ELi128ELNS_18Fp8KVCacheDataTypeE1ELb0ELi0EEEvPfS2_PT_PKS3_PKT0_S9_ifPKiSB_iPKfiiiSD_SD_iiiii
	.type	_ZN4vllm22paged_attention_kernelIthLi256ELi32ELi128ELNS_18Fp8KVCacheDataTypeE1ELb0ELi0EEEvPfS2_PT_PKS3_PKT0_S9_ifPKiSB_iPKfiiiSD_SD_iiiii,@function
_ZN4vllm22paged_attention_kernelIthLi256ELi32ELi128ELNS_18Fp8KVCacheDataTypeE1ELb0ELi0EEEvPfS2_PT_PKS3_PKT0_S9_ifPKiSB_iPKfiiiSD_SD_iiiii: ; @_ZN4vllm22paged_attention_kernelIthLi256ELi32ELi128ELNS_18Fp8KVCacheDataTypeE1ELb0ELi0EEEvPfS2_PT_PKS3_PKT0_S9_ifPKiSB_iPKfiiiSD_SD_iiiii
; %bb.0:
	s_waitcnt vmcnt(0) expcnt(0) lgkmcnt(0)
	scratch_store_dword off, v40, s32 offset:188 ; 4-byte Folded Spill
	scratch_store_dword off, v41, s32 offset:184 ; 4-byte Folded Spill
	;; [unrolled: 1-line block ×47, first 2 shown]
	scratch_store_dword off, v127, s32      ; 4-byte Folded Spill
	s_mov_b32 s10, s13
	s_ashr_i32 s11, s13, 31
	scratch_store_dwordx2 off, v[20:21], s32 offset:352 ; 8-byte Folded Spill
	scratch_store_dwordx2 off, v[18:19], s32 offset:256 ; 8-byte Folded Spill
	;; [unrolled: 1-line block ×3, first 2 shown]
	scratch_store_dword off, v9, s32 offset:380 ; 4-byte Folded Spill
	v_mov_b32_e32 v77, v1
	v_mov_b32_e32 v76, v0
	v_lshl_add_u64 v[0:1], s[10:11], 2, v[12:13]
	flat_load_dword v62, v[0:1]
	v_sub_u32_e32 v0, 0, v8
	v_max_i32_e32 v0, v8, v0
	v_cvt_f32_u32_e32 v1, v0
	s_load_dword s0, s[8:9], 0x10
	s_load_dword s2, s[8:9], 0x0
	v_mov_b32_e32 v37, v7
	v_sub_u32_e32 v7, 0, v0
	v_rcp_iflag_f32_e32 v1, v1
	s_waitcnt lgkmcnt(0)
	s_lshr_b32 s0, s0, 16
	s_cmp_lg_u32 s0, 0
	s_cselect_b64 s[0:1], -1, 0
	v_mul_f32_e32 v1, 0x4f7ffffe, v1
	v_cvt_u32_f32_e32 v1, v1
	s_cmp_lg_u64 s[0:1], 0
	s_addc_u32 s11, s2, 0
	s_abs_i32 s0, s11
	v_mul_lo_u32 v7, v7, v1
	v_mul_hi_u32 v7, v1, v7
	v_add_u32_e32 v1, v1, v7
	v_mul_hi_u32 v1, s0, v1
	v_mul_lo_u32 v7, v1, v0
	v_sub_u32_e32 v7, s0, v7
	v_mov_b32_e32 v36, v6
	v_xor_b32_e32 v6, s11, v8
	v_add_u32_e32 v8, 1, v1
	v_cmp_ge_u32_e32 vcc, v7, v0
	v_ashrrev_i32_e32 v6, 31, v6
	v_mov_b32_e32 v25, v16
	v_cndmask_b32_e32 v1, v1, v8, vcc
	v_sub_u32_e32 v8, v7, v0
	v_cndmask_b32_e32 v7, v7, v8, vcc
	v_add_u32_e32 v8, 1, v1
	v_cmp_ge_u32_e32 vcc, v7, v0
	v_mov_b32_e32 v24, v15
	s_abs_i32 s4, s12
	v_cndmask_b32_e32 v0, v1, v8, vcc
	v_xor_b32_e32 v0, v0, v6
	v_sub_u32_e32 v1, v0, v6
	v_sub_u32_e32 v0, 0, v1
	v_max_i32_e32 v0, v1, v0
	v_cvt_f32_u32_e32 v6, v0
	v_sub_u32_e32 v7, 0, v0
	s_mov_b32 s16, s15
	v_cmp_ne_u64_e32 vcc, 0, v[24:25]
	v_rcp_iflag_f32_e32 v6, v6
	s_nop 0
	v_mul_f32_e32 v6, 0x4f7ffffe, v6
	v_cvt_u32_f32_e32 v6, v6
	v_mul_lo_u32 v7, v7, v6
	v_mul_hi_u32 v7, v6, v7
	v_add_u32_e32 v6, v6, v7
	v_mad_u64_u32 v[26:27], s[0:1], s4, v6, 0
	v_mov_b32_e32 v6, 0
	scratch_store_dword off, v6, s32 offset:376 ; 4-byte Folded Spill
	s_and_saveexec_b64 s[0:1], vcc
	s_cbranch_execz .LBB270_2
; %bb.1:
	s_ashr_i32 s13, s12, 31
	v_lshl_add_u64 v[6:7], s[12:13], 2, v[24:25]
	flat_load_dword v6, v[6:7]
	s_waitcnt vmcnt(0) lgkmcnt(0)
	scratch_store_dword off, v6, s32 offset:376 ; 4-byte Folded Spill
.LBB270_2:
	s_or_b64 exec, exec, s[0:1]
	v_and_b32_e32 v72, 0x3ff, v31
	s_ashr_i32 s5, s12, 31
	v_ashrrev_i32_e32 v1, 31, v1
	v_and_b32_e32 v6, 1, v31
	s_lshl_b32 s12, s12, 8
	v_cmp_gt_u32_e64 s[0:1], 64, v72
	v_lshlrev_b32_e32 v38, 3, v72
	s_and_saveexec_b64 s[2:3], s[0:1]
	s_cbranch_execz .LBB270_4
; %bb.3:
	v_mul_lo_u32 v8, v17, s10
	v_ashrrev_i32_e32 v9, 31, v8
	v_lshl_add_u64 v[2:3], v[8:9], 1, v[2:3]
	s_ashr_i32 s13, s12, 31
	v_lshl_add_u64 v[2:3], s[12:13], 1, v[2:3]
	v_mov_b32_e32 v39, 0
	v_lshl_add_u64 v[2:3], v[2:3], 0, v[38:39]
	flat_load_dwordx2 v[2:3], v[2:3]
	v_lshlrev_b32_e32 v7, 2, v72
	v_and_b32_e32 v7, 0xff8, v7
	v_lshl_add_u32 v7, v6, 8, v7
	s_waitcnt vmcnt(0) lgkmcnt(0)
	ds_write_b64 v7, v[2:3]
.LBB270_4:
	s_or_b64 exec, exec, s[2:3]
	s_waitcnt vmcnt(0)
	v_add_u32_e32 v2, 31, v62
	v_ashrrev_i32_e32 v3, 31, v2
	v_lshrrev_b32_e32 v3, 27, v3
	v_add_u32_e32 v2, v2, v3
	v_ashrrev_i32_e32 v73, 5, v2
	v_mul_lo_u32 v2, v27, v0
	v_sub_u32_e32 v2, s4, v2
	v_add_u32_e32 v3, 1, v27
	v_cmp_ge_u32_e32 vcc, v2, v0
	v_sub_u32_e32 v7, v2, v0
	v_xor_b32_e32 v1, s5, v1
	v_cndmask_b32_e32 v3, v27, v3, vcc
	v_cndmask_b32_e32 v2, v2, v7, vcc
	v_add_u32_e32 v7, 1, v3
	v_cmp_ge_u32_e32 vcc, v2, v0
	v_lshrrev_b32_e32 v74, 6, v72
	s_waitcnt lgkmcnt(0)
	v_cndmask_b32_e32 v0, v3, v7, vcc
	v_xor_b32_e32 v0, v0, v1
	v_sub_u32_e32 v3, v0, v1
	v_mul_lo_u32 v0, v14, s10
	v_ashrrev_i32_e32 v1, 31, v0
	s_barrier
	scratch_store_dwordx2 off, v[0:1], s32 offset:392 ; 8-byte Folded Spill
	v_cmp_ge_i32_e64 s[2:3], v74, v73
	v_mbcnt_lo_u32_b32 v2, -1, 0
                                        ; implicit-def: $vgpr0
                                        ; kill: killed $vgpr0
                                        ; implicit-def: $vgpr0
                                        ; implicit-def: $vgpr1
	s_and_saveexec_b64 s[4:5], s[2:3]
	s_xor_b64 s[4:5], exec, s[4:5]
	s_cbranch_execz .LBB270_6
; %bb.5:
	v_mbcnt_hi_u32_b32 v0, -1, v2
                                        ; implicit-def: $vgpr2
	scratch_store_dword off, v0, s32 offset:348 ; 4-byte Folded Spill
	v_and_b32_e32 v0, 64, v0
                                        ; kill: killed $vgpr2
                                        ; implicit-def: $vgpr2
	v_add_u32_e32 v1, 64, v0
                                        ; kill: killed $vgpr2
                                        ; implicit-def: $vgpr2
	scratch_store_dwordx2 off, v[2:3], s32 offset:352 ; 8-byte Folded Spill
                                        ; implicit-def: $vgpr4
                                        ; implicit-def: $vgpr6
                                        ; implicit-def: $vgpr2
.LBB270_6:
	s_or_saveexec_b64 s[18:19], s[4:5]
	s_load_dword s15, s[8:9], 0x14
	s_load_dword s13, s[8:9], 0x8
	v_mul_lo_u32 v18, v3, v19
	v_mov_b32_e32 v7, 0xff7fffff
	v_ashrrev_i32_e32 v19, 31, v18
	v_lshrrev_b32_e32 v3, 4, v72
	scratch_store_dword off, v3, s32 offset:400 ; 4-byte Folded Spill
	s_xor_b64 exec, exec, s[18:19]
	s_cbranch_execz .LBB270_780
; %bb.7:
	v_bfe_u32 v3, v72, 1, 5
	v_lshl_add_u64 v[0:1], v[4:5], 0, v[18:19]
	v_lshlrev_b32_e32 v4, 4, v3
	v_mov_b32_e32 v5, 0
	scratch_store_dwordx2 off, v[22:23], s32 offset:444 ; 8-byte Folded Spill
	scratch_store_dwordx2 off, v[38:39], s32 offset:428 ; 8-byte Folded Spill
	;; [unrolled: 1-line block ×3, first 2 shown]
	scratch_store_dword off, v73, s32 offset:360 ; 4-byte Folded Spill
	scratch_store_dwordx2 off, v[76:77], s32 offset:404 ; 8-byte Folded Spill
	scratch_store_dword off, v72, s32 offset:412 ; 4-byte Folded Spill
	v_lshl_add_u64 v[0:1], v[0:1], 0, v[4:5]
	scratch_store_dwordx2 off, v[0:1], s32 offset:368 ; 8-byte Folded Spill
	scratch_load_dword v0, off, s32 offset:376 ; 4-byte Folded Reload
	v_lshlrev_b32_e32 v8, 2, v6
	v_lshlrev_b32_e32 v37, 8, v6
	v_cmp_eq_u32_e32 vcc, 0, v6
	v_mov_b32_e32 v1, v5
	scratch_load_dwordx2 v[6:7], off, s32 offset:384 ; 8-byte Folded Reload
	s_ashr_i32 s17, s16, 31
	s_lshl_b64 s[6:7], s[16:17], 2
	s_getpc_b64 s[8:9]
	s_add_u32 s8, s8, llvm.amdgcn.dynlds.offset.table@rel32@lo+4
	s_addc_u32 s9, s9, llvm.amdgcn.dynlds.offset.table@rel32@hi+12
	s_add_u32 s8, s8, s6
	v_mov_b32_e32 v9, v5
	s_addc_u32 s9, s9, s7
	s_mov_b64 s[20:21], 0
	s_movk_i32 s17, 0x80
	s_movk_i32 s62, 0x7f
	s_mov_b32 s63, 0x8000
	s_mov_b32 s72, 0xffffff
	s_mov_b64 s[22:23], 0x1000
	s_mov_b64 s[24:25], 0x1200
	;; [unrolled: 1-line block ×8, first 2 shown]
	scratch_store_dwordx2 off, v[18:19], s32 offset:436 ; 8-byte Folded Spill
	scratch_store_dwordx2 off, v[8:9], s32 offset:192 ; 8-byte Folded Spill
	s_waitcnt vmcnt(3)
	v_cmp_neq_f32_e64 s[4:5], 0, v0
	v_or_b32_e32 v0, 8, v8
	scratch_store_dwordx2 off, v[0:1], s32 offset:200 ; 8-byte Folded Spill
	scratch_load_dword v0, off, s32 offset:400 ; 4-byte Folded Reload
	s_waitcnt vmcnt(0)
	v_and_b32_e32 v4, 60, v0
	scratch_load_dwordx2 v[0:1], off, s32 offset:392 ; 8-byte Folded Reload
	s_waitcnt vmcnt(0)
	v_lshl_add_u64 v[0:1], v[0:1], 2, v[4:5]
	v_lshl_add_u64 v[6:7], v[6:7], 0, v[0:1]
	v_lshl_or_b32 v0, v74, 5, v3
	scratch_store_dword off, v0, s32 offset:248 ; 4-byte Folded Spill
	v_lshlrev_b32_e32 v0, 2, v3
	v_lshl_or_b32 v0, v74, 7, v0
	scratch_store_dword off, v0, s32 offset:252 ; 4-byte Folded Spill
	v_mov_b32_e32 v0, 0xff7fffff
	scratch_store_dword off, v0, s32 offset:364 ; 4-byte Folded Spill
	v_mbcnt_hi_u32_b32 v0, -1, v2
	scratch_store_dword off, v0, s32 offset:348 ; 4-byte Folded Spill
	scratch_store_dword off, v74, s32 offset:416 ; 4-byte Folded Spill
	s_branch .LBB270_9
.LBB270_8:                              ;   in Loop: Header=BB270_9 Depth=1
	s_or_b64 exec, exec, s[56:57]
	scratch_load_dwordx2 v[6:7], off, s32 offset:264 ; 8-byte Folded Reload
	scratch_load_dword v2, off, s32 offset:248 ; 4-byte Folded Reload
	s_waitcnt vmcnt(2)
	v_add_u32_e32 v74, 2, v74
	s_waitcnt vmcnt(1)
	v_lshl_add_u64 v[6:7], v[6:7], 0, 8
	s_waitcnt vmcnt(0)
	v_add_u32_e32 v2, 64, v2
	scratch_store_dword off, v2, s32 offset:248 ; 4-byte Folded Spill
	scratch_load_dword v2, off, s32 offset:360 ; 4-byte Folded Reload
	s_waitcnt vmcnt(0)
	v_cmp_ge_i32_e64 s[6:7], v74, v2
	scratch_load_dword v2, off, s32 offset:252 ; 4-byte Folded Reload
	s_or_b64 s[20:21], s[6:7], s[20:21]
	s_waitcnt vmcnt(0)
	v_add_u32_e32 v2, 0x100, v2
	scratch_store_dword off, v2, s32 offset:252 ; 4-byte Folded Spill
	s_andn2_b64 exec, exec, s[20:21]
	s_cbranch_execz .LBB270_779
.LBB270_9:                              ; =>This Inner Loop Header: Depth=1
	scratch_store_dword off, v74, s32 offset:272 ; 4-byte Folded Spill
	scratch_store_dwordx2 off, v[6:7], s32 offset:264 ; 8-byte Folded Spill
	flat_load_dword v0, v[6:7]
	s_waitcnt lgkmcnt(0)
	scratch_load_dwordx2 v[2:3], off, s32 offset:256 ; 8-byte Folded Reload
	scratch_load_dwordx2 v[6:7], off, s32 offset:368 ; 8-byte Folded Reload
	v_mov_b32_e32 v94, 0
	s_waitcnt vmcnt(0) lgkmcnt(0)
	v_mad_i64_i32 v[32:33], s[6:7], v0, v2, v[6:7]
	scratch_load_dwordx2 v[0:1], off, s32 offset:192 ; 8-byte Folded Reload
	s_waitcnt vmcnt(0)
	v_lshl_add_u64 v[34:35], v[32:33], 0, v[0:1]
	flat_load_dword v8, v[34:35]
	scratch_load_dwordx2 v[0:1], off, s32 offset:352 ; 8-byte Folded Reload
	s_waitcnt vmcnt(0) lgkmcnt(0)
	v_cmp_ne_u16_sdwa s[6:7], v8, v5 src0_sel:BYTE_0 src1_sel:DWORD
	flat_load_dword v50, v[0:1]
	s_and_saveexec_b64 s[56:57], s[6:7]
	s_cbranch_execz .LBB270_15
; %bb.10:                               ;   in Loop: Header=BB270_9 Depth=1
	v_cmp_ne_u16_sdwa s[6:7], v8, s17 src0_sel:BYTE_0 src1_sel:DWORD
	v_mov_b32_e32 v94, 0x8000
	s_and_saveexec_b64 s[58:59], s[6:7]
	s_cbranch_execz .LBB270_14
; %bb.11:                               ;   in Loop: Header=BB270_9 Depth=1
	v_and_b32_e32 v0, 0x7f, v8
	v_cmp_ne_u32_e64 s[6:7], s62, v0
	v_mov_b32_e32 v94, 0x7c01
	s_and_saveexec_b64 s[60:61], s[6:7]
	s_cbranch_execz .LBB270_13
; %bb.12:                               ;   in Loop: Header=BB270_9 Depth=1
	v_and_b32_e32 v1, 7, v8
	v_ffbh_u32_e32 v2, v1
	v_min_u32_e32 v6, 32, v2
	v_subrev_u32_e32 v2, 28, v6
	v_lshlrev_b64 v[2:3], v2, v[8:9]
	v_lshrrev_b32_e32 v4, 3, v0
	v_sub_u32_e32 v3, 29, v6
	v_cmp_gt_u32_e64 s[6:7], 8, v0
	v_and_b32_e32 v2, 7, v2
	s_nop 0
	v_cndmask_b32_e64 v0, v4, v3, s[6:7]
	v_mov_b32_e32 v4, 0x2000
	v_lshl_add_u32 v0, v0, 10, v4
	v_lshlrev_b32_e32 v3, 8, v8
	v_and_b32_e32 v0, 0xfc00, v0
	v_cndmask_b32_e64 v1, v1, v2, s[6:7]
	v_and_or_b32 v0, v3, s63, v0
	v_lshl_or_b32 v94, v1, 7, v0
.LBB270_13:                             ;   in Loop: Header=BB270_9 Depth=1
	s_or_b64 exec, exec, s[60:61]
.LBB270_14:                             ;   in Loop: Header=BB270_9 Depth=1
	s_or_b64 exec, exec, s[58:59]
.LBB270_15:                             ;   in Loop: Header=BB270_9 Depth=1
	s_or_b64 exec, exec, s[56:57]
	v_lshrrev_b16_e32 v4, 8, v8
	v_cmp_ne_u16_e64 s[6:7], 0, v4
	v_mov_b32_e32 v95, 0
	v_mov_b32_e32 v121, 0
	s_and_saveexec_b64 s[56:57], s[6:7]
	s_cbranch_execz .LBB270_21
; %bb.16:                               ;   in Loop: Header=BB270_9 Depth=1
	v_cmp_ne_u16_e64 s[6:7], s17, v4
	v_bfrev_b32_e32 v121, 1
	s_and_saveexec_b64 s[58:59], s[6:7]
	s_cbranch_execz .LBB270_20
; %bb.17:                               ;   in Loop: Header=BB270_9 Depth=1
	v_and_b32_e32 v0, 0x7f, v4
	v_cmp_ne_u32_e64 s[6:7], s62, v0
	v_mov_b32_e32 v121, 0x7c010000
	s_and_saveexec_b64 s[60:61], s[6:7]
	s_cbranch_execz .LBB270_19
; %bb.18:                               ;   in Loop: Header=BB270_9 Depth=1
	v_and_b32_e32 v1, 7, v4
	v_ffbh_u32_e32 v2, v1
	v_min_u32_e32 v7, 32, v2
	v_subrev_u32_e32 v2, 28, v7
	v_lshlrev_b64 v[2:3], v2, v[4:5]
	v_lshrrev_b32_e32 v6, 3, v0
	v_sub_u32_e32 v3, 29, v7
	v_cmp_gt_u32_e64 s[6:7], 8, v0
	v_and_b32_e32 v2, 7, v2
	s_nop 0
	v_cndmask_b32_e64 v0, v6, v3, s[6:7]
	v_lshlrev_b32_e32 v3, 8, v4
	v_mov_b32_e32 v4, 0x2000
	v_lshl_add_u32 v0, v0, 10, v4
	v_and_or_b32 v0, v3, s63, v0
	v_cndmask_b32_e64 v1, v1, v2, s[6:7]
	v_lshlrev_b32_e32 v0, 16, v0
	v_lshl_or_b32 v121, v1, 23, v0
.LBB270_19:                             ;   in Loop: Header=BB270_9 Depth=1
	s_or_b64 exec, exec, s[60:61]
.LBB270_20:                             ;   in Loop: Header=BB270_9 Depth=1
	s_or_b64 exec, exec, s[58:59]
.LBB270_21:                             ;   in Loop: Header=BB270_9 Depth=1
	s_or_b64 exec, exec, s[56:57]
	v_lshrrev_b32_e32 v4, 16, v8
	v_cmp_ne_u16_sdwa s[6:7], v4, v5 src0_sel:BYTE_0 src1_sel:DWORD
	s_and_saveexec_b64 s[56:57], s[6:7]
	s_cbranch_execz .LBB270_27
; %bb.22:                               ;   in Loop: Header=BB270_9 Depth=1
	v_cmp_ne_u16_sdwa s[6:7], v4, s17 src0_sel:BYTE_0 src1_sel:DWORD
	v_mov_b32_e32 v95, 0x8000
	s_and_saveexec_b64 s[58:59], s[6:7]
	s_cbranch_execz .LBB270_26
; %bb.23:                               ;   in Loop: Header=BB270_9 Depth=1
	v_bfe_u32 v0, v8, 16, 7
	v_cmp_ne_u32_e64 s[6:7], s62, v0
	v_mov_b32_e32 v95, 0x7c01
	s_and_saveexec_b64 s[60:61], s[6:7]
	s_cbranch_execz .LBB270_25
; %bb.24:                               ;   in Loop: Header=BB270_9 Depth=1
	v_and_b32_e32 v1, 7, v4
	v_ffbh_u32_e32 v2, v1
	v_min_u32_e32 v7, 32, v2
	v_subrev_u32_e32 v2, 28, v7
	v_lshlrev_b64 v[2:3], v2, v[4:5]
	v_lshrrev_b32_e32 v6, 3, v0
	v_sub_u32_e32 v3, 29, v7
	v_cmp_gt_u32_e64 s[6:7], 8, v0
	v_and_b32_e32 v2, 7, v2
	s_nop 0
	v_cndmask_b32_e64 v0, v6, v3, s[6:7]
	v_lshlrev_b32_e32 v3, 8, v4
	v_mov_b32_e32 v4, 0x2000
	v_lshl_add_u32 v0, v0, 10, v4
	v_and_b32_e32 v0, 0xfc00, v0
	v_cndmask_b32_e64 v1, v1, v2, s[6:7]
	v_and_or_b32 v0, v3, s63, v0
	v_lshl_or_b32 v95, v1, 7, v0
.LBB270_25:                             ;   in Loop: Header=BB270_9 Depth=1
	s_or_b64 exec, exec, s[60:61]
.LBB270_26:                             ;   in Loop: Header=BB270_9 Depth=1
	s_or_b64 exec, exec, s[58:59]
.LBB270_27:                             ;   in Loop: Header=BB270_9 Depth=1
	s_or_b64 exec, exec, s[56:57]
	v_cmp_lt_u32_e64 s[6:7], s72, v8
	v_mov_b32_e32 v123, 0
	v_mov_b32_e32 v122, 0
	s_and_saveexec_b64 s[56:57], s[6:7]
	s_cbranch_execz .LBB270_33
; %bb.28:                               ;   in Loop: Header=BB270_9 Depth=1
	v_lshrrev_b32_e32 v4, 24, v8
	v_cmp_ne_u32_e64 s[6:7], s17, v4
	v_bfrev_b32_e32 v122, 1
	s_and_saveexec_b64 s[58:59], s[6:7]
	s_cbranch_execz .LBB270_32
; %bb.29:                               ;   in Loop: Header=BB270_9 Depth=1
	v_and_b32_e32 v0, 0x7f, v4
	v_cmp_ne_u32_e64 s[6:7], s62, v0
	v_mov_b32_e32 v122, 0x7c010000
	s_and_saveexec_b64 s[60:61], s[6:7]
	s_cbranch_execz .LBB270_31
; %bb.30:                               ;   in Loop: Header=BB270_9 Depth=1
	v_and_b32_e32 v1, 7, v4
	v_ffbh_u32_e32 v2, v1
	v_min_u32_e32 v7, 32, v2
	v_subrev_u32_e32 v2, 28, v7
	v_lshlrev_b64 v[2:3], v2, v[4:5]
	v_lshrrev_b32_e32 v6, 3, v0
	v_sub_u32_e32 v3, 29, v7
	v_cmp_gt_u32_e64 s[6:7], 8, v0
	v_and_b32_e32 v2, 7, v2
	s_nop 0
	v_cndmask_b32_e64 v0, v6, v3, s[6:7]
	v_lshlrev_b32_e32 v3, 8, v4
	v_mov_b32_e32 v4, 0x2000
	v_lshl_add_u32 v0, v0, 10, v4
	v_and_or_b32 v0, v3, s63, v0
	v_cndmask_b32_e64 v1, v1, v2, s[6:7]
	v_lshlrev_b32_e32 v0, 16, v0
	v_lshl_or_b32 v122, v1, 23, v0
.LBB270_31:                             ;   in Loop: Header=BB270_9 Depth=1
	s_or_b64 exec, exec, s[60:61]
.LBB270_32:                             ;   in Loop: Header=BB270_9 Depth=1
	s_or_b64 exec, exec, s[58:59]
.LBB270_33:                             ;   in Loop: Header=BB270_9 Depth=1
	s_or_b64 exec, exec, s[56:57]
	flat_load_dword v8, v[34:35] offset:8
	s_waitcnt vmcnt(0) lgkmcnt(0)
	v_cmp_ne_u16_sdwa s[6:7], v8, v5 src0_sel:BYTE_0 src1_sel:DWORD
	s_and_saveexec_b64 s[56:57], s[6:7]
	s_cbranch_execz .LBB270_39
; %bb.34:                               ;   in Loop: Header=BB270_9 Depth=1
	v_cmp_ne_u16_sdwa s[6:7], v8, s17 src0_sel:BYTE_0 src1_sel:DWORD
	v_mov_b32_e32 v123, 0x8000
	s_and_saveexec_b64 s[58:59], s[6:7]
	s_cbranch_execz .LBB270_38
; %bb.35:                               ;   in Loop: Header=BB270_9 Depth=1
	v_and_b32_e32 v0, 0x7f, v8
	v_cmp_ne_u32_e64 s[6:7], s62, v0
	v_mov_b32_e32 v123, 0x7c01
	s_and_saveexec_b64 s[60:61], s[6:7]
	s_cbranch_execz .LBB270_37
; %bb.36:                               ;   in Loop: Header=BB270_9 Depth=1
	v_and_b32_e32 v1, 7, v8
	v_ffbh_u32_e32 v2, v1
	v_min_u32_e32 v6, 32, v2
	v_subrev_u32_e32 v2, 28, v6
	v_lshlrev_b64 v[2:3], v2, v[8:9]
	v_lshrrev_b32_e32 v4, 3, v0
	v_sub_u32_e32 v3, 29, v6
	v_cmp_gt_u32_e64 s[6:7], 8, v0
	v_and_b32_e32 v2, 7, v2
	s_nop 0
	v_cndmask_b32_e64 v0, v4, v3, s[6:7]
	v_mov_b32_e32 v4, 0x2000
	v_lshl_add_u32 v0, v0, 10, v4
	v_lshlrev_b32_e32 v3, 8, v8
	v_and_b32_e32 v0, 0xfc00, v0
	v_cndmask_b32_e64 v1, v1, v2, s[6:7]
	v_and_or_b32 v0, v3, s63, v0
	v_lshl_or_b32 v123, v1, 7, v0
.LBB270_37:                             ;   in Loop: Header=BB270_9 Depth=1
	s_or_b64 exec, exec, s[60:61]
.LBB270_38:                             ;   in Loop: Header=BB270_9 Depth=1
	s_or_b64 exec, exec, s[58:59]
.LBB270_39:                             ;   in Loop: Header=BB270_9 Depth=1
	s_or_b64 exec, exec, s[56:57]
	v_lshrrev_b16_e32 v4, 8, v8
	v_cmp_ne_u16_e64 s[6:7], 0, v4
	v_mov_b32_e32 v79, 0
	v_mov_b32_e32 v78, 0
	s_and_saveexec_b64 s[56:57], s[6:7]
	s_cbranch_execz .LBB270_45
; %bb.40:                               ;   in Loop: Header=BB270_9 Depth=1
	v_cmp_ne_u16_e64 s[6:7], s17, v4
	v_bfrev_b32_e32 v78, 1
	s_and_saveexec_b64 s[58:59], s[6:7]
	s_cbranch_execz .LBB270_44
; %bb.41:                               ;   in Loop: Header=BB270_9 Depth=1
	v_and_b32_e32 v0, 0x7f, v4
	v_cmp_ne_u32_e64 s[6:7], s62, v0
	v_mov_b32_e32 v78, 0x7c010000
	s_and_saveexec_b64 s[60:61], s[6:7]
	s_cbranch_execz .LBB270_43
; %bb.42:                               ;   in Loop: Header=BB270_9 Depth=1
	v_and_b32_e32 v1, 7, v4
	v_ffbh_u32_e32 v2, v1
	v_min_u32_e32 v7, 32, v2
	v_subrev_u32_e32 v2, 28, v7
	v_lshlrev_b64 v[2:3], v2, v[4:5]
	v_lshrrev_b32_e32 v6, 3, v0
	v_sub_u32_e32 v3, 29, v7
	v_cmp_gt_u32_e64 s[6:7], 8, v0
	v_and_b32_e32 v2, 7, v2
	s_nop 0
	v_cndmask_b32_e64 v0, v6, v3, s[6:7]
	v_lshlrev_b32_e32 v3, 8, v4
	v_mov_b32_e32 v4, 0x2000
	v_lshl_add_u32 v0, v0, 10, v4
	v_and_or_b32 v0, v3, s63, v0
	v_cndmask_b32_e64 v1, v1, v2, s[6:7]
	v_lshlrev_b32_e32 v0, 16, v0
	v_lshl_or_b32 v78, v1, 23, v0
.LBB270_43:                             ;   in Loop: Header=BB270_9 Depth=1
	s_or_b64 exec, exec, s[60:61]
.LBB270_44:                             ;   in Loop: Header=BB270_9 Depth=1
	s_or_b64 exec, exec, s[58:59]
.LBB270_45:                             ;   in Loop: Header=BB270_9 Depth=1
	s_or_b64 exec, exec, s[56:57]
	v_lshrrev_b32_e32 v4, 16, v8
	v_cmp_ne_u16_sdwa s[6:7], v4, v5 src0_sel:BYTE_0 src1_sel:DWORD
	s_and_saveexec_b64 s[56:57], s[6:7]
	s_cbranch_execz .LBB270_51
; %bb.46:                               ;   in Loop: Header=BB270_9 Depth=1
	v_cmp_ne_u16_sdwa s[6:7], v4, s17 src0_sel:BYTE_0 src1_sel:DWORD
	v_mov_b32_e32 v79, 0x8000
	s_and_saveexec_b64 s[58:59], s[6:7]
	s_cbranch_execz .LBB270_50
; %bb.47:                               ;   in Loop: Header=BB270_9 Depth=1
	v_bfe_u32 v0, v8, 16, 7
	v_cmp_ne_u32_e64 s[6:7], s62, v0
	v_mov_b32_e32 v79, 0x7c01
	s_and_saveexec_b64 s[60:61], s[6:7]
	s_cbranch_execz .LBB270_49
; %bb.48:                               ;   in Loop: Header=BB270_9 Depth=1
	v_and_b32_e32 v1, 7, v4
	v_ffbh_u32_e32 v2, v1
	v_min_u32_e32 v7, 32, v2
	v_subrev_u32_e32 v2, 28, v7
	v_lshlrev_b64 v[2:3], v2, v[4:5]
	v_lshrrev_b32_e32 v6, 3, v0
	v_sub_u32_e32 v3, 29, v7
	v_cmp_gt_u32_e64 s[6:7], 8, v0
	v_and_b32_e32 v2, 7, v2
	s_nop 0
	v_cndmask_b32_e64 v0, v6, v3, s[6:7]
	v_lshlrev_b32_e32 v3, 8, v4
	v_mov_b32_e32 v4, 0x2000
	v_lshl_add_u32 v0, v0, 10, v4
	v_and_b32_e32 v0, 0xfc00, v0
	v_cndmask_b32_e64 v1, v1, v2, s[6:7]
	v_and_or_b32 v0, v3, s63, v0
	v_lshl_or_b32 v79, v1, 7, v0
.LBB270_49:                             ;   in Loop: Header=BB270_9 Depth=1
	s_or_b64 exec, exec, s[60:61]
.LBB270_50:                             ;   in Loop: Header=BB270_9 Depth=1
	s_or_b64 exec, exec, s[58:59]
.LBB270_51:                             ;   in Loop: Header=BB270_9 Depth=1
	s_or_b64 exec, exec, s[56:57]
	v_cmp_lt_u32_e64 s[6:7], s72, v8
	v_mov_b32_e32 v125, 0
	v_mov_b32_e32 v124, 0
	s_and_saveexec_b64 s[56:57], s[6:7]
	s_cbranch_execz .LBB270_57
; %bb.52:                               ;   in Loop: Header=BB270_9 Depth=1
	v_lshrrev_b32_e32 v4, 24, v8
	v_cmp_ne_u32_e64 s[6:7], s17, v4
	v_bfrev_b32_e32 v124, 1
	s_and_saveexec_b64 s[58:59], s[6:7]
	s_cbranch_execz .LBB270_56
; %bb.53:                               ;   in Loop: Header=BB270_9 Depth=1
	v_and_b32_e32 v0, 0x7f, v4
	v_cmp_ne_u32_e64 s[6:7], s62, v0
	v_mov_b32_e32 v124, 0x7c010000
	s_and_saveexec_b64 s[60:61], s[6:7]
	s_cbranch_execz .LBB270_55
; %bb.54:                               ;   in Loop: Header=BB270_9 Depth=1
	v_and_b32_e32 v1, 7, v4
	v_ffbh_u32_e32 v2, v1
	v_min_u32_e32 v7, 32, v2
	v_subrev_u32_e32 v2, 28, v7
	v_lshlrev_b64 v[2:3], v2, v[4:5]
	v_lshrrev_b32_e32 v6, 3, v0
	v_sub_u32_e32 v3, 29, v7
	v_cmp_gt_u32_e64 s[6:7], 8, v0
	v_and_b32_e32 v2, 7, v2
	s_nop 0
	v_cndmask_b32_e64 v0, v6, v3, s[6:7]
	v_lshlrev_b32_e32 v3, 8, v4
	v_mov_b32_e32 v4, 0x2000
	v_lshl_add_u32 v0, v0, 10, v4
	v_and_or_b32 v0, v3, s63, v0
	v_cndmask_b32_e64 v1, v1, v2, s[6:7]
	v_lshlrev_b32_e32 v0, 16, v0
	v_lshl_or_b32 v124, v1, 23, v0
.LBB270_55:                             ;   in Loop: Header=BB270_9 Depth=1
	s_or_b64 exec, exec, s[60:61]
.LBB270_56:                             ;   in Loop: Header=BB270_9 Depth=1
	s_or_b64 exec, exec, s[58:59]
.LBB270_57:                             ;   in Loop: Header=BB270_9 Depth=1
	s_or_b64 exec, exec, s[56:57]
	flat_load_dword v8, v[34:35] offset:512
	s_waitcnt vmcnt(0) lgkmcnt(0)
	v_cmp_ne_u16_sdwa s[6:7], v8, v5 src0_sel:BYTE_0 src1_sel:DWORD
	s_and_saveexec_b64 s[56:57], s[6:7]
	s_cbranch_execz .LBB270_63
; %bb.58:                               ;   in Loop: Header=BB270_9 Depth=1
	v_cmp_ne_u16_sdwa s[6:7], v8, s17 src0_sel:BYTE_0 src1_sel:DWORD
	v_mov_b32_e32 v125, 0x8000
	s_and_saveexec_b64 s[58:59], s[6:7]
	s_cbranch_execz .LBB270_62
; %bb.59:                               ;   in Loop: Header=BB270_9 Depth=1
	v_and_b32_e32 v0, 0x7f, v8
	v_cmp_ne_u32_e64 s[6:7], s62, v0
	v_mov_b32_e32 v125, 0x7c01
	s_and_saveexec_b64 s[60:61], s[6:7]
	s_cbranch_execz .LBB270_61
; %bb.60:                               ;   in Loop: Header=BB270_9 Depth=1
	v_and_b32_e32 v1, 7, v8
	v_ffbh_u32_e32 v2, v1
	v_min_u32_e32 v6, 32, v2
	v_subrev_u32_e32 v2, 28, v6
	v_lshlrev_b64 v[2:3], v2, v[8:9]
	v_lshrrev_b32_e32 v4, 3, v0
	v_sub_u32_e32 v3, 29, v6
	v_cmp_gt_u32_e64 s[6:7], 8, v0
	v_and_b32_e32 v2, 7, v2
	s_nop 0
	v_cndmask_b32_e64 v0, v4, v3, s[6:7]
	v_mov_b32_e32 v4, 0x2000
	v_lshl_add_u32 v0, v0, 10, v4
	v_lshlrev_b32_e32 v3, 8, v8
	v_and_b32_e32 v0, 0xfc00, v0
	v_cndmask_b32_e64 v1, v1, v2, s[6:7]
	v_and_or_b32 v0, v3, s63, v0
	v_lshl_or_b32 v125, v1, 7, v0
.LBB270_61:                             ;   in Loop: Header=BB270_9 Depth=1
	s_or_b64 exec, exec, s[60:61]
.LBB270_62:                             ;   in Loop: Header=BB270_9 Depth=1
	s_or_b64 exec, exec, s[58:59]
.LBB270_63:                             ;   in Loop: Header=BB270_9 Depth=1
	s_or_b64 exec, exec, s[56:57]
	v_lshrrev_b16_e32 v4, 8, v8
	v_cmp_ne_u16_e64 s[6:7], 0, v4
	v_mov_b32_e32 v126, 0
	v_mov_b32_e32 v80, 0
	s_and_saveexec_b64 s[56:57], s[6:7]
	s_cbranch_execz .LBB270_69
; %bb.64:                               ;   in Loop: Header=BB270_9 Depth=1
	v_cmp_ne_u16_e64 s[6:7], s17, v4
	v_bfrev_b32_e32 v80, 1
	s_and_saveexec_b64 s[58:59], s[6:7]
	s_cbranch_execz .LBB270_68
; %bb.65:                               ;   in Loop: Header=BB270_9 Depth=1
	v_and_b32_e32 v0, 0x7f, v4
	v_cmp_ne_u32_e64 s[6:7], s62, v0
	v_mov_b32_e32 v80, 0x7c010000
	s_and_saveexec_b64 s[60:61], s[6:7]
	s_cbranch_execz .LBB270_67
; %bb.66:                               ;   in Loop: Header=BB270_9 Depth=1
	v_and_b32_e32 v1, 7, v4
	v_ffbh_u32_e32 v2, v1
	v_min_u32_e32 v7, 32, v2
	v_subrev_u32_e32 v2, 28, v7
	v_lshlrev_b64 v[2:3], v2, v[4:5]
	v_lshrrev_b32_e32 v6, 3, v0
	v_sub_u32_e32 v3, 29, v7
	v_cmp_gt_u32_e64 s[6:7], 8, v0
	v_and_b32_e32 v2, 7, v2
	s_nop 0
	v_cndmask_b32_e64 v0, v6, v3, s[6:7]
	v_lshlrev_b32_e32 v3, 8, v4
	v_mov_b32_e32 v4, 0x2000
	v_lshl_add_u32 v0, v0, 10, v4
	v_and_or_b32 v0, v3, s63, v0
	v_cndmask_b32_e64 v1, v1, v2, s[6:7]
	v_lshlrev_b32_e32 v0, 16, v0
	v_lshl_or_b32 v80, v1, 23, v0
.LBB270_67:                             ;   in Loop: Header=BB270_9 Depth=1
	s_or_b64 exec, exec, s[60:61]
.LBB270_68:                             ;   in Loop: Header=BB270_9 Depth=1
	s_or_b64 exec, exec, s[58:59]
.LBB270_69:                             ;   in Loop: Header=BB270_9 Depth=1
	s_or_b64 exec, exec, s[56:57]
	v_lshrrev_b32_e32 v4, 16, v8
	v_cmp_ne_u16_sdwa s[6:7], v4, v5 src0_sel:BYTE_0 src1_sel:DWORD
	s_and_saveexec_b64 s[56:57], s[6:7]
	s_cbranch_execz .LBB270_75
; %bb.70:                               ;   in Loop: Header=BB270_9 Depth=1
	v_cmp_ne_u16_sdwa s[6:7], v4, s17 src0_sel:BYTE_0 src1_sel:DWORD
	v_mov_b32_e32 v126, 0x8000
	s_and_saveexec_b64 s[58:59], s[6:7]
	s_cbranch_execz .LBB270_74
; %bb.71:                               ;   in Loop: Header=BB270_9 Depth=1
	v_bfe_u32 v0, v8, 16, 7
	v_cmp_ne_u32_e64 s[6:7], s62, v0
	v_mov_b32_e32 v126, 0x7c01
	s_and_saveexec_b64 s[60:61], s[6:7]
	s_cbranch_execz .LBB270_73
; %bb.72:                               ;   in Loop: Header=BB270_9 Depth=1
	v_and_b32_e32 v1, 7, v4
	v_ffbh_u32_e32 v2, v1
	v_min_u32_e32 v7, 32, v2
	v_subrev_u32_e32 v2, 28, v7
	v_lshlrev_b64 v[2:3], v2, v[4:5]
	v_lshrrev_b32_e32 v6, 3, v0
	v_sub_u32_e32 v3, 29, v7
	v_cmp_gt_u32_e64 s[6:7], 8, v0
	v_and_b32_e32 v2, 7, v2
	s_nop 0
	v_cndmask_b32_e64 v0, v6, v3, s[6:7]
	v_lshlrev_b32_e32 v3, 8, v4
	v_mov_b32_e32 v4, 0x2000
	v_lshl_add_u32 v0, v0, 10, v4
	v_and_b32_e32 v0, 0xfc00, v0
	v_cndmask_b32_e64 v1, v1, v2, s[6:7]
	v_and_or_b32 v0, v3, s63, v0
	v_lshl_or_b32 v126, v1, 7, v0
.LBB270_73:                             ;   in Loop: Header=BB270_9 Depth=1
	s_or_b64 exec, exec, s[60:61]
.LBB270_74:                             ;   in Loop: Header=BB270_9 Depth=1
	s_or_b64 exec, exec, s[58:59]
.LBB270_75:                             ;   in Loop: Header=BB270_9 Depth=1
	s_or_b64 exec, exec, s[56:57]
	v_cmp_lt_u32_e64 s[6:7], s72, v8
	v_mov_b32_e32 v120, 0
	v_mov_b32_e32 v69, 0
	s_and_saveexec_b64 s[56:57], s[6:7]
	s_cbranch_execz .LBB270_81
; %bb.76:                               ;   in Loop: Header=BB270_9 Depth=1
	v_lshrrev_b32_e32 v4, 24, v8
	v_cmp_ne_u32_e64 s[6:7], s17, v4
	v_bfrev_b32_e32 v69, 1
	s_and_saveexec_b64 s[58:59], s[6:7]
	s_cbranch_execz .LBB270_80
; %bb.77:                               ;   in Loop: Header=BB270_9 Depth=1
	v_and_b32_e32 v0, 0x7f, v4
	v_cmp_ne_u32_e64 s[6:7], s62, v0
	v_mov_b32_e32 v69, 0x7c010000
	s_and_saveexec_b64 s[60:61], s[6:7]
	s_cbranch_execz .LBB270_79
; %bb.78:                               ;   in Loop: Header=BB270_9 Depth=1
	v_and_b32_e32 v1, 7, v4
	v_ffbh_u32_e32 v2, v1
	v_min_u32_e32 v7, 32, v2
	v_subrev_u32_e32 v2, 28, v7
	v_lshlrev_b64 v[2:3], v2, v[4:5]
	v_lshrrev_b32_e32 v6, 3, v0
	v_sub_u32_e32 v3, 29, v7
	v_cmp_gt_u32_e64 s[6:7], 8, v0
	v_and_b32_e32 v2, 7, v2
	s_nop 0
	v_cndmask_b32_e64 v0, v6, v3, s[6:7]
	v_lshlrev_b32_e32 v3, 8, v4
	v_mov_b32_e32 v4, 0x2000
	v_lshl_add_u32 v0, v0, 10, v4
	v_and_or_b32 v0, v3, s63, v0
	v_cndmask_b32_e64 v1, v1, v2, s[6:7]
	v_lshlrev_b32_e32 v0, 16, v0
	v_lshl_or_b32 v69, v1, 23, v0
.LBB270_79:                             ;   in Loop: Header=BB270_9 Depth=1
	s_or_b64 exec, exec, s[60:61]
.LBB270_80:                             ;   in Loop: Header=BB270_9 Depth=1
	s_or_b64 exec, exec, s[58:59]
.LBB270_81:                             ;   in Loop: Header=BB270_9 Depth=1
	s_or_b64 exec, exec, s[56:57]
	flat_load_dword v8, v[34:35] offset:520
	s_waitcnt vmcnt(0) lgkmcnt(0)
	v_cmp_ne_u16_sdwa s[6:7], v8, v5 src0_sel:BYTE_0 src1_sel:DWORD
	s_and_saveexec_b64 s[56:57], s[6:7]
	s_cbranch_execz .LBB270_87
; %bb.82:                               ;   in Loop: Header=BB270_9 Depth=1
	v_cmp_ne_u16_sdwa s[6:7], v8, s17 src0_sel:BYTE_0 src1_sel:DWORD
	v_mov_b32_e32 v120, 0x8000
	s_and_saveexec_b64 s[58:59], s[6:7]
	s_cbranch_execz .LBB270_86
; %bb.83:                               ;   in Loop: Header=BB270_9 Depth=1
	v_and_b32_e32 v0, 0x7f, v8
	v_cmp_ne_u32_e64 s[6:7], s62, v0
	v_mov_b32_e32 v120, 0x7c01
	s_and_saveexec_b64 s[60:61], s[6:7]
	s_cbranch_execz .LBB270_85
; %bb.84:                               ;   in Loop: Header=BB270_9 Depth=1
	v_and_b32_e32 v1, 7, v8
	v_ffbh_u32_e32 v2, v1
	v_min_u32_e32 v6, 32, v2
	v_subrev_u32_e32 v2, 28, v6
	v_lshlrev_b64 v[2:3], v2, v[8:9]
	v_lshrrev_b32_e32 v4, 3, v0
	v_sub_u32_e32 v3, 29, v6
	v_cmp_gt_u32_e64 s[6:7], 8, v0
	v_and_b32_e32 v2, 7, v2
	s_nop 0
	v_cndmask_b32_e64 v0, v4, v3, s[6:7]
	v_mov_b32_e32 v4, 0x2000
	v_lshl_add_u32 v0, v0, 10, v4
	v_lshlrev_b32_e32 v3, 8, v8
	v_and_b32_e32 v0, 0xfc00, v0
	v_cndmask_b32_e64 v1, v1, v2, s[6:7]
	v_and_or_b32 v0, v3, s63, v0
	v_lshl_or_b32 v120, v1, 7, v0
.LBB270_85:                             ;   in Loop: Header=BB270_9 Depth=1
	s_or_b64 exec, exec, s[60:61]
.LBB270_86:                             ;   in Loop: Header=BB270_9 Depth=1
	s_or_b64 exec, exec, s[58:59]
.LBB270_87:                             ;   in Loop: Header=BB270_9 Depth=1
	s_or_b64 exec, exec, s[56:57]
	v_lshrrev_b16_e32 v4, 8, v8
	v_cmp_ne_u16_e64 s[6:7], 0, v4
	v_mov_b32_e32 v0, 0
	v_mov_b32_e32 v54, 0
	scratch_store_dword off, v0, s32 offset:208 ; 4-byte Folded Spill
	s_and_saveexec_b64 s[56:57], s[6:7]
	s_cbranch_execz .LBB270_93
; %bb.88:                               ;   in Loop: Header=BB270_9 Depth=1
	v_cmp_ne_u16_e64 s[6:7], s17, v4
	v_bfrev_b32_e32 v54, 1
	s_and_saveexec_b64 s[58:59], s[6:7]
	s_cbranch_execz .LBB270_92
; %bb.89:                               ;   in Loop: Header=BB270_9 Depth=1
	v_and_b32_e32 v0, 0x7f, v4
	v_cmp_ne_u32_e64 s[6:7], s62, v0
	v_mov_b32_e32 v54, 0x7c010000
	s_and_saveexec_b64 s[60:61], s[6:7]
	s_cbranch_execz .LBB270_91
; %bb.90:                               ;   in Loop: Header=BB270_9 Depth=1
	v_and_b32_e32 v1, 7, v4
	v_ffbh_u32_e32 v2, v1
	v_min_u32_e32 v7, 32, v2
	v_subrev_u32_e32 v2, 28, v7
	v_lshlrev_b64 v[2:3], v2, v[4:5]
	v_lshrrev_b32_e32 v6, 3, v0
	v_sub_u32_e32 v3, 29, v7
	v_cmp_gt_u32_e64 s[6:7], 8, v0
	v_and_b32_e32 v2, 7, v2
	s_nop 0
	v_cndmask_b32_e64 v0, v6, v3, s[6:7]
	v_lshlrev_b32_e32 v3, 8, v4
	v_mov_b32_e32 v4, 0x2000
	v_lshl_add_u32 v0, v0, 10, v4
	v_and_or_b32 v0, v3, s63, v0
	v_cndmask_b32_e64 v1, v1, v2, s[6:7]
	v_lshlrev_b32_e32 v0, 16, v0
	v_lshl_or_b32 v54, v1, 23, v0
.LBB270_91:                             ;   in Loop: Header=BB270_9 Depth=1
	s_or_b64 exec, exec, s[60:61]
.LBB270_92:                             ;   in Loop: Header=BB270_9 Depth=1
	s_or_b64 exec, exec, s[58:59]
.LBB270_93:                             ;   in Loop: Header=BB270_9 Depth=1
	s_or_b64 exec, exec, s[56:57]
	v_lshrrev_b32_e32 v4, 16, v8
	v_cmp_ne_u16_sdwa s[6:7], v4, v5 src0_sel:BYTE_0 src1_sel:DWORD
	s_and_saveexec_b64 s[56:57], s[6:7]
	s_cbranch_execz .LBB270_99
; %bb.94:                               ;   in Loop: Header=BB270_9 Depth=1
	v_cmp_ne_u16_sdwa s[6:7], v4, s17 src0_sel:BYTE_0 src1_sel:DWORD
	v_mov_b32_e32 v0, 0x8000
	scratch_store_dword off, v0, s32 offset:208 ; 4-byte Folded Spill
	s_and_saveexec_b64 s[58:59], s[6:7]
	s_cbranch_execz .LBB270_98
; %bb.95:                               ;   in Loop: Header=BB270_9 Depth=1
	v_bfe_u32 v0, v8, 16, 7
	v_cmp_ne_u32_e64 s[6:7], s62, v0
	v_mov_b32_e32 v1, 0x7c01
	scratch_store_dword off, v1, s32 offset:208 ; 4-byte Folded Spill
	s_and_saveexec_b64 s[60:61], s[6:7]
	s_cbranch_execz .LBB270_97
; %bb.96:                               ;   in Loop: Header=BB270_9 Depth=1
	v_and_b32_e32 v1, 7, v4
	v_ffbh_u32_e32 v2, v1
	v_min_u32_e32 v7, 32, v2
	v_subrev_u32_e32 v2, 28, v7
	v_lshlrev_b64 v[2:3], v2, v[4:5]
	v_lshrrev_b32_e32 v6, 3, v0
	v_sub_u32_e32 v3, 29, v7
	v_cmp_gt_u32_e64 s[6:7], 8, v0
	v_and_b32_e32 v2, 7, v2
	s_nop 0
	v_cndmask_b32_e64 v0, v6, v3, s[6:7]
	v_lshlrev_b32_e32 v3, 8, v4
	v_mov_b32_e32 v4, 0x2000
	v_lshl_add_u32 v0, v0, 10, v4
	v_and_b32_e32 v0, 0xfc00, v0
	v_cndmask_b32_e64 v1, v1, v2, s[6:7]
	v_and_or_b32 v0, v3, s63, v0
	v_lshl_or_b32 v0, v1, 7, v0
	scratch_store_dword off, v0, s32 offset:208 ; 4-byte Folded Spill
.LBB270_97:                             ;   in Loop: Header=BB270_9 Depth=1
	s_or_b64 exec, exec, s[60:61]
.LBB270_98:                             ;   in Loop: Header=BB270_9 Depth=1
	s_or_b64 exec, exec, s[58:59]
.LBB270_99:                             ;   in Loop: Header=BB270_9 Depth=1
	s_or_b64 exec, exec, s[56:57]
	v_cmp_lt_u32_e64 s[6:7], s72, v8
	v_mov_b32_e32 v0, 0
	v_mov_b32_e32 v68, 0
	scratch_store_dword off, v0, s32 offset:212 ; 4-byte Folded Spill
	s_and_saveexec_b64 s[56:57], s[6:7]
	s_cbranch_execz .LBB270_105
; %bb.100:                              ;   in Loop: Header=BB270_9 Depth=1
	v_lshrrev_b32_e32 v4, 24, v8
	v_cmp_ne_u32_e64 s[6:7], s17, v4
	v_bfrev_b32_e32 v68, 1
	s_and_saveexec_b64 s[58:59], s[6:7]
	s_cbranch_execz .LBB270_104
; %bb.101:                              ;   in Loop: Header=BB270_9 Depth=1
	v_and_b32_e32 v0, 0x7f, v4
	v_cmp_ne_u32_e64 s[6:7], s62, v0
	v_mov_b32_e32 v68, 0x7c010000
	s_and_saveexec_b64 s[60:61], s[6:7]
	s_cbranch_execz .LBB270_103
; %bb.102:                              ;   in Loop: Header=BB270_9 Depth=1
	v_and_b32_e32 v1, 7, v4
	v_ffbh_u32_e32 v2, v1
	v_min_u32_e32 v7, 32, v2
	v_subrev_u32_e32 v2, 28, v7
	v_lshlrev_b64 v[2:3], v2, v[4:5]
	v_lshrrev_b32_e32 v6, 3, v0
	v_sub_u32_e32 v3, 29, v7
	v_cmp_gt_u32_e64 s[6:7], 8, v0
	v_and_b32_e32 v2, 7, v2
	s_nop 0
	v_cndmask_b32_e64 v0, v6, v3, s[6:7]
	v_lshlrev_b32_e32 v3, 8, v4
	v_mov_b32_e32 v4, 0x2000
	v_lshl_add_u32 v0, v0, 10, v4
	v_and_or_b32 v0, v3, s63, v0
	v_cndmask_b32_e64 v1, v1, v2, s[6:7]
	v_lshlrev_b32_e32 v0, 16, v0
	v_lshl_or_b32 v68, v1, 23, v0
.LBB270_103:                            ;   in Loop: Header=BB270_9 Depth=1
	s_or_b64 exec, exec, s[60:61]
.LBB270_104:                            ;   in Loop: Header=BB270_9 Depth=1
	s_or_b64 exec, exec, s[58:59]
.LBB270_105:                            ;   in Loop: Header=BB270_9 Depth=1
	s_or_b64 exec, exec, s[56:57]
	flat_load_dword v8, v[34:35] offset:1024
	s_waitcnt vmcnt(0) lgkmcnt(0)
	v_cmp_ne_u16_sdwa s[6:7], v8, v5 src0_sel:BYTE_0 src1_sel:DWORD
	s_and_saveexec_b64 s[56:57], s[6:7]
	s_cbranch_execz .LBB270_111
; %bb.106:                              ;   in Loop: Header=BB270_9 Depth=1
	v_cmp_ne_u16_sdwa s[6:7], v8, s17 src0_sel:BYTE_0 src1_sel:DWORD
	v_mov_b32_e32 v0, 0x8000
	scratch_store_dword off, v0, s32 offset:212 ; 4-byte Folded Spill
	s_and_saveexec_b64 s[58:59], s[6:7]
	s_cbranch_execz .LBB270_110
; %bb.107:                              ;   in Loop: Header=BB270_9 Depth=1
	v_and_b32_e32 v0, 0x7f, v8
	v_cmp_ne_u32_e64 s[6:7], s62, v0
	v_mov_b32_e32 v1, 0x7c01
	scratch_store_dword off, v1, s32 offset:212 ; 4-byte Folded Spill
	s_and_saveexec_b64 s[60:61], s[6:7]
	s_cbranch_execz .LBB270_109
; %bb.108:                              ;   in Loop: Header=BB270_9 Depth=1
	v_and_b32_e32 v1, 7, v8
	v_ffbh_u32_e32 v2, v1
	v_min_u32_e32 v6, 32, v2
	v_subrev_u32_e32 v2, 28, v6
	v_lshlrev_b64 v[2:3], v2, v[8:9]
	v_lshrrev_b32_e32 v4, 3, v0
	v_sub_u32_e32 v3, 29, v6
	v_cmp_gt_u32_e64 s[6:7], 8, v0
	v_and_b32_e32 v2, 7, v2
	s_nop 0
	v_cndmask_b32_e64 v0, v4, v3, s[6:7]
	v_mov_b32_e32 v4, 0x2000
	v_lshl_add_u32 v0, v0, 10, v4
	v_lshlrev_b32_e32 v3, 8, v8
	v_and_b32_e32 v0, 0xfc00, v0
	v_cndmask_b32_e64 v1, v1, v2, s[6:7]
	v_and_or_b32 v0, v3, s63, v0
	v_lshl_or_b32 v0, v1, 7, v0
	scratch_store_dword off, v0, s32 offset:212 ; 4-byte Folded Spill
.LBB270_109:                            ;   in Loop: Header=BB270_9 Depth=1
	s_or_b64 exec, exec, s[60:61]
.LBB270_110:                            ;   in Loop: Header=BB270_9 Depth=1
	s_or_b64 exec, exec, s[58:59]
.LBB270_111:                            ;   in Loop: Header=BB270_9 Depth=1
	s_or_b64 exec, exec, s[56:57]
	v_lshrrev_b16_e32 v4, 8, v8
	v_cmp_ne_u16_e64 s[6:7], 0, v4
	v_mov_b32_e32 v0, 0
	v_mov_b32_e32 v30, 0
	scratch_store_dword off, v0, s32 offset:216 ; 4-byte Folded Spill
	s_and_saveexec_b64 s[56:57], s[6:7]
	s_cbranch_execz .LBB270_117
; %bb.112:                              ;   in Loop: Header=BB270_9 Depth=1
	v_cmp_ne_u16_e64 s[6:7], s17, v4
	v_bfrev_b32_e32 v30, 1
	s_and_saveexec_b64 s[58:59], s[6:7]
	s_cbranch_execz .LBB270_116
; %bb.113:                              ;   in Loop: Header=BB270_9 Depth=1
	v_and_b32_e32 v0, 0x7f, v4
	v_cmp_ne_u32_e64 s[6:7], s62, v0
	v_mov_b32_e32 v30, 0x7c010000
	s_and_saveexec_b64 s[60:61], s[6:7]
	s_cbranch_execz .LBB270_115
; %bb.114:                              ;   in Loop: Header=BB270_9 Depth=1
	v_and_b32_e32 v1, 7, v4
	v_ffbh_u32_e32 v2, v1
	v_min_u32_e32 v7, 32, v2
	v_subrev_u32_e32 v2, 28, v7
	v_lshlrev_b64 v[2:3], v2, v[4:5]
	v_lshrrev_b32_e32 v6, 3, v0
	v_sub_u32_e32 v3, 29, v7
	v_cmp_gt_u32_e64 s[6:7], 8, v0
	v_and_b32_e32 v2, 7, v2
	s_nop 0
	v_cndmask_b32_e64 v0, v6, v3, s[6:7]
	v_lshlrev_b32_e32 v3, 8, v4
	v_mov_b32_e32 v4, 0x2000
	v_lshl_add_u32 v0, v0, 10, v4
	v_and_or_b32 v0, v3, s63, v0
	v_cndmask_b32_e64 v1, v1, v2, s[6:7]
	v_lshlrev_b32_e32 v0, 16, v0
	v_lshl_or_b32 v30, v1, 23, v0
.LBB270_115:                            ;   in Loop: Header=BB270_9 Depth=1
	s_or_b64 exec, exec, s[60:61]
.LBB270_116:                            ;   in Loop: Header=BB270_9 Depth=1
	s_or_b64 exec, exec, s[58:59]
.LBB270_117:                            ;   in Loop: Header=BB270_9 Depth=1
	s_or_b64 exec, exec, s[56:57]
	v_lshrrev_b32_e32 v4, 16, v8
	v_cmp_ne_u16_sdwa s[6:7], v4, v5 src0_sel:BYTE_0 src1_sel:DWORD
	s_and_saveexec_b64 s[56:57], s[6:7]
	s_cbranch_execz .LBB270_123
; %bb.118:                              ;   in Loop: Header=BB270_9 Depth=1
	v_cmp_ne_u16_sdwa s[6:7], v4, s17 src0_sel:BYTE_0 src1_sel:DWORD
	v_mov_b32_e32 v0, 0x8000
	scratch_store_dword off, v0, s32 offset:216 ; 4-byte Folded Spill
	s_and_saveexec_b64 s[58:59], s[6:7]
	s_cbranch_execz .LBB270_122
; %bb.119:                              ;   in Loop: Header=BB270_9 Depth=1
	v_bfe_u32 v0, v8, 16, 7
	v_cmp_ne_u32_e64 s[6:7], s62, v0
	v_mov_b32_e32 v1, 0x7c01
	scratch_store_dword off, v1, s32 offset:216 ; 4-byte Folded Spill
	s_and_saveexec_b64 s[60:61], s[6:7]
	s_cbranch_execz .LBB270_121
; %bb.120:                              ;   in Loop: Header=BB270_9 Depth=1
	v_and_b32_e32 v1, 7, v4
	v_ffbh_u32_e32 v2, v1
	v_min_u32_e32 v7, 32, v2
	v_subrev_u32_e32 v2, 28, v7
	v_lshlrev_b64 v[2:3], v2, v[4:5]
	v_lshrrev_b32_e32 v6, 3, v0
	v_sub_u32_e32 v3, 29, v7
	v_cmp_gt_u32_e64 s[6:7], 8, v0
	v_and_b32_e32 v2, 7, v2
	s_nop 0
	v_cndmask_b32_e64 v0, v6, v3, s[6:7]
	v_lshlrev_b32_e32 v3, 8, v4
	v_mov_b32_e32 v4, 0x2000
	v_lshl_add_u32 v0, v0, 10, v4
	v_and_b32_e32 v0, 0xfc00, v0
	v_cndmask_b32_e64 v1, v1, v2, s[6:7]
	v_and_or_b32 v0, v3, s63, v0
	v_lshl_or_b32 v0, v1, 7, v0
	scratch_store_dword off, v0, s32 offset:216 ; 4-byte Folded Spill
.LBB270_121:                            ;   in Loop: Header=BB270_9 Depth=1
	s_or_b64 exec, exec, s[60:61]
.LBB270_122:                            ;   in Loop: Header=BB270_9 Depth=1
	s_or_b64 exec, exec, s[58:59]
.LBB270_123:                            ;   in Loop: Header=BB270_9 Depth=1
	s_or_b64 exec, exec, s[56:57]
	v_cmp_lt_u32_e64 s[6:7], s72, v8
	v_mov_b32_e32 v0, 0
	v_mov_b32_e32 v38, 0
	scratch_store_dword off, v0, s32 offset:220 ; 4-byte Folded Spill
	s_and_saveexec_b64 s[56:57], s[6:7]
	s_cbranch_execz .LBB270_129
; %bb.124:                              ;   in Loop: Header=BB270_9 Depth=1
	v_lshrrev_b32_e32 v4, 24, v8
	v_cmp_ne_u32_e64 s[6:7], s17, v4
	v_bfrev_b32_e32 v38, 1
	s_and_saveexec_b64 s[58:59], s[6:7]
	s_cbranch_execz .LBB270_128
; %bb.125:                              ;   in Loop: Header=BB270_9 Depth=1
	v_and_b32_e32 v0, 0x7f, v4
	v_cmp_ne_u32_e64 s[6:7], s62, v0
	v_mov_b32_e32 v38, 0x7c010000
	s_and_saveexec_b64 s[60:61], s[6:7]
	s_cbranch_execz .LBB270_127
; %bb.126:                              ;   in Loop: Header=BB270_9 Depth=1
	v_and_b32_e32 v1, 7, v4
	v_ffbh_u32_e32 v2, v1
	v_min_u32_e32 v7, 32, v2
	v_subrev_u32_e32 v2, 28, v7
	v_lshlrev_b64 v[2:3], v2, v[4:5]
	v_lshrrev_b32_e32 v6, 3, v0
	v_sub_u32_e32 v3, 29, v7
	v_cmp_gt_u32_e64 s[6:7], 8, v0
	v_and_b32_e32 v2, 7, v2
	s_nop 0
	v_cndmask_b32_e64 v0, v6, v3, s[6:7]
	v_lshlrev_b32_e32 v3, 8, v4
	v_mov_b32_e32 v4, 0x2000
	v_lshl_add_u32 v0, v0, 10, v4
	v_and_or_b32 v0, v3, s63, v0
	v_cndmask_b32_e64 v1, v1, v2, s[6:7]
	v_lshlrev_b32_e32 v0, 16, v0
	v_lshl_or_b32 v38, v1, 23, v0
.LBB270_127:                            ;   in Loop: Header=BB270_9 Depth=1
	s_or_b64 exec, exec, s[60:61]
.LBB270_128:                            ;   in Loop: Header=BB270_9 Depth=1
	s_or_b64 exec, exec, s[58:59]
.LBB270_129:                            ;   in Loop: Header=BB270_9 Depth=1
	s_or_b64 exec, exec, s[56:57]
	flat_load_dword v8, v[34:35] offset:1032
	s_waitcnt vmcnt(0) lgkmcnt(0)
	v_cmp_ne_u16_sdwa s[6:7], v8, v5 src0_sel:BYTE_0 src1_sel:DWORD
	s_and_saveexec_b64 s[56:57], s[6:7]
	s_cbranch_execz .LBB270_135
; %bb.130:                              ;   in Loop: Header=BB270_9 Depth=1
	v_cmp_ne_u16_sdwa s[6:7], v8, s17 src0_sel:BYTE_0 src1_sel:DWORD
	v_mov_b32_e32 v0, 0x8000
	scratch_store_dword off, v0, s32 offset:220 ; 4-byte Folded Spill
	s_and_saveexec_b64 s[58:59], s[6:7]
	s_cbranch_execz .LBB270_134
; %bb.131:                              ;   in Loop: Header=BB270_9 Depth=1
	v_and_b32_e32 v0, 0x7f, v8
	v_cmp_ne_u32_e64 s[6:7], s62, v0
	v_mov_b32_e32 v1, 0x7c01
	scratch_store_dword off, v1, s32 offset:220 ; 4-byte Folded Spill
	s_and_saveexec_b64 s[60:61], s[6:7]
	s_cbranch_execz .LBB270_133
; %bb.132:                              ;   in Loop: Header=BB270_9 Depth=1
	v_and_b32_e32 v1, 7, v8
	v_ffbh_u32_e32 v2, v1
	v_min_u32_e32 v6, 32, v2
	v_subrev_u32_e32 v2, 28, v6
	v_lshlrev_b64 v[2:3], v2, v[8:9]
	v_lshrrev_b32_e32 v4, 3, v0
	v_sub_u32_e32 v3, 29, v6
	v_cmp_gt_u32_e64 s[6:7], 8, v0
	v_and_b32_e32 v2, 7, v2
	s_nop 0
	v_cndmask_b32_e64 v0, v4, v3, s[6:7]
	v_mov_b32_e32 v4, 0x2000
	v_lshl_add_u32 v0, v0, 10, v4
	v_lshlrev_b32_e32 v3, 8, v8
	v_and_b32_e32 v0, 0xfc00, v0
	v_cndmask_b32_e64 v1, v1, v2, s[6:7]
	v_and_or_b32 v0, v3, s63, v0
	v_lshl_or_b32 v0, v1, 7, v0
	scratch_store_dword off, v0, s32 offset:220 ; 4-byte Folded Spill
.LBB270_133:                            ;   in Loop: Header=BB270_9 Depth=1
	s_or_b64 exec, exec, s[60:61]
.LBB270_134:                            ;   in Loop: Header=BB270_9 Depth=1
	s_or_b64 exec, exec, s[58:59]
.LBB270_135:                            ;   in Loop: Header=BB270_9 Depth=1
	s_or_b64 exec, exec, s[56:57]
	v_lshrrev_b16_e32 v4, 8, v8
	v_cmp_ne_u16_e64 s[6:7], 0, v4
	v_mov_b32_e32 v0, 0
	v_mov_b32_e32 v100, 0
	scratch_store_dword off, v0, s32 offset:224 ; 4-byte Folded Spill
	s_and_saveexec_b64 s[56:57], s[6:7]
	s_cbranch_execz .LBB270_141
; %bb.136:                              ;   in Loop: Header=BB270_9 Depth=1
	v_cmp_ne_u16_e64 s[6:7], s17, v4
	v_bfrev_b32_e32 v100, 1
	s_and_saveexec_b64 s[58:59], s[6:7]
	s_cbranch_execz .LBB270_140
; %bb.137:                              ;   in Loop: Header=BB270_9 Depth=1
	v_and_b32_e32 v0, 0x7f, v4
	v_cmp_ne_u32_e64 s[6:7], s62, v0
	v_mov_b32_e32 v100, 0x7c010000
	s_and_saveexec_b64 s[60:61], s[6:7]
	s_cbranch_execz .LBB270_139
; %bb.138:                              ;   in Loop: Header=BB270_9 Depth=1
	v_and_b32_e32 v1, 7, v4
	v_ffbh_u32_e32 v2, v1
	v_min_u32_e32 v7, 32, v2
	v_subrev_u32_e32 v2, 28, v7
	v_lshlrev_b64 v[2:3], v2, v[4:5]
	v_lshrrev_b32_e32 v6, 3, v0
	v_sub_u32_e32 v3, 29, v7
	v_cmp_gt_u32_e64 s[6:7], 8, v0
	v_and_b32_e32 v2, 7, v2
	s_nop 0
	v_cndmask_b32_e64 v0, v6, v3, s[6:7]
	v_lshlrev_b32_e32 v3, 8, v4
	v_mov_b32_e32 v4, 0x2000
	v_lshl_add_u32 v0, v0, 10, v4
	v_and_or_b32 v0, v3, s63, v0
	v_cndmask_b32_e64 v1, v1, v2, s[6:7]
	v_lshlrev_b32_e32 v0, 16, v0
	v_lshl_or_b32 v100, v1, 23, v0
.LBB270_139:                            ;   in Loop: Header=BB270_9 Depth=1
	s_or_b64 exec, exec, s[60:61]
.LBB270_140:                            ;   in Loop: Header=BB270_9 Depth=1
	s_or_b64 exec, exec, s[58:59]
.LBB270_141:                            ;   in Loop: Header=BB270_9 Depth=1
	s_or_b64 exec, exec, s[56:57]
	v_lshrrev_b32_e32 v4, 16, v8
	v_cmp_ne_u16_sdwa s[6:7], v4, v5 src0_sel:BYTE_0 src1_sel:DWORD
	s_and_saveexec_b64 s[56:57], s[6:7]
	s_cbranch_execz .LBB270_147
; %bb.142:                              ;   in Loop: Header=BB270_9 Depth=1
	v_cmp_ne_u16_sdwa s[6:7], v4, s17 src0_sel:BYTE_0 src1_sel:DWORD
	v_mov_b32_e32 v0, 0x8000
	scratch_store_dword off, v0, s32 offset:224 ; 4-byte Folded Spill
	s_and_saveexec_b64 s[58:59], s[6:7]
	s_cbranch_execz .LBB270_146
; %bb.143:                              ;   in Loop: Header=BB270_9 Depth=1
	v_bfe_u32 v0, v8, 16, 7
	v_cmp_ne_u32_e64 s[6:7], s62, v0
	v_mov_b32_e32 v1, 0x7c01
	scratch_store_dword off, v1, s32 offset:224 ; 4-byte Folded Spill
	s_and_saveexec_b64 s[60:61], s[6:7]
	s_cbranch_execz .LBB270_145
; %bb.144:                              ;   in Loop: Header=BB270_9 Depth=1
	v_and_b32_e32 v1, 7, v4
	v_ffbh_u32_e32 v2, v1
	v_min_u32_e32 v7, 32, v2
	v_subrev_u32_e32 v2, 28, v7
	v_lshlrev_b64 v[2:3], v2, v[4:5]
	v_lshrrev_b32_e32 v6, 3, v0
	v_sub_u32_e32 v3, 29, v7
	v_cmp_gt_u32_e64 s[6:7], 8, v0
	v_and_b32_e32 v2, 7, v2
	s_nop 0
	v_cndmask_b32_e64 v0, v6, v3, s[6:7]
	v_lshlrev_b32_e32 v3, 8, v4
	v_mov_b32_e32 v4, 0x2000
	v_lshl_add_u32 v0, v0, 10, v4
	v_and_b32_e32 v0, 0xfc00, v0
	v_cndmask_b32_e64 v1, v1, v2, s[6:7]
	v_and_or_b32 v0, v3, s63, v0
	v_lshl_or_b32 v0, v1, 7, v0
	scratch_store_dword off, v0, s32 offset:224 ; 4-byte Folded Spill
.LBB270_145:                            ;   in Loop: Header=BB270_9 Depth=1
	s_or_b64 exec, exec, s[60:61]
.LBB270_146:                            ;   in Loop: Header=BB270_9 Depth=1
	s_or_b64 exec, exec, s[58:59]
.LBB270_147:                            ;   in Loop: Header=BB270_9 Depth=1
	s_or_b64 exec, exec, s[56:57]
	v_cmp_lt_u32_e64 s[6:7], s72, v8
	v_mov_b32_e32 v0, 0
	v_mov_b32_e32 v31, 0
	scratch_store_dword off, v0, s32 offset:228 ; 4-byte Folded Spill
	s_and_saveexec_b64 s[56:57], s[6:7]
	s_cbranch_execz .LBB270_153
; %bb.148:                              ;   in Loop: Header=BB270_9 Depth=1
	v_lshrrev_b32_e32 v4, 24, v8
	v_cmp_ne_u32_e64 s[6:7], s17, v4
	v_bfrev_b32_e32 v31, 1
	s_and_saveexec_b64 s[58:59], s[6:7]
	s_cbranch_execz .LBB270_152
; %bb.149:                              ;   in Loop: Header=BB270_9 Depth=1
	v_and_b32_e32 v0, 0x7f, v4
	v_cmp_ne_u32_e64 s[6:7], s62, v0
	v_mov_b32_e32 v31, 0x7c010000
	s_and_saveexec_b64 s[60:61], s[6:7]
	s_cbranch_execz .LBB270_151
; %bb.150:                              ;   in Loop: Header=BB270_9 Depth=1
	v_and_b32_e32 v1, 7, v4
	v_ffbh_u32_e32 v2, v1
	v_min_u32_e32 v7, 32, v2
	v_subrev_u32_e32 v2, 28, v7
	v_lshlrev_b64 v[2:3], v2, v[4:5]
	v_lshrrev_b32_e32 v6, 3, v0
	v_sub_u32_e32 v3, 29, v7
	v_cmp_gt_u32_e64 s[6:7], 8, v0
	v_and_b32_e32 v2, 7, v2
	s_nop 0
	v_cndmask_b32_e64 v0, v6, v3, s[6:7]
	v_lshlrev_b32_e32 v3, 8, v4
	v_mov_b32_e32 v4, 0x2000
	v_lshl_add_u32 v0, v0, 10, v4
	v_and_or_b32 v0, v3, s63, v0
	v_cndmask_b32_e64 v1, v1, v2, s[6:7]
	v_lshlrev_b32_e32 v0, 16, v0
	v_lshl_or_b32 v31, v1, 23, v0
.LBB270_151:                            ;   in Loop: Header=BB270_9 Depth=1
	s_or_b64 exec, exec, s[60:61]
.LBB270_152:                            ;   in Loop: Header=BB270_9 Depth=1
	s_or_b64 exec, exec, s[58:59]
.LBB270_153:                            ;   in Loop: Header=BB270_9 Depth=1
	s_or_b64 exec, exec, s[56:57]
	flat_load_dword v8, v[34:35] offset:1536
	s_waitcnt vmcnt(0) lgkmcnt(0)
	v_cmp_ne_u16_sdwa s[6:7], v8, v5 src0_sel:BYTE_0 src1_sel:DWORD
	s_and_saveexec_b64 s[56:57], s[6:7]
	s_cbranch_execz .LBB270_159
; %bb.154:                              ;   in Loop: Header=BB270_9 Depth=1
	v_cmp_ne_u16_sdwa s[6:7], v8, s17 src0_sel:BYTE_0 src1_sel:DWORD
	v_mov_b32_e32 v0, 0x8000
	scratch_store_dword off, v0, s32 offset:228 ; 4-byte Folded Spill
	s_and_saveexec_b64 s[58:59], s[6:7]
	s_cbranch_execz .LBB270_158
; %bb.155:                              ;   in Loop: Header=BB270_9 Depth=1
	v_and_b32_e32 v0, 0x7f, v8
	v_cmp_ne_u32_e64 s[6:7], s62, v0
	v_mov_b32_e32 v1, 0x7c01
	scratch_store_dword off, v1, s32 offset:228 ; 4-byte Folded Spill
	s_and_saveexec_b64 s[60:61], s[6:7]
	s_cbranch_execz .LBB270_157
; %bb.156:                              ;   in Loop: Header=BB270_9 Depth=1
	v_and_b32_e32 v1, 7, v8
	v_ffbh_u32_e32 v2, v1
	v_min_u32_e32 v6, 32, v2
	v_subrev_u32_e32 v2, 28, v6
	v_lshlrev_b64 v[2:3], v2, v[8:9]
	v_lshrrev_b32_e32 v4, 3, v0
	v_sub_u32_e32 v3, 29, v6
	v_cmp_gt_u32_e64 s[6:7], 8, v0
	v_and_b32_e32 v2, 7, v2
	s_nop 0
	v_cndmask_b32_e64 v0, v4, v3, s[6:7]
	v_mov_b32_e32 v4, 0x2000
	v_lshl_add_u32 v0, v0, 10, v4
	v_lshlrev_b32_e32 v3, 8, v8
	v_and_b32_e32 v0, 0xfc00, v0
	v_cndmask_b32_e64 v1, v1, v2, s[6:7]
	v_and_or_b32 v0, v3, s63, v0
	v_lshl_or_b32 v0, v1, 7, v0
	scratch_store_dword off, v0, s32 offset:228 ; 4-byte Folded Spill
.LBB270_157:                            ;   in Loop: Header=BB270_9 Depth=1
	s_or_b64 exec, exec, s[60:61]
.LBB270_158:                            ;   in Loop: Header=BB270_9 Depth=1
	s_or_b64 exec, exec, s[58:59]
.LBB270_159:                            ;   in Loop: Header=BB270_9 Depth=1
	s_or_b64 exec, exec, s[56:57]
	v_lshrrev_b16_e32 v4, 8, v8
	v_cmp_ne_u16_e64 s[6:7], 0, v4
	v_mov_b32_e32 v0, 0
	v_mov_b32_e32 v112, 0
	scratch_store_dword off, v0, s32 offset:232 ; 4-byte Folded Spill
	s_and_saveexec_b64 s[56:57], s[6:7]
	s_cbranch_execz .LBB270_165
; %bb.160:                              ;   in Loop: Header=BB270_9 Depth=1
	v_cmp_ne_u16_e64 s[6:7], s17, v4
	v_bfrev_b32_e32 v112, 1
	s_and_saveexec_b64 s[58:59], s[6:7]
	s_cbranch_execz .LBB270_164
; %bb.161:                              ;   in Loop: Header=BB270_9 Depth=1
	v_and_b32_e32 v0, 0x7f, v4
	v_cmp_ne_u32_e64 s[6:7], s62, v0
	v_mov_b32_e32 v112, 0x7c010000
	s_and_saveexec_b64 s[60:61], s[6:7]
	s_cbranch_execz .LBB270_163
; %bb.162:                              ;   in Loop: Header=BB270_9 Depth=1
	v_and_b32_e32 v1, 7, v4
	v_ffbh_u32_e32 v2, v1
	v_min_u32_e32 v7, 32, v2
	v_subrev_u32_e32 v2, 28, v7
	v_lshlrev_b64 v[2:3], v2, v[4:5]
	v_lshrrev_b32_e32 v6, 3, v0
	v_sub_u32_e32 v3, 29, v7
	v_cmp_gt_u32_e64 s[6:7], 8, v0
	v_and_b32_e32 v2, 7, v2
	s_nop 0
	v_cndmask_b32_e64 v0, v6, v3, s[6:7]
	v_lshlrev_b32_e32 v3, 8, v4
	v_mov_b32_e32 v4, 0x2000
	v_lshl_add_u32 v0, v0, 10, v4
	v_and_or_b32 v0, v3, s63, v0
	v_cndmask_b32_e64 v1, v1, v2, s[6:7]
	v_lshlrev_b32_e32 v0, 16, v0
	v_lshl_or_b32 v112, v1, 23, v0
.LBB270_163:                            ;   in Loop: Header=BB270_9 Depth=1
	s_or_b64 exec, exec, s[60:61]
.LBB270_164:                            ;   in Loop: Header=BB270_9 Depth=1
	s_or_b64 exec, exec, s[58:59]
.LBB270_165:                            ;   in Loop: Header=BB270_9 Depth=1
	s_or_b64 exec, exec, s[56:57]
	v_lshrrev_b32_e32 v4, 16, v8
	v_cmp_ne_u16_sdwa s[6:7], v4, v5 src0_sel:BYTE_0 src1_sel:DWORD
	s_and_saveexec_b64 s[56:57], s[6:7]
	s_cbranch_execz .LBB270_171
; %bb.166:                              ;   in Loop: Header=BB270_9 Depth=1
	v_cmp_ne_u16_sdwa s[6:7], v4, s17 src0_sel:BYTE_0 src1_sel:DWORD
	v_mov_b32_e32 v0, 0x8000
	scratch_store_dword off, v0, s32 offset:232 ; 4-byte Folded Spill
	s_and_saveexec_b64 s[58:59], s[6:7]
	s_cbranch_execz .LBB270_170
; %bb.167:                              ;   in Loop: Header=BB270_9 Depth=1
	v_bfe_u32 v0, v8, 16, 7
	v_cmp_ne_u32_e64 s[6:7], s62, v0
	v_mov_b32_e32 v1, 0x7c01
	scratch_store_dword off, v1, s32 offset:232 ; 4-byte Folded Spill
	s_and_saveexec_b64 s[60:61], s[6:7]
	s_cbranch_execz .LBB270_169
; %bb.168:                              ;   in Loop: Header=BB270_9 Depth=1
	v_and_b32_e32 v1, 7, v4
	v_ffbh_u32_e32 v2, v1
	v_min_u32_e32 v7, 32, v2
	v_subrev_u32_e32 v2, 28, v7
	v_lshlrev_b64 v[2:3], v2, v[4:5]
	v_lshrrev_b32_e32 v6, 3, v0
	v_sub_u32_e32 v3, 29, v7
	v_cmp_gt_u32_e64 s[6:7], 8, v0
	v_and_b32_e32 v2, 7, v2
	s_nop 0
	v_cndmask_b32_e64 v0, v6, v3, s[6:7]
	v_lshlrev_b32_e32 v3, 8, v4
	v_mov_b32_e32 v4, 0x2000
	v_lshl_add_u32 v0, v0, 10, v4
	v_and_b32_e32 v0, 0xfc00, v0
	v_cndmask_b32_e64 v1, v1, v2, s[6:7]
	v_and_or_b32 v0, v3, s63, v0
	v_lshl_or_b32 v0, v1, 7, v0
	scratch_store_dword off, v0, s32 offset:232 ; 4-byte Folded Spill
.LBB270_169:                            ;   in Loop: Header=BB270_9 Depth=1
	s_or_b64 exec, exec, s[60:61]
.LBB270_170:                            ;   in Loop: Header=BB270_9 Depth=1
	s_or_b64 exec, exec, s[58:59]
.LBB270_171:                            ;   in Loop: Header=BB270_9 Depth=1
	s_or_b64 exec, exec, s[56:57]
	v_cmp_lt_u32_e64 s[6:7], s72, v8
	v_mov_b32_e32 v0, 0
	v_mov_b32_e32 v113, 0
	scratch_store_dword off, v0, s32 offset:236 ; 4-byte Folded Spill
	s_and_saveexec_b64 s[56:57], s[6:7]
	s_cbranch_execz .LBB270_177
; %bb.172:                              ;   in Loop: Header=BB270_9 Depth=1
	v_lshrrev_b32_e32 v4, 24, v8
	v_cmp_ne_u32_e64 s[6:7], s17, v4
	v_bfrev_b32_e32 v113, 1
	s_and_saveexec_b64 s[58:59], s[6:7]
	s_cbranch_execz .LBB270_176
; %bb.173:                              ;   in Loop: Header=BB270_9 Depth=1
	v_and_b32_e32 v0, 0x7f, v4
	v_cmp_ne_u32_e64 s[6:7], s62, v0
	v_mov_b32_e32 v113, 0x7c010000
	s_and_saveexec_b64 s[60:61], s[6:7]
	s_cbranch_execz .LBB270_175
; %bb.174:                              ;   in Loop: Header=BB270_9 Depth=1
	v_and_b32_e32 v1, 7, v4
	v_ffbh_u32_e32 v2, v1
	v_min_u32_e32 v7, 32, v2
	v_subrev_u32_e32 v2, 28, v7
	v_lshlrev_b64 v[2:3], v2, v[4:5]
	v_lshrrev_b32_e32 v6, 3, v0
	v_sub_u32_e32 v3, 29, v7
	v_cmp_gt_u32_e64 s[6:7], 8, v0
	v_and_b32_e32 v2, 7, v2
	s_nop 0
	v_cndmask_b32_e64 v0, v6, v3, s[6:7]
	v_lshlrev_b32_e32 v3, 8, v4
	v_mov_b32_e32 v4, 0x2000
	v_lshl_add_u32 v0, v0, 10, v4
	v_and_or_b32 v0, v3, s63, v0
	v_cndmask_b32_e64 v1, v1, v2, s[6:7]
	v_lshlrev_b32_e32 v0, 16, v0
	v_lshl_or_b32 v113, v1, 23, v0
.LBB270_175:                            ;   in Loop: Header=BB270_9 Depth=1
	s_or_b64 exec, exec, s[60:61]
.LBB270_176:                            ;   in Loop: Header=BB270_9 Depth=1
	s_or_b64 exec, exec, s[58:59]
.LBB270_177:                            ;   in Loop: Header=BB270_9 Depth=1
	s_or_b64 exec, exec, s[56:57]
	flat_load_dword v8, v[34:35] offset:1544
	s_waitcnt vmcnt(0) lgkmcnt(0)
	v_cmp_ne_u16_sdwa s[6:7], v8, v5 src0_sel:BYTE_0 src1_sel:DWORD
	s_and_saveexec_b64 s[56:57], s[6:7]
	s_cbranch_execz .LBB270_183
; %bb.178:                              ;   in Loop: Header=BB270_9 Depth=1
	v_cmp_ne_u16_sdwa s[6:7], v8, s17 src0_sel:BYTE_0 src1_sel:DWORD
	v_mov_b32_e32 v0, 0x8000
	scratch_store_dword off, v0, s32 offset:236 ; 4-byte Folded Spill
	s_and_saveexec_b64 s[58:59], s[6:7]
	s_cbranch_execz .LBB270_182
; %bb.179:                              ;   in Loop: Header=BB270_9 Depth=1
	v_and_b32_e32 v0, 0x7f, v8
	v_cmp_ne_u32_e64 s[6:7], s62, v0
	v_mov_b32_e32 v1, 0x7c01
	scratch_store_dword off, v1, s32 offset:236 ; 4-byte Folded Spill
	s_and_saveexec_b64 s[60:61], s[6:7]
	s_cbranch_execz .LBB270_181
; %bb.180:                              ;   in Loop: Header=BB270_9 Depth=1
	v_and_b32_e32 v1, 7, v8
	v_ffbh_u32_e32 v2, v1
	v_min_u32_e32 v6, 32, v2
	v_subrev_u32_e32 v2, 28, v6
	v_lshlrev_b64 v[2:3], v2, v[8:9]
	v_lshrrev_b32_e32 v4, 3, v0
	v_sub_u32_e32 v3, 29, v6
	v_cmp_gt_u32_e64 s[6:7], 8, v0
	v_and_b32_e32 v2, 7, v2
	s_nop 0
	v_cndmask_b32_e64 v0, v4, v3, s[6:7]
	v_mov_b32_e32 v4, 0x2000
	v_lshl_add_u32 v0, v0, 10, v4
	v_lshlrev_b32_e32 v3, 8, v8
	v_and_b32_e32 v0, 0xfc00, v0
	v_cndmask_b32_e64 v1, v1, v2, s[6:7]
	v_and_or_b32 v0, v3, s63, v0
	v_lshl_or_b32 v0, v1, 7, v0
	scratch_store_dword off, v0, s32 offset:236 ; 4-byte Folded Spill
.LBB270_181:                            ;   in Loop: Header=BB270_9 Depth=1
	s_or_b64 exec, exec, s[60:61]
.LBB270_182:                            ;   in Loop: Header=BB270_9 Depth=1
	s_or_b64 exec, exec, s[58:59]
.LBB270_183:                            ;   in Loop: Header=BB270_9 Depth=1
	s_or_b64 exec, exec, s[56:57]
	v_lshrrev_b16_e32 v4, 8, v8
	v_cmp_ne_u16_e64 s[6:7], 0, v4
	v_mov_b32_e32 v0, 0
	v_mov_b32_e32 v116, 0
	scratch_store_dword off, v0, s32 offset:240 ; 4-byte Folded Spill
	s_and_saveexec_b64 s[56:57], s[6:7]
	s_cbranch_execz .LBB270_189
; %bb.184:                              ;   in Loop: Header=BB270_9 Depth=1
	v_cmp_ne_u16_e64 s[6:7], s17, v4
	v_bfrev_b32_e32 v116, 1
	s_and_saveexec_b64 s[58:59], s[6:7]
	s_cbranch_execz .LBB270_188
; %bb.185:                              ;   in Loop: Header=BB270_9 Depth=1
	v_and_b32_e32 v0, 0x7f, v4
	v_cmp_ne_u32_e64 s[6:7], s62, v0
	v_mov_b32_e32 v116, 0x7c010000
	s_and_saveexec_b64 s[60:61], s[6:7]
	s_cbranch_execz .LBB270_187
; %bb.186:                              ;   in Loop: Header=BB270_9 Depth=1
	v_and_b32_e32 v1, 7, v4
	v_ffbh_u32_e32 v2, v1
	v_min_u32_e32 v7, 32, v2
	v_subrev_u32_e32 v2, 28, v7
	v_lshlrev_b64 v[2:3], v2, v[4:5]
	v_lshrrev_b32_e32 v6, 3, v0
	v_sub_u32_e32 v3, 29, v7
	v_cmp_gt_u32_e64 s[6:7], 8, v0
	v_and_b32_e32 v2, 7, v2
	s_nop 0
	v_cndmask_b32_e64 v0, v6, v3, s[6:7]
	v_lshlrev_b32_e32 v3, 8, v4
	v_mov_b32_e32 v4, 0x2000
	v_lshl_add_u32 v0, v0, 10, v4
	v_and_or_b32 v0, v3, s63, v0
	v_cndmask_b32_e64 v1, v1, v2, s[6:7]
	v_lshlrev_b32_e32 v0, 16, v0
	v_lshl_or_b32 v116, v1, 23, v0
.LBB270_187:                            ;   in Loop: Header=BB270_9 Depth=1
	s_or_b64 exec, exec, s[60:61]
.LBB270_188:                            ;   in Loop: Header=BB270_9 Depth=1
	s_or_b64 exec, exec, s[58:59]
.LBB270_189:                            ;   in Loop: Header=BB270_9 Depth=1
	s_or_b64 exec, exec, s[56:57]
	v_lshrrev_b32_e32 v4, 16, v8
	v_cmp_ne_u16_sdwa s[6:7], v4, v5 src0_sel:BYTE_0 src1_sel:DWORD
	s_and_saveexec_b64 s[56:57], s[6:7]
	s_cbranch_execz .LBB270_195
; %bb.190:                              ;   in Loop: Header=BB270_9 Depth=1
	v_cmp_ne_u16_sdwa s[6:7], v4, s17 src0_sel:BYTE_0 src1_sel:DWORD
	v_mov_b32_e32 v0, 0x8000
	scratch_store_dword off, v0, s32 offset:240 ; 4-byte Folded Spill
	s_and_saveexec_b64 s[58:59], s[6:7]
	s_cbranch_execz .LBB270_194
; %bb.191:                              ;   in Loop: Header=BB270_9 Depth=1
	v_bfe_u32 v0, v8, 16, 7
	v_cmp_ne_u32_e64 s[6:7], s62, v0
	v_mov_b32_e32 v1, 0x7c01
	scratch_store_dword off, v1, s32 offset:240 ; 4-byte Folded Spill
	s_and_saveexec_b64 s[60:61], s[6:7]
	s_cbranch_execz .LBB270_193
; %bb.192:                              ;   in Loop: Header=BB270_9 Depth=1
	v_and_b32_e32 v1, 7, v4
	v_ffbh_u32_e32 v2, v1
	v_min_u32_e32 v7, 32, v2
	v_subrev_u32_e32 v2, 28, v7
	v_lshlrev_b64 v[2:3], v2, v[4:5]
	v_lshrrev_b32_e32 v6, 3, v0
	v_sub_u32_e32 v3, 29, v7
	v_cmp_gt_u32_e64 s[6:7], 8, v0
	v_and_b32_e32 v2, 7, v2
	s_nop 0
	v_cndmask_b32_e64 v0, v6, v3, s[6:7]
	v_lshlrev_b32_e32 v3, 8, v4
	v_mov_b32_e32 v4, 0x2000
	v_lshl_add_u32 v0, v0, 10, v4
	v_and_b32_e32 v0, 0xfc00, v0
	v_cndmask_b32_e64 v1, v1, v2, s[6:7]
	v_and_or_b32 v0, v3, s63, v0
	v_lshl_or_b32 v0, v1, 7, v0
	scratch_store_dword off, v0, s32 offset:240 ; 4-byte Folded Spill
.LBB270_193:                            ;   in Loop: Header=BB270_9 Depth=1
	s_or_b64 exec, exec, s[60:61]
.LBB270_194:                            ;   in Loop: Header=BB270_9 Depth=1
	s_or_b64 exec, exec, s[58:59]
.LBB270_195:                            ;   in Loop: Header=BB270_9 Depth=1
	s_or_b64 exec, exec, s[56:57]
	v_cmp_lt_u32_e64 s[6:7], s72, v8
	v_mov_b32_e32 v0, 0
	v_mov_b32_e32 v117, 0
	scratch_store_dword off, v0, s32 offset:244 ; 4-byte Folded Spill
	s_and_saveexec_b64 s[56:57], s[6:7]
	s_cbranch_execz .LBB270_201
; %bb.196:                              ;   in Loop: Header=BB270_9 Depth=1
	v_lshrrev_b32_e32 v4, 24, v8
	v_cmp_ne_u32_e64 s[6:7], s17, v4
	v_bfrev_b32_e32 v117, 1
	s_and_saveexec_b64 s[58:59], s[6:7]
	s_cbranch_execz .LBB270_200
; %bb.197:                              ;   in Loop: Header=BB270_9 Depth=1
	v_and_b32_e32 v0, 0x7f, v4
	v_cmp_ne_u32_e64 s[6:7], s62, v0
	v_mov_b32_e32 v117, 0x7c010000
	s_and_saveexec_b64 s[60:61], s[6:7]
	s_cbranch_execz .LBB270_199
; %bb.198:                              ;   in Loop: Header=BB270_9 Depth=1
	v_and_b32_e32 v1, 7, v4
	v_ffbh_u32_e32 v2, v1
	v_min_u32_e32 v7, 32, v2
	v_subrev_u32_e32 v2, 28, v7
	v_lshlrev_b64 v[2:3], v2, v[4:5]
	v_lshrrev_b32_e32 v6, 3, v0
	v_sub_u32_e32 v3, 29, v7
	v_cmp_gt_u32_e64 s[6:7], 8, v0
	v_and_b32_e32 v2, 7, v2
	s_nop 0
	v_cndmask_b32_e64 v0, v6, v3, s[6:7]
	v_lshlrev_b32_e32 v3, 8, v4
	v_mov_b32_e32 v4, 0x2000
	v_lshl_add_u32 v0, v0, 10, v4
	v_and_or_b32 v0, v3, s63, v0
	v_cndmask_b32_e64 v1, v1, v2, s[6:7]
	v_lshlrev_b32_e32 v0, 16, v0
	v_lshl_or_b32 v117, v1, 23, v0
.LBB270_199:                            ;   in Loop: Header=BB270_9 Depth=1
	s_or_b64 exec, exec, s[60:61]
.LBB270_200:                            ;   in Loop: Header=BB270_9 Depth=1
	s_or_b64 exec, exec, s[58:59]
.LBB270_201:                            ;   in Loop: Header=BB270_9 Depth=1
	s_or_b64 exec, exec, s[56:57]
	flat_load_dword v8, v[34:35] offset:2048
	s_waitcnt vmcnt(0) lgkmcnt(0)
	v_cmp_ne_u16_sdwa s[6:7], v8, v5 src0_sel:BYTE_0 src1_sel:DWORD
	s_and_saveexec_b64 s[56:57], s[6:7]
	s_cbranch_execz .LBB270_207
; %bb.202:                              ;   in Loop: Header=BB270_9 Depth=1
	v_cmp_ne_u16_sdwa s[6:7], v8, s17 src0_sel:BYTE_0 src1_sel:DWORD
	v_mov_b32_e32 v0, 0x8000
	scratch_store_dword off, v0, s32 offset:244 ; 4-byte Folded Spill
	s_and_saveexec_b64 s[58:59], s[6:7]
	s_cbranch_execz .LBB270_206
; %bb.203:                              ;   in Loop: Header=BB270_9 Depth=1
	v_and_b32_e32 v0, 0x7f, v8
	v_cmp_ne_u32_e64 s[6:7], s62, v0
	v_mov_b32_e32 v1, 0x7c01
	scratch_store_dword off, v1, s32 offset:244 ; 4-byte Folded Spill
	s_and_saveexec_b64 s[60:61], s[6:7]
	s_cbranch_execz .LBB270_205
; %bb.204:                              ;   in Loop: Header=BB270_9 Depth=1
	v_and_b32_e32 v1, 7, v8
	v_ffbh_u32_e32 v2, v1
	v_min_u32_e32 v6, 32, v2
	v_subrev_u32_e32 v2, 28, v6
	v_lshlrev_b64 v[2:3], v2, v[8:9]
	v_lshrrev_b32_e32 v4, 3, v0
	v_sub_u32_e32 v3, 29, v6
	v_cmp_gt_u32_e64 s[6:7], 8, v0
	v_and_b32_e32 v2, 7, v2
	s_nop 0
	v_cndmask_b32_e64 v0, v4, v3, s[6:7]
	v_mov_b32_e32 v4, 0x2000
	v_lshl_add_u32 v0, v0, 10, v4
	v_lshlrev_b32_e32 v3, 8, v8
	v_and_b32_e32 v0, 0xfc00, v0
	v_cndmask_b32_e64 v1, v1, v2, s[6:7]
	v_and_or_b32 v0, v3, s63, v0
	v_lshl_or_b32 v0, v1, 7, v0
	scratch_store_dword off, v0, s32 offset:244 ; 4-byte Folded Spill
.LBB270_205:                            ;   in Loop: Header=BB270_9 Depth=1
	s_or_b64 exec, exec, s[60:61]
.LBB270_206:                            ;   in Loop: Header=BB270_9 Depth=1
	s_or_b64 exec, exec, s[58:59]
.LBB270_207:                            ;   in Loop: Header=BB270_9 Depth=1
	s_or_b64 exec, exec, s[56:57]
	v_lshrrev_b16_e32 v4, 8, v8
	v_cmp_ne_u16_e64 s[6:7], 0, v4
	v_mov_b32_e32 v119, 0
	v_mov_b32_e32 v40, 0
	s_and_saveexec_b64 s[56:57], s[6:7]
	s_cbranch_execz .LBB270_213
; %bb.208:                              ;   in Loop: Header=BB270_9 Depth=1
	v_cmp_ne_u16_e64 s[6:7], s17, v4
	v_bfrev_b32_e32 v40, 1
	s_and_saveexec_b64 s[58:59], s[6:7]
	s_cbranch_execz .LBB270_212
; %bb.209:                              ;   in Loop: Header=BB270_9 Depth=1
	v_and_b32_e32 v0, 0x7f, v4
	v_cmp_ne_u32_e64 s[6:7], s62, v0
	v_mov_b32_e32 v40, 0x7c010000
	s_and_saveexec_b64 s[60:61], s[6:7]
	s_cbranch_execz .LBB270_211
; %bb.210:                              ;   in Loop: Header=BB270_9 Depth=1
	v_and_b32_e32 v1, 7, v4
	v_ffbh_u32_e32 v2, v1
	v_min_u32_e32 v7, 32, v2
	v_subrev_u32_e32 v2, 28, v7
	v_lshlrev_b64 v[2:3], v2, v[4:5]
	v_lshrrev_b32_e32 v6, 3, v0
	v_sub_u32_e32 v3, 29, v7
	v_cmp_gt_u32_e64 s[6:7], 8, v0
	v_and_b32_e32 v2, 7, v2
	s_nop 0
	v_cndmask_b32_e64 v0, v6, v3, s[6:7]
	v_lshlrev_b32_e32 v3, 8, v4
	v_mov_b32_e32 v4, 0x2000
	v_lshl_add_u32 v0, v0, 10, v4
	v_and_or_b32 v0, v3, s63, v0
	v_cndmask_b32_e64 v1, v1, v2, s[6:7]
	v_lshlrev_b32_e32 v0, 16, v0
	v_lshl_or_b32 v40, v1, 23, v0
.LBB270_211:                            ;   in Loop: Header=BB270_9 Depth=1
	s_or_b64 exec, exec, s[60:61]
.LBB270_212:                            ;   in Loop: Header=BB270_9 Depth=1
	s_or_b64 exec, exec, s[58:59]
.LBB270_213:                            ;   in Loop: Header=BB270_9 Depth=1
	s_or_b64 exec, exec, s[56:57]
	v_lshrrev_b32_e32 v4, 16, v8
	v_cmp_ne_u16_sdwa s[6:7], v4, v5 src0_sel:BYTE_0 src1_sel:DWORD
	s_and_saveexec_b64 s[56:57], s[6:7]
	s_cbranch_execz .LBB270_219
; %bb.214:                              ;   in Loop: Header=BB270_9 Depth=1
	v_cmp_ne_u16_sdwa s[6:7], v4, s17 src0_sel:BYTE_0 src1_sel:DWORD
	v_mov_b32_e32 v119, 0x8000
	s_and_saveexec_b64 s[58:59], s[6:7]
	s_cbranch_execz .LBB270_218
; %bb.215:                              ;   in Loop: Header=BB270_9 Depth=1
	v_bfe_u32 v0, v8, 16, 7
	v_cmp_ne_u32_e64 s[6:7], s62, v0
	v_mov_b32_e32 v119, 0x7c01
	s_and_saveexec_b64 s[60:61], s[6:7]
	s_cbranch_execz .LBB270_217
; %bb.216:                              ;   in Loop: Header=BB270_9 Depth=1
	v_and_b32_e32 v1, 7, v4
	v_ffbh_u32_e32 v2, v1
	v_min_u32_e32 v7, 32, v2
	v_subrev_u32_e32 v2, 28, v7
	v_lshlrev_b64 v[2:3], v2, v[4:5]
	v_lshrrev_b32_e32 v6, 3, v0
	v_sub_u32_e32 v3, 29, v7
	v_cmp_gt_u32_e64 s[6:7], 8, v0
	v_and_b32_e32 v2, 7, v2
	s_nop 0
	v_cndmask_b32_e64 v0, v6, v3, s[6:7]
	v_lshlrev_b32_e32 v3, 8, v4
	v_mov_b32_e32 v4, 0x2000
	v_lshl_add_u32 v0, v0, 10, v4
	v_and_b32_e32 v0, 0xfc00, v0
	v_cndmask_b32_e64 v1, v1, v2, s[6:7]
	v_and_or_b32 v0, v3, s63, v0
	v_lshl_or_b32 v119, v1, 7, v0
.LBB270_217:                            ;   in Loop: Header=BB270_9 Depth=1
	s_or_b64 exec, exec, s[60:61]
.LBB270_218:                            ;   in Loop: Header=BB270_9 Depth=1
	s_or_b64 exec, exec, s[58:59]
.LBB270_219:                            ;   in Loop: Header=BB270_9 Depth=1
	s_or_b64 exec, exec, s[56:57]
	v_cmp_lt_u32_e64 s[6:7], s72, v8
	v_mov_b32_e32 v42, 0
	v_mov_b32_e32 v41, 0
	s_and_saveexec_b64 s[56:57], s[6:7]
	s_cbranch_execz .LBB270_225
; %bb.220:                              ;   in Loop: Header=BB270_9 Depth=1
	v_lshrrev_b32_e32 v4, 24, v8
	v_cmp_ne_u32_e64 s[6:7], s17, v4
	v_bfrev_b32_e32 v41, 1
	s_and_saveexec_b64 s[58:59], s[6:7]
	s_cbranch_execz .LBB270_224
; %bb.221:                              ;   in Loop: Header=BB270_9 Depth=1
	v_and_b32_e32 v0, 0x7f, v4
	v_cmp_ne_u32_e64 s[6:7], s62, v0
	v_mov_b32_e32 v41, 0x7c010000
	s_and_saveexec_b64 s[60:61], s[6:7]
	s_cbranch_execz .LBB270_223
; %bb.222:                              ;   in Loop: Header=BB270_9 Depth=1
	v_and_b32_e32 v1, 7, v4
	v_ffbh_u32_e32 v2, v1
	v_min_u32_e32 v7, 32, v2
	v_subrev_u32_e32 v2, 28, v7
	v_lshlrev_b64 v[2:3], v2, v[4:5]
	v_lshrrev_b32_e32 v6, 3, v0
	v_sub_u32_e32 v3, 29, v7
	v_cmp_gt_u32_e64 s[6:7], 8, v0
	v_and_b32_e32 v2, 7, v2
	s_nop 0
	v_cndmask_b32_e64 v0, v6, v3, s[6:7]
	v_lshlrev_b32_e32 v3, 8, v4
	v_mov_b32_e32 v4, 0x2000
	v_lshl_add_u32 v0, v0, 10, v4
	v_and_or_b32 v0, v3, s63, v0
	v_cndmask_b32_e64 v1, v1, v2, s[6:7]
	v_lshlrev_b32_e32 v0, 16, v0
	v_lshl_or_b32 v41, v1, 23, v0
.LBB270_223:                            ;   in Loop: Header=BB270_9 Depth=1
	s_or_b64 exec, exec, s[60:61]
.LBB270_224:                            ;   in Loop: Header=BB270_9 Depth=1
	s_or_b64 exec, exec, s[58:59]
.LBB270_225:                            ;   in Loop: Header=BB270_9 Depth=1
	s_or_b64 exec, exec, s[56:57]
	flat_load_dword v8, v[34:35] offset:2056
	s_waitcnt vmcnt(0) lgkmcnt(0)
	v_cmp_ne_u16_sdwa s[6:7], v8, v5 src0_sel:BYTE_0 src1_sel:DWORD
	s_and_saveexec_b64 s[56:57], s[6:7]
	s_cbranch_execz .LBB270_231
; %bb.226:                              ;   in Loop: Header=BB270_9 Depth=1
	v_cmp_ne_u16_sdwa s[6:7], v8, s17 src0_sel:BYTE_0 src1_sel:DWORD
	v_mov_b32_e32 v42, 0x8000
	s_and_saveexec_b64 s[58:59], s[6:7]
	s_cbranch_execz .LBB270_230
; %bb.227:                              ;   in Loop: Header=BB270_9 Depth=1
	v_and_b32_e32 v0, 0x7f, v8
	v_cmp_ne_u32_e64 s[6:7], s62, v0
	v_mov_b32_e32 v42, 0x7c01
	s_and_saveexec_b64 s[60:61], s[6:7]
	s_cbranch_execz .LBB270_229
; %bb.228:                              ;   in Loop: Header=BB270_9 Depth=1
	v_and_b32_e32 v1, 7, v8
	v_ffbh_u32_e32 v2, v1
	v_min_u32_e32 v6, 32, v2
	v_subrev_u32_e32 v2, 28, v6
	v_lshlrev_b64 v[2:3], v2, v[8:9]
	v_lshrrev_b32_e32 v4, 3, v0
	v_sub_u32_e32 v3, 29, v6
	v_cmp_gt_u32_e64 s[6:7], 8, v0
	v_and_b32_e32 v2, 7, v2
	s_nop 0
	v_cndmask_b32_e64 v0, v4, v3, s[6:7]
	v_mov_b32_e32 v4, 0x2000
	v_lshl_add_u32 v0, v0, 10, v4
	v_lshlrev_b32_e32 v3, 8, v8
	v_and_b32_e32 v0, 0xfc00, v0
	v_cndmask_b32_e64 v1, v1, v2, s[6:7]
	v_and_or_b32 v0, v3, s63, v0
	v_lshl_or_b32 v42, v1, 7, v0
.LBB270_229:                            ;   in Loop: Header=BB270_9 Depth=1
	s_or_b64 exec, exec, s[60:61]
.LBB270_230:                            ;   in Loop: Header=BB270_9 Depth=1
	s_or_b64 exec, exec, s[58:59]
.LBB270_231:                            ;   in Loop: Header=BB270_9 Depth=1
	s_or_b64 exec, exec, s[56:57]
	v_lshrrev_b16_e32 v4, 8, v8
	v_cmp_ne_u16_e64 s[6:7], 0, v4
	v_mov_b32_e32 v43, 0
	v_mov_b32_e32 v44, 0
	s_and_saveexec_b64 s[56:57], s[6:7]
	s_cbranch_execz .LBB270_237
; %bb.232:                              ;   in Loop: Header=BB270_9 Depth=1
	v_cmp_ne_u16_e64 s[6:7], s17, v4
	v_bfrev_b32_e32 v44, 1
	s_and_saveexec_b64 s[58:59], s[6:7]
	s_cbranch_execz .LBB270_236
; %bb.233:                              ;   in Loop: Header=BB270_9 Depth=1
	v_and_b32_e32 v0, 0x7f, v4
	v_cmp_ne_u32_e64 s[6:7], s62, v0
	v_mov_b32_e32 v44, 0x7c010000
	s_and_saveexec_b64 s[60:61], s[6:7]
	s_cbranch_execz .LBB270_235
; %bb.234:                              ;   in Loop: Header=BB270_9 Depth=1
	v_and_b32_e32 v1, 7, v4
	v_ffbh_u32_e32 v2, v1
	v_min_u32_e32 v7, 32, v2
	v_subrev_u32_e32 v2, 28, v7
	v_lshlrev_b64 v[2:3], v2, v[4:5]
	v_lshrrev_b32_e32 v6, 3, v0
	v_sub_u32_e32 v3, 29, v7
	v_cmp_gt_u32_e64 s[6:7], 8, v0
	v_and_b32_e32 v2, 7, v2
	s_nop 0
	v_cndmask_b32_e64 v0, v6, v3, s[6:7]
	v_lshlrev_b32_e32 v3, 8, v4
	v_mov_b32_e32 v4, 0x2000
	v_lshl_add_u32 v0, v0, 10, v4
	v_and_or_b32 v0, v3, s63, v0
	v_cndmask_b32_e64 v1, v1, v2, s[6:7]
	v_lshlrev_b32_e32 v0, 16, v0
	v_lshl_or_b32 v44, v1, 23, v0
.LBB270_235:                            ;   in Loop: Header=BB270_9 Depth=1
	s_or_b64 exec, exec, s[60:61]
.LBB270_236:                            ;   in Loop: Header=BB270_9 Depth=1
	s_or_b64 exec, exec, s[58:59]
.LBB270_237:                            ;   in Loop: Header=BB270_9 Depth=1
	s_or_b64 exec, exec, s[56:57]
	v_lshrrev_b32_e32 v4, 16, v8
	v_cmp_ne_u16_sdwa s[6:7], v4, v5 src0_sel:BYTE_0 src1_sel:DWORD
	s_and_saveexec_b64 s[56:57], s[6:7]
	s_cbranch_execz .LBB270_243
; %bb.238:                              ;   in Loop: Header=BB270_9 Depth=1
	v_cmp_ne_u16_sdwa s[6:7], v4, s17 src0_sel:BYTE_0 src1_sel:DWORD
	v_mov_b32_e32 v43, 0x8000
	s_and_saveexec_b64 s[58:59], s[6:7]
	s_cbranch_execz .LBB270_242
; %bb.239:                              ;   in Loop: Header=BB270_9 Depth=1
	v_bfe_u32 v0, v8, 16, 7
	v_cmp_ne_u32_e64 s[6:7], s62, v0
	v_mov_b32_e32 v43, 0x7c01
	s_and_saveexec_b64 s[60:61], s[6:7]
	s_cbranch_execz .LBB270_241
; %bb.240:                              ;   in Loop: Header=BB270_9 Depth=1
	v_and_b32_e32 v1, 7, v4
	v_ffbh_u32_e32 v2, v1
	v_min_u32_e32 v7, 32, v2
	v_subrev_u32_e32 v2, 28, v7
	v_lshlrev_b64 v[2:3], v2, v[4:5]
	v_lshrrev_b32_e32 v6, 3, v0
	v_sub_u32_e32 v3, 29, v7
	v_cmp_gt_u32_e64 s[6:7], 8, v0
	v_and_b32_e32 v2, 7, v2
	s_nop 0
	v_cndmask_b32_e64 v0, v6, v3, s[6:7]
	v_lshlrev_b32_e32 v3, 8, v4
	v_mov_b32_e32 v4, 0x2000
	v_lshl_add_u32 v0, v0, 10, v4
	v_and_b32_e32 v0, 0xfc00, v0
	v_cndmask_b32_e64 v1, v1, v2, s[6:7]
	v_and_or_b32 v0, v3, s63, v0
	v_lshl_or_b32 v43, v1, 7, v0
.LBB270_241:                            ;   in Loop: Header=BB270_9 Depth=1
	s_or_b64 exec, exec, s[60:61]
.LBB270_242:                            ;   in Loop: Header=BB270_9 Depth=1
	s_or_b64 exec, exec, s[58:59]
.LBB270_243:                            ;   in Loop: Header=BB270_9 Depth=1
	s_or_b64 exec, exec, s[56:57]
	v_cmp_lt_u32_e64 s[6:7], s72, v8
	v_mov_b32_e32 v46, 0
	v_mov_b32_e32 v45, 0
	s_and_saveexec_b64 s[56:57], s[6:7]
	s_cbranch_execz .LBB270_249
; %bb.244:                              ;   in Loop: Header=BB270_9 Depth=1
	v_lshrrev_b32_e32 v4, 24, v8
	v_cmp_ne_u32_e64 s[6:7], s17, v4
	v_bfrev_b32_e32 v45, 1
	s_and_saveexec_b64 s[58:59], s[6:7]
	s_cbranch_execz .LBB270_248
; %bb.245:                              ;   in Loop: Header=BB270_9 Depth=1
	v_and_b32_e32 v0, 0x7f, v4
	v_cmp_ne_u32_e64 s[6:7], s62, v0
	v_mov_b32_e32 v45, 0x7c010000
	s_and_saveexec_b64 s[60:61], s[6:7]
	s_cbranch_execz .LBB270_247
; %bb.246:                              ;   in Loop: Header=BB270_9 Depth=1
	v_and_b32_e32 v1, 7, v4
	v_ffbh_u32_e32 v2, v1
	v_min_u32_e32 v7, 32, v2
	v_subrev_u32_e32 v2, 28, v7
	v_lshlrev_b64 v[2:3], v2, v[4:5]
	v_lshrrev_b32_e32 v6, 3, v0
	v_sub_u32_e32 v3, 29, v7
	v_cmp_gt_u32_e64 s[6:7], 8, v0
	v_and_b32_e32 v2, 7, v2
	s_nop 0
	v_cndmask_b32_e64 v0, v6, v3, s[6:7]
	v_lshlrev_b32_e32 v3, 8, v4
	v_mov_b32_e32 v4, 0x2000
	v_lshl_add_u32 v0, v0, 10, v4
	v_and_or_b32 v0, v3, s63, v0
	v_cndmask_b32_e64 v1, v1, v2, s[6:7]
	v_lshlrev_b32_e32 v0, 16, v0
	v_lshl_or_b32 v45, v1, 23, v0
.LBB270_247:                            ;   in Loop: Header=BB270_9 Depth=1
	s_or_b64 exec, exec, s[60:61]
.LBB270_248:                            ;   in Loop: Header=BB270_9 Depth=1
	s_or_b64 exec, exec, s[58:59]
.LBB270_249:                            ;   in Loop: Header=BB270_9 Depth=1
	s_or_b64 exec, exec, s[56:57]
	flat_load_dword v8, v[34:35] offset:2560
	s_waitcnt vmcnt(0) lgkmcnt(0)
	v_cmp_ne_u16_sdwa s[6:7], v8, v5 src0_sel:BYTE_0 src1_sel:DWORD
	s_and_saveexec_b64 s[56:57], s[6:7]
	s_cbranch_execz .LBB270_255
; %bb.250:                              ;   in Loop: Header=BB270_9 Depth=1
	v_cmp_ne_u16_sdwa s[6:7], v8, s17 src0_sel:BYTE_0 src1_sel:DWORD
	v_mov_b32_e32 v46, 0x8000
	s_and_saveexec_b64 s[58:59], s[6:7]
	s_cbranch_execz .LBB270_254
; %bb.251:                              ;   in Loop: Header=BB270_9 Depth=1
	v_and_b32_e32 v0, 0x7f, v8
	v_cmp_ne_u32_e64 s[6:7], s62, v0
	v_mov_b32_e32 v46, 0x7c01
	s_and_saveexec_b64 s[60:61], s[6:7]
	s_cbranch_execz .LBB270_253
; %bb.252:                              ;   in Loop: Header=BB270_9 Depth=1
	v_and_b32_e32 v1, 7, v8
	v_ffbh_u32_e32 v2, v1
	v_min_u32_e32 v6, 32, v2
	v_subrev_u32_e32 v2, 28, v6
	v_lshlrev_b64 v[2:3], v2, v[8:9]
	v_lshrrev_b32_e32 v4, 3, v0
	v_sub_u32_e32 v3, 29, v6
	v_cmp_gt_u32_e64 s[6:7], 8, v0
	v_and_b32_e32 v2, 7, v2
	s_nop 0
	v_cndmask_b32_e64 v0, v4, v3, s[6:7]
	v_mov_b32_e32 v4, 0x2000
	v_lshl_add_u32 v0, v0, 10, v4
	v_lshlrev_b32_e32 v3, 8, v8
	v_and_b32_e32 v0, 0xfc00, v0
	v_cndmask_b32_e64 v1, v1, v2, s[6:7]
	v_and_or_b32 v0, v3, s63, v0
	v_lshl_or_b32 v46, v1, 7, v0
.LBB270_253:                            ;   in Loop: Header=BB270_9 Depth=1
	s_or_b64 exec, exec, s[60:61]
.LBB270_254:                            ;   in Loop: Header=BB270_9 Depth=1
	s_or_b64 exec, exec, s[58:59]
.LBB270_255:                            ;   in Loop: Header=BB270_9 Depth=1
	s_or_b64 exec, exec, s[56:57]
	v_lshrrev_b16_e32 v4, 8, v8
	v_cmp_ne_u16_e64 s[6:7], 0, v4
	v_mov_b32_e32 v47, 0
	v_mov_b32_e32 v56, 0
	s_and_saveexec_b64 s[56:57], s[6:7]
	s_cbranch_execz .LBB270_261
; %bb.256:                              ;   in Loop: Header=BB270_9 Depth=1
	v_cmp_ne_u16_e64 s[6:7], s17, v4
	v_bfrev_b32_e32 v56, 1
	s_and_saveexec_b64 s[58:59], s[6:7]
	s_cbranch_execz .LBB270_260
; %bb.257:                              ;   in Loop: Header=BB270_9 Depth=1
	v_and_b32_e32 v0, 0x7f, v4
	v_cmp_ne_u32_e64 s[6:7], s62, v0
	v_mov_b32_e32 v56, 0x7c010000
	s_and_saveexec_b64 s[60:61], s[6:7]
	s_cbranch_execz .LBB270_259
; %bb.258:                              ;   in Loop: Header=BB270_9 Depth=1
	v_and_b32_e32 v1, 7, v4
	v_ffbh_u32_e32 v2, v1
	v_min_u32_e32 v7, 32, v2
	v_subrev_u32_e32 v2, 28, v7
	v_lshlrev_b64 v[2:3], v2, v[4:5]
	v_lshrrev_b32_e32 v6, 3, v0
	v_sub_u32_e32 v3, 29, v7
	v_cmp_gt_u32_e64 s[6:7], 8, v0
	v_and_b32_e32 v2, 7, v2
	s_nop 0
	v_cndmask_b32_e64 v0, v6, v3, s[6:7]
	v_lshlrev_b32_e32 v3, 8, v4
	v_mov_b32_e32 v4, 0x2000
	v_lshl_add_u32 v0, v0, 10, v4
	v_and_or_b32 v0, v3, s63, v0
	v_cndmask_b32_e64 v1, v1, v2, s[6:7]
	v_lshlrev_b32_e32 v0, 16, v0
	v_lshl_or_b32 v56, v1, 23, v0
.LBB270_259:                            ;   in Loop: Header=BB270_9 Depth=1
	s_or_b64 exec, exec, s[60:61]
.LBB270_260:                            ;   in Loop: Header=BB270_9 Depth=1
	s_or_b64 exec, exec, s[58:59]
.LBB270_261:                            ;   in Loop: Header=BB270_9 Depth=1
	s_or_b64 exec, exec, s[56:57]
	v_lshrrev_b32_e32 v4, 16, v8
	v_cmp_ne_u16_sdwa s[6:7], v4, v5 src0_sel:BYTE_0 src1_sel:DWORD
	s_and_saveexec_b64 s[56:57], s[6:7]
	s_cbranch_execz .LBB270_267
; %bb.262:                              ;   in Loop: Header=BB270_9 Depth=1
	v_cmp_ne_u16_sdwa s[6:7], v4, s17 src0_sel:BYTE_0 src1_sel:DWORD
	v_mov_b32_e32 v47, 0x8000
	s_and_saveexec_b64 s[58:59], s[6:7]
	s_cbranch_execz .LBB270_266
; %bb.263:                              ;   in Loop: Header=BB270_9 Depth=1
	v_bfe_u32 v0, v8, 16, 7
	v_cmp_ne_u32_e64 s[6:7], s62, v0
	v_mov_b32_e32 v47, 0x7c01
	s_and_saveexec_b64 s[60:61], s[6:7]
	s_cbranch_execz .LBB270_265
; %bb.264:                              ;   in Loop: Header=BB270_9 Depth=1
	v_and_b32_e32 v1, 7, v4
	v_ffbh_u32_e32 v2, v1
	v_min_u32_e32 v7, 32, v2
	v_subrev_u32_e32 v2, 28, v7
	v_lshlrev_b64 v[2:3], v2, v[4:5]
	v_lshrrev_b32_e32 v6, 3, v0
	v_sub_u32_e32 v3, 29, v7
	v_cmp_gt_u32_e64 s[6:7], 8, v0
	v_and_b32_e32 v2, 7, v2
	s_nop 0
	v_cndmask_b32_e64 v0, v6, v3, s[6:7]
	v_lshlrev_b32_e32 v3, 8, v4
	v_mov_b32_e32 v4, 0x2000
	v_lshl_add_u32 v0, v0, 10, v4
	v_and_b32_e32 v0, 0xfc00, v0
	v_cndmask_b32_e64 v1, v1, v2, s[6:7]
	v_and_or_b32 v0, v3, s63, v0
	v_lshl_or_b32 v47, v1, 7, v0
.LBB270_265:                            ;   in Loop: Header=BB270_9 Depth=1
	s_or_b64 exec, exec, s[60:61]
.LBB270_266:                            ;   in Loop: Header=BB270_9 Depth=1
	s_or_b64 exec, exec, s[58:59]
.LBB270_267:                            ;   in Loop: Header=BB270_9 Depth=1
	s_or_b64 exec, exec, s[56:57]
	v_cmp_lt_u32_e64 s[6:7], s72, v8
	v_mov_b32_e32 v58, 0
	v_mov_b32_e32 v57, 0
	s_and_saveexec_b64 s[56:57], s[6:7]
	s_cbranch_execz .LBB270_273
; %bb.268:                              ;   in Loop: Header=BB270_9 Depth=1
	v_lshrrev_b32_e32 v4, 24, v8
	v_cmp_ne_u32_e64 s[6:7], s17, v4
	v_bfrev_b32_e32 v57, 1
	s_and_saveexec_b64 s[58:59], s[6:7]
	s_cbranch_execz .LBB270_272
; %bb.269:                              ;   in Loop: Header=BB270_9 Depth=1
	v_and_b32_e32 v0, 0x7f, v4
	v_cmp_ne_u32_e64 s[6:7], s62, v0
	v_mov_b32_e32 v57, 0x7c010000
	s_and_saveexec_b64 s[60:61], s[6:7]
	s_cbranch_execz .LBB270_271
; %bb.270:                              ;   in Loop: Header=BB270_9 Depth=1
	v_and_b32_e32 v1, 7, v4
	v_ffbh_u32_e32 v2, v1
	v_min_u32_e32 v7, 32, v2
	v_subrev_u32_e32 v2, 28, v7
	v_lshlrev_b64 v[2:3], v2, v[4:5]
	v_lshrrev_b32_e32 v6, 3, v0
	v_sub_u32_e32 v3, 29, v7
	v_cmp_gt_u32_e64 s[6:7], 8, v0
	v_and_b32_e32 v2, 7, v2
	s_nop 0
	v_cndmask_b32_e64 v0, v6, v3, s[6:7]
	v_lshlrev_b32_e32 v3, 8, v4
	v_mov_b32_e32 v4, 0x2000
	v_lshl_add_u32 v0, v0, 10, v4
	v_and_or_b32 v0, v3, s63, v0
	v_cndmask_b32_e64 v1, v1, v2, s[6:7]
	v_lshlrev_b32_e32 v0, 16, v0
	v_lshl_or_b32 v57, v1, 23, v0
.LBB270_271:                            ;   in Loop: Header=BB270_9 Depth=1
	s_or_b64 exec, exec, s[60:61]
.LBB270_272:                            ;   in Loop: Header=BB270_9 Depth=1
	s_or_b64 exec, exec, s[58:59]
.LBB270_273:                            ;   in Loop: Header=BB270_9 Depth=1
	s_or_b64 exec, exec, s[56:57]
	flat_load_dword v8, v[34:35] offset:2568
	s_waitcnt vmcnt(0) lgkmcnt(0)
	v_cmp_ne_u16_sdwa s[6:7], v8, v5 src0_sel:BYTE_0 src1_sel:DWORD
	s_and_saveexec_b64 s[56:57], s[6:7]
	s_cbranch_execz .LBB270_279
; %bb.274:                              ;   in Loop: Header=BB270_9 Depth=1
	v_cmp_ne_u16_sdwa s[6:7], v8, s17 src0_sel:BYTE_0 src1_sel:DWORD
	v_mov_b32_e32 v58, 0x8000
	s_and_saveexec_b64 s[58:59], s[6:7]
	s_cbranch_execz .LBB270_278
; %bb.275:                              ;   in Loop: Header=BB270_9 Depth=1
	v_and_b32_e32 v0, 0x7f, v8
	v_cmp_ne_u32_e64 s[6:7], s62, v0
	v_mov_b32_e32 v58, 0x7c01
	s_and_saveexec_b64 s[60:61], s[6:7]
	s_cbranch_execz .LBB270_277
; %bb.276:                              ;   in Loop: Header=BB270_9 Depth=1
	v_and_b32_e32 v1, 7, v8
	v_ffbh_u32_e32 v2, v1
	v_min_u32_e32 v6, 32, v2
	v_subrev_u32_e32 v2, 28, v6
	v_lshlrev_b64 v[2:3], v2, v[8:9]
	v_lshrrev_b32_e32 v4, 3, v0
	v_sub_u32_e32 v3, 29, v6
	v_cmp_gt_u32_e64 s[6:7], 8, v0
	v_and_b32_e32 v2, 7, v2
	s_nop 0
	v_cndmask_b32_e64 v0, v4, v3, s[6:7]
	v_mov_b32_e32 v4, 0x2000
	v_lshl_add_u32 v0, v0, 10, v4
	v_lshlrev_b32_e32 v3, 8, v8
	v_and_b32_e32 v0, 0xfc00, v0
	v_cndmask_b32_e64 v1, v1, v2, s[6:7]
	v_and_or_b32 v0, v3, s63, v0
	v_lshl_or_b32 v58, v1, 7, v0
.LBB270_277:                            ;   in Loop: Header=BB270_9 Depth=1
	s_or_b64 exec, exec, s[60:61]
.LBB270_278:                            ;   in Loop: Header=BB270_9 Depth=1
	s_or_b64 exec, exec, s[58:59]
.LBB270_279:                            ;   in Loop: Header=BB270_9 Depth=1
	s_or_b64 exec, exec, s[56:57]
	v_lshrrev_b16_e32 v4, 8, v8
	v_cmp_ne_u16_e64 s[6:7], 0, v4
	v_mov_b32_e32 v59, 0
	v_mov_b32_e32 v60, 0
	s_and_saveexec_b64 s[56:57], s[6:7]
	s_cbranch_execz .LBB270_285
; %bb.280:                              ;   in Loop: Header=BB270_9 Depth=1
	v_cmp_ne_u16_e64 s[6:7], s17, v4
	v_bfrev_b32_e32 v60, 1
	s_and_saveexec_b64 s[58:59], s[6:7]
	s_cbranch_execz .LBB270_284
; %bb.281:                              ;   in Loop: Header=BB270_9 Depth=1
	v_and_b32_e32 v0, 0x7f, v4
	v_cmp_ne_u32_e64 s[6:7], s62, v0
	v_mov_b32_e32 v60, 0x7c010000
	s_and_saveexec_b64 s[60:61], s[6:7]
	s_cbranch_execz .LBB270_283
; %bb.282:                              ;   in Loop: Header=BB270_9 Depth=1
	v_and_b32_e32 v1, 7, v4
	v_ffbh_u32_e32 v2, v1
	v_min_u32_e32 v7, 32, v2
	v_subrev_u32_e32 v2, 28, v7
	v_lshlrev_b64 v[2:3], v2, v[4:5]
	v_lshrrev_b32_e32 v6, 3, v0
	v_sub_u32_e32 v3, 29, v7
	v_cmp_gt_u32_e64 s[6:7], 8, v0
	v_and_b32_e32 v2, 7, v2
	s_nop 0
	v_cndmask_b32_e64 v0, v6, v3, s[6:7]
	v_lshlrev_b32_e32 v3, 8, v4
	v_mov_b32_e32 v4, 0x2000
	v_lshl_add_u32 v0, v0, 10, v4
	v_and_or_b32 v0, v3, s63, v0
	v_cndmask_b32_e64 v1, v1, v2, s[6:7]
	v_lshlrev_b32_e32 v0, 16, v0
	v_lshl_or_b32 v60, v1, 23, v0
.LBB270_283:                            ;   in Loop: Header=BB270_9 Depth=1
	s_or_b64 exec, exec, s[60:61]
.LBB270_284:                            ;   in Loop: Header=BB270_9 Depth=1
	s_or_b64 exec, exec, s[58:59]
.LBB270_285:                            ;   in Loop: Header=BB270_9 Depth=1
	s_or_b64 exec, exec, s[56:57]
	v_lshrrev_b32_e32 v4, 16, v8
	v_cmp_ne_u16_sdwa s[6:7], v4, v5 src0_sel:BYTE_0 src1_sel:DWORD
	s_and_saveexec_b64 s[56:57], s[6:7]
	s_cbranch_execz .LBB270_291
; %bb.286:                              ;   in Loop: Header=BB270_9 Depth=1
	v_cmp_ne_u16_sdwa s[6:7], v4, s17 src0_sel:BYTE_0 src1_sel:DWORD
	v_mov_b32_e32 v59, 0x8000
	s_and_saveexec_b64 s[58:59], s[6:7]
	s_cbranch_execz .LBB270_290
; %bb.287:                              ;   in Loop: Header=BB270_9 Depth=1
	v_bfe_u32 v0, v8, 16, 7
	v_cmp_ne_u32_e64 s[6:7], s62, v0
	v_mov_b32_e32 v59, 0x7c01
	s_and_saveexec_b64 s[60:61], s[6:7]
	s_cbranch_execz .LBB270_289
; %bb.288:                              ;   in Loop: Header=BB270_9 Depth=1
	v_and_b32_e32 v1, 7, v4
	v_ffbh_u32_e32 v2, v1
	v_min_u32_e32 v7, 32, v2
	v_subrev_u32_e32 v2, 28, v7
	v_lshlrev_b64 v[2:3], v2, v[4:5]
	v_lshrrev_b32_e32 v6, 3, v0
	v_sub_u32_e32 v3, 29, v7
	v_cmp_gt_u32_e64 s[6:7], 8, v0
	v_and_b32_e32 v2, 7, v2
	s_nop 0
	v_cndmask_b32_e64 v0, v6, v3, s[6:7]
	v_lshlrev_b32_e32 v3, 8, v4
	v_mov_b32_e32 v4, 0x2000
	v_lshl_add_u32 v0, v0, 10, v4
	v_and_b32_e32 v0, 0xfc00, v0
	v_cndmask_b32_e64 v1, v1, v2, s[6:7]
	v_and_or_b32 v0, v3, s63, v0
	v_lshl_or_b32 v59, v1, 7, v0
.LBB270_289:                            ;   in Loop: Header=BB270_9 Depth=1
	s_or_b64 exec, exec, s[60:61]
.LBB270_290:                            ;   in Loop: Header=BB270_9 Depth=1
	s_or_b64 exec, exec, s[58:59]
.LBB270_291:                            ;   in Loop: Header=BB270_9 Depth=1
	s_or_b64 exec, exec, s[56:57]
	v_cmp_lt_u32_e64 s[6:7], s72, v8
	v_mov_b32_e32 v12, 0
	v_mov_b32_e32 v61, 0
	s_and_saveexec_b64 s[56:57], s[6:7]
	s_cbranch_execz .LBB270_297
; %bb.292:                              ;   in Loop: Header=BB270_9 Depth=1
	v_lshrrev_b32_e32 v4, 24, v8
	v_cmp_ne_u32_e64 s[6:7], s17, v4
	v_bfrev_b32_e32 v61, 1
	s_and_saveexec_b64 s[58:59], s[6:7]
	s_cbranch_execz .LBB270_296
; %bb.293:                              ;   in Loop: Header=BB270_9 Depth=1
	v_and_b32_e32 v0, 0x7f, v4
	v_cmp_ne_u32_e64 s[6:7], s62, v0
	v_mov_b32_e32 v61, 0x7c010000
	s_and_saveexec_b64 s[60:61], s[6:7]
	s_cbranch_execz .LBB270_295
; %bb.294:                              ;   in Loop: Header=BB270_9 Depth=1
	v_and_b32_e32 v1, 7, v4
	v_ffbh_u32_e32 v2, v1
	v_min_u32_e32 v7, 32, v2
	v_subrev_u32_e32 v2, 28, v7
	v_lshlrev_b64 v[2:3], v2, v[4:5]
	v_lshrrev_b32_e32 v6, 3, v0
	v_sub_u32_e32 v3, 29, v7
	v_cmp_gt_u32_e64 s[6:7], 8, v0
	v_and_b32_e32 v2, 7, v2
	s_nop 0
	v_cndmask_b32_e64 v0, v6, v3, s[6:7]
	v_lshlrev_b32_e32 v3, 8, v4
	v_mov_b32_e32 v4, 0x2000
	v_lshl_add_u32 v0, v0, 10, v4
	v_and_or_b32 v0, v3, s63, v0
	v_cndmask_b32_e64 v1, v1, v2, s[6:7]
	v_lshlrev_b32_e32 v0, 16, v0
	v_lshl_or_b32 v61, v1, 23, v0
.LBB270_295:                            ;   in Loop: Header=BB270_9 Depth=1
	s_or_b64 exec, exec, s[60:61]
.LBB270_296:                            ;   in Loop: Header=BB270_9 Depth=1
	s_or_b64 exec, exec, s[58:59]
.LBB270_297:                            ;   in Loop: Header=BB270_9 Depth=1
	s_or_b64 exec, exec, s[56:57]
	flat_load_dword v8, v[34:35] offset:3072
	s_waitcnt vmcnt(0) lgkmcnt(0)
	v_cmp_ne_u16_sdwa s[6:7], v8, v5 src0_sel:BYTE_0 src1_sel:DWORD
	s_and_saveexec_b64 s[56:57], s[6:7]
	s_cbranch_execz .LBB270_303
; %bb.298:                              ;   in Loop: Header=BB270_9 Depth=1
	v_cmp_ne_u16_sdwa s[6:7], v8, s17 src0_sel:BYTE_0 src1_sel:DWORD
	v_mov_b32_e32 v12, 0x8000
	s_and_saveexec_b64 s[58:59], s[6:7]
	s_cbranch_execz .LBB270_302
; %bb.299:                              ;   in Loop: Header=BB270_9 Depth=1
	v_and_b32_e32 v0, 0x7f, v8
	v_cmp_ne_u32_e64 s[6:7], s62, v0
	v_mov_b32_e32 v12, 0x7c01
	s_and_saveexec_b64 s[60:61], s[6:7]
	s_cbranch_execz .LBB270_301
; %bb.300:                              ;   in Loop: Header=BB270_9 Depth=1
	v_and_b32_e32 v1, 7, v8
	v_ffbh_u32_e32 v2, v1
	v_min_u32_e32 v6, 32, v2
	v_subrev_u32_e32 v2, 28, v6
	v_lshlrev_b64 v[2:3], v2, v[8:9]
	v_lshrrev_b32_e32 v4, 3, v0
	v_sub_u32_e32 v3, 29, v6
	v_cmp_gt_u32_e64 s[6:7], 8, v0
	v_and_b32_e32 v2, 7, v2
	s_nop 0
	v_cndmask_b32_e64 v0, v4, v3, s[6:7]
	v_mov_b32_e32 v4, 0x2000
	v_lshl_add_u32 v0, v0, 10, v4
	v_lshlrev_b32_e32 v3, 8, v8
	v_and_b32_e32 v0, 0xfc00, v0
	v_cndmask_b32_e64 v1, v1, v2, s[6:7]
	v_and_or_b32 v0, v3, s63, v0
	v_lshl_or_b32 v12, v1, 7, v0
.LBB270_301:                            ;   in Loop: Header=BB270_9 Depth=1
	s_or_b64 exec, exec, s[60:61]
.LBB270_302:                            ;   in Loop: Header=BB270_9 Depth=1
	s_or_b64 exec, exec, s[58:59]
.LBB270_303:                            ;   in Loop: Header=BB270_9 Depth=1
	s_or_b64 exec, exec, s[56:57]
	v_lshrrev_b16_e32 v4, 8, v8
	v_cmp_ne_u16_e64 s[6:7], 0, v4
	v_mov_b32_e32 v63, 0
	v_mov_b32_e32 v72, 0
	s_and_saveexec_b64 s[56:57], s[6:7]
	s_cbranch_execz .LBB270_309
; %bb.304:                              ;   in Loop: Header=BB270_9 Depth=1
	v_cmp_ne_u16_e64 s[6:7], s17, v4
	v_bfrev_b32_e32 v72, 1
	s_and_saveexec_b64 s[58:59], s[6:7]
	s_cbranch_execz .LBB270_308
; %bb.305:                              ;   in Loop: Header=BB270_9 Depth=1
	v_and_b32_e32 v0, 0x7f, v4
	v_cmp_ne_u32_e64 s[6:7], s62, v0
	v_mov_b32_e32 v72, 0x7c010000
	s_and_saveexec_b64 s[60:61], s[6:7]
	s_cbranch_execz .LBB270_307
; %bb.306:                              ;   in Loop: Header=BB270_9 Depth=1
	v_and_b32_e32 v1, 7, v4
	v_ffbh_u32_e32 v2, v1
	v_min_u32_e32 v7, 32, v2
	v_subrev_u32_e32 v2, 28, v7
	v_lshlrev_b64 v[2:3], v2, v[4:5]
	v_lshrrev_b32_e32 v6, 3, v0
	v_sub_u32_e32 v3, 29, v7
	v_cmp_gt_u32_e64 s[6:7], 8, v0
	v_and_b32_e32 v2, 7, v2
	s_nop 0
	v_cndmask_b32_e64 v0, v6, v3, s[6:7]
	v_lshlrev_b32_e32 v3, 8, v4
	v_mov_b32_e32 v4, 0x2000
	v_lshl_add_u32 v0, v0, 10, v4
	v_and_or_b32 v0, v3, s63, v0
	v_cndmask_b32_e64 v1, v1, v2, s[6:7]
	v_lshlrev_b32_e32 v0, 16, v0
	v_lshl_or_b32 v72, v1, 23, v0
.LBB270_307:                            ;   in Loop: Header=BB270_9 Depth=1
	s_or_b64 exec, exec, s[60:61]
.LBB270_308:                            ;   in Loop: Header=BB270_9 Depth=1
	s_or_b64 exec, exec, s[58:59]
.LBB270_309:                            ;   in Loop: Header=BB270_9 Depth=1
	s_or_b64 exec, exec, s[56:57]
	v_lshrrev_b32_e32 v4, 16, v8
	v_cmp_ne_u16_sdwa s[6:7], v4, v5 src0_sel:BYTE_0 src1_sel:DWORD
	s_and_saveexec_b64 s[56:57], s[6:7]
	s_cbranch_execz .LBB270_315
; %bb.310:                              ;   in Loop: Header=BB270_9 Depth=1
	v_cmp_ne_u16_sdwa s[6:7], v4, s17 src0_sel:BYTE_0 src1_sel:DWORD
	v_mov_b32_e32 v63, 0x8000
	s_and_saveexec_b64 s[58:59], s[6:7]
	s_cbranch_execz .LBB270_314
; %bb.311:                              ;   in Loop: Header=BB270_9 Depth=1
	v_bfe_u32 v0, v8, 16, 7
	v_cmp_ne_u32_e64 s[6:7], s62, v0
	v_mov_b32_e32 v63, 0x7c01
	s_and_saveexec_b64 s[60:61], s[6:7]
	s_cbranch_execz .LBB270_313
; %bb.312:                              ;   in Loop: Header=BB270_9 Depth=1
	v_and_b32_e32 v1, 7, v4
	v_ffbh_u32_e32 v2, v1
	v_min_u32_e32 v7, 32, v2
	v_subrev_u32_e32 v2, 28, v7
	v_lshlrev_b64 v[2:3], v2, v[4:5]
	v_lshrrev_b32_e32 v6, 3, v0
	v_sub_u32_e32 v3, 29, v7
	v_cmp_gt_u32_e64 s[6:7], 8, v0
	v_and_b32_e32 v2, 7, v2
	s_nop 0
	v_cndmask_b32_e64 v0, v6, v3, s[6:7]
	v_lshlrev_b32_e32 v3, 8, v4
	v_mov_b32_e32 v4, 0x2000
	v_lshl_add_u32 v0, v0, 10, v4
	v_and_b32_e32 v0, 0xfc00, v0
	v_cndmask_b32_e64 v1, v1, v2, s[6:7]
	v_and_or_b32 v0, v3, s63, v0
	v_lshl_or_b32 v63, v1, 7, v0
.LBB270_313:                            ;   in Loop: Header=BB270_9 Depth=1
	s_or_b64 exec, exec, s[60:61]
.LBB270_314:                            ;   in Loop: Header=BB270_9 Depth=1
	s_or_b64 exec, exec, s[58:59]
.LBB270_315:                            ;   in Loop: Header=BB270_9 Depth=1
	s_or_b64 exec, exec, s[56:57]
	v_cmp_lt_u32_e64 s[6:7], s72, v8
	v_mov_b32_e32 v74, 0
	v_mov_b32_e32 v73, 0
	s_and_saveexec_b64 s[56:57], s[6:7]
	s_cbranch_execz .LBB270_321
; %bb.316:                              ;   in Loop: Header=BB270_9 Depth=1
	v_lshrrev_b32_e32 v4, 24, v8
	v_cmp_ne_u32_e64 s[6:7], s17, v4
	v_bfrev_b32_e32 v73, 1
	s_and_saveexec_b64 s[58:59], s[6:7]
	s_cbranch_execz .LBB270_320
; %bb.317:                              ;   in Loop: Header=BB270_9 Depth=1
	v_and_b32_e32 v0, 0x7f, v4
	v_cmp_ne_u32_e64 s[6:7], s62, v0
	v_mov_b32_e32 v73, 0x7c010000
	s_and_saveexec_b64 s[60:61], s[6:7]
	s_cbranch_execz .LBB270_319
; %bb.318:                              ;   in Loop: Header=BB270_9 Depth=1
	v_and_b32_e32 v1, 7, v4
	v_ffbh_u32_e32 v2, v1
	v_min_u32_e32 v7, 32, v2
	v_subrev_u32_e32 v2, 28, v7
	v_lshlrev_b64 v[2:3], v2, v[4:5]
	v_lshrrev_b32_e32 v6, 3, v0
	v_sub_u32_e32 v3, 29, v7
	v_cmp_gt_u32_e64 s[6:7], 8, v0
	v_and_b32_e32 v2, 7, v2
	s_nop 0
	v_cndmask_b32_e64 v0, v6, v3, s[6:7]
	v_lshlrev_b32_e32 v3, 8, v4
	v_mov_b32_e32 v4, 0x2000
	v_lshl_add_u32 v0, v0, 10, v4
	v_and_or_b32 v0, v3, s63, v0
	v_cndmask_b32_e64 v1, v1, v2, s[6:7]
	v_lshlrev_b32_e32 v0, 16, v0
	v_lshl_or_b32 v73, v1, 23, v0
.LBB270_319:                            ;   in Loop: Header=BB270_9 Depth=1
	s_or_b64 exec, exec, s[60:61]
.LBB270_320:                            ;   in Loop: Header=BB270_9 Depth=1
	s_or_b64 exec, exec, s[58:59]
.LBB270_321:                            ;   in Loop: Header=BB270_9 Depth=1
	s_or_b64 exec, exec, s[56:57]
	flat_load_dword v8, v[34:35] offset:3080
	s_waitcnt vmcnt(0) lgkmcnt(0)
	v_cmp_ne_u16_sdwa s[6:7], v8, v5 src0_sel:BYTE_0 src1_sel:DWORD
	s_and_saveexec_b64 s[56:57], s[6:7]
	s_cbranch_execz .LBB270_327
; %bb.322:                              ;   in Loop: Header=BB270_9 Depth=1
	v_cmp_ne_u16_sdwa s[6:7], v8, s17 src0_sel:BYTE_0 src1_sel:DWORD
	v_mov_b32_e32 v74, 0x8000
	s_and_saveexec_b64 s[58:59], s[6:7]
	s_cbranch_execz .LBB270_326
; %bb.323:                              ;   in Loop: Header=BB270_9 Depth=1
	v_and_b32_e32 v0, 0x7f, v8
	v_cmp_ne_u32_e64 s[6:7], s62, v0
	v_mov_b32_e32 v74, 0x7c01
	s_and_saveexec_b64 s[60:61], s[6:7]
	s_cbranch_execz .LBB270_325
; %bb.324:                              ;   in Loop: Header=BB270_9 Depth=1
	v_and_b32_e32 v1, 7, v8
	v_ffbh_u32_e32 v2, v1
	v_min_u32_e32 v6, 32, v2
	v_subrev_u32_e32 v2, 28, v6
	v_lshlrev_b64 v[2:3], v2, v[8:9]
	v_lshrrev_b32_e32 v4, 3, v0
	v_sub_u32_e32 v3, 29, v6
	v_cmp_gt_u32_e64 s[6:7], 8, v0
	v_and_b32_e32 v2, 7, v2
	s_nop 0
	v_cndmask_b32_e64 v0, v4, v3, s[6:7]
	v_mov_b32_e32 v4, 0x2000
	v_lshl_add_u32 v0, v0, 10, v4
	v_lshlrev_b32_e32 v3, 8, v8
	v_and_b32_e32 v0, 0xfc00, v0
	v_cndmask_b32_e64 v1, v1, v2, s[6:7]
	v_and_or_b32 v0, v3, s63, v0
	v_lshl_or_b32 v74, v1, 7, v0
.LBB270_325:                            ;   in Loop: Header=BB270_9 Depth=1
	s_or_b64 exec, exec, s[60:61]
.LBB270_326:                            ;   in Loop: Header=BB270_9 Depth=1
	s_or_b64 exec, exec, s[58:59]
.LBB270_327:                            ;   in Loop: Header=BB270_9 Depth=1
	s_or_b64 exec, exec, s[56:57]
	v_lshrrev_b16_e32 v4, 8, v8
	v_cmp_ne_u16_e64 s[6:7], 0, v4
	v_mov_b32_e32 v75, 0
	v_mov_b32_e32 v76, 0
	s_and_saveexec_b64 s[56:57], s[6:7]
	s_cbranch_execz .LBB270_333
; %bb.328:                              ;   in Loop: Header=BB270_9 Depth=1
	v_cmp_ne_u16_e64 s[6:7], s17, v4
	v_bfrev_b32_e32 v76, 1
	s_and_saveexec_b64 s[58:59], s[6:7]
	s_cbranch_execz .LBB270_332
; %bb.329:                              ;   in Loop: Header=BB270_9 Depth=1
	v_and_b32_e32 v0, 0x7f, v4
	v_cmp_ne_u32_e64 s[6:7], s62, v0
	v_mov_b32_e32 v76, 0x7c010000
	s_and_saveexec_b64 s[60:61], s[6:7]
	s_cbranch_execz .LBB270_331
; %bb.330:                              ;   in Loop: Header=BB270_9 Depth=1
	v_and_b32_e32 v1, 7, v4
	v_ffbh_u32_e32 v2, v1
	v_min_u32_e32 v7, 32, v2
	v_subrev_u32_e32 v2, 28, v7
	v_lshlrev_b64 v[2:3], v2, v[4:5]
	v_lshrrev_b32_e32 v6, 3, v0
	v_sub_u32_e32 v3, 29, v7
	v_cmp_gt_u32_e64 s[6:7], 8, v0
	v_and_b32_e32 v2, 7, v2
	s_nop 0
	v_cndmask_b32_e64 v0, v6, v3, s[6:7]
	v_lshlrev_b32_e32 v3, 8, v4
	v_mov_b32_e32 v4, 0x2000
	v_lshl_add_u32 v0, v0, 10, v4
	v_and_or_b32 v0, v3, s63, v0
	v_cndmask_b32_e64 v1, v1, v2, s[6:7]
	v_lshlrev_b32_e32 v0, 16, v0
	v_lshl_or_b32 v76, v1, 23, v0
.LBB270_331:                            ;   in Loop: Header=BB270_9 Depth=1
	s_or_b64 exec, exec, s[60:61]
.LBB270_332:                            ;   in Loop: Header=BB270_9 Depth=1
	s_or_b64 exec, exec, s[58:59]
.LBB270_333:                            ;   in Loop: Header=BB270_9 Depth=1
	s_or_b64 exec, exec, s[56:57]
	v_lshrrev_b32_e32 v4, 16, v8
	v_cmp_ne_u16_sdwa s[6:7], v4, v5 src0_sel:BYTE_0 src1_sel:DWORD
	s_and_saveexec_b64 s[56:57], s[6:7]
	s_cbranch_execz .LBB270_339
; %bb.334:                              ;   in Loop: Header=BB270_9 Depth=1
	v_cmp_ne_u16_sdwa s[6:7], v4, s17 src0_sel:BYTE_0 src1_sel:DWORD
	v_mov_b32_e32 v75, 0x8000
	s_and_saveexec_b64 s[58:59], s[6:7]
	s_cbranch_execz .LBB270_338
; %bb.335:                              ;   in Loop: Header=BB270_9 Depth=1
	v_bfe_u32 v0, v8, 16, 7
	v_cmp_ne_u32_e64 s[6:7], s62, v0
	v_mov_b32_e32 v75, 0x7c01
	s_and_saveexec_b64 s[60:61], s[6:7]
	s_cbranch_execz .LBB270_337
; %bb.336:                              ;   in Loop: Header=BB270_9 Depth=1
	v_and_b32_e32 v1, 7, v4
	v_ffbh_u32_e32 v2, v1
	v_min_u32_e32 v7, 32, v2
	v_subrev_u32_e32 v2, 28, v7
	v_lshlrev_b64 v[2:3], v2, v[4:5]
	v_lshrrev_b32_e32 v6, 3, v0
	v_sub_u32_e32 v3, 29, v7
	v_cmp_gt_u32_e64 s[6:7], 8, v0
	v_and_b32_e32 v2, 7, v2
	s_nop 0
	v_cndmask_b32_e64 v0, v6, v3, s[6:7]
	v_lshlrev_b32_e32 v3, 8, v4
	v_mov_b32_e32 v4, 0x2000
	v_lshl_add_u32 v0, v0, 10, v4
	v_and_b32_e32 v0, 0xfc00, v0
	v_cndmask_b32_e64 v1, v1, v2, s[6:7]
	v_and_or_b32 v0, v3, s63, v0
	v_lshl_or_b32 v75, v1, 7, v0
.LBB270_337:                            ;   in Loop: Header=BB270_9 Depth=1
	s_or_b64 exec, exec, s[60:61]
.LBB270_338:                            ;   in Loop: Header=BB270_9 Depth=1
	s_or_b64 exec, exec, s[58:59]
.LBB270_339:                            ;   in Loop: Header=BB270_9 Depth=1
	s_or_b64 exec, exec, s[56:57]
	v_cmp_lt_u32_e64 s[6:7], s72, v8
	v_mov_b32_e32 v106, 0
	v_mov_b32_e32 v77, 0
	s_and_saveexec_b64 s[56:57], s[6:7]
	s_cbranch_execz .LBB270_345
; %bb.340:                              ;   in Loop: Header=BB270_9 Depth=1
	v_lshrrev_b32_e32 v4, 24, v8
	v_cmp_ne_u32_e64 s[6:7], s17, v4
	v_bfrev_b32_e32 v77, 1
	s_and_saveexec_b64 s[58:59], s[6:7]
	s_cbranch_execz .LBB270_344
; %bb.341:                              ;   in Loop: Header=BB270_9 Depth=1
	v_and_b32_e32 v0, 0x7f, v4
	v_cmp_ne_u32_e64 s[6:7], s62, v0
	v_mov_b32_e32 v77, 0x7c010000
	s_and_saveexec_b64 s[60:61], s[6:7]
	s_cbranch_execz .LBB270_343
; %bb.342:                              ;   in Loop: Header=BB270_9 Depth=1
	v_and_b32_e32 v1, 7, v4
	v_ffbh_u32_e32 v2, v1
	v_min_u32_e32 v7, 32, v2
	v_subrev_u32_e32 v2, 28, v7
	v_lshlrev_b64 v[2:3], v2, v[4:5]
	v_lshrrev_b32_e32 v6, 3, v0
	v_sub_u32_e32 v3, 29, v7
	v_cmp_gt_u32_e64 s[6:7], 8, v0
	v_and_b32_e32 v2, 7, v2
	s_nop 0
	v_cndmask_b32_e64 v0, v6, v3, s[6:7]
	v_lshlrev_b32_e32 v3, 8, v4
	v_mov_b32_e32 v4, 0x2000
	v_lshl_add_u32 v0, v0, 10, v4
	v_and_or_b32 v0, v3, s63, v0
	v_cndmask_b32_e64 v1, v1, v2, s[6:7]
	v_lshlrev_b32_e32 v0, 16, v0
	v_lshl_or_b32 v77, v1, 23, v0
.LBB270_343:                            ;   in Loop: Header=BB270_9 Depth=1
	s_or_b64 exec, exec, s[60:61]
.LBB270_344:                            ;   in Loop: Header=BB270_9 Depth=1
	s_or_b64 exec, exec, s[58:59]
.LBB270_345:                            ;   in Loop: Header=BB270_9 Depth=1
	s_or_b64 exec, exec, s[56:57]
	flat_load_dword v8, v[34:35] offset:3584
	s_waitcnt vmcnt(0) lgkmcnt(0)
	v_cmp_ne_u16_sdwa s[6:7], v8, v5 src0_sel:BYTE_0 src1_sel:DWORD
	s_and_saveexec_b64 s[56:57], s[6:7]
	s_cbranch_execz .LBB270_351
; %bb.346:                              ;   in Loop: Header=BB270_9 Depth=1
	v_cmp_ne_u16_sdwa s[6:7], v8, s17 src0_sel:BYTE_0 src1_sel:DWORD
	v_mov_b32_e32 v106, 0x8000
	s_and_saveexec_b64 s[58:59], s[6:7]
	s_cbranch_execz .LBB270_350
; %bb.347:                              ;   in Loop: Header=BB270_9 Depth=1
	v_and_b32_e32 v0, 0x7f, v8
	v_cmp_ne_u32_e64 s[6:7], s62, v0
	v_mov_b32_e32 v106, 0x7c01
	s_and_saveexec_b64 s[60:61], s[6:7]
	s_cbranch_execz .LBB270_349
; %bb.348:                              ;   in Loop: Header=BB270_9 Depth=1
	v_and_b32_e32 v1, 7, v8
	v_ffbh_u32_e32 v2, v1
	v_min_u32_e32 v6, 32, v2
	v_subrev_u32_e32 v2, 28, v6
	v_lshlrev_b64 v[2:3], v2, v[8:9]
	v_lshrrev_b32_e32 v4, 3, v0
	v_sub_u32_e32 v3, 29, v6
	v_cmp_gt_u32_e64 s[6:7], 8, v0
	v_and_b32_e32 v2, 7, v2
	s_nop 0
	v_cndmask_b32_e64 v0, v4, v3, s[6:7]
	v_mov_b32_e32 v4, 0x2000
	v_lshl_add_u32 v0, v0, 10, v4
	v_lshlrev_b32_e32 v3, 8, v8
	v_and_b32_e32 v0, 0xfc00, v0
	v_cndmask_b32_e64 v1, v1, v2, s[6:7]
	v_and_or_b32 v0, v3, s63, v0
	v_lshl_or_b32 v106, v1, 7, v0
.LBB270_349:                            ;   in Loop: Header=BB270_9 Depth=1
	s_or_b64 exec, exec, s[60:61]
.LBB270_350:                            ;   in Loop: Header=BB270_9 Depth=1
	s_or_b64 exec, exec, s[58:59]
.LBB270_351:                            ;   in Loop: Header=BB270_9 Depth=1
	s_or_b64 exec, exec, s[56:57]
	v_lshrrev_b16_e32 v4, 8, v8
	v_cmp_ne_u16_e64 s[6:7], 0, v4
	v_mov_b32_e32 v107, 0
	v_mov_b32_e32 v88, 0
	s_and_saveexec_b64 s[56:57], s[6:7]
	s_cbranch_execz .LBB270_357
; %bb.352:                              ;   in Loop: Header=BB270_9 Depth=1
	v_cmp_ne_u16_e64 s[6:7], s17, v4
	v_bfrev_b32_e32 v88, 1
	s_and_saveexec_b64 s[58:59], s[6:7]
	s_cbranch_execz .LBB270_356
; %bb.353:                              ;   in Loop: Header=BB270_9 Depth=1
	v_and_b32_e32 v0, 0x7f, v4
	v_cmp_ne_u32_e64 s[6:7], s62, v0
	v_mov_b32_e32 v88, 0x7c010000
	s_and_saveexec_b64 s[60:61], s[6:7]
	s_cbranch_execz .LBB270_355
; %bb.354:                              ;   in Loop: Header=BB270_9 Depth=1
	v_and_b32_e32 v1, 7, v4
	v_ffbh_u32_e32 v2, v1
	v_min_u32_e32 v7, 32, v2
	v_subrev_u32_e32 v2, 28, v7
	v_lshlrev_b64 v[2:3], v2, v[4:5]
	v_lshrrev_b32_e32 v6, 3, v0
	v_sub_u32_e32 v3, 29, v7
	v_cmp_gt_u32_e64 s[6:7], 8, v0
	v_and_b32_e32 v2, 7, v2
	s_nop 0
	v_cndmask_b32_e64 v0, v6, v3, s[6:7]
	v_lshlrev_b32_e32 v3, 8, v4
	v_mov_b32_e32 v4, 0x2000
	v_lshl_add_u32 v0, v0, 10, v4
	v_and_or_b32 v0, v3, s63, v0
	v_cndmask_b32_e64 v1, v1, v2, s[6:7]
	v_lshlrev_b32_e32 v0, 16, v0
	v_lshl_or_b32 v88, v1, 23, v0
.LBB270_355:                            ;   in Loop: Header=BB270_9 Depth=1
	s_or_b64 exec, exec, s[60:61]
.LBB270_356:                            ;   in Loop: Header=BB270_9 Depth=1
	s_or_b64 exec, exec, s[58:59]
.LBB270_357:                            ;   in Loop: Header=BB270_9 Depth=1
	s_or_b64 exec, exec, s[56:57]
	v_lshrrev_b32_e32 v4, 16, v8
	v_cmp_ne_u16_sdwa s[6:7], v4, v5 src0_sel:BYTE_0 src1_sel:DWORD
	s_and_saveexec_b64 s[56:57], s[6:7]
	s_cbranch_execz .LBB270_363
; %bb.358:                              ;   in Loop: Header=BB270_9 Depth=1
	v_cmp_ne_u16_sdwa s[6:7], v4, s17 src0_sel:BYTE_0 src1_sel:DWORD
	v_mov_b32_e32 v107, 0x8000
	s_and_saveexec_b64 s[58:59], s[6:7]
	s_cbranch_execz .LBB270_362
; %bb.359:                              ;   in Loop: Header=BB270_9 Depth=1
	v_bfe_u32 v0, v8, 16, 7
	v_cmp_ne_u32_e64 s[6:7], s62, v0
	v_mov_b32_e32 v107, 0x7c01
	s_and_saveexec_b64 s[60:61], s[6:7]
	s_cbranch_execz .LBB270_361
; %bb.360:                              ;   in Loop: Header=BB270_9 Depth=1
	v_and_b32_e32 v1, 7, v4
	v_ffbh_u32_e32 v2, v1
	v_min_u32_e32 v7, 32, v2
	v_subrev_u32_e32 v2, 28, v7
	v_lshlrev_b64 v[2:3], v2, v[4:5]
	v_lshrrev_b32_e32 v6, 3, v0
	v_sub_u32_e32 v3, 29, v7
	v_cmp_gt_u32_e64 s[6:7], 8, v0
	v_and_b32_e32 v2, 7, v2
	s_nop 0
	v_cndmask_b32_e64 v0, v6, v3, s[6:7]
	v_lshlrev_b32_e32 v3, 8, v4
	v_mov_b32_e32 v4, 0x2000
	v_lshl_add_u32 v0, v0, 10, v4
	v_and_b32_e32 v0, 0xfc00, v0
	v_cndmask_b32_e64 v1, v1, v2, s[6:7]
	v_and_or_b32 v0, v3, s63, v0
	v_lshl_or_b32 v107, v1, 7, v0
.LBB270_361:                            ;   in Loop: Header=BB270_9 Depth=1
	s_or_b64 exec, exec, s[60:61]
.LBB270_362:                            ;   in Loop: Header=BB270_9 Depth=1
	s_or_b64 exec, exec, s[58:59]
.LBB270_363:                            ;   in Loop: Header=BB270_9 Depth=1
	s_or_b64 exec, exec, s[56:57]
	v_cmp_lt_u32_e64 s[6:7], s72, v8
	v_mov_b32_e32 v28, 0
	v_mov_b32_e32 v89, 0
	s_and_saveexec_b64 s[56:57], s[6:7]
	s_cbranch_execz .LBB270_369
; %bb.364:                              ;   in Loop: Header=BB270_9 Depth=1
	v_lshrrev_b32_e32 v4, 24, v8
	v_cmp_ne_u32_e64 s[6:7], s17, v4
	v_bfrev_b32_e32 v89, 1
	s_and_saveexec_b64 s[58:59], s[6:7]
	s_cbranch_execz .LBB270_368
; %bb.365:                              ;   in Loop: Header=BB270_9 Depth=1
	v_and_b32_e32 v0, 0x7f, v4
	v_cmp_ne_u32_e64 s[6:7], s62, v0
	v_mov_b32_e32 v89, 0x7c010000
	s_and_saveexec_b64 s[60:61], s[6:7]
	s_cbranch_execz .LBB270_367
; %bb.366:                              ;   in Loop: Header=BB270_9 Depth=1
	v_and_b32_e32 v1, 7, v4
	v_ffbh_u32_e32 v2, v1
	v_min_u32_e32 v7, 32, v2
	v_subrev_u32_e32 v2, 28, v7
	v_lshlrev_b64 v[2:3], v2, v[4:5]
	v_lshrrev_b32_e32 v6, 3, v0
	v_sub_u32_e32 v3, 29, v7
	v_cmp_gt_u32_e64 s[6:7], 8, v0
	v_and_b32_e32 v2, 7, v2
	s_nop 0
	v_cndmask_b32_e64 v0, v6, v3, s[6:7]
	v_lshlrev_b32_e32 v3, 8, v4
	v_mov_b32_e32 v4, 0x2000
	v_lshl_add_u32 v0, v0, 10, v4
	v_and_or_b32 v0, v3, s63, v0
	v_cndmask_b32_e64 v1, v1, v2, s[6:7]
	v_lshlrev_b32_e32 v0, 16, v0
	v_lshl_or_b32 v89, v1, 23, v0
.LBB270_367:                            ;   in Loop: Header=BB270_9 Depth=1
	s_or_b64 exec, exec, s[60:61]
.LBB270_368:                            ;   in Loop: Header=BB270_9 Depth=1
	s_or_b64 exec, exec, s[58:59]
.LBB270_369:                            ;   in Loop: Header=BB270_9 Depth=1
	s_or_b64 exec, exec, s[56:57]
	flat_load_dword v8, v[34:35] offset:3592
	s_waitcnt vmcnt(0) lgkmcnt(0)
	v_cmp_ne_u16_sdwa s[6:7], v8, v5 src0_sel:BYTE_0 src1_sel:DWORD
	s_and_saveexec_b64 s[56:57], s[6:7]
	s_cbranch_execz .LBB270_375
; %bb.370:                              ;   in Loop: Header=BB270_9 Depth=1
	v_cmp_ne_u16_sdwa s[6:7], v8, s17 src0_sel:BYTE_0 src1_sel:DWORD
	v_mov_b32_e32 v28, 0x8000
	s_and_saveexec_b64 s[58:59], s[6:7]
	s_cbranch_execz .LBB270_374
; %bb.371:                              ;   in Loop: Header=BB270_9 Depth=1
	v_and_b32_e32 v0, 0x7f, v8
	v_cmp_ne_u32_e64 s[6:7], s62, v0
	v_mov_b32_e32 v28, 0x7c01
	s_and_saveexec_b64 s[60:61], s[6:7]
	s_cbranch_execz .LBB270_373
; %bb.372:                              ;   in Loop: Header=BB270_9 Depth=1
	v_and_b32_e32 v1, 7, v8
	v_ffbh_u32_e32 v2, v1
	v_min_u32_e32 v6, 32, v2
	v_subrev_u32_e32 v2, 28, v6
	v_lshlrev_b64 v[2:3], v2, v[8:9]
	v_lshrrev_b32_e32 v4, 3, v0
	v_sub_u32_e32 v3, 29, v6
	v_cmp_gt_u32_e64 s[6:7], 8, v0
	v_and_b32_e32 v2, 7, v2
	s_nop 0
	v_cndmask_b32_e64 v0, v4, v3, s[6:7]
	v_mov_b32_e32 v4, 0x2000
	v_lshl_add_u32 v0, v0, 10, v4
	v_lshlrev_b32_e32 v3, 8, v8
	v_and_b32_e32 v0, 0xfc00, v0
	v_cndmask_b32_e64 v1, v1, v2, s[6:7]
	v_and_or_b32 v0, v3, s63, v0
	v_lshl_or_b32 v28, v1, 7, v0
.LBB270_373:                            ;   in Loop: Header=BB270_9 Depth=1
	s_or_b64 exec, exec, s[60:61]
.LBB270_374:                            ;   in Loop: Header=BB270_9 Depth=1
	s_or_b64 exec, exec, s[58:59]
.LBB270_375:                            ;   in Loop: Header=BB270_9 Depth=1
	s_or_b64 exec, exec, s[56:57]
	v_lshrrev_b16_e32 v4, 8, v8
	v_cmp_ne_u16_e64 s[6:7], 0, v4
	v_mov_b32_e32 v29, 0
	v_mov_b32_e32 v92, 0
	s_and_saveexec_b64 s[56:57], s[6:7]
	s_cbranch_execz .LBB270_381
; %bb.376:                              ;   in Loop: Header=BB270_9 Depth=1
	v_cmp_ne_u16_e64 s[6:7], s17, v4
	v_bfrev_b32_e32 v92, 1
	s_and_saveexec_b64 s[58:59], s[6:7]
	s_cbranch_execz .LBB270_380
; %bb.377:                              ;   in Loop: Header=BB270_9 Depth=1
	v_and_b32_e32 v0, 0x7f, v4
	v_cmp_ne_u32_e64 s[6:7], s62, v0
	v_mov_b32_e32 v92, 0x7c010000
	s_and_saveexec_b64 s[60:61], s[6:7]
	s_cbranch_execz .LBB270_379
; %bb.378:                              ;   in Loop: Header=BB270_9 Depth=1
	v_and_b32_e32 v1, 7, v4
	v_ffbh_u32_e32 v2, v1
	v_min_u32_e32 v7, 32, v2
	v_subrev_u32_e32 v2, 28, v7
	v_lshlrev_b64 v[2:3], v2, v[4:5]
	v_lshrrev_b32_e32 v6, 3, v0
	v_sub_u32_e32 v3, 29, v7
	v_cmp_gt_u32_e64 s[6:7], 8, v0
	v_and_b32_e32 v2, 7, v2
	s_nop 0
	v_cndmask_b32_e64 v0, v6, v3, s[6:7]
	v_lshlrev_b32_e32 v3, 8, v4
	v_mov_b32_e32 v4, 0x2000
	v_lshl_add_u32 v0, v0, 10, v4
	v_and_or_b32 v0, v3, s63, v0
	v_cndmask_b32_e64 v1, v1, v2, s[6:7]
	v_lshlrev_b32_e32 v0, 16, v0
	v_lshl_or_b32 v92, v1, 23, v0
.LBB270_379:                            ;   in Loop: Header=BB270_9 Depth=1
	s_or_b64 exec, exec, s[60:61]
.LBB270_380:                            ;   in Loop: Header=BB270_9 Depth=1
	s_or_b64 exec, exec, s[58:59]
.LBB270_381:                            ;   in Loop: Header=BB270_9 Depth=1
	s_or_b64 exec, exec, s[56:57]
	v_lshrrev_b32_e32 v4, 16, v8
	v_cmp_ne_u16_sdwa s[6:7], v4, v5 src0_sel:BYTE_0 src1_sel:DWORD
	s_and_saveexec_b64 s[56:57], s[6:7]
	s_cbranch_execz .LBB270_387
; %bb.382:                              ;   in Loop: Header=BB270_9 Depth=1
	v_cmp_ne_u16_sdwa s[6:7], v4, s17 src0_sel:BYTE_0 src1_sel:DWORD
	v_mov_b32_e32 v29, 0x8000
	s_and_saveexec_b64 s[58:59], s[6:7]
	s_cbranch_execz .LBB270_386
; %bb.383:                              ;   in Loop: Header=BB270_9 Depth=1
	v_bfe_u32 v0, v8, 16, 7
	v_cmp_ne_u32_e64 s[6:7], s62, v0
	v_mov_b32_e32 v29, 0x7c01
	s_and_saveexec_b64 s[60:61], s[6:7]
	s_cbranch_execz .LBB270_385
; %bb.384:                              ;   in Loop: Header=BB270_9 Depth=1
	v_and_b32_e32 v1, 7, v4
	v_ffbh_u32_e32 v2, v1
	v_min_u32_e32 v7, 32, v2
	v_subrev_u32_e32 v2, 28, v7
	v_lshlrev_b64 v[2:3], v2, v[4:5]
	v_lshrrev_b32_e32 v6, 3, v0
	v_sub_u32_e32 v3, 29, v7
	v_cmp_gt_u32_e64 s[6:7], 8, v0
	v_and_b32_e32 v2, 7, v2
	s_nop 0
	v_cndmask_b32_e64 v0, v6, v3, s[6:7]
	v_lshlrev_b32_e32 v3, 8, v4
	v_mov_b32_e32 v4, 0x2000
	v_lshl_add_u32 v0, v0, 10, v4
	v_and_b32_e32 v0, 0xfc00, v0
	v_cndmask_b32_e64 v1, v1, v2, s[6:7]
	v_and_or_b32 v0, v3, s63, v0
	v_lshl_or_b32 v29, v1, 7, v0
.LBB270_385:                            ;   in Loop: Header=BB270_9 Depth=1
	s_or_b64 exec, exec, s[60:61]
.LBB270_386:                            ;   in Loop: Header=BB270_9 Depth=1
	s_or_b64 exec, exec, s[58:59]
.LBB270_387:                            ;   in Loop: Header=BB270_9 Depth=1
	s_or_b64 exec, exec, s[56:57]
	v_cmp_lt_u32_e64 s[6:7], s72, v8
	v_mov_b32_e32 v26, 0
	v_mov_b32_e32 v93, 0
	s_and_saveexec_b64 s[56:57], s[6:7]
	s_cbranch_execz .LBB270_393
; %bb.388:                              ;   in Loop: Header=BB270_9 Depth=1
	v_lshrrev_b32_e32 v4, 24, v8
	v_cmp_ne_u32_e64 s[6:7], s17, v4
	v_bfrev_b32_e32 v93, 1
	s_and_saveexec_b64 s[58:59], s[6:7]
	s_cbranch_execz .LBB270_392
; %bb.389:                              ;   in Loop: Header=BB270_9 Depth=1
	v_and_b32_e32 v0, 0x7f, v4
	v_cmp_ne_u32_e64 s[6:7], s62, v0
	v_mov_b32_e32 v93, 0x7c010000
	s_and_saveexec_b64 s[60:61], s[6:7]
	s_cbranch_execz .LBB270_391
; %bb.390:                              ;   in Loop: Header=BB270_9 Depth=1
	v_and_b32_e32 v1, 7, v4
	v_ffbh_u32_e32 v2, v1
	v_min_u32_e32 v7, 32, v2
	v_subrev_u32_e32 v2, 28, v7
	v_lshlrev_b64 v[2:3], v2, v[4:5]
	v_lshrrev_b32_e32 v6, 3, v0
	v_sub_u32_e32 v3, 29, v7
	v_cmp_gt_u32_e64 s[6:7], 8, v0
	v_and_b32_e32 v2, 7, v2
	s_nop 0
	v_cndmask_b32_e64 v0, v6, v3, s[6:7]
	v_lshlrev_b32_e32 v3, 8, v4
	v_mov_b32_e32 v4, 0x2000
	v_lshl_add_u32 v0, v0, 10, v4
	v_and_or_b32 v0, v3, s63, v0
	v_cndmask_b32_e64 v1, v1, v2, s[6:7]
	v_lshlrev_b32_e32 v0, 16, v0
	v_lshl_or_b32 v93, v1, 23, v0
.LBB270_391:                            ;   in Loop: Header=BB270_9 Depth=1
	s_or_b64 exec, exec, s[60:61]
.LBB270_392:                            ;   in Loop: Header=BB270_9 Depth=1
	s_or_b64 exec, exec, s[58:59]
.LBB270_393:                            ;   in Loop: Header=BB270_9 Depth=1
	s_or_b64 exec, exec, s[56:57]
	scratch_load_dwordx2 v[0:1], off, s32 offset:192 ; 8-byte Folded Reload
	v_lshl_add_u64 v[34:35], v[32:33], 0, s[22:23]
	s_waitcnt vmcnt(0)
	v_lshl_add_u64 v[0:1], v[34:35], 0, v[0:1]
	flat_load_dword v8, v[0:1]
	s_waitcnt vmcnt(0) lgkmcnt(0)
	v_cmp_ne_u16_sdwa s[6:7], v8, v5 src0_sel:BYTE_0 src1_sel:DWORD
	s_and_saveexec_b64 s[56:57], s[6:7]
	s_cbranch_execz .LBB270_399
; %bb.394:                              ;   in Loop: Header=BB270_9 Depth=1
	v_cmp_ne_u16_sdwa s[6:7], v8, s17 src0_sel:BYTE_0 src1_sel:DWORD
	v_mov_b32_e32 v26, 0x8000
	s_and_saveexec_b64 s[58:59], s[6:7]
	s_cbranch_execz .LBB270_398
; %bb.395:                              ;   in Loop: Header=BB270_9 Depth=1
	v_and_b32_e32 v0, 0x7f, v8
	v_cmp_ne_u32_e64 s[6:7], s62, v0
	v_mov_b32_e32 v26, 0x7c01
	s_and_saveexec_b64 s[60:61], s[6:7]
	s_cbranch_execz .LBB270_397
; %bb.396:                              ;   in Loop: Header=BB270_9 Depth=1
	v_and_b32_e32 v1, 7, v8
	v_ffbh_u32_e32 v2, v1
	v_min_u32_e32 v6, 32, v2
	v_subrev_u32_e32 v2, 28, v6
	v_lshlrev_b64 v[2:3], v2, v[8:9]
	v_lshrrev_b32_e32 v4, 3, v0
	v_sub_u32_e32 v3, 29, v6
	v_cmp_gt_u32_e64 s[6:7], 8, v0
	v_and_b32_e32 v2, 7, v2
	s_nop 0
	v_cndmask_b32_e64 v0, v4, v3, s[6:7]
	v_mov_b32_e32 v4, 0x2000
	v_lshl_add_u32 v0, v0, 10, v4
	v_lshlrev_b32_e32 v3, 8, v8
	v_and_b32_e32 v0, 0xfc00, v0
	v_cndmask_b32_e64 v1, v1, v2, s[6:7]
	v_and_or_b32 v0, v3, s63, v0
	v_lshl_or_b32 v26, v1, 7, v0
.LBB270_397:                            ;   in Loop: Header=BB270_9 Depth=1
	s_or_b64 exec, exec, s[60:61]
.LBB270_398:                            ;   in Loop: Header=BB270_9 Depth=1
	s_or_b64 exec, exec, s[58:59]
.LBB270_399:                            ;   in Loop: Header=BB270_9 Depth=1
	s_or_b64 exec, exec, s[56:57]
	v_lshrrev_b16_e32 v4, 8, v8
	v_cmp_ne_u16_e64 s[6:7], 0, v4
	v_mov_b32_e32 v27, 0
	v_mov_b32_e32 v104, 0
	s_and_saveexec_b64 s[56:57], s[6:7]
	s_cbranch_execz .LBB270_405
; %bb.400:                              ;   in Loop: Header=BB270_9 Depth=1
	v_cmp_ne_u16_e64 s[6:7], s17, v4
	v_bfrev_b32_e32 v104, 1
	s_and_saveexec_b64 s[58:59], s[6:7]
	s_cbranch_execz .LBB270_404
; %bb.401:                              ;   in Loop: Header=BB270_9 Depth=1
	v_and_b32_e32 v0, 0x7f, v4
	v_cmp_ne_u32_e64 s[6:7], s62, v0
	v_mov_b32_e32 v104, 0x7c010000
	s_and_saveexec_b64 s[60:61], s[6:7]
	s_cbranch_execz .LBB270_403
; %bb.402:                              ;   in Loop: Header=BB270_9 Depth=1
	v_and_b32_e32 v1, 7, v4
	v_ffbh_u32_e32 v2, v1
	v_min_u32_e32 v7, 32, v2
	v_subrev_u32_e32 v2, 28, v7
	v_lshlrev_b64 v[2:3], v2, v[4:5]
	v_lshrrev_b32_e32 v6, 3, v0
	v_sub_u32_e32 v3, 29, v7
	v_cmp_gt_u32_e64 s[6:7], 8, v0
	v_and_b32_e32 v2, 7, v2
	s_nop 0
	v_cndmask_b32_e64 v0, v6, v3, s[6:7]
	v_lshlrev_b32_e32 v3, 8, v4
	v_mov_b32_e32 v4, 0x2000
	v_lshl_add_u32 v0, v0, 10, v4
	v_and_or_b32 v0, v3, s63, v0
	v_cndmask_b32_e64 v1, v1, v2, s[6:7]
	v_lshlrev_b32_e32 v0, 16, v0
	v_lshl_or_b32 v104, v1, 23, v0
.LBB270_403:                            ;   in Loop: Header=BB270_9 Depth=1
	s_or_b64 exec, exec, s[60:61]
.LBB270_404:                            ;   in Loop: Header=BB270_9 Depth=1
	s_or_b64 exec, exec, s[58:59]
.LBB270_405:                            ;   in Loop: Header=BB270_9 Depth=1
	s_or_b64 exec, exec, s[56:57]
	v_lshrrev_b32_e32 v4, 16, v8
	v_cmp_ne_u16_sdwa s[6:7], v4, v5 src0_sel:BYTE_0 src1_sel:DWORD
	s_and_saveexec_b64 s[56:57], s[6:7]
	s_cbranch_execz .LBB270_411
; %bb.406:                              ;   in Loop: Header=BB270_9 Depth=1
	v_cmp_ne_u16_sdwa s[6:7], v4, s17 src0_sel:BYTE_0 src1_sel:DWORD
	v_mov_b32_e32 v27, 0x8000
	s_and_saveexec_b64 s[58:59], s[6:7]
	s_cbranch_execz .LBB270_410
; %bb.407:                              ;   in Loop: Header=BB270_9 Depth=1
	v_bfe_u32 v0, v8, 16, 7
	v_cmp_ne_u32_e64 s[6:7], s62, v0
	v_mov_b32_e32 v27, 0x7c01
	s_and_saveexec_b64 s[60:61], s[6:7]
	s_cbranch_execz .LBB270_409
; %bb.408:                              ;   in Loop: Header=BB270_9 Depth=1
	v_and_b32_e32 v1, 7, v4
	v_ffbh_u32_e32 v2, v1
	v_min_u32_e32 v7, 32, v2
	v_subrev_u32_e32 v2, 28, v7
	v_lshlrev_b64 v[2:3], v2, v[4:5]
	v_lshrrev_b32_e32 v6, 3, v0
	v_sub_u32_e32 v3, 29, v7
	v_cmp_gt_u32_e64 s[6:7], 8, v0
	v_and_b32_e32 v2, 7, v2
	s_nop 0
	v_cndmask_b32_e64 v0, v6, v3, s[6:7]
	v_lshlrev_b32_e32 v3, 8, v4
	v_mov_b32_e32 v4, 0x2000
	v_lshl_add_u32 v0, v0, 10, v4
	v_and_b32_e32 v0, 0xfc00, v0
	v_cndmask_b32_e64 v1, v1, v2, s[6:7]
	v_and_or_b32 v0, v3, s63, v0
	v_lshl_or_b32 v27, v1, 7, v0
.LBB270_409:                            ;   in Loop: Header=BB270_9 Depth=1
	s_or_b64 exec, exec, s[60:61]
.LBB270_410:                            ;   in Loop: Header=BB270_9 Depth=1
	s_or_b64 exec, exec, s[58:59]
.LBB270_411:                            ;   in Loop: Header=BB270_9 Depth=1
	s_or_b64 exec, exec, s[56:57]
	v_cmp_lt_u32_e64 s[6:7], s72, v8
	v_mov_b32_e32 v90, 0
	v_mov_b32_e32 v105, 0
	s_and_saveexec_b64 s[56:57], s[6:7]
	s_cbranch_execz .LBB270_417
; %bb.412:                              ;   in Loop: Header=BB270_9 Depth=1
	v_lshrrev_b32_e32 v4, 24, v8
	v_cmp_ne_u32_e64 s[6:7], s17, v4
	v_bfrev_b32_e32 v105, 1
	s_and_saveexec_b64 s[58:59], s[6:7]
	s_cbranch_execz .LBB270_416
; %bb.413:                              ;   in Loop: Header=BB270_9 Depth=1
	v_and_b32_e32 v0, 0x7f, v4
	v_cmp_ne_u32_e64 s[6:7], s62, v0
	v_mov_b32_e32 v105, 0x7c010000
	s_and_saveexec_b64 s[60:61], s[6:7]
	s_cbranch_execz .LBB270_415
; %bb.414:                              ;   in Loop: Header=BB270_9 Depth=1
	v_and_b32_e32 v1, 7, v4
	v_ffbh_u32_e32 v2, v1
	v_min_u32_e32 v7, 32, v2
	v_subrev_u32_e32 v2, 28, v7
	v_lshlrev_b64 v[2:3], v2, v[4:5]
	v_lshrrev_b32_e32 v6, 3, v0
	v_sub_u32_e32 v3, 29, v7
	v_cmp_gt_u32_e64 s[6:7], 8, v0
	v_and_b32_e32 v2, 7, v2
	s_nop 0
	v_cndmask_b32_e64 v0, v6, v3, s[6:7]
	v_lshlrev_b32_e32 v3, 8, v4
	v_mov_b32_e32 v4, 0x2000
	v_lshl_add_u32 v0, v0, 10, v4
	v_and_or_b32 v0, v3, s63, v0
	v_cndmask_b32_e64 v1, v1, v2, s[6:7]
	v_lshlrev_b32_e32 v0, 16, v0
	v_lshl_or_b32 v105, v1, 23, v0
.LBB270_415:                            ;   in Loop: Header=BB270_9 Depth=1
	s_or_b64 exec, exec, s[60:61]
.LBB270_416:                            ;   in Loop: Header=BB270_9 Depth=1
	s_or_b64 exec, exec, s[58:59]
.LBB270_417:                            ;   in Loop: Header=BB270_9 Depth=1
	s_or_b64 exec, exec, s[56:57]
	scratch_load_dwordx2 v[0:1], off, s32 offset:200 ; 8-byte Folded Reload
	s_waitcnt vmcnt(0)
	v_lshl_add_u64 v[0:1], v[34:35], 0, v[0:1]
	flat_load_dword v8, v[0:1]
	s_waitcnt vmcnt(0) lgkmcnt(0)
	v_cmp_ne_u16_sdwa s[6:7], v8, v5 src0_sel:BYTE_0 src1_sel:DWORD
	s_and_saveexec_b64 s[56:57], s[6:7]
	s_cbranch_execz .LBB270_423
; %bb.418:                              ;   in Loop: Header=BB270_9 Depth=1
	v_cmp_ne_u16_sdwa s[6:7], v8, s17 src0_sel:BYTE_0 src1_sel:DWORD
	v_mov_b32_e32 v90, 0x8000
	s_and_saveexec_b64 s[58:59], s[6:7]
	s_cbranch_execz .LBB270_422
; %bb.419:                              ;   in Loop: Header=BB270_9 Depth=1
	v_and_b32_e32 v0, 0x7f, v8
	v_cmp_ne_u32_e64 s[6:7], s62, v0
	v_mov_b32_e32 v90, 0x7c01
	s_and_saveexec_b64 s[60:61], s[6:7]
	s_cbranch_execz .LBB270_421
; %bb.420:                              ;   in Loop: Header=BB270_9 Depth=1
	v_and_b32_e32 v1, 7, v8
	v_ffbh_u32_e32 v2, v1
	v_min_u32_e32 v6, 32, v2
	v_subrev_u32_e32 v2, 28, v6
	v_lshlrev_b64 v[2:3], v2, v[8:9]
	v_lshrrev_b32_e32 v4, 3, v0
	v_sub_u32_e32 v3, 29, v6
	v_cmp_gt_u32_e64 s[6:7], 8, v0
	v_and_b32_e32 v2, 7, v2
	s_nop 0
	v_cndmask_b32_e64 v0, v4, v3, s[6:7]
	v_mov_b32_e32 v4, 0x2000
	v_lshl_add_u32 v0, v0, 10, v4
	v_lshlrev_b32_e32 v3, 8, v8
	v_and_b32_e32 v0, 0xfc00, v0
	v_cndmask_b32_e64 v1, v1, v2, s[6:7]
	v_and_or_b32 v0, v3, s63, v0
	v_lshl_or_b32 v90, v1, 7, v0
.LBB270_421:                            ;   in Loop: Header=BB270_9 Depth=1
	s_or_b64 exec, exec, s[60:61]
.LBB270_422:                            ;   in Loop: Header=BB270_9 Depth=1
	s_or_b64 exec, exec, s[58:59]
.LBB270_423:                            ;   in Loop: Header=BB270_9 Depth=1
	s_or_b64 exec, exec, s[56:57]
	v_lshrrev_b16_e32 v4, 8, v8
	v_cmp_ne_u16_e64 s[6:7], 0, v4
	v_mov_b32_e32 v91, 0
	v_mov_b32_e32 v108, 0
	s_and_saveexec_b64 s[56:57], s[6:7]
	s_cbranch_execz .LBB270_429
; %bb.424:                              ;   in Loop: Header=BB270_9 Depth=1
	v_cmp_ne_u16_e64 s[6:7], s17, v4
	v_bfrev_b32_e32 v108, 1
	s_and_saveexec_b64 s[58:59], s[6:7]
	s_cbranch_execz .LBB270_428
; %bb.425:                              ;   in Loop: Header=BB270_9 Depth=1
	v_and_b32_e32 v0, 0x7f, v4
	v_cmp_ne_u32_e64 s[6:7], s62, v0
	v_mov_b32_e32 v108, 0x7c010000
	s_and_saveexec_b64 s[60:61], s[6:7]
	s_cbranch_execz .LBB270_427
; %bb.426:                              ;   in Loop: Header=BB270_9 Depth=1
	v_and_b32_e32 v1, 7, v4
	v_ffbh_u32_e32 v2, v1
	v_min_u32_e32 v7, 32, v2
	v_subrev_u32_e32 v2, 28, v7
	v_lshlrev_b64 v[2:3], v2, v[4:5]
	v_lshrrev_b32_e32 v6, 3, v0
	v_sub_u32_e32 v3, 29, v7
	v_cmp_gt_u32_e64 s[6:7], 8, v0
	v_and_b32_e32 v2, 7, v2
	s_nop 0
	v_cndmask_b32_e64 v0, v6, v3, s[6:7]
	v_lshlrev_b32_e32 v3, 8, v4
	v_mov_b32_e32 v4, 0x2000
	v_lshl_add_u32 v0, v0, 10, v4
	v_and_or_b32 v0, v3, s63, v0
	v_cndmask_b32_e64 v1, v1, v2, s[6:7]
	v_lshlrev_b32_e32 v0, 16, v0
	v_lshl_or_b32 v108, v1, 23, v0
.LBB270_427:                            ;   in Loop: Header=BB270_9 Depth=1
	s_or_b64 exec, exec, s[60:61]
.LBB270_428:                            ;   in Loop: Header=BB270_9 Depth=1
	s_or_b64 exec, exec, s[58:59]
.LBB270_429:                            ;   in Loop: Header=BB270_9 Depth=1
	s_or_b64 exec, exec, s[56:57]
	v_lshrrev_b32_e32 v4, 16, v8
	v_cmp_ne_u16_sdwa s[6:7], v4, v5 src0_sel:BYTE_0 src1_sel:DWORD
	s_and_saveexec_b64 s[56:57], s[6:7]
	s_cbranch_execz .LBB270_435
; %bb.430:                              ;   in Loop: Header=BB270_9 Depth=1
	v_cmp_ne_u16_sdwa s[6:7], v4, s17 src0_sel:BYTE_0 src1_sel:DWORD
	v_mov_b32_e32 v91, 0x8000
	s_and_saveexec_b64 s[58:59], s[6:7]
	s_cbranch_execz .LBB270_434
; %bb.431:                              ;   in Loop: Header=BB270_9 Depth=1
	v_bfe_u32 v0, v8, 16, 7
	v_cmp_ne_u32_e64 s[6:7], s62, v0
	v_mov_b32_e32 v91, 0x7c01
	s_and_saveexec_b64 s[60:61], s[6:7]
	s_cbranch_execz .LBB270_433
; %bb.432:                              ;   in Loop: Header=BB270_9 Depth=1
	v_and_b32_e32 v1, 7, v4
	v_ffbh_u32_e32 v2, v1
	v_min_u32_e32 v7, 32, v2
	v_subrev_u32_e32 v2, 28, v7
	v_lshlrev_b64 v[2:3], v2, v[4:5]
	v_lshrrev_b32_e32 v6, 3, v0
	v_sub_u32_e32 v3, 29, v7
	v_cmp_gt_u32_e64 s[6:7], 8, v0
	v_and_b32_e32 v2, 7, v2
	s_nop 0
	v_cndmask_b32_e64 v0, v6, v3, s[6:7]
	v_lshlrev_b32_e32 v3, 8, v4
	v_mov_b32_e32 v4, 0x2000
	v_lshl_add_u32 v0, v0, 10, v4
	v_and_b32_e32 v0, 0xfc00, v0
	v_cndmask_b32_e64 v1, v1, v2, s[6:7]
	v_and_or_b32 v0, v3, s63, v0
	v_lshl_or_b32 v91, v1, 7, v0
.LBB270_433:                            ;   in Loop: Header=BB270_9 Depth=1
	s_or_b64 exec, exec, s[60:61]
.LBB270_434:                            ;   in Loop: Header=BB270_9 Depth=1
	s_or_b64 exec, exec, s[58:59]
.LBB270_435:                            ;   in Loop: Header=BB270_9 Depth=1
	s_or_b64 exec, exec, s[56:57]
	v_cmp_lt_u32_e64 s[6:7], s72, v8
	v_mov_b32_e32 v111, 0
	v_mov_b32_e32 v109, 0
	s_and_saveexec_b64 s[56:57], s[6:7]
	s_cbranch_execz .LBB270_441
; %bb.436:                              ;   in Loop: Header=BB270_9 Depth=1
	v_lshrrev_b32_e32 v4, 24, v8
	v_cmp_ne_u32_e64 s[6:7], s17, v4
	v_bfrev_b32_e32 v109, 1
	s_and_saveexec_b64 s[58:59], s[6:7]
	s_cbranch_execz .LBB270_440
; %bb.437:                              ;   in Loop: Header=BB270_9 Depth=1
	v_and_b32_e32 v0, 0x7f, v4
	v_cmp_ne_u32_e64 s[6:7], s62, v0
	v_mov_b32_e32 v109, 0x7c010000
	s_and_saveexec_b64 s[60:61], s[6:7]
	s_cbranch_execz .LBB270_439
; %bb.438:                              ;   in Loop: Header=BB270_9 Depth=1
	v_and_b32_e32 v1, 7, v4
	v_ffbh_u32_e32 v2, v1
	v_min_u32_e32 v7, 32, v2
	v_subrev_u32_e32 v2, 28, v7
	v_lshlrev_b64 v[2:3], v2, v[4:5]
	v_lshrrev_b32_e32 v6, 3, v0
	v_sub_u32_e32 v3, 29, v7
	v_cmp_gt_u32_e64 s[6:7], 8, v0
	v_and_b32_e32 v2, 7, v2
	s_nop 0
	v_cndmask_b32_e64 v0, v6, v3, s[6:7]
	v_lshlrev_b32_e32 v3, 8, v4
	v_mov_b32_e32 v4, 0x2000
	v_lshl_add_u32 v0, v0, 10, v4
	v_and_or_b32 v0, v3, s63, v0
	v_cndmask_b32_e64 v1, v1, v2, s[6:7]
	v_lshlrev_b32_e32 v0, 16, v0
	v_lshl_or_b32 v109, v1, 23, v0
.LBB270_439:                            ;   in Loop: Header=BB270_9 Depth=1
	s_or_b64 exec, exec, s[60:61]
.LBB270_440:                            ;   in Loop: Header=BB270_9 Depth=1
	s_or_b64 exec, exec, s[58:59]
.LBB270_441:                            ;   in Loop: Header=BB270_9 Depth=1
	s_or_b64 exec, exec, s[56:57]
	scratch_load_dwordx2 v[0:1], off, s32 offset:192 ; 8-byte Folded Reload
	v_lshl_add_u64 v[34:35], v[32:33], 0, s[24:25]
	s_waitcnt vmcnt(0)
	v_lshl_add_u64 v[0:1], v[34:35], 0, v[0:1]
	flat_load_dword v8, v[0:1]
	s_waitcnt vmcnt(0) lgkmcnt(0)
	v_cmp_ne_u16_sdwa s[6:7], v8, v5 src0_sel:BYTE_0 src1_sel:DWORD
	s_and_saveexec_b64 s[56:57], s[6:7]
	s_cbranch_execz .LBB270_447
; %bb.442:                              ;   in Loop: Header=BB270_9 Depth=1
	v_cmp_ne_u16_sdwa s[6:7], v8, s17 src0_sel:BYTE_0 src1_sel:DWORD
	v_mov_b32_e32 v111, 0x8000
	s_and_saveexec_b64 s[58:59], s[6:7]
	s_cbranch_execz .LBB270_446
; %bb.443:                              ;   in Loop: Header=BB270_9 Depth=1
	v_and_b32_e32 v0, 0x7f, v8
	v_cmp_ne_u32_e64 s[6:7], s62, v0
	v_mov_b32_e32 v111, 0x7c01
	s_and_saveexec_b64 s[60:61], s[6:7]
	s_cbranch_execz .LBB270_445
; %bb.444:                              ;   in Loop: Header=BB270_9 Depth=1
	v_and_b32_e32 v1, 7, v8
	v_ffbh_u32_e32 v2, v1
	v_min_u32_e32 v6, 32, v2
	v_subrev_u32_e32 v2, 28, v6
	v_lshlrev_b64 v[2:3], v2, v[8:9]
	v_lshrrev_b32_e32 v4, 3, v0
	v_sub_u32_e32 v3, 29, v6
	v_cmp_gt_u32_e64 s[6:7], 8, v0
	v_and_b32_e32 v2, 7, v2
	s_nop 0
	v_cndmask_b32_e64 v0, v4, v3, s[6:7]
	v_mov_b32_e32 v4, 0x2000
	v_lshl_add_u32 v0, v0, 10, v4
	v_lshlrev_b32_e32 v3, 8, v8
	v_and_b32_e32 v0, 0xfc00, v0
	v_cndmask_b32_e64 v1, v1, v2, s[6:7]
	v_and_or_b32 v0, v3, s63, v0
	v_lshl_or_b32 v111, v1, 7, v0
.LBB270_445:                            ;   in Loop: Header=BB270_9 Depth=1
	s_or_b64 exec, exec, s[60:61]
.LBB270_446:                            ;   in Loop: Header=BB270_9 Depth=1
	s_or_b64 exec, exec, s[58:59]
.LBB270_447:                            ;   in Loop: Header=BB270_9 Depth=1
	s_or_b64 exec, exec, s[56:57]
	v_lshrrev_b16_e32 v4, 8, v8
	v_cmp_ne_u16_e64 s[6:7], 0, v4
	v_mov_b32_e32 v127, 0
	v_mov_b32_e32 v19, 0
	s_and_saveexec_b64 s[56:57], s[6:7]
	s_cbranch_execz .LBB270_453
; %bb.448:                              ;   in Loop: Header=BB270_9 Depth=1
	v_cmp_ne_u16_e64 s[6:7], s17, v4
	v_bfrev_b32_e32 v19, 1
	s_and_saveexec_b64 s[58:59], s[6:7]
	s_cbranch_execz .LBB270_452
; %bb.449:                              ;   in Loop: Header=BB270_9 Depth=1
	v_and_b32_e32 v0, 0x7f, v4
	v_cmp_ne_u32_e64 s[6:7], s62, v0
	v_mov_b32_e32 v19, 0x7c010000
	s_and_saveexec_b64 s[60:61], s[6:7]
	s_cbranch_execz .LBB270_451
; %bb.450:                              ;   in Loop: Header=BB270_9 Depth=1
	v_and_b32_e32 v1, 7, v4
	v_ffbh_u32_e32 v2, v1
	v_min_u32_e32 v7, 32, v2
	v_subrev_u32_e32 v2, 28, v7
	v_lshlrev_b64 v[2:3], v2, v[4:5]
	v_lshrrev_b32_e32 v6, 3, v0
	v_sub_u32_e32 v3, 29, v7
	v_cmp_gt_u32_e64 s[6:7], 8, v0
	v_and_b32_e32 v2, 7, v2
	s_nop 0
	v_cndmask_b32_e64 v0, v6, v3, s[6:7]
	v_lshlrev_b32_e32 v3, 8, v4
	v_mov_b32_e32 v4, 0x2000
	v_lshl_add_u32 v0, v0, 10, v4
	v_and_or_b32 v0, v3, s63, v0
	v_cndmask_b32_e64 v1, v1, v2, s[6:7]
	v_lshlrev_b32_e32 v0, 16, v0
	v_lshl_or_b32 v19, v1, 23, v0
.LBB270_451:                            ;   in Loop: Header=BB270_9 Depth=1
	s_or_b64 exec, exec, s[60:61]
.LBB270_452:                            ;   in Loop: Header=BB270_9 Depth=1
	s_or_b64 exec, exec, s[58:59]
.LBB270_453:                            ;   in Loop: Header=BB270_9 Depth=1
	s_or_b64 exec, exec, s[56:57]
	v_lshrrev_b32_e32 v4, 16, v8
	v_cmp_ne_u16_sdwa s[6:7], v4, v5 src0_sel:BYTE_0 src1_sel:DWORD
	s_and_saveexec_b64 s[56:57], s[6:7]
	s_cbranch_execz .LBB270_459
; %bb.454:                              ;   in Loop: Header=BB270_9 Depth=1
	v_cmp_ne_u16_sdwa s[6:7], v4, s17 src0_sel:BYTE_0 src1_sel:DWORD
	v_mov_b32_e32 v127, 0x8000
	s_and_saveexec_b64 s[58:59], s[6:7]
	s_cbranch_execz .LBB270_458
; %bb.455:                              ;   in Loop: Header=BB270_9 Depth=1
	v_bfe_u32 v0, v8, 16, 7
	v_cmp_ne_u32_e64 s[6:7], s62, v0
	v_mov_b32_e32 v127, 0x7c01
	s_and_saveexec_b64 s[60:61], s[6:7]
	s_cbranch_execz .LBB270_457
; %bb.456:                              ;   in Loop: Header=BB270_9 Depth=1
	v_and_b32_e32 v1, 7, v4
	v_ffbh_u32_e32 v2, v1
	v_min_u32_e32 v7, 32, v2
	v_subrev_u32_e32 v2, 28, v7
	v_lshlrev_b64 v[2:3], v2, v[4:5]
	v_lshrrev_b32_e32 v6, 3, v0
	v_sub_u32_e32 v3, 29, v7
	v_cmp_gt_u32_e64 s[6:7], 8, v0
	v_and_b32_e32 v2, 7, v2
	s_nop 0
	v_cndmask_b32_e64 v0, v6, v3, s[6:7]
	v_lshlrev_b32_e32 v3, 8, v4
	v_mov_b32_e32 v4, 0x2000
	v_lshl_add_u32 v0, v0, 10, v4
	v_and_b32_e32 v0, 0xfc00, v0
	v_cndmask_b32_e64 v1, v1, v2, s[6:7]
	v_and_or_b32 v0, v3, s63, v0
	v_lshl_or_b32 v127, v1, 7, v0
.LBB270_457:                            ;   in Loop: Header=BB270_9 Depth=1
	s_or_b64 exec, exec, s[60:61]
.LBB270_458:                            ;   in Loop: Header=BB270_9 Depth=1
	s_or_b64 exec, exec, s[58:59]
.LBB270_459:                            ;   in Loop: Header=BB270_9 Depth=1
	s_or_b64 exec, exec, s[56:57]
	v_cmp_lt_u32_e64 s[6:7], s72, v8
	v_mov_b32_e32 v6, 0
	v_mov_b32_e32 v15, 0
	s_and_saveexec_b64 s[56:57], s[6:7]
	s_cbranch_execz .LBB270_465
; %bb.460:                              ;   in Loop: Header=BB270_9 Depth=1
	v_lshrrev_b32_e32 v4, 24, v8
	v_cmp_ne_u32_e64 s[6:7], s17, v4
	v_bfrev_b32_e32 v15, 1
	s_and_saveexec_b64 s[58:59], s[6:7]
	s_cbranch_execz .LBB270_464
; %bb.461:                              ;   in Loop: Header=BB270_9 Depth=1
	v_and_b32_e32 v0, 0x7f, v4
	v_cmp_ne_u32_e64 s[6:7], s62, v0
	v_mov_b32_e32 v15, 0x7c010000
	s_and_saveexec_b64 s[60:61], s[6:7]
	s_cbranch_execz .LBB270_463
; %bb.462:                              ;   in Loop: Header=BB270_9 Depth=1
	v_and_b32_e32 v2, 7, v4
	v_lshrrev_b32_e32 v3, 3, v0
	v_cmp_gt_u32_e64 s[6:7], 8, v0
	v_ffbh_u32_e32 v0, v2
	v_min_u32_e32 v7, 32, v0
	v_subrev_u32_e32 v0, 28, v7
	v_lshlrev_b64 v[0:1], v0, v[4:5]
	v_sub_u32_e32 v1, 29, v7
	v_cndmask_b32_e64 v1, v3, v1, s[6:7]
	v_lshlrev_b32_e32 v3, 8, v4
	v_mov_b32_e32 v4, 0x2000
	v_lshl_add_u32 v1, v1, 10, v4
	v_and_b32_e32 v0, 7, v0
	v_and_or_b32 v1, v3, s63, v1
	v_cndmask_b32_e64 v0, v2, v0, s[6:7]
	v_lshlrev_b32_e32 v1, 16, v1
	v_lshl_or_b32 v15, v0, 23, v1
.LBB270_463:                            ;   in Loop: Header=BB270_9 Depth=1
	s_or_b64 exec, exec, s[60:61]
.LBB270_464:                            ;   in Loop: Header=BB270_9 Depth=1
	s_or_b64 exec, exec, s[58:59]
.LBB270_465:                            ;   in Loop: Header=BB270_9 Depth=1
	s_or_b64 exec, exec, s[56:57]
	scratch_load_dwordx2 v[0:1], off, s32 offset:200 ; 8-byte Folded Reload
	s_waitcnt vmcnt(0)
	v_lshl_add_u64 v[0:1], v[34:35], 0, v[0:1]
	flat_load_dword v8, v[0:1]
	s_waitcnt vmcnt(0) lgkmcnt(0)
	v_cmp_ne_u16_sdwa s[6:7], v8, v5 src0_sel:BYTE_0 src1_sel:DWORD
	s_and_saveexec_b64 s[56:57], s[6:7]
	s_cbranch_execz .LBB270_471
; %bb.466:                              ;   in Loop: Header=BB270_9 Depth=1
	v_cmp_ne_u16_sdwa s[6:7], v8, s17 src0_sel:BYTE_0 src1_sel:DWORD
	v_mov_b32_e32 v6, 0x8000
	s_and_saveexec_b64 s[58:59], s[6:7]
	s_cbranch_execz .LBB270_470
; %bb.467:                              ;   in Loop: Header=BB270_9 Depth=1
	v_and_b32_e32 v0, 0x7f, v8
	v_cmp_ne_u32_e64 s[6:7], s62, v0
	v_mov_b32_e32 v6, 0x7c01
	s_and_saveexec_b64 s[60:61], s[6:7]
	s_cbranch_execz .LBB270_469
; %bb.468:                              ;   in Loop: Header=BB270_9 Depth=1
	v_and_b32_e32 v1, 7, v8
	v_ffbh_u32_e32 v2, v1
	v_min_u32_e32 v6, 32, v2
	v_subrev_u32_e32 v2, 28, v6
	v_lshlrev_b64 v[2:3], v2, v[8:9]
	v_lshrrev_b32_e32 v4, 3, v0
	v_sub_u32_e32 v3, 29, v6
	v_cmp_gt_u32_e64 s[6:7], 8, v0
	v_and_b32_e32 v2, 7, v2
	s_nop 0
	v_cndmask_b32_e64 v0, v4, v3, s[6:7]
	v_mov_b32_e32 v4, 0x2000
	v_lshl_add_u32 v0, v0, 10, v4
	v_lshlrev_b32_e32 v3, 8, v8
	v_and_b32_e32 v0, 0xfc00, v0
	v_cndmask_b32_e64 v1, v1, v2, s[6:7]
	v_and_or_b32 v0, v3, s63, v0
	v_lshl_or_b32 v6, v1, 7, v0
.LBB270_469:                            ;   in Loop: Header=BB270_9 Depth=1
	s_or_b64 exec, exec, s[60:61]
.LBB270_470:                            ;   in Loop: Header=BB270_9 Depth=1
	s_or_b64 exec, exec, s[58:59]
.LBB270_471:                            ;   in Loop: Header=BB270_9 Depth=1
	s_or_b64 exec, exec, s[56:57]
	v_lshrrev_b16_e32 v4, 8, v8
	v_cmp_ne_u16_e64 s[6:7], 0, v4
	v_mov_b32_e32 v65, 0
	v_mov_b32_e32 v18, 0
	s_and_saveexec_b64 s[56:57], s[6:7]
	s_cbranch_execz .LBB270_477
; %bb.472:                              ;   in Loop: Header=BB270_9 Depth=1
	v_cmp_ne_u16_e64 s[6:7], s17, v4
	v_bfrev_b32_e32 v18, 1
	s_and_saveexec_b64 s[58:59], s[6:7]
	s_cbranch_execz .LBB270_476
; %bb.473:                              ;   in Loop: Header=BB270_9 Depth=1
	v_and_b32_e32 v0, 0x7f, v4
	v_cmp_ne_u32_e64 s[6:7], s62, v0
	v_mov_b32_e32 v18, 0x7c010000
	s_and_saveexec_b64 s[60:61], s[6:7]
	s_cbranch_execz .LBB270_475
; %bb.474:                              ;   in Loop: Header=BB270_9 Depth=1
	v_and_b32_e32 v2, 7, v4
	v_lshrrev_b32_e32 v3, 3, v0
	v_cmp_gt_u32_e64 s[6:7], 8, v0
	v_ffbh_u32_e32 v0, v2
	v_min_u32_e32 v7, 32, v0
	v_subrev_u32_e32 v0, 28, v7
	v_lshlrev_b64 v[0:1], v0, v[4:5]
	v_sub_u32_e32 v1, 29, v7
	v_cndmask_b32_e64 v1, v3, v1, s[6:7]
	v_lshlrev_b32_e32 v3, 8, v4
	v_mov_b32_e32 v4, 0x2000
	v_lshl_add_u32 v1, v1, 10, v4
	v_and_b32_e32 v0, 7, v0
	v_and_or_b32 v1, v3, s63, v1
	v_cndmask_b32_e64 v0, v2, v0, s[6:7]
	v_lshlrev_b32_e32 v1, 16, v1
	v_lshl_or_b32 v18, v0, 23, v1
.LBB270_475:                            ;   in Loop: Header=BB270_9 Depth=1
	s_or_b64 exec, exec, s[60:61]
.LBB270_476:                            ;   in Loop: Header=BB270_9 Depth=1
	s_or_b64 exec, exec, s[58:59]
.LBB270_477:                            ;   in Loop: Header=BB270_9 Depth=1
	s_or_b64 exec, exec, s[56:57]
	v_lshrrev_b32_e32 v4, 16, v8
	v_cmp_ne_u16_sdwa s[6:7], v4, v5 src0_sel:BYTE_0 src1_sel:DWORD
	s_and_saveexec_b64 s[56:57], s[6:7]
	s_cbranch_execz .LBB270_483
; %bb.478:                              ;   in Loop: Header=BB270_9 Depth=1
	v_cmp_ne_u16_sdwa s[6:7], v4, s17 src0_sel:BYTE_0 src1_sel:DWORD
	v_mov_b32_e32 v65, 0x8000
	s_and_saveexec_b64 s[58:59], s[6:7]
	s_cbranch_execz .LBB270_482
; %bb.479:                              ;   in Loop: Header=BB270_9 Depth=1
	v_bfe_u32 v0, v8, 16, 7
	v_cmp_ne_u32_e64 s[6:7], s62, v0
	v_mov_b32_e32 v65, 0x7c01
	s_and_saveexec_b64 s[60:61], s[6:7]
	s_cbranch_execz .LBB270_481
; %bb.480:                              ;   in Loop: Header=BB270_9 Depth=1
	v_and_b32_e32 v2, 7, v4
	v_lshrrev_b32_e32 v3, 3, v0
	v_cmp_gt_u32_e64 s[6:7], 8, v0
	v_ffbh_u32_e32 v0, v2
	v_min_u32_e32 v7, 32, v0
	v_subrev_u32_e32 v0, 28, v7
	v_lshlrev_b64 v[0:1], v0, v[4:5]
	v_sub_u32_e32 v1, 29, v7
	v_cndmask_b32_e64 v1, v3, v1, s[6:7]
	v_lshlrev_b32_e32 v3, 8, v4
	v_mov_b32_e32 v4, 0x2000
	v_lshl_add_u32 v1, v1, 10, v4
	v_and_b32_e32 v0, 7, v0
	v_and_b32_e32 v1, 0xfc00, v1
	v_cndmask_b32_e64 v0, v2, v0, s[6:7]
	v_and_or_b32 v1, v3, s63, v1
	v_lshl_or_b32 v65, v0, 7, v1
.LBB270_481:                            ;   in Loop: Header=BB270_9 Depth=1
	s_or_b64 exec, exec, s[60:61]
.LBB270_482:                            ;   in Loop: Header=BB270_9 Depth=1
	s_or_b64 exec, exec, s[58:59]
.LBB270_483:                            ;   in Loop: Header=BB270_9 Depth=1
	s_or_b64 exec, exec, s[56:57]
	v_cmp_lt_u32_e64 s[6:7], s72, v8
	v_mov_b32_e32 v52, 0
	v_mov_b32_e32 v51, 0
	s_and_saveexec_b64 s[56:57], s[6:7]
	s_cbranch_execz .LBB270_489
; %bb.484:                              ;   in Loop: Header=BB270_9 Depth=1
	v_lshrrev_b32_e32 v4, 24, v8
	v_cmp_ne_u32_e64 s[6:7], s17, v4
	v_bfrev_b32_e32 v51, 1
	s_and_saveexec_b64 s[58:59], s[6:7]
	s_cbranch_execz .LBB270_488
; %bb.485:                              ;   in Loop: Header=BB270_9 Depth=1
	v_and_b32_e32 v0, 0x7f, v4
	v_cmp_ne_u32_e64 s[6:7], s62, v0
	v_mov_b32_e32 v51, 0x7c010000
	s_and_saveexec_b64 s[60:61], s[6:7]
	s_cbranch_execz .LBB270_487
; %bb.486:                              ;   in Loop: Header=BB270_9 Depth=1
	v_and_b32_e32 v2, 7, v4
	v_lshrrev_b32_e32 v3, 3, v0
	v_cmp_gt_u32_e64 s[6:7], 8, v0
	v_ffbh_u32_e32 v0, v2
	v_min_u32_e32 v7, 32, v0
	v_subrev_u32_e32 v0, 28, v7
	v_lshlrev_b64 v[0:1], v0, v[4:5]
	v_sub_u32_e32 v1, 29, v7
	v_cndmask_b32_e64 v1, v3, v1, s[6:7]
	v_lshlrev_b32_e32 v3, 8, v4
	v_mov_b32_e32 v4, 0x2000
	v_lshl_add_u32 v1, v1, 10, v4
	v_and_b32_e32 v0, 7, v0
	v_and_or_b32 v1, v3, s63, v1
	v_cndmask_b32_e64 v0, v2, v0, s[6:7]
	v_lshlrev_b32_e32 v1, 16, v1
	v_lshl_or_b32 v51, v0, 23, v1
.LBB270_487:                            ;   in Loop: Header=BB270_9 Depth=1
	s_or_b64 exec, exec, s[60:61]
.LBB270_488:                            ;   in Loop: Header=BB270_9 Depth=1
	s_or_b64 exec, exec, s[58:59]
.LBB270_489:                            ;   in Loop: Header=BB270_9 Depth=1
	s_or_b64 exec, exec, s[56:57]
	scratch_load_dwordx2 v[0:1], off, s32 offset:192 ; 8-byte Folded Reload
	v_lshl_add_u64 v[34:35], v[32:33], 0, s[26:27]
	s_waitcnt vmcnt(0)
	v_lshl_add_u64 v[0:1], v[34:35], 0, v[0:1]
	flat_load_dword v8, v[0:1]
	s_waitcnt vmcnt(0) lgkmcnt(0)
	v_cmp_ne_u16_sdwa s[6:7], v8, v5 src0_sel:BYTE_0 src1_sel:DWORD
	s_and_saveexec_b64 s[56:57], s[6:7]
	s_cbranch_execz .LBB270_495
; %bb.490:                              ;   in Loop: Header=BB270_9 Depth=1
	v_cmp_ne_u16_sdwa s[6:7], v8, s17 src0_sel:BYTE_0 src1_sel:DWORD
	v_mov_b32_e32 v52, 0x8000
	s_and_saveexec_b64 s[58:59], s[6:7]
	s_cbranch_execz .LBB270_494
; %bb.491:                              ;   in Loop: Header=BB270_9 Depth=1
	v_and_b32_e32 v0, 0x7f, v8
	v_cmp_ne_u32_e64 s[6:7], s62, v0
	v_mov_b32_e32 v52, 0x7c01
	s_and_saveexec_b64 s[60:61], s[6:7]
	s_cbranch_execz .LBB270_493
; %bb.492:                              ;   in Loop: Header=BB270_9 Depth=1
	v_and_b32_e32 v2, 7, v8
	v_lshrrev_b32_e32 v3, 3, v0
	v_cmp_gt_u32_e64 s[6:7], 8, v0
	v_ffbh_u32_e32 v0, v2
	v_min_u32_e32 v4, 32, v0
	v_subrev_u32_e32 v0, 28, v4
	v_lshlrev_b64 v[0:1], v0, v[8:9]
	v_sub_u32_e32 v1, 29, v4
	v_cndmask_b32_e64 v1, v3, v1, s[6:7]
	v_mov_b32_e32 v4, 0x2000
	v_lshl_add_u32 v1, v1, 10, v4
	v_lshlrev_b32_e32 v3, 8, v8
	v_and_b32_e32 v0, 7, v0
	v_and_b32_e32 v1, 0xfc00, v1
	v_cndmask_b32_e64 v0, v2, v0, s[6:7]
	v_and_or_b32 v1, v3, s63, v1
	v_lshl_or_b32 v52, v0, 7, v1
.LBB270_493:                            ;   in Loop: Header=BB270_9 Depth=1
	s_or_b64 exec, exec, s[60:61]
.LBB270_494:                            ;   in Loop: Header=BB270_9 Depth=1
	s_or_b64 exec, exec, s[58:59]
.LBB270_495:                            ;   in Loop: Header=BB270_9 Depth=1
	s_or_b64 exec, exec, s[56:57]
	v_lshrrev_b16_e32 v4, 8, v8
	v_cmp_ne_u16_e64 s[6:7], 0, v4
	v_mov_b32_e32 v99, 0
	v_mov_b32_e32 v102, 0
	s_and_saveexec_b64 s[56:57], s[6:7]
	s_cbranch_execz .LBB270_501
; %bb.496:                              ;   in Loop: Header=BB270_9 Depth=1
	v_cmp_ne_u16_e64 s[6:7], s17, v4
	v_bfrev_b32_e32 v102, 1
	s_and_saveexec_b64 s[58:59], s[6:7]
	s_cbranch_execz .LBB270_500
; %bb.497:                              ;   in Loop: Header=BB270_9 Depth=1
	v_and_b32_e32 v0, 0x7f, v4
	v_cmp_ne_u32_e64 s[6:7], s62, v0
	v_mov_b32_e32 v102, 0x7c010000
	s_and_saveexec_b64 s[60:61], s[6:7]
	s_cbranch_execz .LBB270_499
; %bb.498:                              ;   in Loop: Header=BB270_9 Depth=1
	v_and_b32_e32 v2, 7, v4
	v_lshrrev_b32_e32 v3, 3, v0
	v_cmp_gt_u32_e64 s[6:7], 8, v0
	v_ffbh_u32_e32 v0, v2
	v_min_u32_e32 v7, 32, v0
	v_subrev_u32_e32 v0, 28, v7
	v_lshlrev_b64 v[0:1], v0, v[4:5]
	v_sub_u32_e32 v1, 29, v7
	v_cndmask_b32_e64 v1, v3, v1, s[6:7]
	v_lshlrev_b32_e32 v3, 8, v4
	v_mov_b32_e32 v4, 0x2000
	v_lshl_add_u32 v1, v1, 10, v4
	v_and_b32_e32 v0, 7, v0
	v_and_or_b32 v1, v3, s63, v1
	v_cndmask_b32_e64 v0, v2, v0, s[6:7]
	v_lshlrev_b32_e32 v1, 16, v1
	v_lshl_or_b32 v102, v0, 23, v1
.LBB270_499:                            ;   in Loop: Header=BB270_9 Depth=1
	s_or_b64 exec, exec, s[60:61]
.LBB270_500:                            ;   in Loop: Header=BB270_9 Depth=1
	s_or_b64 exec, exec, s[58:59]
.LBB270_501:                            ;   in Loop: Header=BB270_9 Depth=1
	s_or_b64 exec, exec, s[56:57]
	v_lshrrev_b32_e32 v4, 16, v8
	v_cmp_ne_u16_sdwa s[6:7], v4, v5 src0_sel:BYTE_0 src1_sel:DWORD
	s_and_saveexec_b64 s[56:57], s[6:7]
	s_cbranch_execz .LBB270_507
; %bb.502:                              ;   in Loop: Header=BB270_9 Depth=1
	v_cmp_ne_u16_sdwa s[6:7], v4, s17 src0_sel:BYTE_0 src1_sel:DWORD
	v_mov_b32_e32 v99, 0x8000
	s_and_saveexec_b64 s[58:59], s[6:7]
	s_cbranch_execz .LBB270_506
; %bb.503:                              ;   in Loop: Header=BB270_9 Depth=1
	v_bfe_u32 v0, v8, 16, 7
	v_cmp_ne_u32_e64 s[6:7], s62, v0
	v_mov_b32_e32 v99, 0x7c01
	s_and_saveexec_b64 s[60:61], s[6:7]
	s_cbranch_execz .LBB270_505
; %bb.504:                              ;   in Loop: Header=BB270_9 Depth=1
	v_and_b32_e32 v2, 7, v4
	v_lshrrev_b32_e32 v3, 3, v0
	v_cmp_gt_u32_e64 s[6:7], 8, v0
	v_ffbh_u32_e32 v0, v2
	v_min_u32_e32 v7, 32, v0
	v_subrev_u32_e32 v0, 28, v7
	v_lshlrev_b64 v[0:1], v0, v[4:5]
	v_sub_u32_e32 v1, 29, v7
	v_cndmask_b32_e64 v1, v3, v1, s[6:7]
	v_lshlrev_b32_e32 v3, 8, v4
	v_mov_b32_e32 v4, 0x2000
	v_lshl_add_u32 v1, v1, 10, v4
	v_and_b32_e32 v0, 7, v0
	v_and_b32_e32 v1, 0xfc00, v1
	v_cndmask_b32_e64 v0, v2, v0, s[6:7]
	v_and_or_b32 v1, v3, s63, v1
	v_lshl_or_b32 v99, v0, 7, v1
.LBB270_505:                            ;   in Loop: Header=BB270_9 Depth=1
	s_or_b64 exec, exec, s[60:61]
.LBB270_506:                            ;   in Loop: Header=BB270_9 Depth=1
	s_or_b64 exec, exec, s[58:59]
.LBB270_507:                            ;   in Loop: Header=BB270_9 Depth=1
	s_or_b64 exec, exec, s[56:57]
	v_cmp_lt_u32_e64 s[6:7], s72, v8
	v_mov_b32_e32 v83, 0
	v_mov_b32_e32 v115, 0
	s_and_saveexec_b64 s[56:57], s[6:7]
	s_cbranch_execz .LBB270_513
; %bb.508:                              ;   in Loop: Header=BB270_9 Depth=1
	v_lshrrev_b32_e32 v4, 24, v8
	v_cmp_ne_u32_e64 s[6:7], s17, v4
	v_bfrev_b32_e32 v115, 1
	s_and_saveexec_b64 s[58:59], s[6:7]
	s_cbranch_execz .LBB270_512
; %bb.509:                              ;   in Loop: Header=BB270_9 Depth=1
	v_and_b32_e32 v0, 0x7f, v4
	v_cmp_ne_u32_e64 s[6:7], s62, v0
	v_mov_b32_e32 v115, 0x7c010000
	s_and_saveexec_b64 s[60:61], s[6:7]
	s_cbranch_execz .LBB270_511
; %bb.510:                              ;   in Loop: Header=BB270_9 Depth=1
	v_and_b32_e32 v2, 7, v4
	v_lshrrev_b32_e32 v3, 3, v0
	v_cmp_gt_u32_e64 s[6:7], 8, v0
	v_ffbh_u32_e32 v0, v2
	v_min_u32_e32 v7, 32, v0
	v_subrev_u32_e32 v0, 28, v7
	v_lshlrev_b64 v[0:1], v0, v[4:5]
	v_sub_u32_e32 v1, 29, v7
	v_cndmask_b32_e64 v1, v3, v1, s[6:7]
	v_lshlrev_b32_e32 v3, 8, v4
	v_mov_b32_e32 v4, 0x2000
	v_lshl_add_u32 v1, v1, 10, v4
	v_and_b32_e32 v0, 7, v0
	v_and_or_b32 v1, v3, s63, v1
	v_cndmask_b32_e64 v0, v2, v0, s[6:7]
	v_lshlrev_b32_e32 v1, 16, v1
	v_lshl_or_b32 v115, v0, 23, v1
.LBB270_511:                            ;   in Loop: Header=BB270_9 Depth=1
	s_or_b64 exec, exec, s[60:61]
.LBB270_512:                            ;   in Loop: Header=BB270_9 Depth=1
	s_or_b64 exec, exec, s[58:59]
.LBB270_513:                            ;   in Loop: Header=BB270_9 Depth=1
	s_or_b64 exec, exec, s[56:57]
	scratch_load_dwordx2 v[0:1], off, s32 offset:200 ; 8-byte Folded Reload
	s_waitcnt vmcnt(0)
	v_lshl_add_u64 v[0:1], v[34:35], 0, v[0:1]
	flat_load_dword v8, v[0:1]
	s_waitcnt vmcnt(0) lgkmcnt(0)
	v_cmp_ne_u16_sdwa s[6:7], v8, v5 src0_sel:BYTE_0 src1_sel:DWORD
	s_and_saveexec_b64 s[56:57], s[6:7]
	s_cbranch_execz .LBB270_519
; %bb.514:                              ;   in Loop: Header=BB270_9 Depth=1
	v_cmp_ne_u16_sdwa s[6:7], v8, s17 src0_sel:BYTE_0 src1_sel:DWORD
	v_mov_b32_e32 v83, 0x8000
	s_and_saveexec_b64 s[58:59], s[6:7]
	s_cbranch_execz .LBB270_518
; %bb.515:                              ;   in Loop: Header=BB270_9 Depth=1
	v_and_b32_e32 v0, 0x7f, v8
	v_cmp_ne_u32_e64 s[6:7], s62, v0
	v_mov_b32_e32 v83, 0x7c01
	s_and_saveexec_b64 s[60:61], s[6:7]
	s_cbranch_execz .LBB270_517
; %bb.516:                              ;   in Loop: Header=BB270_9 Depth=1
	v_and_b32_e32 v2, 7, v8
	v_lshrrev_b32_e32 v3, 3, v0
	v_cmp_gt_u32_e64 s[6:7], 8, v0
	v_ffbh_u32_e32 v0, v2
	v_min_u32_e32 v4, 32, v0
	v_subrev_u32_e32 v0, 28, v4
	v_lshlrev_b64 v[0:1], v0, v[8:9]
	v_sub_u32_e32 v1, 29, v4
	v_cndmask_b32_e64 v1, v3, v1, s[6:7]
	v_mov_b32_e32 v4, 0x2000
	v_lshl_add_u32 v1, v1, 10, v4
	v_lshlrev_b32_e32 v3, 8, v8
	v_and_b32_e32 v0, 7, v0
	v_and_b32_e32 v1, 0xfc00, v1
	v_cndmask_b32_e64 v0, v2, v0, s[6:7]
	v_and_or_b32 v1, v3, s63, v1
	v_lshl_or_b32 v83, v0, 7, v1
.LBB270_517:                            ;   in Loop: Header=BB270_9 Depth=1
	s_or_b64 exec, exec, s[60:61]
.LBB270_518:                            ;   in Loop: Header=BB270_9 Depth=1
	s_or_b64 exec, exec, s[58:59]
.LBB270_519:                            ;   in Loop: Header=BB270_9 Depth=1
	s_or_b64 exec, exec, s[56:57]
	v_lshrrev_b16_e32 v4, 8, v8
	v_cmp_ne_u16_e64 s[6:7], 0, v4
	v_mov_b32_e32 v86, 0
	v_mov_b32_e32 v87, 0
	s_and_saveexec_b64 s[56:57], s[6:7]
	s_cbranch_execz .LBB270_525
; %bb.520:                              ;   in Loop: Header=BB270_9 Depth=1
	v_cmp_ne_u16_e64 s[6:7], s17, v4
	v_bfrev_b32_e32 v87, 1
	s_and_saveexec_b64 s[58:59], s[6:7]
	s_cbranch_execz .LBB270_524
; %bb.521:                              ;   in Loop: Header=BB270_9 Depth=1
	v_and_b32_e32 v0, 0x7f, v4
	v_cmp_ne_u32_e64 s[6:7], s62, v0
	v_mov_b32_e32 v87, 0x7c010000
	s_and_saveexec_b64 s[60:61], s[6:7]
	s_cbranch_execz .LBB270_523
; %bb.522:                              ;   in Loop: Header=BB270_9 Depth=1
	v_and_b32_e32 v2, 7, v4
	v_lshrrev_b32_e32 v3, 3, v0
	v_cmp_gt_u32_e64 s[6:7], 8, v0
	v_ffbh_u32_e32 v0, v2
	v_min_u32_e32 v7, 32, v0
	v_subrev_u32_e32 v0, 28, v7
	v_lshlrev_b64 v[0:1], v0, v[4:5]
	v_sub_u32_e32 v1, 29, v7
	v_cndmask_b32_e64 v1, v3, v1, s[6:7]
	v_lshlrev_b32_e32 v3, 8, v4
	v_mov_b32_e32 v4, 0x2000
	v_lshl_add_u32 v1, v1, 10, v4
	v_and_b32_e32 v0, 7, v0
	v_and_or_b32 v1, v3, s63, v1
	v_cndmask_b32_e64 v0, v2, v0, s[6:7]
	v_lshlrev_b32_e32 v1, 16, v1
	v_lshl_or_b32 v87, v0, 23, v1
.LBB270_523:                            ;   in Loop: Header=BB270_9 Depth=1
	s_or_b64 exec, exec, s[60:61]
.LBB270_524:                            ;   in Loop: Header=BB270_9 Depth=1
	s_or_b64 exec, exec, s[58:59]
.LBB270_525:                            ;   in Loop: Header=BB270_9 Depth=1
	s_or_b64 exec, exec, s[56:57]
	v_lshrrev_b32_e32 v4, 16, v8
	v_cmp_ne_u16_sdwa s[6:7], v4, v5 src0_sel:BYTE_0 src1_sel:DWORD
	s_and_saveexec_b64 s[56:57], s[6:7]
	s_cbranch_execz .LBB270_531
; %bb.526:                              ;   in Loop: Header=BB270_9 Depth=1
	v_cmp_ne_u16_sdwa s[6:7], v4, s17 src0_sel:BYTE_0 src1_sel:DWORD
	v_mov_b32_e32 v86, 0x8000
	s_and_saveexec_b64 s[58:59], s[6:7]
	s_cbranch_execz .LBB270_530
; %bb.527:                              ;   in Loop: Header=BB270_9 Depth=1
	v_bfe_u32 v0, v8, 16, 7
	v_cmp_ne_u32_e64 s[6:7], s62, v0
	v_mov_b32_e32 v86, 0x7c01
	s_and_saveexec_b64 s[60:61], s[6:7]
	s_cbranch_execz .LBB270_529
; %bb.528:                              ;   in Loop: Header=BB270_9 Depth=1
	v_and_b32_e32 v2, 7, v4
	v_lshrrev_b32_e32 v3, 3, v0
	v_cmp_gt_u32_e64 s[6:7], 8, v0
	v_ffbh_u32_e32 v0, v2
	v_min_u32_e32 v7, 32, v0
	v_subrev_u32_e32 v0, 28, v7
	v_lshlrev_b64 v[0:1], v0, v[4:5]
	v_sub_u32_e32 v1, 29, v7
	v_cndmask_b32_e64 v1, v3, v1, s[6:7]
	v_lshlrev_b32_e32 v3, 8, v4
	v_mov_b32_e32 v4, 0x2000
	v_lshl_add_u32 v1, v1, 10, v4
	v_and_b32_e32 v0, 7, v0
	v_and_b32_e32 v1, 0xfc00, v1
	v_cndmask_b32_e64 v0, v2, v0, s[6:7]
	v_and_or_b32 v1, v3, s63, v1
	v_lshl_or_b32 v86, v0, 7, v1
.LBB270_529:                            ;   in Loop: Header=BB270_9 Depth=1
	s_or_b64 exec, exec, s[60:61]
.LBB270_530:                            ;   in Loop: Header=BB270_9 Depth=1
	s_or_b64 exec, exec, s[58:59]
.LBB270_531:                            ;   in Loop: Header=BB270_9 Depth=1
	s_or_b64 exec, exec, s[56:57]
	v_cmp_lt_u32_e64 s[6:7], s72, v8
	v_mov_b32_e32 v66, 0
	v_mov_b32_e32 v103, 0
	s_and_saveexec_b64 s[56:57], s[6:7]
	s_cbranch_execz .LBB270_537
; %bb.532:                              ;   in Loop: Header=BB270_9 Depth=1
	v_lshrrev_b32_e32 v4, 24, v8
	v_cmp_ne_u32_e64 s[6:7], s17, v4
	v_bfrev_b32_e32 v103, 1
	s_and_saveexec_b64 s[58:59], s[6:7]
	s_cbranch_execz .LBB270_536
; %bb.533:                              ;   in Loop: Header=BB270_9 Depth=1
	v_and_b32_e32 v0, 0x7f, v4
	v_cmp_ne_u32_e64 s[6:7], s62, v0
	v_mov_b32_e32 v103, 0x7c010000
	s_and_saveexec_b64 s[60:61], s[6:7]
	s_cbranch_execz .LBB270_535
; %bb.534:                              ;   in Loop: Header=BB270_9 Depth=1
	v_and_b32_e32 v2, 7, v4
	v_lshrrev_b32_e32 v3, 3, v0
	v_cmp_gt_u32_e64 s[6:7], 8, v0
	v_ffbh_u32_e32 v0, v2
	v_min_u32_e32 v7, 32, v0
	v_subrev_u32_e32 v0, 28, v7
	v_lshlrev_b64 v[0:1], v0, v[4:5]
	v_sub_u32_e32 v1, 29, v7
	v_cndmask_b32_e64 v1, v3, v1, s[6:7]
	v_lshlrev_b32_e32 v3, 8, v4
	v_mov_b32_e32 v4, 0x2000
	v_lshl_add_u32 v1, v1, 10, v4
	v_and_b32_e32 v0, 7, v0
	v_and_or_b32 v1, v3, s63, v1
	v_cndmask_b32_e64 v0, v2, v0, s[6:7]
	v_lshlrev_b32_e32 v1, 16, v1
	v_lshl_or_b32 v103, v0, 23, v1
.LBB270_535:                            ;   in Loop: Header=BB270_9 Depth=1
	s_or_b64 exec, exec, s[60:61]
.LBB270_536:                            ;   in Loop: Header=BB270_9 Depth=1
	s_or_b64 exec, exec, s[58:59]
.LBB270_537:                            ;   in Loop: Header=BB270_9 Depth=1
	s_or_b64 exec, exec, s[56:57]
	scratch_load_dwordx2 v[0:1], off, s32 offset:192 ; 8-byte Folded Reload
	v_lshl_add_u64 v[34:35], v[32:33], 0, s[28:29]
	s_waitcnt vmcnt(0)
	v_lshl_add_u64 v[0:1], v[34:35], 0, v[0:1]
	flat_load_dword v8, v[0:1]
	s_waitcnt vmcnt(0) lgkmcnt(0)
	v_cmp_ne_u16_sdwa s[6:7], v8, v5 src0_sel:BYTE_0 src1_sel:DWORD
	s_and_saveexec_b64 s[56:57], s[6:7]
	s_cbranch_execz .LBB270_543
; %bb.538:                              ;   in Loop: Header=BB270_9 Depth=1
	v_cmp_ne_u16_sdwa s[6:7], v8, s17 src0_sel:BYTE_0 src1_sel:DWORD
	v_mov_b32_e32 v66, 0x8000
	s_and_saveexec_b64 s[58:59], s[6:7]
	s_cbranch_execz .LBB270_542
; %bb.539:                              ;   in Loop: Header=BB270_9 Depth=1
	v_and_b32_e32 v0, 0x7f, v8
	v_cmp_ne_u32_e64 s[6:7], s62, v0
	v_mov_b32_e32 v66, 0x7c01
	s_and_saveexec_b64 s[60:61], s[6:7]
	s_cbranch_execz .LBB270_541
; %bb.540:                              ;   in Loop: Header=BB270_9 Depth=1
	v_and_b32_e32 v2, 7, v8
	v_lshrrev_b32_e32 v3, 3, v0
	v_cmp_gt_u32_e64 s[6:7], 8, v0
	v_ffbh_u32_e32 v0, v2
	v_min_u32_e32 v4, 32, v0
	v_subrev_u32_e32 v0, 28, v4
	v_lshlrev_b64 v[0:1], v0, v[8:9]
	v_sub_u32_e32 v1, 29, v4
	v_cndmask_b32_e64 v1, v3, v1, s[6:7]
	v_mov_b32_e32 v4, 0x2000
	v_lshl_add_u32 v1, v1, 10, v4
	v_lshlrev_b32_e32 v3, 8, v8
	v_and_b32_e32 v0, 7, v0
	v_and_b32_e32 v1, 0xfc00, v1
	v_cndmask_b32_e64 v0, v2, v0, s[6:7]
	v_and_or_b32 v1, v3, s63, v1
	v_lshl_or_b32 v66, v0, 7, v1
.LBB270_541:                            ;   in Loop: Header=BB270_9 Depth=1
	s_or_b64 exec, exec, s[60:61]
.LBB270_542:                            ;   in Loop: Header=BB270_9 Depth=1
	s_or_b64 exec, exec, s[58:59]
.LBB270_543:                            ;   in Loop: Header=BB270_9 Depth=1
	s_or_b64 exec, exec, s[56:57]
	v_lshrrev_b16_e32 v4, 8, v8
	v_cmp_ne_u16_e64 s[6:7], 0, v4
	v_mov_b32_e32 v70, 0
	v_mov_b32_e32 v71, 0
	s_and_saveexec_b64 s[56:57], s[6:7]
	s_cbranch_execz .LBB270_549
; %bb.544:                              ;   in Loop: Header=BB270_9 Depth=1
	v_cmp_ne_u16_e64 s[6:7], s17, v4
	v_bfrev_b32_e32 v71, 1
	s_and_saveexec_b64 s[58:59], s[6:7]
	s_cbranch_execz .LBB270_548
; %bb.545:                              ;   in Loop: Header=BB270_9 Depth=1
	v_and_b32_e32 v0, 0x7f, v4
	v_cmp_ne_u32_e64 s[6:7], s62, v0
	v_mov_b32_e32 v71, 0x7c010000
	s_and_saveexec_b64 s[60:61], s[6:7]
	s_cbranch_execz .LBB270_547
; %bb.546:                              ;   in Loop: Header=BB270_9 Depth=1
	v_and_b32_e32 v2, 7, v4
	v_lshrrev_b32_e32 v3, 3, v0
	v_cmp_gt_u32_e64 s[6:7], 8, v0
	v_ffbh_u32_e32 v0, v2
	v_min_u32_e32 v7, 32, v0
	v_subrev_u32_e32 v0, 28, v7
	v_lshlrev_b64 v[0:1], v0, v[4:5]
	v_sub_u32_e32 v1, 29, v7
	v_cndmask_b32_e64 v1, v3, v1, s[6:7]
	v_lshlrev_b32_e32 v3, 8, v4
	v_mov_b32_e32 v4, 0x2000
	v_lshl_add_u32 v1, v1, 10, v4
	v_and_b32_e32 v0, 7, v0
	v_and_or_b32 v1, v3, s63, v1
	v_cndmask_b32_e64 v0, v2, v0, s[6:7]
	v_lshlrev_b32_e32 v1, 16, v1
	v_lshl_or_b32 v71, v0, 23, v1
.LBB270_547:                            ;   in Loop: Header=BB270_9 Depth=1
	s_or_b64 exec, exec, s[60:61]
.LBB270_548:                            ;   in Loop: Header=BB270_9 Depth=1
	s_or_b64 exec, exec, s[58:59]
.LBB270_549:                            ;   in Loop: Header=BB270_9 Depth=1
	s_or_b64 exec, exec, s[56:57]
	v_lshrrev_b32_e32 v4, 16, v8
	v_cmp_ne_u16_sdwa s[6:7], v4, v5 src0_sel:BYTE_0 src1_sel:DWORD
	s_and_saveexec_b64 s[56:57], s[6:7]
	s_cbranch_execz .LBB270_555
; %bb.550:                              ;   in Loop: Header=BB270_9 Depth=1
	v_cmp_ne_u16_sdwa s[6:7], v4, s17 src0_sel:BYTE_0 src1_sel:DWORD
	v_mov_b32_e32 v70, 0x8000
	s_and_saveexec_b64 s[58:59], s[6:7]
	s_cbranch_execz .LBB270_554
; %bb.551:                              ;   in Loop: Header=BB270_9 Depth=1
	v_bfe_u32 v0, v8, 16, 7
	v_cmp_ne_u32_e64 s[6:7], s62, v0
	v_mov_b32_e32 v70, 0x7c01
	s_and_saveexec_b64 s[60:61], s[6:7]
	s_cbranch_execz .LBB270_553
; %bb.552:                              ;   in Loop: Header=BB270_9 Depth=1
	v_and_b32_e32 v2, 7, v4
	v_lshrrev_b32_e32 v3, 3, v0
	v_cmp_gt_u32_e64 s[6:7], 8, v0
	v_ffbh_u32_e32 v0, v2
	v_min_u32_e32 v7, 32, v0
	v_subrev_u32_e32 v0, 28, v7
	v_lshlrev_b64 v[0:1], v0, v[4:5]
	v_sub_u32_e32 v1, 29, v7
	v_cndmask_b32_e64 v1, v3, v1, s[6:7]
	v_lshlrev_b32_e32 v3, 8, v4
	v_mov_b32_e32 v4, 0x2000
	v_lshl_add_u32 v1, v1, 10, v4
	v_and_b32_e32 v0, 7, v0
	v_and_b32_e32 v1, 0xfc00, v1
	v_cndmask_b32_e64 v0, v2, v0, s[6:7]
	v_and_or_b32 v1, v3, s63, v1
	v_lshl_or_b32 v70, v0, 7, v1
.LBB270_553:                            ;   in Loop: Header=BB270_9 Depth=1
	s_or_b64 exec, exec, s[60:61]
.LBB270_554:                            ;   in Loop: Header=BB270_9 Depth=1
	s_or_b64 exec, exec, s[58:59]
.LBB270_555:                            ;   in Loop: Header=BB270_9 Depth=1
	s_or_b64 exec, exec, s[56:57]
	v_cmp_lt_u32_e64 s[6:7], s72, v8
	v_mov_b32_e32 v13, 0
	v_mov_b32_e32 v98, 0
	s_and_saveexec_b64 s[56:57], s[6:7]
	s_cbranch_execz .LBB270_561
; %bb.556:                              ;   in Loop: Header=BB270_9 Depth=1
	v_lshrrev_b32_e32 v4, 24, v8
	v_cmp_ne_u32_e64 s[6:7], s17, v4
	v_bfrev_b32_e32 v98, 1
	s_and_saveexec_b64 s[58:59], s[6:7]
	s_cbranch_execz .LBB270_560
; %bb.557:                              ;   in Loop: Header=BB270_9 Depth=1
	v_and_b32_e32 v0, 0x7f, v4
	v_cmp_ne_u32_e64 s[6:7], s62, v0
	v_mov_b32_e32 v98, 0x7c010000
	s_and_saveexec_b64 s[60:61], s[6:7]
	s_cbranch_execz .LBB270_559
; %bb.558:                              ;   in Loop: Header=BB270_9 Depth=1
	v_and_b32_e32 v2, 7, v4
	v_lshrrev_b32_e32 v3, 3, v0
	v_cmp_gt_u32_e64 s[6:7], 8, v0
	v_ffbh_u32_e32 v0, v2
	v_min_u32_e32 v7, 32, v0
	v_subrev_u32_e32 v0, 28, v7
	v_lshlrev_b64 v[0:1], v0, v[4:5]
	v_sub_u32_e32 v1, 29, v7
	v_cndmask_b32_e64 v1, v3, v1, s[6:7]
	v_lshlrev_b32_e32 v3, 8, v4
	v_mov_b32_e32 v4, 0x2000
	v_lshl_add_u32 v1, v1, 10, v4
	v_and_b32_e32 v0, 7, v0
	v_and_or_b32 v1, v3, s63, v1
	v_cndmask_b32_e64 v0, v2, v0, s[6:7]
	v_lshlrev_b32_e32 v1, 16, v1
	v_lshl_or_b32 v98, v0, 23, v1
.LBB270_559:                            ;   in Loop: Header=BB270_9 Depth=1
	s_or_b64 exec, exec, s[60:61]
.LBB270_560:                            ;   in Loop: Header=BB270_9 Depth=1
	s_or_b64 exec, exec, s[58:59]
.LBB270_561:                            ;   in Loop: Header=BB270_9 Depth=1
	s_or_b64 exec, exec, s[56:57]
	scratch_load_dwordx2 v[0:1], off, s32 offset:200 ; 8-byte Folded Reload
	s_waitcnt vmcnt(0)
	v_lshl_add_u64 v[0:1], v[34:35], 0, v[0:1]
	flat_load_dword v8, v[0:1]
	s_waitcnt vmcnt(0) lgkmcnt(0)
	v_cmp_ne_u16_sdwa s[6:7], v8, v5 src0_sel:BYTE_0 src1_sel:DWORD
	s_and_saveexec_b64 s[56:57], s[6:7]
	s_cbranch_execz .LBB270_567
; %bb.562:                              ;   in Loop: Header=BB270_9 Depth=1
	v_cmp_ne_u16_sdwa s[6:7], v8, s17 src0_sel:BYTE_0 src1_sel:DWORD
	v_mov_b32_e32 v13, 0x8000
	s_and_saveexec_b64 s[58:59], s[6:7]
	s_cbranch_execz .LBB270_566
; %bb.563:                              ;   in Loop: Header=BB270_9 Depth=1
	v_and_b32_e32 v0, 0x7f, v8
	v_cmp_ne_u32_e64 s[6:7], s62, v0
	v_mov_b32_e32 v13, 0x7c01
	s_and_saveexec_b64 s[60:61], s[6:7]
	s_cbranch_execz .LBB270_565
; %bb.564:                              ;   in Loop: Header=BB270_9 Depth=1
	v_and_b32_e32 v2, 7, v8
	v_lshrrev_b32_e32 v3, 3, v0
	v_cmp_gt_u32_e64 s[6:7], 8, v0
	v_ffbh_u32_e32 v0, v2
	v_min_u32_e32 v4, 32, v0
	v_subrev_u32_e32 v0, 28, v4
	v_lshlrev_b64 v[0:1], v0, v[8:9]
	v_sub_u32_e32 v1, 29, v4
	v_cndmask_b32_e64 v1, v3, v1, s[6:7]
	v_mov_b32_e32 v4, 0x2000
	v_lshl_add_u32 v1, v1, 10, v4
	v_lshlrev_b32_e32 v3, 8, v8
	v_and_b32_e32 v0, 7, v0
	v_and_b32_e32 v1, 0xfc00, v1
	v_cndmask_b32_e64 v0, v2, v0, s[6:7]
	v_and_or_b32 v1, v3, s63, v1
	v_lshl_or_b32 v13, v0, 7, v1
.LBB270_565:                            ;   in Loop: Header=BB270_9 Depth=1
	s_or_b64 exec, exec, s[60:61]
.LBB270_566:                            ;   in Loop: Header=BB270_9 Depth=1
	s_or_b64 exec, exec, s[58:59]
.LBB270_567:                            ;   in Loop: Header=BB270_9 Depth=1
	s_or_b64 exec, exec, s[56:57]
	v_lshrrev_b16_e32 v4, 8, v8
	v_cmp_ne_u16_e64 s[6:7], 0, v4
	v_mov_b32_e32 v20, 0
	v_mov_b32_e32 v55, 0
	s_and_saveexec_b64 s[56:57], s[6:7]
	s_cbranch_execz .LBB270_573
; %bb.568:                              ;   in Loop: Header=BB270_9 Depth=1
	v_cmp_ne_u16_e64 s[6:7], s17, v4
	v_bfrev_b32_e32 v55, 1
	s_and_saveexec_b64 s[58:59], s[6:7]
	s_cbranch_execz .LBB270_572
; %bb.569:                              ;   in Loop: Header=BB270_9 Depth=1
	v_and_b32_e32 v0, 0x7f, v4
	v_cmp_ne_u32_e64 s[6:7], s62, v0
	v_mov_b32_e32 v55, 0x7c010000
	s_and_saveexec_b64 s[60:61], s[6:7]
	s_cbranch_execz .LBB270_571
; %bb.570:                              ;   in Loop: Header=BB270_9 Depth=1
	v_and_b32_e32 v2, 7, v4
	v_lshrrev_b32_e32 v3, 3, v0
	v_cmp_gt_u32_e64 s[6:7], 8, v0
	v_ffbh_u32_e32 v0, v2
	v_min_u32_e32 v7, 32, v0
	v_subrev_u32_e32 v0, 28, v7
	v_lshlrev_b64 v[0:1], v0, v[4:5]
	v_sub_u32_e32 v1, 29, v7
	v_cndmask_b32_e64 v1, v3, v1, s[6:7]
	v_lshlrev_b32_e32 v3, 8, v4
	v_mov_b32_e32 v4, 0x2000
	v_lshl_add_u32 v1, v1, 10, v4
	v_and_b32_e32 v0, 7, v0
	v_and_or_b32 v1, v3, s63, v1
	v_cndmask_b32_e64 v0, v2, v0, s[6:7]
	v_lshlrev_b32_e32 v1, 16, v1
	v_lshl_or_b32 v55, v0, 23, v1
.LBB270_571:                            ;   in Loop: Header=BB270_9 Depth=1
	s_or_b64 exec, exec, s[60:61]
.LBB270_572:                            ;   in Loop: Header=BB270_9 Depth=1
	s_or_b64 exec, exec, s[58:59]
.LBB270_573:                            ;   in Loop: Header=BB270_9 Depth=1
	s_or_b64 exec, exec, s[56:57]
	v_lshrrev_b32_e32 v4, 16, v8
	v_cmp_ne_u16_sdwa s[6:7], v4, v5 src0_sel:BYTE_0 src1_sel:DWORD
	s_and_saveexec_b64 s[56:57], s[6:7]
	s_cbranch_execz .LBB270_579
; %bb.574:                              ;   in Loop: Header=BB270_9 Depth=1
	v_cmp_ne_u16_sdwa s[6:7], v4, s17 src0_sel:BYTE_0 src1_sel:DWORD
	v_mov_b32_e32 v20, 0x8000
	s_and_saveexec_b64 s[58:59], s[6:7]
	s_cbranch_execz .LBB270_578
; %bb.575:                              ;   in Loop: Header=BB270_9 Depth=1
	v_bfe_u32 v0, v8, 16, 7
	v_cmp_ne_u32_e64 s[6:7], s62, v0
	v_mov_b32_e32 v20, 0x7c01
	s_and_saveexec_b64 s[60:61], s[6:7]
	s_cbranch_execz .LBB270_577
; %bb.576:                              ;   in Loop: Header=BB270_9 Depth=1
	v_and_b32_e32 v2, 7, v4
	v_lshrrev_b32_e32 v3, 3, v0
	v_cmp_gt_u32_e64 s[6:7], 8, v0
	v_ffbh_u32_e32 v0, v2
	v_min_u32_e32 v7, 32, v0
	v_subrev_u32_e32 v0, 28, v7
	v_lshlrev_b64 v[0:1], v0, v[4:5]
	v_sub_u32_e32 v1, 29, v7
	v_cndmask_b32_e64 v1, v3, v1, s[6:7]
	v_lshlrev_b32_e32 v3, 8, v4
	v_mov_b32_e32 v4, 0x2000
	v_lshl_add_u32 v1, v1, 10, v4
	v_and_b32_e32 v0, 7, v0
	v_and_b32_e32 v1, 0xfc00, v1
	v_cndmask_b32_e64 v0, v2, v0, s[6:7]
	v_and_or_b32 v1, v3, s63, v1
	v_lshl_or_b32 v20, v0, 7, v1
.LBB270_577:                            ;   in Loop: Header=BB270_9 Depth=1
	s_or_b64 exec, exec, s[60:61]
.LBB270_578:                            ;   in Loop: Header=BB270_9 Depth=1
	s_or_b64 exec, exec, s[58:59]
.LBB270_579:                            ;   in Loop: Header=BB270_9 Depth=1
	s_or_b64 exec, exec, s[56:57]
	v_cmp_lt_u32_e64 s[6:7], s72, v8
	v_mov_b32_e32 v17, 0
	v_mov_b32_e32 v81, 0
	s_and_saveexec_b64 s[56:57], s[6:7]
	s_cbranch_execz .LBB270_585
; %bb.580:                              ;   in Loop: Header=BB270_9 Depth=1
	v_lshrrev_b32_e32 v4, 24, v8
	v_cmp_ne_u32_e64 s[6:7], s17, v4
	v_bfrev_b32_e32 v81, 1
	s_and_saveexec_b64 s[58:59], s[6:7]
	s_cbranch_execz .LBB270_584
; %bb.581:                              ;   in Loop: Header=BB270_9 Depth=1
	v_and_b32_e32 v0, 0x7f, v4
	v_cmp_ne_u32_e64 s[6:7], s62, v0
	v_mov_b32_e32 v81, 0x7c010000
	s_and_saveexec_b64 s[60:61], s[6:7]
	s_cbranch_execz .LBB270_583
; %bb.582:                              ;   in Loop: Header=BB270_9 Depth=1
	v_and_b32_e32 v2, 7, v4
	v_lshrrev_b32_e32 v3, 3, v0
	v_cmp_gt_u32_e64 s[6:7], 8, v0
	v_ffbh_u32_e32 v0, v2
	v_min_u32_e32 v7, 32, v0
	v_subrev_u32_e32 v0, 28, v7
	v_lshlrev_b64 v[0:1], v0, v[4:5]
	v_sub_u32_e32 v1, 29, v7
	v_cndmask_b32_e64 v1, v3, v1, s[6:7]
	v_lshlrev_b32_e32 v3, 8, v4
	v_mov_b32_e32 v4, 0x2000
	v_lshl_add_u32 v1, v1, 10, v4
	v_and_b32_e32 v0, 7, v0
	v_and_or_b32 v1, v3, s63, v1
	v_cndmask_b32_e64 v0, v2, v0, s[6:7]
	v_lshlrev_b32_e32 v1, 16, v1
	v_lshl_or_b32 v81, v0, 23, v1
.LBB270_583:                            ;   in Loop: Header=BB270_9 Depth=1
	s_or_b64 exec, exec, s[60:61]
.LBB270_584:                            ;   in Loop: Header=BB270_9 Depth=1
	s_or_b64 exec, exec, s[58:59]
.LBB270_585:                            ;   in Loop: Header=BB270_9 Depth=1
	s_or_b64 exec, exec, s[56:57]
	scratch_load_dwordx2 v[0:1], off, s32 offset:192 ; 8-byte Folded Reload
	v_lshl_add_u64 v[34:35], v[32:33], 0, s[40:41]
	s_waitcnt vmcnt(0)
	v_lshl_add_u64 v[0:1], v[34:35], 0, v[0:1]
	flat_load_dword v8, v[0:1]
	s_waitcnt vmcnt(0) lgkmcnt(0)
	v_cmp_ne_u16_sdwa s[6:7], v8, v5 src0_sel:BYTE_0 src1_sel:DWORD
	s_and_saveexec_b64 s[56:57], s[6:7]
	s_cbranch_execz .LBB270_591
; %bb.586:                              ;   in Loop: Header=BB270_9 Depth=1
	v_cmp_ne_u16_sdwa s[6:7], v8, s17 src0_sel:BYTE_0 src1_sel:DWORD
	v_mov_b32_e32 v17, 0x8000
	s_and_saveexec_b64 s[58:59], s[6:7]
	s_cbranch_execz .LBB270_590
; %bb.587:                              ;   in Loop: Header=BB270_9 Depth=1
	v_and_b32_e32 v0, 0x7f, v8
	v_cmp_ne_u32_e64 s[6:7], s62, v0
	v_mov_b32_e32 v17, 0x7c01
	s_and_saveexec_b64 s[60:61], s[6:7]
	s_cbranch_execz .LBB270_589
; %bb.588:                              ;   in Loop: Header=BB270_9 Depth=1
	v_and_b32_e32 v2, 7, v8
	v_lshrrev_b32_e32 v3, 3, v0
	v_cmp_gt_u32_e64 s[6:7], 8, v0
	v_ffbh_u32_e32 v0, v2
	v_min_u32_e32 v4, 32, v0
	v_subrev_u32_e32 v0, 28, v4
	v_lshlrev_b64 v[0:1], v0, v[8:9]
	v_sub_u32_e32 v1, 29, v4
	v_cndmask_b32_e64 v1, v3, v1, s[6:7]
	v_mov_b32_e32 v4, 0x2000
	v_lshl_add_u32 v1, v1, 10, v4
	v_lshlrev_b32_e32 v3, 8, v8
	v_and_b32_e32 v0, 7, v0
	v_and_b32_e32 v1, 0xfc00, v1
	v_cndmask_b32_e64 v0, v2, v0, s[6:7]
	v_and_or_b32 v1, v3, s63, v1
	v_lshl_or_b32 v17, v0, 7, v1
.LBB270_589:                            ;   in Loop: Header=BB270_9 Depth=1
	s_or_b64 exec, exec, s[60:61]
.LBB270_590:                            ;   in Loop: Header=BB270_9 Depth=1
	s_or_b64 exec, exec, s[58:59]
.LBB270_591:                            ;   in Loop: Header=BB270_9 Depth=1
	s_or_b64 exec, exec, s[56:57]
	v_lshrrev_b16_e32 v4, 8, v8
	v_cmp_ne_u16_e64 s[6:7], 0, v4
	v_mov_b32_e32 v24, 0
	v_mov_b32_e32 v21, 0
	s_and_saveexec_b64 s[56:57], s[6:7]
	s_cbranch_execz .LBB270_597
; %bb.592:                              ;   in Loop: Header=BB270_9 Depth=1
	v_cmp_ne_u16_e64 s[6:7], s17, v4
	v_bfrev_b32_e32 v21, 1
	s_and_saveexec_b64 s[58:59], s[6:7]
	s_cbranch_execz .LBB270_596
; %bb.593:                              ;   in Loop: Header=BB270_9 Depth=1
	v_and_b32_e32 v0, 0x7f, v4
	v_cmp_ne_u32_e64 s[6:7], s62, v0
	v_mov_b32_e32 v21, 0x7c010000
	s_and_saveexec_b64 s[60:61], s[6:7]
	s_cbranch_execz .LBB270_595
; %bb.594:                              ;   in Loop: Header=BB270_9 Depth=1
	v_and_b32_e32 v2, 7, v4
	v_lshrrev_b32_e32 v3, 3, v0
	v_cmp_gt_u32_e64 s[6:7], 8, v0
	v_ffbh_u32_e32 v0, v2
	v_min_u32_e32 v7, 32, v0
	v_subrev_u32_e32 v0, 28, v7
	v_lshlrev_b64 v[0:1], v0, v[4:5]
	v_sub_u32_e32 v1, 29, v7
	v_cndmask_b32_e64 v1, v3, v1, s[6:7]
	v_lshlrev_b32_e32 v3, 8, v4
	v_mov_b32_e32 v4, 0x2000
	v_lshl_add_u32 v1, v1, 10, v4
	v_and_b32_e32 v0, 7, v0
	v_and_or_b32 v1, v3, s63, v1
	v_cndmask_b32_e64 v0, v2, v0, s[6:7]
	v_lshlrev_b32_e32 v1, 16, v1
	v_lshl_or_b32 v21, v0, 23, v1
.LBB270_595:                            ;   in Loop: Header=BB270_9 Depth=1
	s_or_b64 exec, exec, s[60:61]
.LBB270_596:                            ;   in Loop: Header=BB270_9 Depth=1
	s_or_b64 exec, exec, s[58:59]
.LBB270_597:                            ;   in Loop: Header=BB270_9 Depth=1
	s_or_b64 exec, exec, s[56:57]
	v_lshrrev_b32_e32 v4, 16, v8
	v_cmp_ne_u16_sdwa s[6:7], v4, v5 src0_sel:BYTE_0 src1_sel:DWORD
	s_and_saveexec_b64 s[56:57], s[6:7]
	s_cbranch_execz .LBB270_603
; %bb.598:                              ;   in Loop: Header=BB270_9 Depth=1
	v_cmp_ne_u16_sdwa s[6:7], v4, s17 src0_sel:BYTE_0 src1_sel:DWORD
	v_mov_b32_e32 v24, 0x8000
	s_and_saveexec_b64 s[58:59], s[6:7]
	s_cbranch_execz .LBB270_602
; %bb.599:                              ;   in Loop: Header=BB270_9 Depth=1
	v_bfe_u32 v0, v8, 16, 7
	v_cmp_ne_u32_e64 s[6:7], s62, v0
	v_mov_b32_e32 v24, 0x7c01
	s_and_saveexec_b64 s[60:61], s[6:7]
	s_cbranch_execz .LBB270_601
; %bb.600:                              ;   in Loop: Header=BB270_9 Depth=1
	v_and_b32_e32 v2, 7, v4
	v_lshrrev_b32_e32 v3, 3, v0
	v_cmp_gt_u32_e64 s[6:7], 8, v0
	v_ffbh_u32_e32 v0, v2
	v_min_u32_e32 v7, 32, v0
	v_subrev_u32_e32 v0, 28, v7
	v_lshlrev_b64 v[0:1], v0, v[4:5]
	v_sub_u32_e32 v1, 29, v7
	v_cndmask_b32_e64 v1, v3, v1, s[6:7]
	v_lshlrev_b32_e32 v3, 8, v4
	v_mov_b32_e32 v4, 0x2000
	v_lshl_add_u32 v1, v1, 10, v4
	v_and_b32_e32 v0, 7, v0
	v_and_b32_e32 v1, 0xfc00, v1
	v_cndmask_b32_e64 v0, v2, v0, s[6:7]
	v_and_or_b32 v1, v3, s63, v1
	v_lshl_or_b32 v24, v0, 7, v1
.LBB270_601:                            ;   in Loop: Header=BB270_9 Depth=1
	s_or_b64 exec, exec, s[60:61]
.LBB270_602:                            ;   in Loop: Header=BB270_9 Depth=1
	s_or_b64 exec, exec, s[58:59]
.LBB270_603:                            ;   in Loop: Header=BB270_9 Depth=1
	s_or_b64 exec, exec, s[56:57]
	v_cmp_lt_u32_e64 s[6:7], s72, v8
	v_mov_b32_e32 v7, 0
	v_mov_b32_e32 v67, 0
	s_and_saveexec_b64 s[56:57], s[6:7]
	s_cbranch_execz .LBB270_609
; %bb.604:                              ;   in Loop: Header=BB270_9 Depth=1
	v_lshrrev_b32_e32 v4, 24, v8
	v_cmp_ne_u32_e64 s[6:7], s17, v4
	v_bfrev_b32_e32 v67, 1
	s_and_saveexec_b64 s[58:59], s[6:7]
	s_cbranch_execz .LBB270_608
; %bb.605:                              ;   in Loop: Header=BB270_9 Depth=1
	v_and_b32_e32 v0, 0x7f, v4
	v_cmp_ne_u32_e64 s[6:7], s62, v0
	v_mov_b32_e32 v67, 0x7c010000
	s_and_saveexec_b64 s[60:61], s[6:7]
	s_cbranch_execz .LBB270_607
; %bb.606:                              ;   in Loop: Header=BB270_9 Depth=1
	v_and_b32_e32 v2, 7, v4
	v_lshrrev_b32_e32 v3, 3, v0
	v_cmp_gt_u32_e64 s[6:7], 8, v0
	v_ffbh_u32_e32 v0, v2
	v_min_u32_e32 v8, 32, v0
	v_subrev_u32_e32 v0, 28, v8
	v_lshlrev_b64 v[0:1], v0, v[4:5]
	v_sub_u32_e32 v1, 29, v8
	v_cndmask_b32_e64 v1, v3, v1, s[6:7]
	v_lshlrev_b32_e32 v3, 8, v4
	v_mov_b32_e32 v4, 0x2000
	v_lshl_add_u32 v1, v1, 10, v4
	v_and_b32_e32 v0, 7, v0
	v_and_or_b32 v1, v3, s63, v1
	v_cndmask_b32_e64 v0, v2, v0, s[6:7]
	v_lshlrev_b32_e32 v1, 16, v1
	v_lshl_or_b32 v67, v0, 23, v1
.LBB270_607:                            ;   in Loop: Header=BB270_9 Depth=1
	s_or_b64 exec, exec, s[60:61]
.LBB270_608:                            ;   in Loop: Header=BB270_9 Depth=1
	s_or_b64 exec, exec, s[58:59]
.LBB270_609:                            ;   in Loop: Header=BB270_9 Depth=1
	s_or_b64 exec, exec, s[56:57]
	scratch_load_dwordx2 v[0:1], off, s32 offset:200 ; 8-byte Folded Reload
	s_waitcnt vmcnt(0)
	v_lshl_add_u64 v[0:1], v[34:35], 0, v[0:1]
	flat_load_dword v8, v[0:1]
	s_waitcnt vmcnt(0) lgkmcnt(0)
	v_cmp_ne_u16_sdwa s[6:7], v8, v5 src0_sel:BYTE_0 src1_sel:DWORD
	s_and_saveexec_b64 s[56:57], s[6:7]
	s_cbranch_execz .LBB270_615
; %bb.610:                              ;   in Loop: Header=BB270_9 Depth=1
	v_cmp_ne_u16_sdwa s[6:7], v8, s17 src0_sel:BYTE_0 src1_sel:DWORD
	v_mov_b32_e32 v7, 0x8000
	s_and_saveexec_b64 s[58:59], s[6:7]
	s_cbranch_execz .LBB270_614
; %bb.611:                              ;   in Loop: Header=BB270_9 Depth=1
	v_and_b32_e32 v0, 0x7f, v8
	v_cmp_ne_u32_e64 s[6:7], s62, v0
	v_mov_b32_e32 v7, 0x7c01
	s_and_saveexec_b64 s[60:61], s[6:7]
	s_cbranch_execz .LBB270_613
; %bb.612:                              ;   in Loop: Header=BB270_9 Depth=1
	v_and_b32_e32 v2, 7, v8
	v_lshrrev_b32_e32 v3, 3, v0
	v_cmp_gt_u32_e64 s[6:7], 8, v0
	v_ffbh_u32_e32 v0, v2
	v_min_u32_e32 v4, 32, v0
	v_subrev_u32_e32 v0, 28, v4
	v_lshlrev_b64 v[0:1], v0, v[8:9]
	v_sub_u32_e32 v1, 29, v4
	v_cndmask_b32_e64 v1, v3, v1, s[6:7]
	v_mov_b32_e32 v4, 0x2000
	v_lshl_add_u32 v1, v1, 10, v4
	v_lshlrev_b32_e32 v3, 8, v8
	v_and_b32_e32 v0, 7, v0
	v_and_b32_e32 v1, 0xfc00, v1
	v_cndmask_b32_e64 v0, v2, v0, s[6:7]
	v_and_or_b32 v1, v3, s63, v1
	v_lshl_or_b32 v7, v0, 7, v1
.LBB270_613:                            ;   in Loop: Header=BB270_9 Depth=1
	s_or_b64 exec, exec, s[60:61]
.LBB270_614:                            ;   in Loop: Header=BB270_9 Depth=1
	s_or_b64 exec, exec, s[58:59]
.LBB270_615:                            ;   in Loop: Header=BB270_9 Depth=1
	s_or_b64 exec, exec, s[56:57]
	v_lshrrev_b16_e32 v4, 8, v8
	v_cmp_ne_u16_e64 s[6:7], 0, v4
	v_mov_b32_e32 v25, 0
	v_mov_b32_e32 v9, 0
	s_and_saveexec_b64 s[56:57], s[6:7]
	s_cbranch_execz .LBB270_621
; %bb.616:                              ;   in Loop: Header=BB270_9 Depth=1
	v_cmp_ne_u16_e64 s[6:7], s17, v4
	v_bfrev_b32_e32 v9, 1
	s_and_saveexec_b64 s[58:59], s[6:7]
	s_cbranch_execz .LBB270_620
; %bb.617:                              ;   in Loop: Header=BB270_9 Depth=1
	v_and_b32_e32 v0, 0x7f, v4
	v_cmp_ne_u32_e64 s[6:7], s62, v0
	v_mov_b32_e32 v9, 0x7c010000
	s_and_saveexec_b64 s[60:61], s[6:7]
	s_cbranch_execz .LBB270_619
; %bb.618:                              ;   in Loop: Header=BB270_9 Depth=1
	v_and_b32_e32 v2, 7, v4
	v_lshrrev_b32_e32 v3, 3, v0
	v_cmp_gt_u32_e64 s[6:7], 8, v0
	v_ffbh_u32_e32 v0, v2
	v_min_u32_e32 v9, 32, v0
	v_subrev_u32_e32 v0, 28, v9
	v_lshlrev_b64 v[0:1], v0, v[4:5]
	v_sub_u32_e32 v1, 29, v9
	v_cndmask_b32_e64 v1, v3, v1, s[6:7]
	v_lshlrev_b32_e32 v3, 8, v4
	v_mov_b32_e32 v4, 0x2000
	v_lshl_add_u32 v1, v1, 10, v4
	v_and_b32_e32 v0, 7, v0
	v_and_or_b32 v1, v3, s63, v1
	v_cndmask_b32_e64 v0, v2, v0, s[6:7]
	v_lshlrev_b32_e32 v1, 16, v1
	v_lshl_or_b32 v9, v0, 23, v1
.LBB270_619:                            ;   in Loop: Header=BB270_9 Depth=1
	s_or_b64 exec, exec, s[60:61]
.LBB270_620:                            ;   in Loop: Header=BB270_9 Depth=1
	s_or_b64 exec, exec, s[58:59]
.LBB270_621:                            ;   in Loop: Header=BB270_9 Depth=1
	s_or_b64 exec, exec, s[56:57]
	v_lshrrev_b32_e32 v4, 16, v8
	v_cmp_ne_u16_sdwa s[6:7], v4, v5 src0_sel:BYTE_0 src1_sel:DWORD
	s_and_saveexec_b64 s[56:57], s[6:7]
	s_cbranch_execz .LBB270_627
; %bb.622:                              ;   in Loop: Header=BB270_9 Depth=1
	v_cmp_ne_u16_sdwa s[6:7], v4, s17 src0_sel:BYTE_0 src1_sel:DWORD
	v_mov_b32_e32 v25, 0x8000
	s_and_saveexec_b64 s[58:59], s[6:7]
	s_cbranch_execz .LBB270_626
; %bb.623:                              ;   in Loop: Header=BB270_9 Depth=1
	v_bfe_u32 v0, v8, 16, 7
	v_cmp_ne_u32_e64 s[6:7], s62, v0
	v_mov_b32_e32 v25, 0x7c01
	s_and_saveexec_b64 s[60:61], s[6:7]
	s_cbranch_execz .LBB270_625
; %bb.624:                              ;   in Loop: Header=BB270_9 Depth=1
	v_and_b32_e32 v2, 7, v4
	v_lshrrev_b32_e32 v3, 3, v0
	v_cmp_gt_u32_e64 s[6:7], 8, v0
	v_ffbh_u32_e32 v0, v2
	v_min_u32_e32 v10, 32, v0
	v_subrev_u32_e32 v0, 28, v10
	v_lshlrev_b64 v[0:1], v0, v[4:5]
	v_sub_u32_e32 v1, 29, v10
	v_cndmask_b32_e64 v1, v3, v1, s[6:7]
	v_lshlrev_b32_e32 v3, 8, v4
	v_mov_b32_e32 v4, 0x2000
	v_lshl_add_u32 v1, v1, 10, v4
	v_and_b32_e32 v0, 7, v0
	v_and_b32_e32 v1, 0xfc00, v1
	v_cndmask_b32_e64 v0, v2, v0, s[6:7]
	v_and_or_b32 v1, v3, s63, v1
	v_lshl_or_b32 v25, v0, 7, v1
.LBB270_625:                            ;   in Loop: Header=BB270_9 Depth=1
	s_or_b64 exec, exec, s[60:61]
.LBB270_626:                            ;   in Loop: Header=BB270_9 Depth=1
	s_or_b64 exec, exec, s[58:59]
.LBB270_627:                            ;   in Loop: Header=BB270_9 Depth=1
	s_or_b64 exec, exec, s[56:57]
	v_cmp_lt_u32_e64 s[6:7], s72, v8
	v_mov_b32_e32 v2, 0
	v_mov_b32_e32 v39, 0
	s_and_saveexec_b64 s[56:57], s[6:7]
	s_cbranch_execz .LBB270_633
; %bb.628:                              ;   in Loop: Header=BB270_9 Depth=1
	v_lshrrev_b32_e32 v4, 24, v8
	v_cmp_ne_u32_e64 s[6:7], s17, v4
	v_bfrev_b32_e32 v39, 1
	s_and_saveexec_b64 s[58:59], s[6:7]
	s_cbranch_execz .LBB270_632
; %bb.629:                              ;   in Loop: Header=BB270_9 Depth=1
	v_and_b32_e32 v0, 0x7f, v4
	v_cmp_ne_u32_e64 s[6:7], s62, v0
	v_mov_b32_e32 v39, 0x7c010000
	s_and_saveexec_b64 s[60:61], s[6:7]
	s_cbranch_execz .LBB270_631
; %bb.630:                              ;   in Loop: Header=BB270_9 Depth=1
	v_and_b32_e32 v3, 7, v4
	v_lshrrev_b32_e32 v8, 3, v0
	v_cmp_gt_u32_e64 s[6:7], 8, v0
	v_ffbh_u32_e32 v0, v3
	v_min_u32_e32 v10, 32, v0
	v_subrev_u32_e32 v0, 28, v10
	v_lshlrev_b64 v[0:1], v0, v[4:5]
	v_sub_u32_e32 v1, 29, v10
	v_cndmask_b32_e64 v1, v8, v1, s[6:7]
	v_mov_b32_e32 v8, 0x2000
	v_lshlrev_b32_e32 v4, 8, v4
	v_lshl_add_u32 v1, v1, 10, v8
	v_and_b32_e32 v0, 7, v0
	v_and_or_b32 v1, v4, s63, v1
	v_cndmask_b32_e64 v0, v3, v0, s[6:7]
	v_lshlrev_b32_e32 v1, 16, v1
	v_lshl_or_b32 v39, v0, 23, v1
.LBB270_631:                            ;   in Loop: Header=BB270_9 Depth=1
	s_or_b64 exec, exec, s[60:61]
.LBB270_632:                            ;   in Loop: Header=BB270_9 Depth=1
	s_or_b64 exec, exec, s[58:59]
.LBB270_633:                            ;   in Loop: Header=BB270_9 Depth=1
	s_or_b64 exec, exec, s[56:57]
	scratch_load_dwordx2 v[0:1], off, s32 offset:192 ; 8-byte Folded Reload
	v_lshl_add_u64 v[34:35], v[32:33], 0, s[42:43]
	s_waitcnt vmcnt(0)
	v_lshl_add_u64 v[0:1], v[34:35], 0, v[0:1]
	flat_load_dword v8, v[0:1]
	s_waitcnt vmcnt(0) lgkmcnt(0)
	v_cmp_ne_u16_sdwa s[6:7], v8, v5 src0_sel:BYTE_0 src1_sel:DWORD
	s_and_saveexec_b64 s[56:57], s[6:7]
	s_cbranch_execz .LBB270_639
; %bb.634:                              ;   in Loop: Header=BB270_9 Depth=1
	v_cmp_ne_u16_sdwa s[6:7], v8, s17 src0_sel:BYTE_0 src1_sel:DWORD
	v_mov_b32_e32 v2, 0x8000
	s_and_saveexec_b64 s[58:59], s[6:7]
	s_cbranch_execz .LBB270_638
; %bb.635:                              ;   in Loop: Header=BB270_9 Depth=1
	v_and_b32_e32 v0, 0x7f, v8
	v_cmp_ne_u32_e64 s[6:7], s62, v0
	v_mov_b32_e32 v2, 0x7c01
	s_and_saveexec_b64 s[60:61], s[6:7]
	s_cbranch_execz .LBB270_637
; %bb.636:                              ;   in Loop: Header=BB270_9 Depth=1
	v_and_b32_e32 v2, 7, v8
	v_lshrrev_b32_e32 v3, 3, v0
	v_cmp_gt_u32_e64 s[6:7], 8, v0
	v_ffbh_u32_e32 v0, v2
	v_min_u32_e32 v4, 32, v0
	v_subrev_u32_e32 v0, 28, v4
	v_lshlrev_b64 v[0:1], v0, v[8:9]
	v_sub_u32_e32 v1, 29, v4
	v_cndmask_b32_e64 v1, v3, v1, s[6:7]
	v_mov_b32_e32 v4, 0x2000
	v_lshl_add_u32 v1, v1, 10, v4
	v_lshlrev_b32_e32 v3, 8, v8
	v_and_b32_e32 v0, 7, v0
	v_and_b32_e32 v1, 0xfc00, v1
	v_cndmask_b32_e64 v0, v2, v0, s[6:7]
	v_and_or_b32 v1, v3, s63, v1
	v_lshl_or_b32 v2, v0, 7, v1
.LBB270_637:                            ;   in Loop: Header=BB270_9 Depth=1
	s_or_b64 exec, exec, s[60:61]
.LBB270_638:                            ;   in Loop: Header=BB270_9 Depth=1
	s_or_b64 exec, exec, s[58:59]
.LBB270_639:                            ;   in Loop: Header=BB270_9 Depth=1
	s_or_b64 exec, exec, s[56:57]
	v_lshrrev_b16_e32 v4, 8, v8
	v_cmp_ne_u16_e64 s[6:7], 0, v4
	v_mov_b32_e32 v10, 0
	v_mov_b32_e32 v3, 0
	s_and_saveexec_b64 s[56:57], s[6:7]
	s_cbranch_execz .LBB270_645
; %bb.640:                              ;   in Loop: Header=BB270_9 Depth=1
	v_cmp_ne_u16_e64 s[6:7], s17, v4
	v_bfrev_b32_e32 v3, 1
	s_and_saveexec_b64 s[58:59], s[6:7]
	s_cbranch_execz .LBB270_644
; %bb.641:                              ;   in Loop: Header=BB270_9 Depth=1
	v_and_b32_e32 v0, 0x7f, v4
	v_cmp_ne_u32_e64 s[6:7], s62, v0
	v_mov_b32_e32 v3, 0x7c010000
	s_and_saveexec_b64 s[60:61], s[6:7]
	s_cbranch_execz .LBB270_643
; %bb.642:                              ;   in Loop: Header=BB270_9 Depth=1
	v_and_b32_e32 v3, 7, v4
	v_lshrrev_b32_e32 v11, 3, v0
	v_cmp_gt_u32_e64 s[6:7], 8, v0
	v_ffbh_u32_e32 v0, v3
	v_min_u32_e32 v14, 32, v0
	v_subrev_u32_e32 v0, 28, v14
	v_lshlrev_b64 v[0:1], v0, v[4:5]
	v_sub_u32_e32 v1, 29, v14
	v_cndmask_b32_e64 v1, v11, v1, s[6:7]
	v_mov_b32_e32 v11, 0x2000
	v_lshlrev_b32_e32 v4, 8, v4
	v_lshl_add_u32 v1, v1, 10, v11
	v_and_b32_e32 v0, 7, v0
	v_and_or_b32 v1, v4, s63, v1
	v_cndmask_b32_e64 v0, v3, v0, s[6:7]
	v_lshlrev_b32_e32 v1, 16, v1
	v_lshl_or_b32 v3, v0, 23, v1
.LBB270_643:                            ;   in Loop: Header=BB270_9 Depth=1
	s_or_b64 exec, exec, s[60:61]
.LBB270_644:                            ;   in Loop: Header=BB270_9 Depth=1
	s_or_b64 exec, exec, s[58:59]
.LBB270_645:                            ;   in Loop: Header=BB270_9 Depth=1
	s_or_b64 exec, exec, s[56:57]
	v_lshrrev_b32_e32 v4, 16, v8
	v_cmp_ne_u16_sdwa s[6:7], v4, v5 src0_sel:BYTE_0 src1_sel:DWORD
	s_and_saveexec_b64 s[56:57], s[6:7]
	s_cbranch_execz .LBB270_651
; %bb.646:                              ;   in Loop: Header=BB270_9 Depth=1
	v_cmp_ne_u16_sdwa s[6:7], v4, s17 src0_sel:BYTE_0 src1_sel:DWORD
	v_mov_b32_e32 v10, 0x8000
	s_and_saveexec_b64 s[58:59], s[6:7]
	s_cbranch_execz .LBB270_650
; %bb.647:                              ;   in Loop: Header=BB270_9 Depth=1
	v_bfe_u32 v0, v8, 16, 7
	v_cmp_ne_u32_e64 s[6:7], s62, v0
	v_mov_b32_e32 v10, 0x7c01
	s_and_saveexec_b64 s[60:61], s[6:7]
	s_cbranch_execz .LBB270_649
; %bb.648:                              ;   in Loop: Header=BB270_9 Depth=1
	v_and_b32_e32 v10, 7, v4
	v_lshrrev_b32_e32 v11, 3, v0
	v_cmp_gt_u32_e64 s[6:7], 8, v0
	v_ffbh_u32_e32 v0, v10
	v_min_u32_e32 v14, 32, v0
	v_subrev_u32_e32 v0, 28, v14
	v_lshlrev_b64 v[0:1], v0, v[4:5]
	v_sub_u32_e32 v1, 29, v14
	v_cndmask_b32_e64 v1, v11, v1, s[6:7]
	v_mov_b32_e32 v11, 0x2000
	v_lshl_add_u32 v1, v1, 10, v11
	v_lshlrev_b32_e32 v4, 8, v4
	v_and_b32_e32 v0, 7, v0
	v_and_b32_e32 v1, 0xfc00, v1
	v_cndmask_b32_e64 v0, v10, v0, s[6:7]
	v_and_or_b32 v1, v4, s63, v1
	v_lshl_or_b32 v10, v0, 7, v1
.LBB270_649:                            ;   in Loop: Header=BB270_9 Depth=1
	s_or_b64 exec, exec, s[60:61]
.LBB270_650:                            ;   in Loop: Header=BB270_9 Depth=1
	s_or_b64 exec, exec, s[58:59]
.LBB270_651:                            ;   in Loop: Header=BB270_9 Depth=1
	s_or_b64 exec, exec, s[56:57]
	v_cmp_lt_u32_e64 s[6:7], s72, v8
	v_mov_b32_e32 v0, 0
	v_mov_b32_e32 v36, 0
	s_and_saveexec_b64 s[56:57], s[6:7]
	s_cbranch_execz .LBB270_657
; %bb.652:                              ;   in Loop: Header=BB270_9 Depth=1
	v_lshrrev_b32_e32 v4, 24, v8
	v_cmp_ne_u32_e64 s[6:7], s17, v4
	v_bfrev_b32_e32 v36, 1
	s_and_saveexec_b64 s[58:59], s[6:7]
	s_cbranch_execz .LBB270_656
; %bb.653:                              ;   in Loop: Header=BB270_9 Depth=1
	v_and_b32_e32 v1, 0x7f, v4
	v_cmp_ne_u32_e64 s[6:7], s62, v1
	v_mov_b32_e32 v36, 0x7c010000
	s_and_saveexec_b64 s[60:61], s[6:7]
	s_cbranch_execz .LBB270_655
; %bb.654:                              ;   in Loop: Header=BB270_9 Depth=1
	v_and_b32_e32 v8, 7, v4
	v_lshrrev_b32_e32 v11, 3, v1
	v_cmp_gt_u32_e64 s[6:7], 8, v1
	v_ffbh_u32_e32 v1, v8
	v_min_u32_e32 v1, 32, v1
	v_subrev_u32_e32 v14, 28, v1
	v_sub_u32_e32 v1, 29, v1
	v_cndmask_b32_e64 v1, v11, v1, s[6:7]
	v_mov_b32_e32 v11, 0x2000
	v_lshlrev_b64 v[48:49], v14, v[4:5]
	v_lshlrev_b32_e32 v4, 8, v4
	v_lshl_add_u32 v1, v1, 10, v11
	v_and_b32_e32 v11, 7, v48
	v_and_or_b32 v1, v4, s63, v1
	v_cndmask_b32_e64 v8, v8, v11, s[6:7]
	v_lshlrev_b32_e32 v1, 16, v1
	v_lshl_or_b32 v36, v8, 23, v1
.LBB270_655:                            ;   in Loop: Header=BB270_9 Depth=1
	s_or_b64 exec, exec, s[60:61]
.LBB270_656:                            ;   in Loop: Header=BB270_9 Depth=1
	s_or_b64 exec, exec, s[58:59]
.LBB270_657:                            ;   in Loop: Header=BB270_9 Depth=1
	s_or_b64 exec, exec, s[56:57]
	scratch_load_dwordx2 v[48:49], off, s32 offset:200 ; 8-byte Folded Reload
	s_waitcnt vmcnt(0)
	v_lshl_add_u64 v[34:35], v[34:35], 0, v[48:49]
	flat_load_dword v8, v[34:35]
	s_waitcnt vmcnt(0) lgkmcnt(0)
	v_cmp_ne_u16_sdwa s[6:7], v8, v5 src0_sel:BYTE_0 src1_sel:DWORD
	s_and_saveexec_b64 s[56:57], s[6:7]
	s_cbranch_execz .LBB270_663
; %bb.658:                              ;   in Loop: Header=BB270_9 Depth=1
	v_cmp_ne_u16_sdwa s[6:7], v8, s17 src0_sel:BYTE_0 src1_sel:DWORD
	v_mov_b32_e32 v0, 0x8000
	s_and_saveexec_b64 s[58:59], s[6:7]
	s_cbranch_execz .LBB270_662
; %bb.659:                              ;   in Loop: Header=BB270_9 Depth=1
	v_and_b32_e32 v1, 0x7f, v8
	v_cmp_ne_u32_e64 s[6:7], s62, v1
	v_mov_b32_e32 v0, 0x7c01
	s_and_saveexec_b64 s[60:61], s[6:7]
	s_cbranch_execz .LBB270_661
; %bb.660:                              ;   in Loop: Header=BB270_9 Depth=1
	v_and_b32_e32 v4, 7, v8
	v_ffbh_u32_e32 v0, v4
	v_min_u32_e32 v14, 32, v0
	v_subrev_u32_e32 v0, 28, v14
	v_lshrrev_b32_e32 v11, 3, v1
	v_cmp_gt_u32_e64 s[6:7], 8, v1
	v_lshlrev_b64 v[0:1], v0, v[8:9]
	v_sub_u32_e32 v1, 29, v14
	v_cndmask_b32_e64 v1, v11, v1, s[6:7]
	v_mov_b32_e32 v14, 0x2000
	v_lshl_add_u32 v1, v1, 10, v14
	v_lshlrev_b32_e32 v11, 8, v8
	v_and_b32_e32 v0, 7, v0
	v_and_b32_e32 v1, 0xfc00, v1
	v_cndmask_b32_e64 v0, v4, v0, s[6:7]
	v_and_or_b32 v1, v11, s63, v1
	v_lshl_or_b32 v0, v0, 7, v1
.LBB270_661:                            ;   in Loop: Header=BB270_9 Depth=1
	s_or_b64 exec, exec, s[60:61]
.LBB270_662:                            ;   in Loop: Header=BB270_9 Depth=1
	s_or_b64 exec, exec, s[58:59]
.LBB270_663:                            ;   in Loop: Header=BB270_9 Depth=1
	s_or_b64 exec, exec, s[56:57]
	v_lshrrev_b16_e32 v4, 8, v8
	v_cmp_ne_u16_e64 s[6:7], 0, v4
	v_mov_b32_e32 v1, 0
	v_mov_b32_e32 v11, 0
	s_and_saveexec_b64 s[56:57], s[6:7]
	s_cbranch_execz .LBB270_669
; %bb.664:                              ;   in Loop: Header=BB270_9 Depth=1
	v_cmp_ne_u16_e64 s[6:7], s17, v4
	v_bfrev_b32_e32 v11, 1
	s_and_saveexec_b64 s[58:59], s[6:7]
	s_cbranch_execz .LBB270_668
; %bb.665:                              ;   in Loop: Header=BB270_9 Depth=1
	v_and_b32_e32 v14, 0x7f, v4
	v_cmp_ne_u32_e64 s[6:7], s62, v14
	v_mov_b32_e32 v11, 0x7c010000
	s_and_saveexec_b64 s[60:61], s[6:7]
	s_cbranch_execz .LBB270_667
; %bb.666:                              ;   in Loop: Header=BB270_9 Depth=1
	v_and_b32_e32 v11, 7, v4
	v_lshrrev_b32_e32 v16, 3, v14
	v_cmp_gt_u32_e64 s[6:7], 8, v14
	v_ffbh_u32_e32 v14, v11
	v_min_u32_e32 v14, 32, v14
	v_subrev_u32_e32 v34, 28, v14
	v_sub_u32_e32 v14, 29, v14
	v_cndmask_b32_e64 v14, v16, v14, s[6:7]
	v_mov_b32_e32 v16, 0x2000
	v_lshlrev_b64 v[34:35], v34, v[4:5]
	v_lshlrev_b32_e32 v4, 8, v4
	v_lshl_add_u32 v14, v14, 10, v16
	v_and_b32_e32 v16, 7, v34
	v_and_or_b32 v4, v4, s63, v14
	v_cndmask_b32_e64 v11, v11, v16, s[6:7]
	v_lshlrev_b32_e32 v4, 16, v4
	v_lshl_or_b32 v11, v11, 23, v4
.LBB270_667:                            ;   in Loop: Header=BB270_9 Depth=1
	s_or_b64 exec, exec, s[60:61]
.LBB270_668:                            ;   in Loop: Header=BB270_9 Depth=1
	s_or_b64 exec, exec, s[58:59]
.LBB270_669:                            ;   in Loop: Header=BB270_9 Depth=1
	s_or_b64 exec, exec, s[56:57]
	v_lshrrev_b32_e32 v4, 16, v8
	v_cmp_ne_u16_sdwa s[6:7], v4, v5 src0_sel:BYTE_0 src1_sel:DWORD
	s_and_saveexec_b64 s[56:57], s[6:7]
	s_cbranch_execz .LBB270_675
; %bb.670:                              ;   in Loop: Header=BB270_9 Depth=1
	v_cmp_ne_u16_sdwa s[6:7], v4, s17 src0_sel:BYTE_0 src1_sel:DWORD
	v_mov_b32_e32 v1, 0x8000
	s_and_saveexec_b64 s[58:59], s[6:7]
	s_cbranch_execz .LBB270_674
; %bb.671:                              ;   in Loop: Header=BB270_9 Depth=1
	v_bfe_u32 v14, v8, 16, 7
	v_cmp_ne_u32_e64 s[6:7], s62, v14
	v_mov_b32_e32 v1, 0x7c01
	s_and_saveexec_b64 s[60:61], s[6:7]
	s_cbranch_execz .LBB270_673
; %bb.672:                              ;   in Loop: Header=BB270_9 Depth=1
	v_and_b32_e32 v1, 7, v4
	v_lshrrev_b32_e32 v16, 3, v14
	v_cmp_gt_u32_e64 s[6:7], 8, v14
	v_ffbh_u32_e32 v14, v1
	v_min_u32_e32 v14, 32, v14
	v_subrev_u32_e32 v34, 28, v14
	v_sub_u32_e32 v14, 29, v14
	v_cndmask_b32_e64 v14, v16, v14, s[6:7]
	v_mov_b32_e32 v16, 0x2000
	v_lshlrev_b64 v[34:35], v34, v[4:5]
	v_lshl_add_u32 v14, v14, 10, v16
	v_lshlrev_b32_e32 v4, 8, v4
	v_and_b32_e32 v16, 7, v34
	v_and_b32_e32 v14, 0xfc00, v14
	v_cndmask_b32_e64 v1, v1, v16, s[6:7]
	v_and_or_b32 v4, v4, s63, v14
	v_lshl_or_b32 v1, v1, 7, v4
.LBB270_673:                            ;   in Loop: Header=BB270_9 Depth=1
	s_or_b64 exec, exec, s[60:61]
.LBB270_674:                            ;   in Loop: Header=BB270_9 Depth=1
	s_or_b64 exec, exec, s[58:59]
.LBB270_675:                            ;   in Loop: Header=BB270_9 Depth=1
	s_or_b64 exec, exec, s[56:57]
	v_cmp_lt_u32_e64 s[6:7], s72, v8
	v_mov_b32_e32 v16, 0
	v_mov_b32_e32 v14, 0
	s_and_saveexec_b64 s[56:57], s[6:7]
	s_cbranch_execz .LBB270_681
; %bb.676:                              ;   in Loop: Header=BB270_9 Depth=1
	v_lshrrev_b32_e32 v4, 24, v8
	v_cmp_ne_u32_e64 s[6:7], s17, v4
	v_bfrev_b32_e32 v14, 1
	s_and_saveexec_b64 s[58:59], s[6:7]
	s_cbranch_execz .LBB270_680
; %bb.677:                              ;   in Loop: Header=BB270_9 Depth=1
	v_and_b32_e32 v8, 0x7f, v4
	v_cmp_ne_u32_e64 s[6:7], s62, v8
	v_mov_b32_e32 v14, 0x7c010000
	s_and_saveexec_b64 s[60:61], s[6:7]
	s_cbranch_execz .LBB270_679
; %bb.678:                              ;   in Loop: Header=BB270_9 Depth=1
	v_and_b32_e32 v14, 7, v4
	v_lshrrev_b32_e32 v48, 3, v8
	v_cmp_gt_u32_e64 s[6:7], 8, v8
	v_ffbh_u32_e32 v8, v14
	v_min_u32_e32 v8, 32, v8
	v_subrev_u32_e32 v34, 28, v8
	v_lshlrev_b64 v[34:35], v34, v[4:5]
	v_sub_u32_e32 v8, 29, v8
	v_cndmask_b32_e64 v8, v48, v8, s[6:7]
	v_mov_b32_e32 v35, 0x2000
	v_lshlrev_b32_e32 v4, 8, v4
	v_lshl_add_u32 v8, v8, 10, v35
	v_and_b32_e32 v34, 7, v34
	v_and_or_b32 v4, v4, s63, v8
	v_cndmask_b32_e64 v14, v14, v34, s[6:7]
	v_lshlrev_b32_e32 v4, 16, v4
	v_lshl_or_b32 v14, v14, 23, v4
.LBB270_679:                            ;   in Loop: Header=BB270_9 Depth=1
	s_or_b64 exec, exec, s[60:61]
.LBB270_680:                            ;   in Loop: Header=BB270_9 Depth=1
	s_or_b64 exec, exec, s[58:59]
.LBB270_681:                            ;   in Loop: Header=BB270_9 Depth=1
	s_or_b64 exec, exec, s[56:57]
	scratch_load_dwordx2 v[22:23], off, s32 offset:192 ; 8-byte Folded Reload
	v_lshl_add_u64 v[34:35], v[32:33], 0, s[44:45]
	s_waitcnt vmcnt(0)
	v_lshl_add_u64 v[48:49], v[34:35], 0, v[22:23]
	flat_load_dword v8, v[48:49]
	s_waitcnt vmcnt(0) lgkmcnt(0)
	v_cmp_ne_u16_sdwa s[6:7], v8, v5 src0_sel:BYTE_0 src1_sel:DWORD
	s_and_saveexec_b64 s[56:57], s[6:7]
	s_cbranch_execz .LBB270_687
; %bb.682:                              ;   in Loop: Header=BB270_9 Depth=1
	v_cmp_ne_u16_sdwa s[6:7], v8, s17 src0_sel:BYTE_0 src1_sel:DWORD
	v_mov_b32_e32 v16, 0x8000
	s_and_saveexec_b64 s[58:59], s[6:7]
	s_cbranch_execz .LBB270_686
; %bb.683:                              ;   in Loop: Header=BB270_9 Depth=1
	v_and_b32_e32 v4, 0x7f, v8
	v_cmp_ne_u32_e64 s[6:7], s62, v4
	v_mov_b32_e32 v16, 0x7c01
	s_and_saveexec_b64 s[60:61], s[6:7]
	s_cbranch_execz .LBB270_685
; %bb.684:                              ;   in Loop: Header=BB270_9 Depth=1
	v_and_b32_e32 v16, 7, v8
	v_lshrrev_b32_e32 v53, 3, v4
	v_cmp_gt_u32_e64 s[6:7], 8, v4
	v_ffbh_u32_e32 v4, v16
	v_min_u32_e32 v4, 32, v4
	v_subrev_u32_e32 v48, 28, v4
	v_sub_u32_e32 v4, 29, v4
	v_cndmask_b32_e64 v4, v53, v4, s[6:7]
	v_mov_b32_e32 v53, 0x2000
	v_lshlrev_b64 v[48:49], v48, v[8:9]
	v_lshl_add_u32 v4, v4, 10, v53
	v_lshlrev_b32_e32 v49, 8, v8
	v_and_b32_e32 v48, 7, v48
	v_and_b32_e32 v4, 0xfc00, v4
	v_cndmask_b32_e64 v16, v16, v48, s[6:7]
	v_and_or_b32 v4, v49, s63, v4
	v_lshl_or_b32 v16, v16, 7, v4
.LBB270_685:                            ;   in Loop: Header=BB270_9 Depth=1
	s_or_b64 exec, exec, s[60:61]
.LBB270_686:                            ;   in Loop: Header=BB270_9 Depth=1
	s_or_b64 exec, exec, s[58:59]
.LBB270_687:                            ;   in Loop: Header=BB270_9 Depth=1
	s_or_b64 exec, exec, s[56:57]
	v_lshrrev_b16_e32 v4, 8, v8
	v_cmp_ne_u16_e64 s[6:7], 0, v4
	v_mov_b32_e32 v53, 0
	v_mov_b32_e32 v64, 0
	s_and_saveexec_b64 s[56:57], s[6:7]
	s_cbranch_execz .LBB270_693
; %bb.688:                              ;   in Loop: Header=BB270_9 Depth=1
	v_cmp_ne_u16_e64 s[6:7], s17, v4
	v_bfrev_b32_e32 v64, 1
	s_and_saveexec_b64 s[58:59], s[6:7]
	s_cbranch_execz .LBB270_692
; %bb.689:                              ;   in Loop: Header=BB270_9 Depth=1
	v_and_b32_e32 v48, 0x7f, v4
	v_cmp_ne_u32_e64 s[6:7], s62, v48
	v_mov_b32_e32 v64, 0x7c010000
	s_and_saveexec_b64 s[60:61], s[6:7]
	s_cbranch_execz .LBB270_691
; %bb.690:                              ;   in Loop: Header=BB270_9 Depth=1
	v_and_b32_e32 v64, 7, v4
	v_lshrrev_b32_e32 v82, 3, v48
	v_cmp_gt_u32_e64 s[6:7], 8, v48
	v_ffbh_u32_e32 v48, v64
	v_min_u32_e32 v84, 32, v48
	v_subrev_u32_e32 v48, 28, v84
	v_lshlrev_b64 v[48:49], v48, v[4:5]
	v_sub_u32_e32 v49, 29, v84
	v_cndmask_b32_e64 v49, v82, v49, s[6:7]
	v_mov_b32_e32 v82, 0x2000
	v_lshlrev_b32_e32 v4, 8, v4
	v_lshl_add_u32 v49, v49, 10, v82
	v_and_b32_e32 v48, 7, v48
	v_and_or_b32 v4, v4, s63, v49
	v_cndmask_b32_e64 v48, v64, v48, s[6:7]
	v_lshlrev_b32_e32 v4, 16, v4
	v_lshl_or_b32 v64, v48, 23, v4
.LBB270_691:                            ;   in Loop: Header=BB270_9 Depth=1
	s_or_b64 exec, exec, s[60:61]
.LBB270_692:                            ;   in Loop: Header=BB270_9 Depth=1
	s_or_b64 exec, exec, s[58:59]
.LBB270_693:                            ;   in Loop: Header=BB270_9 Depth=1
	s_or_b64 exec, exec, s[56:57]
	v_lshrrev_b32_e32 v4, 16, v8
	v_cmp_ne_u16_sdwa s[6:7], v4, v5 src0_sel:BYTE_0 src1_sel:DWORD
	s_and_saveexec_b64 s[56:57], s[6:7]
	s_cbranch_execz .LBB270_699
; %bb.694:                              ;   in Loop: Header=BB270_9 Depth=1
	v_cmp_ne_u16_sdwa s[6:7], v4, s17 src0_sel:BYTE_0 src1_sel:DWORD
	v_mov_b32_e32 v53, 0x8000
	s_and_saveexec_b64 s[58:59], s[6:7]
	s_cbranch_execz .LBB270_698
; %bb.695:                              ;   in Loop: Header=BB270_9 Depth=1
	v_bfe_u32 v48, v8, 16, 7
	v_cmp_ne_u32_e64 s[6:7], s62, v48
	v_mov_b32_e32 v53, 0x7c01
	s_and_saveexec_b64 s[60:61], s[6:7]
	s_cbranch_execz .LBB270_697
; %bb.696:                              ;   in Loop: Header=BB270_9 Depth=1
	v_and_b32_e32 v53, 7, v4
	v_lshrrev_b32_e32 v82, 3, v48
	v_cmp_gt_u32_e64 s[6:7], 8, v48
	v_ffbh_u32_e32 v48, v53
	v_min_u32_e32 v84, 32, v48
	v_subrev_u32_e32 v48, 28, v84
	v_lshlrev_b64 v[48:49], v48, v[4:5]
	v_sub_u32_e32 v49, 29, v84
	v_cndmask_b32_e64 v49, v82, v49, s[6:7]
	v_mov_b32_e32 v82, 0x2000
	v_lshl_add_u32 v49, v49, 10, v82
	v_lshlrev_b32_e32 v4, 8, v4
	v_and_b32_e32 v48, 7, v48
	v_and_b32_e32 v49, 0xfc00, v49
	v_cndmask_b32_e64 v48, v53, v48, s[6:7]
	v_and_or_b32 v4, v4, s63, v49
	v_lshl_or_b32 v53, v48, 7, v4
.LBB270_697:                            ;   in Loop: Header=BB270_9 Depth=1
	s_or_b64 exec, exec, s[60:61]
.LBB270_698:                            ;   in Loop: Header=BB270_9 Depth=1
	s_or_b64 exec, exec, s[58:59]
.LBB270_699:                            ;   in Loop: Header=BB270_9 Depth=1
	s_or_b64 exec, exec, s[56:57]
	v_cmp_lt_u32_e64 s[6:7], s72, v8
	v_mov_b32_e32 v84, 0
	v_mov_b32_e32 v82, 0
	s_and_saveexec_b64 s[56:57], s[6:7]
	s_cbranch_execz .LBB270_705
; %bb.700:                              ;   in Loop: Header=BB270_9 Depth=1
	v_lshrrev_b32_e32 v4, 24, v8
	v_cmp_ne_u32_e64 s[6:7], s17, v4
	v_bfrev_b32_e32 v82, 1
	s_and_saveexec_b64 s[58:59], s[6:7]
	s_cbranch_execz .LBB270_704
; %bb.701:                              ;   in Loop: Header=BB270_9 Depth=1
	v_and_b32_e32 v8, 0x7f, v4
	v_cmp_ne_u32_e64 s[6:7], s62, v8
	v_mov_b32_e32 v82, 0x7c010000
	s_and_saveexec_b64 s[60:61], s[6:7]
	s_cbranch_execz .LBB270_703
; %bb.702:                              ;   in Loop: Header=BB270_9 Depth=1
	v_and_b32_e32 v82, 7, v4
	v_lshrrev_b32_e32 v85, 3, v8
	v_cmp_gt_u32_e64 s[6:7], 8, v8
	v_ffbh_u32_e32 v8, v82
	v_min_u32_e32 v8, 32, v8
	v_subrev_u32_e32 v48, 28, v8
	v_lshlrev_b64 v[48:49], v48, v[4:5]
	v_sub_u32_e32 v8, 29, v8
	v_cndmask_b32_e64 v8, v85, v8, s[6:7]
	v_mov_b32_e32 v49, 0x2000
	v_lshlrev_b32_e32 v4, 8, v4
	v_lshl_add_u32 v8, v8, 10, v49
	v_and_b32_e32 v48, 7, v48
	v_and_or_b32 v4, v4, s63, v8
	v_cndmask_b32_e64 v48, v82, v48, s[6:7]
	v_lshlrev_b32_e32 v4, 16, v4
	v_lshl_or_b32 v82, v48, 23, v4
.LBB270_703:                            ;   in Loop: Header=BB270_9 Depth=1
	s_or_b64 exec, exec, s[60:61]
.LBB270_704:                            ;   in Loop: Header=BB270_9 Depth=1
	s_or_b64 exec, exec, s[58:59]
.LBB270_705:                            ;   in Loop: Header=BB270_9 Depth=1
	s_or_b64 exec, exec, s[56:57]
	scratch_load_dwordx2 v[48:49], off, s32 offset:200 ; 8-byte Folded Reload
	s_waitcnt vmcnt(0)
	v_lshl_add_u64 v[34:35], v[34:35], 0, v[48:49]
	flat_load_dword v8, v[34:35]
	s_waitcnt vmcnt(0) lgkmcnt(0)
	v_cmp_ne_u16_sdwa s[6:7], v8, v5 src0_sel:BYTE_0 src1_sel:DWORD
	s_and_saveexec_b64 s[56:57], s[6:7]
	s_cbranch_execz .LBB270_711
; %bb.706:                              ;   in Loop: Header=BB270_9 Depth=1
	v_cmp_ne_u16_sdwa s[6:7], v8, s17 src0_sel:BYTE_0 src1_sel:DWORD
	v_mov_b32_e32 v84, 0x8000
	s_and_saveexec_b64 s[58:59], s[6:7]
	s_cbranch_execz .LBB270_710
; %bb.707:                              ;   in Loop: Header=BB270_9 Depth=1
	v_and_b32_e32 v4, 0x7f, v8
	v_cmp_ne_u32_e64 s[6:7], s62, v4
	v_mov_b32_e32 v84, 0x7c01
	s_and_saveexec_b64 s[60:61], s[6:7]
	s_cbranch_execz .LBB270_709
; %bb.708:                              ;   in Loop: Header=BB270_9 Depth=1
	v_and_b32_e32 v48, 7, v8
	v_lshrrev_b32_e32 v49, 3, v4
	v_cmp_gt_u32_e64 s[6:7], 8, v4
	v_ffbh_u32_e32 v4, v48
	v_min_u32_e32 v4, 32, v4
	v_subrev_u32_e32 v34, 28, v4
	v_sub_u32_e32 v4, 29, v4
	v_cndmask_b32_e64 v4, v49, v4, s[6:7]
	v_mov_b32_e32 v49, 0x2000
	v_lshlrev_b64 v[34:35], v34, v[8:9]
	v_lshl_add_u32 v4, v4, 10, v49
	v_lshlrev_b32_e32 v35, 8, v8
	v_and_b32_e32 v34, 7, v34
	v_and_b32_e32 v4, 0xfc00, v4
	v_cndmask_b32_e64 v34, v48, v34, s[6:7]
	v_and_or_b32 v4, v35, s63, v4
	v_lshl_or_b32 v84, v34, 7, v4
.LBB270_709:                            ;   in Loop: Header=BB270_9 Depth=1
	s_or_b64 exec, exec, s[60:61]
.LBB270_710:                            ;   in Loop: Header=BB270_9 Depth=1
	s_or_b64 exec, exec, s[58:59]
.LBB270_711:                            ;   in Loop: Header=BB270_9 Depth=1
	s_or_b64 exec, exec, s[56:57]
	v_lshrrev_b16_e32 v4, 8, v8
	v_cmp_ne_u16_e64 s[6:7], 0, v4
	v_mov_b32_e32 v34, 0
	v_mov_b32_e32 v35, 0
	s_and_saveexec_b64 s[56:57], s[6:7]
	s_cbranch_execz .LBB270_717
; %bb.712:                              ;   in Loop: Header=BB270_9 Depth=1
	v_cmp_ne_u16_e64 s[6:7], s17, v4
	v_bfrev_b32_e32 v35, 1
	s_and_saveexec_b64 s[58:59], s[6:7]
	s_cbranch_execz .LBB270_716
; %bb.713:                              ;   in Loop: Header=BB270_9 Depth=1
	v_and_b32_e32 v48, 0x7f, v4
	v_cmp_ne_u32_e64 s[6:7], s62, v48
	v_mov_b32_e32 v35, 0x7c010000
	s_and_saveexec_b64 s[60:61], s[6:7]
	s_cbranch_execz .LBB270_715
; %bb.714:                              ;   in Loop: Header=BB270_9 Depth=1
	v_and_b32_e32 v35, 7, v4
	v_lshrrev_b32_e32 v85, 3, v48
	v_cmp_gt_u32_e64 s[6:7], 8, v48
	v_ffbh_u32_e32 v48, v35
	v_min_u32_e32 v96, 32, v48
	v_subrev_u32_e32 v48, 28, v96
	v_lshlrev_b64 v[48:49], v48, v[4:5]
	v_sub_u32_e32 v49, 29, v96
	v_cndmask_b32_e64 v49, v85, v49, s[6:7]
	v_mov_b32_e32 v85, 0x2000
	v_lshlrev_b32_e32 v4, 8, v4
	v_lshl_add_u32 v49, v49, 10, v85
	v_and_b32_e32 v48, 7, v48
	v_and_or_b32 v4, v4, s63, v49
	v_cndmask_b32_e64 v35, v35, v48, s[6:7]
	v_lshlrev_b32_e32 v4, 16, v4
	v_lshl_or_b32 v35, v35, 23, v4
.LBB270_715:                            ;   in Loop: Header=BB270_9 Depth=1
	s_or_b64 exec, exec, s[60:61]
.LBB270_716:                            ;   in Loop: Header=BB270_9 Depth=1
	s_or_b64 exec, exec, s[58:59]
.LBB270_717:                            ;   in Loop: Header=BB270_9 Depth=1
	s_or_b64 exec, exec, s[56:57]
	v_lshrrev_b32_e32 v4, 16, v8
	v_cmp_ne_u16_sdwa s[6:7], v4, v5 src0_sel:BYTE_0 src1_sel:DWORD
	s_and_saveexec_b64 s[56:57], s[6:7]
	s_cbranch_execz .LBB270_723
; %bb.718:                              ;   in Loop: Header=BB270_9 Depth=1
	v_cmp_ne_u16_sdwa s[6:7], v4, s17 src0_sel:BYTE_0 src1_sel:DWORD
	v_mov_b32_e32 v34, 0x8000
	s_and_saveexec_b64 s[58:59], s[6:7]
	s_cbranch_execz .LBB270_722
; %bb.719:                              ;   in Loop: Header=BB270_9 Depth=1
	v_bfe_u32 v48, v8, 16, 7
	v_cmp_ne_u32_e64 s[6:7], s62, v48
	v_mov_b32_e32 v34, 0x7c01
	s_and_saveexec_b64 s[60:61], s[6:7]
	s_cbranch_execz .LBB270_721
; %bb.720:                              ;   in Loop: Header=BB270_9 Depth=1
	v_and_b32_e32 v34, 7, v4
	v_lshrrev_b32_e32 v85, 3, v48
	v_cmp_gt_u32_e64 s[6:7], 8, v48
	v_ffbh_u32_e32 v48, v34
	v_min_u32_e32 v96, 32, v48
	v_subrev_u32_e32 v48, 28, v96
	v_lshlrev_b64 v[48:49], v48, v[4:5]
	v_sub_u32_e32 v49, 29, v96
	v_cndmask_b32_e64 v49, v85, v49, s[6:7]
	v_mov_b32_e32 v85, 0x2000
	v_lshl_add_u32 v49, v49, 10, v85
	v_and_b32_e32 v48, 7, v48
	v_lshlrev_b32_e32 v4, 8, v4
	v_cndmask_b32_e64 v34, v34, v48, s[6:7]
	v_and_b32_e32 v48, 0xfc00, v49
	v_and_or_b32 v4, v4, s63, v48
	v_lshl_or_b32 v34, v34, 7, v4
.LBB270_721:                            ;   in Loop: Header=BB270_9 Depth=1
	s_or_b64 exec, exec, s[60:61]
.LBB270_722:                            ;   in Loop: Header=BB270_9 Depth=1
	s_or_b64 exec, exec, s[58:59]
.LBB270_723:                            ;   in Loop: Header=BB270_9 Depth=1
	s_or_b64 exec, exec, s[56:57]
	v_cmp_lt_u32_e64 s[6:7], s72, v8
	v_mov_b32_e32 v96, 0
	v_mov_b32_e32 v85, 0
	s_and_saveexec_b64 s[56:57], s[6:7]
	s_cbranch_execz .LBB270_729
; %bb.724:                              ;   in Loop: Header=BB270_9 Depth=1
	v_lshrrev_b32_e32 v4, 24, v8
	v_cmp_ne_u32_e64 s[6:7], s17, v4
	v_bfrev_b32_e32 v85, 1
	s_and_saveexec_b64 s[58:59], s[6:7]
	s_cbranch_execz .LBB270_728
; %bb.725:                              ;   in Loop: Header=BB270_9 Depth=1
	v_and_b32_e32 v8, 0x7f, v4
	v_cmp_ne_u32_e64 s[6:7], s62, v8
	v_mov_b32_e32 v85, 0x7c010000
	s_and_saveexec_b64 s[60:61], s[6:7]
	s_cbranch_execz .LBB270_727
; %bb.726:                              ;   in Loop: Header=BB270_9 Depth=1
	v_and_b32_e32 v85, 7, v4
	v_lshrrev_b32_e32 v97, 3, v8
	v_cmp_gt_u32_e64 s[6:7], 8, v8
	v_ffbh_u32_e32 v8, v85
	v_min_u32_e32 v8, 32, v8
	v_subrev_u32_e32 v48, 28, v8
	v_lshlrev_b64 v[48:49], v48, v[4:5]
	v_sub_u32_e32 v8, 29, v8
	v_cndmask_b32_e64 v8, v97, v8, s[6:7]
	v_mov_b32_e32 v49, 0x2000
	v_lshlrev_b32_e32 v4, 8, v4
	v_lshl_add_u32 v8, v8, 10, v49
	v_and_b32_e32 v48, 7, v48
	v_and_or_b32 v4, v4, s63, v8
	v_cndmask_b32_e64 v48, v85, v48, s[6:7]
	v_lshlrev_b32_e32 v4, 16, v4
	v_lshl_or_b32 v85, v48, 23, v4
.LBB270_727:                            ;   in Loop: Header=BB270_9 Depth=1
	s_or_b64 exec, exec, s[60:61]
.LBB270_728:                            ;   in Loop: Header=BB270_9 Depth=1
	s_or_b64 exec, exec, s[58:59]
.LBB270_729:                            ;   in Loop: Header=BB270_9 Depth=1
	s_or_b64 exec, exec, s[56:57]
	scratch_load_dwordx2 v[22:23], off, s32 offset:192 ; 8-byte Folded Reload
	v_lshl_add_u64 v[32:33], v[32:33], 0, s[46:47]
	s_waitcnt vmcnt(0)
	v_lshl_add_u64 v[48:49], v[32:33], 0, v[22:23]
	flat_load_dword v8, v[48:49]
	s_waitcnt vmcnt(0) lgkmcnt(0)
	v_cmp_ne_u16_sdwa s[6:7], v8, v5 src0_sel:BYTE_0 src1_sel:DWORD
	s_and_saveexec_b64 s[56:57], s[6:7]
	s_cbranch_execz .LBB270_735
; %bb.730:                              ;   in Loop: Header=BB270_9 Depth=1
	v_cmp_ne_u16_sdwa s[6:7], v8, s17 src0_sel:BYTE_0 src1_sel:DWORD
	v_mov_b32_e32 v96, 0x8000
	s_and_saveexec_b64 s[58:59], s[6:7]
	s_cbranch_execz .LBB270_734
; %bb.731:                              ;   in Loop: Header=BB270_9 Depth=1
	v_and_b32_e32 v4, 0x7f, v8
	v_cmp_ne_u32_e64 s[6:7], s62, v4
	v_mov_b32_e32 v96, 0x7c01
	s_and_saveexec_b64 s[60:61], s[6:7]
	s_cbranch_execz .LBB270_733
; %bb.732:                              ;   in Loop: Header=BB270_9 Depth=1
	v_and_b32_e32 v96, 7, v8
	v_lshrrev_b32_e32 v97, 3, v4
	v_cmp_gt_u32_e64 s[6:7], 8, v4
	v_ffbh_u32_e32 v4, v96
	v_min_u32_e32 v4, 32, v4
	v_subrev_u32_e32 v48, 28, v4
	v_sub_u32_e32 v4, 29, v4
	v_cndmask_b32_e64 v4, v97, v4, s[6:7]
	v_mov_b32_e32 v97, 0x2000
	v_lshlrev_b64 v[48:49], v48, v[8:9]
	v_lshl_add_u32 v4, v4, 10, v97
	v_lshlrev_b32_e32 v49, 8, v8
	v_and_b32_e32 v48, 7, v48
	v_and_b32_e32 v4, 0xfc00, v4
	v_cndmask_b32_e64 v48, v96, v48, s[6:7]
	v_and_or_b32 v4, v49, s63, v4
	v_lshl_or_b32 v96, v48, 7, v4
.LBB270_733:                            ;   in Loop: Header=BB270_9 Depth=1
	s_or_b64 exec, exec, s[60:61]
.LBB270_734:                            ;   in Loop: Header=BB270_9 Depth=1
	s_or_b64 exec, exec, s[58:59]
.LBB270_735:                            ;   in Loop: Header=BB270_9 Depth=1
	s_or_b64 exec, exec, s[56:57]
	v_lshrrev_b16_e32 v4, 8, v8
	v_cmp_ne_u16_e64 s[6:7], 0, v4
	v_mov_b32_e32 v97, 0
	v_mov_b32_e32 v114, 0
	s_and_saveexec_b64 s[56:57], s[6:7]
	s_cbranch_execz .LBB270_741
; %bb.736:                              ;   in Loop: Header=BB270_9 Depth=1
	v_cmp_ne_u16_e64 s[6:7], s17, v4
	v_bfrev_b32_e32 v114, 1
	s_and_saveexec_b64 s[58:59], s[6:7]
	s_cbranch_execz .LBB270_740
; %bb.737:                              ;   in Loop: Header=BB270_9 Depth=1
	v_and_b32_e32 v48, 0x7f, v4
	v_cmp_ne_u32_e64 s[6:7], s62, v48
	v_mov_b32_e32 v114, 0x7c010000
	s_and_saveexec_b64 s[60:61], s[6:7]
	s_cbranch_execz .LBB270_739
; %bb.738:                              ;   in Loop: Header=BB270_9 Depth=1
	v_and_b32_e32 v101, 7, v4
	v_lshrrev_b32_e32 v114, 3, v48
	v_cmp_gt_u32_e64 s[6:7], 8, v48
	v_ffbh_u32_e32 v48, v101
	v_min_u32_e32 v118, 32, v48
	v_subrev_u32_e32 v48, 28, v118
	v_lshlrev_b64 v[48:49], v48, v[4:5]
	v_sub_u32_e32 v49, 29, v118
	v_cndmask_b32_e64 v49, v114, v49, s[6:7]
	v_mov_b32_e32 v114, 0x2000
	v_lshlrev_b32_e32 v4, 8, v4
	v_lshl_add_u32 v49, v49, 10, v114
	v_and_b32_e32 v48, 7, v48
	v_and_or_b32 v4, v4, s63, v49
	v_cndmask_b32_e64 v48, v101, v48, s[6:7]
	v_lshlrev_b32_e32 v4, 16, v4
	v_lshl_or_b32 v114, v48, 23, v4
.LBB270_739:                            ;   in Loop: Header=BB270_9 Depth=1
	s_or_b64 exec, exec, s[60:61]
.LBB270_740:                            ;   in Loop: Header=BB270_9 Depth=1
	s_or_b64 exec, exec, s[58:59]
.LBB270_741:                            ;   in Loop: Header=BB270_9 Depth=1
	s_or_b64 exec, exec, s[56:57]
	v_lshrrev_b32_e32 v4, 16, v8
	v_cmp_ne_u16_sdwa s[6:7], v4, v5 src0_sel:BYTE_0 src1_sel:DWORD
	s_and_saveexec_b64 s[56:57], s[6:7]
	s_cbranch_execz .LBB270_747
; %bb.742:                              ;   in Loop: Header=BB270_9 Depth=1
	v_cmp_ne_u16_sdwa s[6:7], v4, s17 src0_sel:BYTE_0 src1_sel:DWORD
	v_mov_b32_e32 v97, 0x8000
	s_and_saveexec_b64 s[58:59], s[6:7]
	s_cbranch_execz .LBB270_746
; %bb.743:                              ;   in Loop: Header=BB270_9 Depth=1
	v_bfe_u32 v48, v8, 16, 7
	v_cmp_ne_u32_e64 s[6:7], s62, v48
	v_mov_b32_e32 v97, 0x7c01
	s_and_saveexec_b64 s[60:61], s[6:7]
	s_cbranch_execz .LBB270_745
; %bb.744:                              ;   in Loop: Header=BB270_9 Depth=1
	v_and_b32_e32 v97, 7, v4
	v_lshrrev_b32_e32 v101, 3, v48
	v_cmp_gt_u32_e64 s[6:7], 8, v48
	v_ffbh_u32_e32 v48, v97
	v_min_u32_e32 v118, 32, v48
	v_subrev_u32_e32 v48, 28, v118
	v_lshlrev_b64 v[48:49], v48, v[4:5]
	v_sub_u32_e32 v49, 29, v118
	v_cndmask_b32_e64 v49, v101, v49, s[6:7]
	v_mov_b32_e32 v101, 0x2000
	v_lshl_add_u32 v49, v49, 10, v101
	v_lshlrev_b32_e32 v4, 8, v4
	v_and_b32_e32 v48, 7, v48
	v_and_b32_e32 v49, 0xfc00, v49
	v_cndmask_b32_e64 v48, v97, v48, s[6:7]
	v_and_or_b32 v4, v4, s63, v49
	v_lshl_or_b32 v97, v48, 7, v4
.LBB270_745:                            ;   in Loop: Header=BB270_9 Depth=1
	s_or_b64 exec, exec, s[60:61]
.LBB270_746:                            ;   in Loop: Header=BB270_9 Depth=1
	s_or_b64 exec, exec, s[58:59]
.LBB270_747:                            ;   in Loop: Header=BB270_9 Depth=1
	s_or_b64 exec, exec, s[56:57]
	v_cmp_lt_u32_e64 s[6:7], s72, v8
	v_mov_b32_e32 v101, 0
	v_mov_b32_e32 v110, 0
	s_and_saveexec_b64 s[56:57], s[6:7]
	s_cbranch_execz .LBB270_753
; %bb.748:                              ;   in Loop: Header=BB270_9 Depth=1
	v_lshrrev_b32_e32 v4, 24, v8
	v_cmp_ne_u32_e64 s[6:7], s17, v4
	v_bfrev_b32_e32 v110, 1
	s_and_saveexec_b64 s[58:59], s[6:7]
	s_cbranch_execz .LBB270_752
; %bb.749:                              ;   in Loop: Header=BB270_9 Depth=1
	v_and_b32_e32 v8, 0x7f, v4
	v_cmp_ne_u32_e64 s[6:7], s62, v8
	v_mov_b32_e32 v110, 0x7c010000
	s_and_saveexec_b64 s[60:61], s[6:7]
	s_cbranch_execz .LBB270_751
; %bb.750:                              ;   in Loop: Header=BB270_9 Depth=1
	v_and_b32_e32 v118, 7, v4
	v_lshrrev_b32_e32 v110, 3, v8
	v_cmp_gt_u32_e64 s[6:7], 8, v8
	v_ffbh_u32_e32 v8, v118
	v_min_u32_e32 v8, 32, v8
	v_subrev_u32_e32 v48, 28, v8
	v_lshlrev_b64 v[48:49], v48, v[4:5]
	v_sub_u32_e32 v8, 29, v8
	v_cndmask_b32_e64 v8, v110, v8, s[6:7]
	v_mov_b32_e32 v49, 0x2000
	v_lshlrev_b32_e32 v4, 8, v4
	v_lshl_add_u32 v8, v8, 10, v49
	v_and_b32_e32 v48, 7, v48
	v_and_or_b32 v4, v4, s63, v8
	v_cndmask_b32_e64 v48, v118, v48, s[6:7]
	v_lshlrev_b32_e32 v4, 16, v4
	v_lshl_or_b32 v110, v48, 23, v4
.LBB270_751:                            ;   in Loop: Header=BB270_9 Depth=1
	s_or_b64 exec, exec, s[60:61]
.LBB270_752:                            ;   in Loop: Header=BB270_9 Depth=1
	s_or_b64 exec, exec, s[58:59]
.LBB270_753:                            ;   in Loop: Header=BB270_9 Depth=1
	s_or_b64 exec, exec, s[56:57]
	scratch_load_dwordx2 v[48:49], off, s32 offset:200 ; 8-byte Folded Reload
	s_waitcnt vmcnt(0)
	v_lshl_add_u64 v[32:33], v[32:33], 0, v[48:49]
	flat_load_dword v8, v[32:33]
	s_waitcnt vmcnt(0) lgkmcnt(0)
	v_cmp_ne_u16_sdwa s[6:7], v8, v5 src0_sel:BYTE_0 src1_sel:DWORD
	s_and_saveexec_b64 s[56:57], s[6:7]
	s_cbranch_execz .LBB270_759
; %bb.754:                              ;   in Loop: Header=BB270_9 Depth=1
	v_cmp_ne_u16_sdwa s[6:7], v8, s17 src0_sel:BYTE_0 src1_sel:DWORD
	v_mov_b32_e32 v101, 0x8000
	s_and_saveexec_b64 s[58:59], s[6:7]
	s_cbranch_execz .LBB270_758
; %bb.755:                              ;   in Loop: Header=BB270_9 Depth=1
	v_and_b32_e32 v4, 0x7f, v8
	v_cmp_ne_u32_e64 s[6:7], s62, v4
	v_mov_b32_e32 v101, 0x7c01
	s_and_saveexec_b64 s[60:61], s[6:7]
	s_cbranch_execz .LBB270_757
; %bb.756:                              ;   in Loop: Header=BB270_9 Depth=1
	v_and_b32_e32 v48, 7, v8
	v_lshrrev_b32_e32 v49, 3, v4
	v_cmp_gt_u32_e64 s[6:7], 8, v4
	v_ffbh_u32_e32 v4, v48
	v_min_u32_e32 v4, 32, v4
	v_subrev_u32_e32 v32, 28, v4
	v_sub_u32_e32 v4, 29, v4
	v_cndmask_b32_e64 v4, v49, v4, s[6:7]
	v_mov_b32_e32 v49, 0x2000
	v_lshlrev_b64 v[32:33], v32, v[8:9]
	v_lshl_add_u32 v4, v4, 10, v49
	v_lshlrev_b32_e32 v33, 8, v8
	v_and_b32_e32 v32, 7, v32
	v_and_b32_e32 v4, 0xfc00, v4
	v_cndmask_b32_e64 v32, v48, v32, s[6:7]
	v_and_or_b32 v4, v33, s63, v4
	v_lshl_or_b32 v101, v32, 7, v4
.LBB270_757:                            ;   in Loop: Header=BB270_9 Depth=1
	s_or_b64 exec, exec, s[60:61]
.LBB270_758:                            ;   in Loop: Header=BB270_9 Depth=1
	s_or_b64 exec, exec, s[58:59]
.LBB270_759:                            ;   in Loop: Header=BB270_9 Depth=1
	s_or_b64 exec, exec, s[56:57]
	v_lshrrev_b16_e32 v4, 8, v8
	v_cmp_ne_u16_e64 s[6:7], 0, v4
	v_mov_b32_e32 v49, 0
	v_mov_b32_e32 v118, 0
	s_and_saveexec_b64 s[56:57], s[6:7]
	s_cbranch_execz .LBB270_765
; %bb.760:                              ;   in Loop: Header=BB270_9 Depth=1
	v_cmp_ne_u16_e64 s[6:7], s17, v4
	v_bfrev_b32_e32 v118, 1
	s_and_saveexec_b64 s[58:59], s[6:7]
	s_cbranch_execz .LBB270_764
; %bb.761:                              ;   in Loop: Header=BB270_9 Depth=1
	v_and_b32_e32 v32, 0x7f, v4
	v_cmp_ne_u32_e64 s[6:7], s62, v32
	v_mov_b32_e32 v118, 0x7c010000
	s_and_saveexec_b64 s[60:61], s[6:7]
	s_cbranch_execz .LBB270_763
; %bb.762:                              ;   in Loop: Header=BB270_9 Depth=1
	v_and_b32_e32 v48, 7, v4
	v_lshrrev_b32_e32 v118, 3, v32
	v_cmp_gt_u32_e64 s[6:7], 8, v32
	v_ffbh_u32_e32 v32, v48
	v_mov_b32_e32 v22, v120
	v_min_u32_e32 v120, 32, v32
	v_subrev_u32_e32 v32, 28, v120
	v_lshlrev_b64 v[32:33], v32, v[4:5]
	v_sub_u32_e32 v33, 29, v120
	v_cndmask_b32_e64 v33, v118, v33, s[6:7]
	v_mov_b32_e32 v118, 0x2000
	v_lshlrev_b32_e32 v4, 8, v4
	v_lshl_add_u32 v33, v33, 10, v118
	v_and_b32_e32 v32, 7, v32
	v_and_or_b32 v4, v4, s63, v33
	v_cndmask_b32_e64 v32, v48, v32, s[6:7]
	v_lshlrev_b32_e32 v4, 16, v4
	v_mov_b32_e32 v120, v22
	v_lshl_or_b32 v118, v32, 23, v4
.LBB270_763:                            ;   in Loop: Header=BB270_9 Depth=1
	s_or_b64 exec, exec, s[60:61]
.LBB270_764:                            ;   in Loop: Header=BB270_9 Depth=1
	s_or_b64 exec, exec, s[58:59]
.LBB270_765:                            ;   in Loop: Header=BB270_9 Depth=1
	s_or_b64 exec, exec, s[56:57]
	v_lshrrev_b32_e32 v4, 16, v8
	v_cmp_ne_u16_sdwa s[6:7], v4, v5 src0_sel:BYTE_0 src1_sel:DWORD
	s_and_saveexec_b64 s[56:57], s[6:7]
	s_cbranch_execz .LBB270_771
; %bb.766:                              ;   in Loop: Header=BB270_9 Depth=1
	v_cmp_ne_u16_sdwa s[6:7], v4, s17 src0_sel:BYTE_0 src1_sel:DWORD
	v_mov_b32_e32 v49, 0x8000
	s_and_saveexec_b64 s[58:59], s[6:7]
	s_cbranch_execz .LBB270_770
; %bb.767:                              ;   in Loop: Header=BB270_9 Depth=1
	v_bfe_u32 v32, v8, 16, 7
	v_cmp_ne_u32_e64 s[6:7], s62, v32
	v_mov_b32_e32 v49, 0x7c01
	s_and_saveexec_b64 s[60:61], s[6:7]
	s_cbranch_execz .LBB270_769
; %bb.768:                              ;   in Loop: Header=BB270_9 Depth=1
	v_and_b32_e32 v48, 7, v4
	v_lshrrev_b32_e32 v49, 3, v32
	v_cmp_gt_u32_e64 s[6:7], 8, v32
	v_ffbh_u32_e32 v32, v48
	v_mov_b32_e32 v22, v120
	v_min_u32_e32 v120, 32, v32
	v_subrev_u32_e32 v32, 28, v120
	v_lshlrev_b64 v[32:33], v32, v[4:5]
	v_sub_u32_e32 v33, 29, v120
	v_cndmask_b32_e64 v33, v49, v33, s[6:7]
	v_mov_b32_e32 v49, 0x2000
	v_lshl_add_u32 v33, v33, 10, v49
	v_lshlrev_b32_e32 v4, 8, v4
	v_and_b32_e32 v32, 7, v32
	v_and_b32_e32 v33, 0xfc00, v33
	v_cndmask_b32_e64 v32, v48, v32, s[6:7]
	v_and_or_b32 v4, v4, s63, v33
	v_mov_b32_e32 v120, v22
	v_lshl_or_b32 v49, v32, 7, v4
.LBB270_769:                            ;   in Loop: Header=BB270_9 Depth=1
	s_or_b64 exec, exec, s[60:61]
.LBB270_770:                            ;   in Loop: Header=BB270_9 Depth=1
	s_or_b64 exec, exec, s[58:59]
.LBB270_771:                            ;   in Loop: Header=BB270_9 Depth=1
	s_or_b64 exec, exec, s[56:57]
	v_mov_b32_e32 v22, v120
	v_mov_b32_e32 v23, v124
	v_cmp_lt_u32_e64 s[6:7], s72, v8
	v_mov_b32_e32 v48, 0
	s_and_saveexec_b64 s[56:57], s[6:7]
	s_cbranch_execz .LBB270_777
; %bb.772:                              ;   in Loop: Header=BB270_9 Depth=1
	v_lshrrev_b32_e32 v4, 24, v8
	v_cmp_ne_u32_e64 s[6:7], s17, v4
	v_bfrev_b32_e32 v48, 1
	s_and_saveexec_b64 s[58:59], s[6:7]
	s_cbranch_execz .LBB270_776
; %bb.773:                              ;   in Loop: Header=BB270_9 Depth=1
	v_and_b32_e32 v8, 0x7f, v4
	v_cmp_ne_u32_e64 s[6:7], s62, v8
	v_mov_b32_e32 v48, 0x7c010000
	s_and_saveexec_b64 s[60:61], s[6:7]
	s_cbranch_execz .LBB270_775
; %bb.774:                              ;   in Loop: Header=BB270_9 Depth=1
	v_and_b32_e32 v48, 7, v4
	v_lshrrev_b32_e32 v120, 3, v8
	v_cmp_gt_u32_e64 s[6:7], 8, v8
	v_ffbh_u32_e32 v8, v48
	v_min_u32_e32 v8, 32, v8
	v_subrev_u32_e32 v32, 28, v8
	v_lshlrev_b64 v[32:33], v32, v[4:5]
	v_sub_u32_e32 v8, 29, v8
	v_cndmask_b32_e64 v8, v120, v8, s[6:7]
	v_mov_b32_e32 v33, 0x2000
	v_lshlrev_b32_e32 v4, 8, v4
	v_lshl_add_u32 v8, v8, 10, v33
	v_and_b32_e32 v32, 7, v32
	v_and_or_b32 v4, v4, s63, v8
	v_cndmask_b32_e64 v32, v48, v32, s[6:7]
	v_lshlrev_b32_e32 v4, 16, v4
	v_lshl_or_b32 v48, v32, 23, v4
.LBB270_775:                            ;   in Loop: Header=BB270_9 Depth=1
	s_or_b64 exec, exec, s[60:61]
.LBB270_776:                            ;   in Loop: Header=BB270_9 Depth=1
	s_or_b64 exec, exec, s[58:59]
.LBB270_777:                            ;   in Loop: Header=BB270_9 Depth=1
	s_or_b64 exec, exec, s[56:57]
	v_or_b32_e32 v4, v114, v96
	v_fma_mixlo_f16 v4, v50, v4, 0 op_sel_hi:[0,1,0]
	scratch_store_dword off, v4, s32 offset:288 ; 4-byte Folded Spill
	v_or_b32_e32 v4, v110, v97
	v_fma_mixlo_f16 v4, v50, v4, 0 op_sel_hi:[0,1,0]
	scratch_store_dword off, v4, s32 offset:280 ; 4-byte Folded Spill
	v_fma_mixlo_f16 v4, v50, v110, 0 op_sel:[0,1,0] op_sel_hi:[0,1,0]
	scratch_store_dword off, v4, s32 offset:276 ; 4-byte Folded Spill
	v_or_b32_e32 v4, v35, v84
	v_or_b32_e32 v0, v11, v0
	v_fma_mixlo_f16 v4, v50, v4, 0 op_sel_hi:[0,1,0]
	v_fma_mixlo_f16 v0, v50, v0, 0 op_sel_hi:[0,1,0]
	scratch_store_dword off, v4, s32 offset:304 ; 4-byte Folded Spill
	v_or_b32_e32 v4, v85, v34
	scratch_store_dword off, v0, s32 offset:336 ; 4-byte Folded Spill
	v_or_b32_e32 v0, v14, v1
	v_fma_mixlo_f16 v4, v50, v4, 0 op_sel_hi:[0,1,0]
	v_fma_mixlo_f16 v0, v50, v0, 0 op_sel_hi:[0,1,0]
	scratch_store_dword off, v4, s32 offset:296 ; 4-byte Folded Spill
	v_fma_mixlo_f16 v4, v50, v85, 0 op_sel:[0,1,0] op_sel_hi:[0,1,0]
	scratch_store_dword off, v0, s32 offset:328 ; 4-byte Folded Spill
	v_fma_mixlo_f16 v0, v50, v14, 0 op_sel:[0,1,0] op_sel_hi:[0,1,0]
	scratch_store_dword off, v4, s32 offset:292 ; 4-byte Folded Spill
	v_or_b32_e32 v4, v64, v16
	scratch_store_dword off, v0, s32 offset:324 ; 4-byte Folded Spill
	v_or_b32_e32 v0, v3, v2
	v_fma_mixlo_f16 v4, v50, v4, 0 op_sel_hi:[0,1,0]
	v_fma_mixlo_f16 v16, v50, v0, 0 op_sel_hi:[0,1,0]
	v_or_b32_e32 v0, v36, v10
	scratch_store_dword off, v4, s32 offset:320 ; 4-byte Folded Spill
	v_or_b32_e32 v4, v82, v53
	v_fma_mixlo_f16 v0, v50, v0, 0 op_sel_hi:[0,1,0]
	v_fma_mixlo_f16 v4, v50, v4, 0 op_sel_hi:[0,1,0]
	scratch_store_dword off, v0, s32 offset:344 ; 4-byte Folded Spill
	v_fma_mixlo_f16 v0, v50, v36, 0 op_sel:[0,1,0] op_sel_hi:[0,1,0]
	v_fma_mixlo_f16 v8, v50, v114, 0 op_sel:[0,1,0] op_sel_hi:[0,1,0]
	scratch_store_dword off, v4, s32 offset:312 ; 4-byte Folded Spill
	v_fma_mixlo_f16 v4, v50, v82, 0 op_sel:[0,1,0] op_sel_hi:[0,1,0]
	scratch_store_dword off, v0, s32 offset:340 ; 4-byte Folded Spill
	v_or_b32_e32 v0, v9, v7
	scratch_store_dword off, v8, s32 offset:284 ; 4-byte Folded Spill
	v_fma_mixlo_f16 v8, v50, v35, 0 op_sel:[0,1,0] op_sel_hi:[0,1,0]
	scratch_store_dword off, v4, s32 offset:308 ; 4-byte Folded Spill
	v_fma_mixlo_f16 v4, v50, v11, 0 op_sel:[0,1,0] op_sel_hi:[0,1,0]
	v_fma_mixlo_f16 v11, v50, v0, 0 op_sel_hi:[0,1,0]
	v_or_b32_e32 v0, v39, v25
	scratch_store_dword off, v8, s32 offset:300 ; 4-byte Folded Spill
	v_fma_mixlo_f16 v8, v50, v64, 0 op_sel:[0,1,0] op_sel_hi:[0,1,0]
	v_fma_mixlo_f16 v64, v50, v0, 0 op_sel_hi:[0,1,0]
	v_or_b32_e32 v0, v21, v17
	v_fma_mixlo_f16 v17, v50, v21, 0 op_sel:[0,1,0] op_sel_hi:[0,1,0]
	v_fma_mixlo_f16 v21, v50, v0, 0 op_sel_hi:[0,1,0]
	v_or_b32_e32 v0, v67, v24
	v_fma_mixlo_f16 v25, v50, v0, 0 op_sel_hi:[0,1,0]
	v_or_b32_e32 v0, v55, v13
	v_fma_mixlo_f16 v24, v50, v67, 0 op_sel:[0,1,0] op_sel_hi:[0,1,0]
	v_fma_mixlo_f16 v67, v50, v0, 0 op_sel_hi:[0,1,0]
	v_or_b32_e32 v0, v81, v20
	v_fma_mixlo_f16 v13, v50, v0, 0 op_sel_hi:[0,1,0]
	v_or_b32_e32 v0, v71, v66
	;; [unrolled: 2-line block ×4, first 2 shown]
	v_fma_mixlo_f16 v66, v50, v98, 0 op_sel:[0,1,0] op_sel_hi:[0,1,0]
	v_fma_mixlo_f16 v98, v50, v0, 0 op_sel_hi:[0,1,0]
	v_or_b32_e32 v0, v103, v86
	v_fma_mixlo_f16 v86, v50, v0, 0 op_sel_hi:[0,1,0]
	v_or_b32_e32 v0, v102, v52
	;; [unrolled: 2-line block ×3, first 2 shown]
	v_fma_mixlo_f16 v83, v50, v103, 0 op_sel:[0,1,0] op_sel_hi:[0,1,0]
	v_fma_mixlo_f16 v103, v50, v102, 0 op_sel:[0,1,0] op_sel_hi:[0,1,0]
	v_fma_mixlo_f16 v102, v50, v0, 0 op_sel_hi:[0,1,0]
	v_or_b32_e32 v0, v18, v6
	v_fma_mixlo_f16 v35, v50, v0, 0 op_sel_hi:[0,1,0]
	v_or_b32_e32 v0, v51, v65
	v_fma_mixlo_f16 v99, v50, v115, 0 op_sel:[0,1,0] op_sel_hi:[0,1,0]
	v_fma_mixlo_f16 v115, v50, v18, 0 op_sel:[0,1,0] op_sel_hi:[0,1,0]
	v_fma_mixlo_f16 v18, v50, v0, 0 op_sel_hi:[0,1,0]
	v_or_b32_e32 v0, v19, v111
	v_fma_mixlo_f16 v111, v50, v0, 0 op_sel_hi:[0,1,0]
	v_or_b32_e32 v0, v15, v127
	v_fma_mixlo_f16 v65, v50, v19, 0 op_sel:[0,1,0] op_sel_hi:[0,1,0]
	v_fma_mixlo_f16 v19, v50, v0, 0 op_sel_hi:[0,1,0]
	v_or_b32_e32 v0, v108, v90
	v_fma_mixlo_f16 v127, v50, v0, 0 op_sel_hi:[0,1,0]
	v_or_b32_e32 v0, v109, v91
	v_fma_mixlo_f16 v36, v50, v9, 0 op_sel:[0,1,0] op_sel_hi:[0,1,0]
	v_fma_mixlo_f16 v9, v50, v0, 0 op_sel_hi:[0,1,0]
	v_or_b32_e32 v0, v104, v26
	v_fma_mixlo_f16 v91, v50, v109, 0 op_sel:[0,1,0] op_sel_hi:[0,1,0]
	v_fma_mixlo_f16 v109, v50, v0, 0 op_sel_hi:[0,1,0]
	v_or_b32_e32 v0, v105, v27
	scratch_store_dword off, v8, s32 offset:316 ; 4-byte Folded Spill
	v_fma_mixlo_f16 v8, v50, v0, 0 op_sel_hi:[0,1,0]
	v_or_b32_e32 v0, v92, v28
	v_fma_mixlo_f16 v27, v50, v105, 0 op_sel:[0,1,0] op_sel_hi:[0,1,0]
	v_fma_mixlo_f16 v105, v50, v0, 0 op_sel_hi:[0,1,0]
	v_or_b32_e32 v0, v93, v29
	v_fma_mixlo_f16 v6, v50, v0, 0 op_sel_hi:[0,1,0]
	v_or_b32_e32 v0, v88, v106
	v_fma_mixlo_f16 v7, v50, v93, 0 op_sel:[0,1,0] op_sel_hi:[0,1,0]
	v_fma_mixlo_f16 v93, v50, v0, 0 op_sel_hi:[0,1,0]
	v_or_b32_e32 v0, v89, v107
	scratch_store_dword off, v4, s32 offset:332 ; 4-byte Folded Spill
	v_fma_mixlo_f16 v4, v50, v0, 0 op_sel_hi:[0,1,0]
	v_or_b32_e32 v0, v76, v74
	v_fma_mixlo_f16 v107, v50, v89, 0 op_sel:[0,1,0] op_sel_hi:[0,1,0]
	v_fma_mixlo_f16 v89, v50, v0, 0 op_sel_hi:[0,1,0]
	v_or_b32_e32 v0, v77, v75
	v_fma_mixlo_f16 v75, v50, v0, 0 op_sel_hi:[0,1,0]
	v_or_b32_e32 v0, v72, v12
	v_fma_mixlo_f16 v74, v50, v77, 0 op_sel:[0,1,0] op_sel_hi:[0,1,0]
	v_fma_mixlo_f16 v77, v50, v0, 0 op_sel_hi:[0,1,0]
	v_or_b32_e32 v0, v73, v63
	v_fma_mixlo_f16 v34, v50, v3, 0 op_sel:[0,1,0] op_sel_hi:[0,1,0]
	v_fma_mixlo_f16 v3, v50, v0, 0 op_sel_hi:[0,1,0]
	v_or_b32_e32 v0, v60, v58
	v_fma_mixlo_f16 v63, v50, v73, 0 op_sel:[0,1,0] op_sel_hi:[0,1,0]
	v_fma_mixlo_f16 v73, v50, v0, 0 op_sel_hi:[0,1,0]
	v_or_b32_e32 v0, v61, v59
	v_fma_mixlo_f16 v59, v50, v0, 0 op_sel_hi:[0,1,0]
	v_or_b32_e32 v0, v56, v46
	v_fma_mixlo_f16 v58, v50, v61, 0 op_sel:[0,1,0] op_sel_hi:[0,1,0]
	v_fma_mixlo_f16 v61, v50, v0, 0 op_sel_hi:[0,1,0]
	v_or_b32_e32 v0, v57, v47
	v_fma_mixlo_f16 v47, v50, v0, 0 op_sel_hi:[0,1,0]
	v_or_b32_e32 v0, v44, v42
	v_fma_mixlo_f16 v46, v50, v57, 0 op_sel:[0,1,0] op_sel_hi:[0,1,0]
	v_fma_mixlo_f16 v57, v50, v0, 0 op_sel_hi:[0,1,0]
	v_or_b32_e32 v0, v45, v43
	v_fma_mixlo_f16 v43, v50, v0, 0 op_sel_hi:[0,1,0]
	scratch_load_dword v0, off, s32 offset:244 ; 4-byte Folded Reload
	v_fma_mixlo_f16 v20, v50, v81, 0 op_sel:[0,1,0] op_sel_hi:[0,1,0]
	v_fma_mixlo_f16 v42, v50, v45, 0 op_sel:[0,1,0] op_sel_hi:[0,1,0]
	;; [unrolled: 1-line block ×9, first 2 shown]
	v_or_b32_e32 v96, v122, v95
	v_or_b32_e32 v101, v118, v101
	;; [unrolled: 1-line block ×3, first 2 shown]
	v_fma_mixlo_f16 v55, v50, v55, 0 op_sel:[0,1,0] op_sel_hi:[0,1,0]
	v_fma_mixlo_f16 v71, v50, v71, 0 op_sel:[0,1,0] op_sel_hi:[0,1,0]
	;; [unrolled: 1-line block ×16, first 2 shown]
	v_fma_mixlo_f16 v97, v50, v96, 0 op_sel_hi:[0,1,0]
	v_fma_mixlo_f16 v96, v50, v122, 0 op_sel:[0,1,0] op_sel_hi:[0,1,0]
	v_fma_mixlo_f16 v101, v50, v101, 0 op_sel_hi:[0,1,0]
	s_waitcnt vmcnt(0)
	v_or_b32_e32 v0, v40, v0
	v_fma_mixlo_f16 v81, v50, v0, 0 op_sel_hi:[0,1,0]
	v_or_b32_e32 v0, v41, v119
	v_fma_mixlo_f16 v40, v50, v0, 0 op_sel_hi:[0,1,0]
	scratch_load_dword v0, off, s32 offset:236 ; 4-byte Folded Reload
	v_fma_mixlo_f16 v119, v50, v41, 0 op_sel:[0,1,0] op_sel_hi:[0,1,0]
	s_waitcnt vmcnt(0)
	v_or_b32_e32 v0, v116, v0
	v_fma_mixlo_f16 v85, v50, v0, 0 op_sel_hi:[0,1,0]
	scratch_load_dword v0, off, s32 offset:240 ; 4-byte Folded Reload
	v_fma_mixlo_f16 v116, v50, v117, 0 op_sel:[0,1,0] op_sel_hi:[0,1,0]
	s_waitcnt vmcnt(0)
	v_or_b32_e32 v0, v117, v0
	v_fma_mixlo_f16 v41, v50, v0, 0 op_sel_hi:[0,1,0]
	scratch_load_dword v0, off, s32 offset:228 ; 4-byte Folded Reload
	s_waitcnt vmcnt(0)
	v_or_b32_e32 v0, v112, v0
	v_fma_mixlo_f16 v52, v50, v0, 0 op_sel_hi:[0,1,0]
	scratch_load_dword v0, off, s32 offset:232 ; 4-byte Folded Reload
	v_fma_mixlo_f16 v112, v50, v113, 0 op_sel:[0,1,0] op_sel_hi:[0,1,0]
	s_waitcnt vmcnt(0)
	v_or_b32_e32 v0, v113, v0
	v_fma_mixlo_f16 v117, v50, v0, 0 op_sel_hi:[0,1,0]
	scratch_load_dword v0, off, s32 offset:220 ; 4-byte Folded Reload
	;; [unrolled: 9-line block ×3, first 2 shown]
	v_or_b32_e32 v31, v69, v126
	v_fma_mixlo_f16 v33, v50, v31, 0 op_sel_hi:[0,1,0]
	v_or_b32_e32 v31, v78, v123
	v_fma_mixlo_f16 v69, v50, v23, 0 op_sel:[0,1,0] op_sel_hi:[0,1,0]
	s_waitcnt vmcnt(0)
	v_or_b32_e32 v0, v30, v0
	v_fma_mixlo_f16 v106, v50, v0, 0 op_sel_hi:[0,1,0]
	scratch_load_dword v0, off, s32 offset:216 ; 4-byte Folded Reload
	v_or_b32_e32 v30, v80, v125
	v_fma_mixlo_f16 v30, v50, v30, 0 op_sel_hi:[0,1,0]
	s_waitcnt vmcnt(0)
	v_or_b32_e32 v0, v38, v0
	v_fma_mixlo_f16 v120, v50, v0, 0 op_sel_hi:[0,1,0]
	v_or_b32_e32 v0, v54, v22
	v_fma_mixlo_f16 v12, v50, v0, 0 op_sel_hi:[0,1,0]
	scratch_load_dword v0, off, s32 offset:208 ; 4-byte Folded Reload
	v_fma_mixlo_f16 v22, v50, v68, 0 op_sel:[0,1,0] op_sel_hi:[0,1,0]
	v_fma_mixlo_f16 v54, v50, v78, 0 op_sel:[0,1,0] op_sel_hi:[0,1,0]
	;; [unrolled: 1-line block ×4, first 2 shown]
	v_and_b32_e32 v54, 0xffff, v54
	s_waitcnt vmcnt(0)
	v_or_b32_e32 v0, v68, v0
	v_fma_mixlo_f16 v68, v50, v31, 0 op_sel_hi:[0,1,0]
	v_or_b32_e32 v31, v23, v79
	v_fma_mixlo_f16 v124, v50, v0, 0 op_sel_hi:[0,1,0]
	v_fma_mixlo_f16 v0, v50, v80, 0 op_sel:[0,1,0] op_sel_hi:[0,1,0]
	v_fma_mixlo_f16 v80, v50, v31, 0 op_sel_hi:[0,1,0]
	v_or_b32_e32 v31, v121, v94
	v_fma_mixlo_f16 v31, v50, v31, 0 op_sel_hi:[0,1,0]
	v_fma_mixlo_f16 v23, v50, v49, 0 op_sel_hi:[0,1,0]
	v_fma_mixlo_f16 v50, v50, v48, 0 op_sel:[0,1,0] op_sel_hi:[0,1,0]
	ds_read_b64 v[48:49], v37
	v_and_b32_e32 v68, 0xffff, v68
	v_and_b32_e32 v0, 0xffff, v0
	s_waitcnt lgkmcnt(0)
	v_lshrrev_b32_e32 v26, 16, v48
	v_and_b32_e32 v28, 0xffff, v48
	;;#ASMSTART
	v_cvt_f32_f16 v118, v28;
	;;#ASMEND
	;;#ASMSTART
	v_cvt_f32_f16 v28, v26;
	;;#ASMEND
	v_and_b32_e32 v26, 0xffff, v31
	;;#ASMSTART
	v_cvt_f32_f16 v29, v26;
	;;#ASMEND
	v_and_b32_e32 v26, 0xffff, v38
	;;#ASMSTART
	v_cvt_f32_f16 v31, v26;
	;;#ASMEND
	v_lshrrev_b32_e32 v26, 16, v49
	v_and_b32_e32 v38, 0xffff, v49
	v_and_b32_e32 v48, 0xffff, v97
	;;#ASMSTART
	v_cvt_f32_f16 v38, v38;
	;;#ASMEND
	;;#ASMSTART
	v_cvt_f32_f16 v26, v26;
	;;#ASMEND
	;; [unrolled: 3-line block ×3, first 2 shown]
	v_and_b32_e32 v48, 0xffff, v96
	;;#ASMSTART
	v_cvt_f32_f16 v96, v48;
	;;#ASMEND
	ds_read_b64 v[48:49], v37 offset:8
	s_waitcnt lgkmcnt(0)
	v_lshrrev_b32_e32 v90, 16, v48
	v_and_b32_e32 v48, 0xffff, v48
	;;#ASMSTART
	v_cvt_f32_f16 v48, v48;
	;;#ASMEND
	;;#ASMSTART
	v_cvt_f32_f16 v94, v90;
	;;#ASMEND
	;; [unrolled: 3-line block ×4, first 2 shown]
	s_nop 0
	v_mul_f32_e32 v54, v48, v68
	v_mul_f32_e32 v68, v94, v90
	v_fmac_f32_e32 v54, v118, v29
	v_fmac_f32_e32 v68, v28, v31
	v_lshrrev_b32_e32 v29, 16, v49
	v_and_b32_e32 v28, 0xffff, v49
	v_and_b32_e32 v31, 0xffff, v80
	;; [unrolled: 1-line block ×3, first 2 shown]
	;;#ASMSTART
	v_cvt_f32_f16 v28, v28;
	;;#ASMEND
	;;#ASMSTART
	v_cvt_f32_f16 v29, v29;
	;;#ASMEND
	;; [unrolled: 3-line block ×4, first 2 shown]
	s_nop 0
	v_mul_f32_e32 v80, v29, v48
	ds_read_b64 v[48:49], v37 offset:16
	v_mul_f32_e32 v69, v28, v31
	v_fmac_f32_e32 v80, v26, v96
	v_and_b32_e32 v29, 0xffff, v30
	v_fmac_f32_e32 v69, v38, v97
	s_waitcnt lgkmcnt(0)
	v_lshrrev_b32_e32 v28, 16, v48
	v_and_b32_e32 v26, 0xffff, v48
	;;#ASMSTART
	v_cvt_f32_f16 v26, v26;
	;;#ASMEND
	;;#ASMSTART
	v_cvt_f32_f16 v28, v28;
	;;#ASMEND
	;; [unrolled: 3-line block ×4, first 2 shown]
	s_nop 0
	v_fmac_f32_e32 v54, v26, v29
	v_fmac_f32_e32 v68, v28, v0
	v_lshrrev_b32_e32 v26, 16, v49
	v_and_b32_e32 v0, 0xffff, v49
	v_and_b32_e32 v28, 0xffff, v33
	;; [unrolled: 1-line block ×3, first 2 shown]
	;;#ASMSTART
	v_cvt_f32_f16 v0, v0;
	;;#ASMEND
	;;#ASMSTART
	v_cvt_f32_f16 v26, v26;
	;;#ASMEND
	;; [unrolled: 3-line block ×4, first 2 shown]
	ds_read_b64 v[32:33], v37 offset:24
	v_fmac_f32_e32 v69, v0, v28
	v_fmac_f32_e32 v80, v26, v29
	v_and_b32_e32 v28, 0xffff, v12
	v_and_b32_e32 v29, 0xffff, v1
	s_waitcnt lgkmcnt(0)
	v_lshrrev_b32_e32 v0, 16, v32
	v_and_b32_e32 v26, 0xffff, v32
	;;#ASMSTART
	v_cvt_f32_f16 v26, v26;
	;;#ASMEND
	;;#ASMSTART
	v_cvt_f32_f16 v0, v0;
	;;#ASMEND
	;; [unrolled: 3-line block ×4, first 2 shown]
	v_and_b32_e32 v29, 0xffff, v22
	v_fmac_f32_e32 v54, v26, v28
	v_fmac_f32_e32 v68, v0, v30
	v_lshrrev_b32_e32 v26, 16, v33
	v_and_b32_e32 v0, 0xffff, v33
	v_and_b32_e32 v28, 0xffff, v124
	;;#ASMSTART
	v_cvt_f32_f16 v0, v0;
	;;#ASMEND
	;;#ASMSTART
	v_cvt_f32_f16 v26, v26;
	;;#ASMEND
	;; [unrolled: 3-line block ×4, first 2 shown]
	ds_read_b64 v[30:31], v37 offset:32
	v_fmac_f32_e32 v69, v0, v28
	v_fmac_f32_e32 v80, v26, v29
	v_and_b32_e32 v28, 0xffff, v106
	v_and_b32_e32 v29, 0xffff, v2
	s_waitcnt lgkmcnt(0)
	v_lshrrev_b32_e32 v26, 16, v30
	v_and_b32_e32 v0, 0xffff, v30
	;;#ASMSTART
	v_cvt_f32_f16 v0, v0;
	;;#ASMEND
	;;#ASMSTART
	v_cvt_f32_f16 v26, v26;
	;;#ASMEND
	;; [unrolled: 3-line block ×4, first 2 shown]
	v_and_b32_e32 v1, 0xffff, v6
	v_fmac_f32_e32 v54, v0, v28
	v_fmac_f32_e32 v68, v26, v29
	v_lshrrev_b32_e32 v26, 16, v31
	v_and_b32_e32 v0, 0xffff, v31
	v_and_b32_e32 v28, 0xffff, v120
	;; [unrolled: 1-line block ×3, first 2 shown]
	;;#ASMSTART
	v_cvt_f32_f16 v0, v0;
	;;#ASMEND
	;;#ASMSTART
	v_cvt_f32_f16 v26, v26;
	;;#ASMEND
	;; [unrolled: 3-line block ×4, first 2 shown]
	ds_read_b64 v[32:33], v37 offset:40
	v_fmac_f32_e32 v69, v0, v28
	v_fmac_f32_e32 v80, v26, v29
	v_and_b32_e32 v28, 0xffff, v39
	v_and_b32_e32 v29, 0xffff, v53
	s_waitcnt lgkmcnt(0)
	v_lshrrev_b32_e32 v26, 16, v32
	v_and_b32_e32 v0, 0xffff, v32
	;;#ASMSTART
	v_cvt_f32_f16 v0, v0;
	;;#ASMEND
	;;#ASMSTART
	v_cvt_f32_f16 v26, v26;
	;;#ASMEND
	;; [unrolled: 3-line block ×4, first 2 shown]
	v_and_b32_e32 v2, 0xffff, v8
	v_fmac_f32_e32 v54, v0, v28
	v_fmac_f32_e32 v68, v26, v29
	v_lshrrev_b32_e32 v26, 16, v33
	v_and_b32_e32 v0, 0xffff, v33
	v_and_b32_e32 v28, 0xffff, v113
	v_and_b32_e32 v29, 0xffff, v100
	;;#ASMSTART
	v_cvt_f32_f16 v0, v0;
	;;#ASMEND
	;;#ASMSTART
	v_cvt_f32_f16 v26, v26;
	;;#ASMEND
	;;#ASMSTART
	v_cvt_f32_f16 v28, v28;
	;;#ASMEND
	;;#ASMSTART
	v_cvt_f32_f16 v29, v29;
	;;#ASMEND
	ds_read_b64 v[30:31], v37 offset:48
	v_fmac_f32_e32 v69, v0, v28
	v_fmac_f32_e32 v80, v26, v29
	v_and_b32_e32 v28, 0xffff, v52
	v_and_b32_e32 v29, 0xffff, v51
	s_waitcnt lgkmcnt(0)
	v_lshrrev_b32_e32 v26, 16, v30
	v_and_b32_e32 v0, 0xffff, v30
	;;#ASMSTART
	v_cvt_f32_f16 v0, v0;
	;;#ASMEND
	;;#ASMSTART
	v_cvt_f32_f16 v26, v26;
	;;#ASMEND
	;;#ASMSTART
	v_cvt_f32_f16 v28, v28;
	;;#ASMEND
	;;#ASMSTART
	v_cvt_f32_f16 v29, v29;
	;;#ASMEND
	s_nop 0
	v_fmac_f32_e32 v54, v0, v28
	v_fmac_f32_e32 v68, v26, v29
	v_lshrrev_b32_e32 v26, 16, v31
	v_and_b32_e32 v0, 0xffff, v31
	v_and_b32_e32 v28, 0xffff, v117
	v_and_b32_e32 v29, 0xffff, v112
	;;#ASMSTART
	v_cvt_f32_f16 v0, v0;
	;;#ASMEND
	;;#ASMSTART
	v_cvt_f32_f16 v26, v26;
	;;#ASMEND
	;;#ASMSTART
	v_cvt_f32_f16 v28, v28;
	;;#ASMEND
	;;#ASMSTART
	v_cvt_f32_f16 v29, v29;
	;;#ASMEND
	ds_read_b64 v[30:31], v37 offset:56
	v_fmac_f32_e32 v69, v0, v28
	v_fmac_f32_e32 v80, v26, v29
	v_and_b32_e32 v28, 0xffff, v85
	v_and_b32_e32 v29, 0xffff, v84
	s_waitcnt lgkmcnt(0)
	v_lshrrev_b32_e32 v26, 16, v30
	v_and_b32_e32 v0, 0xffff, v30
	;;#ASMSTART
	v_cvt_f32_f16 v0, v0;
	;;#ASMEND
	;;#ASMSTART
	v_cvt_f32_f16 v26, v26;
	;;#ASMEND
	;;#ASMSTART
	v_cvt_f32_f16 v28, v28;
	;;#ASMEND
	;;#ASMSTART
	v_cvt_f32_f16 v29, v29;
	;;#ASMEND
	s_nop 0
	;; [unrolled: 39-line block ×7, first 2 shown]
	v_fmac_f32_e32 v54, v0, v28
	v_fmac_f32_e32 v68, v26, v29
	v_lshrrev_b32_e32 v26, 16, v31
	v_and_b32_e32 v0, 0xffff, v31
	v_and_b32_e32 v28, 0xffff, v3
	;; [unrolled: 1-line block ×3, first 2 shown]
	;;#ASMSTART
	v_cvt_f32_f16 v0, v0;
	;;#ASMEND
	;;#ASMSTART
	v_cvt_f32_f16 v26, v26;
	;;#ASMEND
	;; [unrolled: 3-line block ×4, first 2 shown]
	ds_read_b64 v[30:31], v37 offset:104
	v_fmac_f32_e32 v69, v0, v28
	v_fmac_f32_e32 v80, v26, v29
	v_and_b32_e32 v28, 0xffff, v89
	v_and_b32_e32 v29, 0xffff, v76
	s_waitcnt lgkmcnt(0)
	v_lshrrev_b32_e32 v26, 16, v30
	v_and_b32_e32 v0, 0xffff, v30
	;;#ASMSTART
	v_cvt_f32_f16 v0, v0;
	;;#ASMEND
	;;#ASMSTART
	v_cvt_f32_f16 v26, v26;
	;;#ASMEND
	;; [unrolled: 3-line block ×4, first 2 shown]
	v_and_b32_e32 v3, 0xffff, v91
	v_fmac_f32_e32 v54, v0, v28
	v_fmac_f32_e32 v68, v26, v29
	v_lshrrev_b32_e32 v26, 16, v31
	v_and_b32_e32 v0, 0xffff, v31
	v_and_b32_e32 v28, 0xffff, v75
	;; [unrolled: 1-line block ×3, first 2 shown]
	;;#ASMSTART
	v_cvt_f32_f16 v0, v0;
	;;#ASMEND
	;;#ASMSTART
	v_cvt_f32_f16 v26, v26;
	;;#ASMEND
	;; [unrolled: 3-line block ×4, first 2 shown]
	ds_read_b64 v[30:31], v37 offset:112
	v_fmac_f32_e32 v69, v0, v28
	v_fmac_f32_e32 v80, v26, v29
	v_and_b32_e32 v28, 0xffff, v93
	v_and_b32_e32 v29, 0xffff, v88
	s_waitcnt lgkmcnt(0)
	v_lshrrev_b32_e32 v26, 16, v30
	v_and_b32_e32 v0, 0xffff, v30
	;;#ASMSTART
	v_cvt_f32_f16 v0, v0;
	;;#ASMEND
	;;#ASMSTART
	v_cvt_f32_f16 v26, v26;
	;;#ASMEND
	;; [unrolled: 3-line block ×4, first 2 shown]
	s_nop 0
	v_fmac_f32_e32 v54, v0, v28
	v_fmac_f32_e32 v68, v26, v29
	v_lshrrev_b32_e32 v26, 16, v31
	v_and_b32_e32 v0, 0xffff, v31
	v_and_b32_e32 v28, 0xffff, v4
	;; [unrolled: 1-line block ×3, first 2 shown]
	;;#ASMSTART
	v_cvt_f32_f16 v0, v0;
	;;#ASMEND
	;;#ASMSTART
	v_cvt_f32_f16 v26, v26;
	;;#ASMEND
	;;#ASMSTART
	v_cvt_f32_f16 v28, v28;
	;;#ASMEND
	;;#ASMSTART
	v_cvt_f32_f16 v29, v29;
	;;#ASMEND
	ds_read_b64 v[30:31], v37 offset:120
	v_fmac_f32_e32 v69, v0, v28
	v_fmac_f32_e32 v80, v26, v29
	v_and_b32_e32 v28, 0xffff, v105
	v_and_b32_e32 v29, 0xffff, v92
	s_waitcnt lgkmcnt(0)
	v_lshrrev_b32_e32 v26, 16, v30
	v_and_b32_e32 v0, 0xffff, v30
	;;#ASMSTART
	v_cvt_f32_f16 v0, v0;
	;;#ASMEND
	;;#ASMSTART
	v_cvt_f32_f16 v26, v26;
	;;#ASMEND
	;;#ASMSTART
	v_cvt_f32_f16 v28, v28;
	;;#ASMEND
	;;#ASMSTART
	v_cvt_f32_f16 v29, v29;
	;;#ASMEND
	s_nop 0
	v_fmac_f32_e32 v54, v0, v28
	v_fmac_f32_e32 v68, v26, v29
	v_lshrrev_b32_e32 v26, 16, v31
	v_and_b32_e32 v0, 0xffff, v31
	v_and_b32_e32 v28, 0xffff, v7
	;;#ASMSTART
	v_cvt_f32_f16 v0, v0;
	;;#ASMEND
	;;#ASMSTART
	v_cvt_f32_f16 v26, v26;
	;;#ASMEND
	;;#ASMSTART
	v_cvt_f32_f16 v1, v1;
	;;#ASMEND
	;;#ASMSTART
	v_cvt_f32_f16 v28, v28;
	;;#ASMEND
	ds_read_b64 v[30:31], v37 offset:128
	v_fmac_f32_e32 v69, v0, v1
	v_fmac_f32_e32 v80, v26, v28
	v_and_b32_e32 v26, 0xffff, v109
	v_and_b32_e32 v28, 0xffff, v104
	s_waitcnt lgkmcnt(0)
	v_lshrrev_b32_e32 v1, 16, v30
	v_and_b32_e32 v0, 0xffff, v30
	;;#ASMSTART
	v_cvt_f32_f16 v0, v0;
	;;#ASMEND
	;;#ASMSTART
	v_cvt_f32_f16 v1, v1;
	;;#ASMEND
	;;#ASMSTART
	v_cvt_f32_f16 v26, v26;
	;;#ASMEND
	;;#ASMSTART
	v_cvt_f32_f16 v28, v28;
	;;#ASMEND
	s_nop 0
	v_fmac_f32_e32 v54, v0, v26
	v_fmac_f32_e32 v68, v1, v28
	v_lshrrev_b32_e32 v1, 16, v31
	v_and_b32_e32 v0, 0xffff, v31
	v_and_b32_e32 v26, 0xffff, v27
	;; [unrolled: 38-line block ×4, first 2 shown]
	v_and_b32_e32 v3, 0xffff, v15
	;;#ASMSTART
	v_cvt_f32_f16 v0, v0;
	;;#ASMEND
	;;#ASMSTART
	v_cvt_f32_f16 v1, v1;
	;;#ASMEND
	;;#ASMSTART
	v_cvt_f32_f16 v2, v2;
	;;#ASMEND
	;;#ASMSTART
	v_cvt_f32_f16 v3, v3;
	;;#ASMEND
	ds_read_b64 v[30:31], v37 offset:152
	v_fmac_f32_e32 v69, v0, v2
	v_fmac_f32_e32 v80, v1, v3
	v_and_b32_e32 v2, 0xffff, v35
	v_and_b32_e32 v3, 0xffff, v115
	s_waitcnt lgkmcnt(0)
	v_lshrrev_b32_e32 v1, 16, v30
	v_and_b32_e32 v0, 0xffff, v30
	;;#ASMSTART
	v_cvt_f32_f16 v0, v0;
	;;#ASMEND
	;;#ASMSTART
	v_cvt_f32_f16 v1, v1;
	;;#ASMEND
	;;#ASMSTART
	v_cvt_f32_f16 v2, v2;
	;;#ASMEND
	;;#ASMSTART
	v_cvt_f32_f16 v3, v3;
	;;#ASMEND
	s_nop 0
	v_fmac_f32_e32 v54, v0, v2
	v_fmac_f32_e32 v68, v1, v3
	v_lshrrev_b32_e32 v1, 16, v31
	v_and_b32_e32 v0, 0xffff, v31
	v_and_b32_e32 v2, 0xffff, v18
	v_and_b32_e32 v3, 0xffff, v10
	;;#ASMSTART
	v_cvt_f32_f16 v0, v0;
	;;#ASMEND
	;;#ASMSTART
	v_cvt_f32_f16 v1, v1;
	;;#ASMEND
	;;#ASMSTART
	v_cvt_f32_f16 v2, v2;
	;;#ASMEND
	;;#ASMSTART
	v_cvt_f32_f16 v3, v3;
	;;#ASMEND
	ds_read_b64 v[18:19], v37 offset:160
	v_fmac_f32_e32 v69, v0, v2
	v_fmac_f32_e32 v80, v1, v3
	v_and_b32_e32 v2, 0xffff, v114
	v_and_b32_e32 v3, 0xffff, v103
	s_waitcnt lgkmcnt(0)
	v_lshrrev_b32_e32 v1, 16, v18
	v_and_b32_e32 v0, 0xffff, v18
	;;#ASMSTART
	v_cvt_f32_f16 v0, v0;
	;;#ASMEND
	;;#ASMSTART
	v_cvt_f32_f16 v1, v1;
	;;#ASMEND
	;;#ASMSTART
	v_cvt_f32_f16 v2, v2;
	;;#ASMEND
	;;#ASMSTART
	v_cvt_f32_f16 v3, v3;
	;;#ASMEND
	s_nop 0
	v_fmac_f32_e32 v54, v0, v2
	v_fmac_f32_e32 v68, v1, v3
	v_lshrrev_b32_e32 v1, 16, v19
	v_and_b32_e32 v0, 0xffff, v19
	v_and_b32_e32 v2, 0xffff, v102
	;; [unrolled: 39-line block ×7, first 2 shown]
	v_and_b32_e32 v3, 0xffff, v14
	;;#ASMSTART
	v_cvt_f32_f16 v0, v0;
	;;#ASMEND
	;;#ASMSTART
	v_cvt_f32_f16 v1, v1;
	;;#ASMEND
	;; [unrolled: 3-line block ×4, first 2 shown]
	ds_read_b64 v[6:7], v37 offset:208
	v_fmac_f32_e32 v69, v0, v2
	v_fmac_f32_e32 v80, v1, v3
	v_and_b32_e32 v2, 0xffff, v16
	v_and_b32_e32 v3, 0xffff, v34
	s_waitcnt lgkmcnt(0)
	v_lshrrev_b32_e32 v1, 16, v6
	v_and_b32_e32 v0, 0xffff, v6
	;;#ASMSTART
	v_cvt_f32_f16 v0, v0;
	;;#ASMEND
	;;#ASMSTART
	v_cvt_f32_f16 v1, v1;
	;;#ASMEND
	;;#ASMSTART
	v_cvt_f32_f16 v2, v2;
	;;#ASMEND
	;;#ASMSTART
	v_cvt_f32_f16 v3, v3;
	;;#ASMEND
	s_nop 0
	v_fmac_f32_e32 v54, v0, v2
	v_fmac_f32_e32 v68, v1, v3
	v_lshrrev_b32_e32 v1, 16, v7
	v_and_b32_e32 v0, 0xffff, v7
	;;#ASMSTART
	v_cvt_f32_f16 v0, v0;
	;;#ASMEND
	;;#ASMSTART
	v_cvt_f32_f16 v1, v1;
	;;#ASMEND
	scratch_load_dword v2, off, s32 offset:344 ; 4-byte Folded Reload
	s_waitcnt vmcnt(0)
	v_and_b32_e32 v2, 0xffff, v2
	;;#ASMSTART
	v_cvt_f32_f16 v2, v2;
	;;#ASMEND
	scratch_load_dword v3, off, s32 offset:340 ; 4-byte Folded Reload
	v_fmac_f32_e32 v69, v0, v2
	s_waitcnt vmcnt(0)
	v_and_b32_e32 v3, 0xffff, v3
	;;#ASMSTART
	v_cvt_f32_f16 v3, v3;
	;;#ASMEND
	s_nop 0
	v_fmac_f32_e32 v80, v1, v3
	ds_read_b64 v[2:3], v37 offset:216
	s_waitcnt lgkmcnt(0)
	v_lshrrev_b32_e32 v1, 16, v2
	v_and_b32_e32 v0, 0xffff, v2
	;;#ASMSTART
	v_cvt_f32_f16 v0, v0;
	;;#ASMEND
	;;#ASMSTART
	v_cvt_f32_f16 v1, v1;
	;;#ASMEND
	scratch_load_dword v2, off, s32 offset:336 ; 4-byte Folded Reload
	s_waitcnt vmcnt(0)
	v_and_b32_e32 v2, 0xffff, v2
	;;#ASMSTART
	v_cvt_f32_f16 v2, v2;
	;;#ASMEND
	scratch_load_dword v4, off, s32 offset:332 ; 4-byte Folded Reload
	v_fmac_f32_e32 v54, v0, v2
	v_and_b32_e32 v0, 0xffff, v3
	s_waitcnt vmcnt(0)
	v_and_b32_e32 v4, 0xffff, v4
	;;#ASMSTART
	v_cvt_f32_f16 v4, v4;
	;;#ASMEND
	;;#ASMSTART
	v_cvt_f32_f16 v0, v0;
	;;#ASMEND
	s_nop 0
	v_fmac_f32_e32 v68, v1, v4
	v_lshrrev_b32_e32 v1, 16, v3
	;;#ASMSTART
	v_cvt_f32_f16 v1, v1;
	;;#ASMEND
	scratch_load_dword v2, off, s32 offset:328 ; 4-byte Folded Reload
	s_waitcnt vmcnt(0)
	v_and_b32_e32 v2, 0xffff, v2
	;;#ASMSTART
	v_cvt_f32_f16 v2, v2;
	;;#ASMEND
	scratch_load_dword v3, off, s32 offset:324 ; 4-byte Folded Reload
	v_fmac_f32_e32 v69, v0, v2
	s_waitcnt vmcnt(0)
	v_and_b32_e32 v3, 0xffff, v3
	;;#ASMSTART
	v_cvt_f32_f16 v3, v3;
	;;#ASMEND
	s_nop 0
	v_fmac_f32_e32 v80, v1, v3
	ds_read_b64 v[0:1], v37 offset:224
	s_waitcnt lgkmcnt(0)
	v_lshrrev_b32_e32 v2, 16, v0
	v_and_b32_e32 v0, 0xffff, v0
	;;#ASMSTART
	v_cvt_f32_f16 v0, v0;
	;;#ASMEND
	;;#ASMSTART
	v_cvt_f32_f16 v2, v2;
	;;#ASMEND
	scratch_load_dword v3, off, s32 offset:320 ; 4-byte Folded Reload
	s_waitcnt vmcnt(0)
	v_and_b32_e32 v3, 0xffff, v3
	;;#ASMSTART
	v_cvt_f32_f16 v3, v3;
	;;#ASMEND
	scratch_load_dword v4, off, s32 offset:316 ; 4-byte Folded Reload
	v_fmac_f32_e32 v54, v0, v3
	v_and_b32_e32 v0, 0xffff, v1
	s_waitcnt vmcnt(0)
	v_and_b32_e32 v4, 0xffff, v4
	;;#ASMSTART
	v_cvt_f32_f16 v4, v4;
	;;#ASMEND
	;;#ASMSTART
	v_cvt_f32_f16 v0, v0;
	;;#ASMEND
	s_nop 0
	v_fmac_f32_e32 v68, v2, v4
	v_lshrrev_b32_e32 v2, 16, v1
	;; [unrolled: 48-line block ×4, first 2 shown]
	;;#ASMSTART
	v_cvt_f32_f16 v1, v2;
	;;#ASMEND
	scratch_load_dword v2, off, s32 offset:280 ; 4-byte Folded Reload
	v_and_b32_e32 v4, 0xffff, v78
	s_waitcnt vmcnt(0)
	v_and_b32_e32 v2, 0xffff, v2
	;;#ASMSTART
	v_cvt_f32_f16 v2, v2;
	;;#ASMEND
	scratch_load_dword v3, off, s32 offset:276 ; 4-byte Folded Reload
	v_fmac_f32_e32 v69, v0, v2
	s_waitcnt vmcnt(0)
	v_and_b32_e32 v3, 0xffff, v3
	;;#ASMSTART
	v_cvt_f32_f16 v3, v3;
	;;#ASMEND
	s_nop 0
	v_fmac_f32_e32 v80, v1, v3
	ds_read_b64 v[0:1], v37 offset:248
	v_and_b32_e32 v3, 0xffff, v101
	s_waitcnt lgkmcnt(0)
	v_lshrrev_b32_e32 v2, 16, v0
	v_and_b32_e32 v0, 0xffff, v0
	;;#ASMSTART
	v_cvt_f32_f16 v0, v0;
	;;#ASMEND
	;;#ASMSTART
	v_cvt_f32_f16 v2, v2;
	;;#ASMEND
	;; [unrolled: 3-line block ×4, first 2 shown]
	s_nop 0
	v_fmac_f32_e32 v54, v0, v3
	v_fmac_f32_e32 v68, v2, v4
	v_lshrrev_b32_e32 v2, 16, v1
	v_and_b32_e32 v0, 0xffff, v1
	;;#ASMSTART
	v_cvt_f32_f16 v0, v0;
	;;#ASMEND
	;;#ASMSTART
	v_cvt_f32_f16 v1, v2;
	;;#ASMEND
	v_and_b32_e32 v2, 0xffff, v23
	v_and_b32_e32 v3, 0xffff, v50
	;;#ASMSTART
	v_cvt_f32_f16 v2, v2;
	;;#ASMEND
	;;#ASMSTART
	v_cvt_f32_f16 v3, v3;
	;;#ASMEND
	scratch_load_dword v4, off, s32 offset:348 ; 4-byte Folded Reload
	v_fmac_f32_e32 v69, v0, v2
	v_add_f32_e32 v0, v54, v68
	v_fmac_f32_e32 v80, v1, v3
	v_add_f32_e32 v0, v0, v69
	v_add_f32_e32 v2, v80, v0
	s_waitcnt vmcnt(0)
	v_and_b32_e32 v0, 64, v4
	v_xor_b32_e32 v3, 1, v4
	v_add_u32_e32 v1, 64, v0
	v_cmp_lt_i32_e64 s[6:7], v3, v1
	s_nop 1
	v_cndmask_b32_e64 v3, v4, v3, s[6:7]
	v_lshlrev_b32_e32 v3, 2, v3
	ds_bpermute_b32 v3, v3, v2
	s_mov_b64 s[56:57], exec
	scratch_load_dword v74, off, s32 offset:272 ; 4-byte Folded Reload
	s_and_b64 s[6:7], s[56:57], vcc
	s_mov_b64 exec, s[6:7]
	s_cbranch_execz .LBB270_8
; %bb.778:                              ;   in Loop: Header=BB270_9 Depth=1
	scratch_load_dword v7, off, s32 offset:248 ; 4-byte Folded Reload
	scratch_load_dword v6, off, s32 offset:376 ; 4-byte Folded Reload
	s_waitcnt lgkmcnt(0)
	v_add_f32_e32 v2, v2, v3
	scratch_load_dword v3, off, s32 offset:252 ; 4-byte Folded Reload
	v_sub_u32_e32 v4, 1, v62
	s_load_dword s6, s[8:9], 0x0
	s_waitcnt vmcnt(2)
	v_add_u32_e32 v4, v4, v7
	v_cvt_f32_i32_e32 v4, v4
	s_waitcnt vmcnt(0) lgkmcnt(0)
	v_add_u32_e32 v3, s6, v3
	v_cmp_lt_i32_e64 s[6:7], v7, v62
	v_mul_f32_e32 v4, v6, v4
	scratch_load_dword v6, off, s32 offset:380 ; 4-byte Folded Reload
	v_cndmask_b32_e64 v4, 0, v4, s[4:5]
	s_waitcnt vmcnt(0)
	v_fmac_f32_e32 v4, v6, v2
	v_cndmask_b32_e64 v2, 0, v4, s[6:7]
	ds_write_b32 v3, v2
	scratch_load_dword v3, off, s32 offset:364 ; 4-byte Folded Reload
	s_waitcnt vmcnt(0)
	v_max_f32_e32 v2, v3, v3
	v_max_f32_e32 v2, v2, v4
	v_cndmask_b32_e64 v3, v3, v2, s[6:7]
	scratch_store_dword off, v3, s32 offset:364 ; 4-byte Folded Spill
	s_branch .LBB270_8
.LBB270_779:
	s_or_b64 exec, exec, s[20:21]
	scratch_load_dwordx2 v[76:77], off, s32 offset:404 ; 8-byte Folded Reload
	scratch_load_dword v72, off, s32 offset:412 ; 4-byte Folded Reload
	scratch_load_dword v73, off, s32 offset:360 ; 4-byte Folded Reload
	;; [unrolled: 1-line block ×3, first 2 shown]
	scratch_load_dwordx2 v[36:37], off, s32 offset:420 ; 8-byte Folded Reload
	scratch_load_dwordx2 v[38:39], off, s32 offset:428 ; 8-byte Folded Reload
	;; [unrolled: 1-line block ×3, first 2 shown]
	scratch_load_dword v7, off, s32 offset:364 ; 4-byte Folded Reload
	scratch_load_dwordx2 v[22:23], off, s32 offset:444 ; 8-byte Folded Reload
.LBB270_780:
	s_or_b64 exec, exec, s[18:19]
	scratch_load_dword v9, off, s32 offset:348 ; 4-byte Folded Reload
	s_waitcnt vmcnt(2)
	v_max_f32_e32 v4, v7, v7
	v_and_b32_e32 v67, 63, v72
	s_waitcnt lgkmcnt(0)
	s_lshr_b32 s15, s15, 16
	s_waitcnt vmcnt(0)
	v_xor_b32_e32 v2, 32, v9
	v_cmp_lt_i32_e32 vcc, v2, v1
	v_xor_b32_e32 v5, 16, v9
	v_xor_b32_e32 v6, 8, v9
	v_cndmask_b32_e32 v2, v9, v2, vcc
	v_lshlrev_b32_e32 v2, 2, v2
	ds_bpermute_b32 v3, v2, v7
	v_cmp_lt_i32_e32 vcc, v5, v1
	v_xor_b32_e32 v7, 4, v9
	v_xor_b32_e32 v8, 2, v9
	s_waitcnt lgkmcnt(0)
	v_max_f32_e32 v3, v3, v3
	v_max_f32_e32 v4, v4, v3
	v_cndmask_b32_e32 v3, v9, v5, vcc
	v_lshlrev_b32_e32 v3, 2, v3
	ds_bpermute_b32 v5, v3, v4
	v_cmp_lt_i32_e32 vcc, v6, v1
	s_waitcnt lgkmcnt(0)
	v_max_f32_e32 v5, v5, v5
	v_max_f32_e32 v5, v4, v5
	v_cndmask_b32_e32 v4, v9, v6, vcc
	v_lshlrev_b32_e32 v4, 2, v4
	ds_bpermute_b32 v6, v4, v5
	v_cmp_lt_i32_e32 vcc, v7, v1
	;; [unrolled: 7-line block ×3, first 2 shown]
	s_waitcnt lgkmcnt(0)
	v_max_f32_e32 v7, v7, v7
	v_max_f32_e32 v7, v6, v7
	v_cndmask_b32_e32 v6, v9, v8, vcc
	v_lshlrev_b32_e32 v68, 2, v6
	ds_bpermute_b32 v8, v68, v7
	v_cmp_eq_u32_e32 vcc, 0, v67
	v_lshlrev_b32_e32 v6, 2, v74
	s_and_saveexec_b64 s[4:5], vcc
	s_cbranch_execz .LBB270_782
; %bb.781:
	s_waitcnt lgkmcnt(0)
	v_max_f32_e32 v8, v8, v8
	v_max_f32_e32 v7, v7, v7
	;; [unrolled: 1-line block ×3, first 2 shown]
	ds_write_b32 v6, v7 offset:512
.LBB270_782:
	s_or_b64 exec, exec, s[4:5]
	v_cmp_gt_u32_e64 s[4:5], 2, v67
	s_waitcnt lgkmcnt(0)
	v_mov_b32_e32 v8, 0xff7fffff
	v_lshlrev_b32_e32 v7, 2, v67
	s_barrier
	s_and_saveexec_b64 s[6:7], s[4:5]
; %bb.783:
	ds_read_b32 v8, v7 offset:512
; %bb.784:
	s_or_b64 exec, exec, s[6:7]
	scratch_load_dword v10, off, s32 offset:348 ; 4-byte Folded Reload
	v_lshlrev_b32_e32 v0, 2, v0
	s_waitcnt vmcnt(0)
	v_xor_b32_e32 v9, 1, v10
	v_cmp_lt_i32_e64 s[6:7], v9, v1
	s_nop 1
	v_cndmask_b32_e64 v1, v10, v9, s[6:7]
	v_lshlrev_b32_e32 v69, 2, v1
	s_waitcnt lgkmcnt(0)
	ds_bpermute_b32 v1, v69, v8
	v_max_f32_e32 v8, v8, v8
	s_waitcnt lgkmcnt(0)
	v_max_f32_e32 v1, v1, v1
	v_max_f32_e32 v1, v8, v1
	ds_bpermute_b32 v1, v0, v1
	v_lshlrev_b32_e32 v0, 5, v73
	v_min_i32_e32 v0, v0, v62
	v_cmp_lt_i32_e64 s[6:7], v72, v0
	v_mov_b32_e32 v8, 0
	s_and_saveexec_b64 s[18:19], s[6:7]
	s_cbranch_execz .LBB270_788
; %bb.785:
	s_ashr_i32 s17, s16, 31
	s_lshl_b64 s[8:9], s[16:17], 2
	s_getpc_b64 s[20:21]
	s_add_u32 s20, s20, llvm.amdgcn.dynlds.offset.table@rel32@lo+4
	s_addc_u32 s21, s21, llvm.amdgcn.dynlds.offset.table@rel32@hi+12
	s_add_u32 s8, s20, s8
	s_addc_u32 s9, s21, s9
	s_load_dword s8, s[8:9], 0x0
	v_mov_b32_e32 v8, 0
	s_mov_b64 s[20:21], 0
	v_mov_b32_e32 v10, v72
	s_waitcnt lgkmcnt(0)
	v_lshl_add_u32 v9, v72, 2, s8
.LBB270_786:                            ; =>This Inner Loop Header: Depth=1
	ds_read_b32 v11, v9
	v_add_u32_e32 v10, 0x80, v10
	v_cmp_ge_i32_e64 s[8:9], v10, v0
	s_or_b64 s[20:21], s[8:9], s[20:21]
	s_waitcnt lgkmcnt(0)
	v_sub_f32_e32 v11, v11, v1
	v_mul_f32_e32 v11, 0x3fb8aa3b, v11
	v_exp_f32_e32 v11, v11
	ds_write_b32 v9, v11
	v_add_f32_e32 v8, v8, v11
	v_add_u32_e32 v9, 0x200, v9
	s_andn2_b64 exec, exec, s[20:21]
	s_cbranch_execnz .LBB270_786
; %bb.787:
	s_or_b64 exec, exec, s[20:21]
.LBB270_788:
	s_or_b64 exec, exec, s[18:19]
	s_waitcnt lgkmcnt(0)
	ds_bpermute_b32 v1, v2, v8
	s_waitcnt lgkmcnt(0)
	v_add_f32_e32 v1, v8, v1
	ds_bpermute_b32 v2, v3, v1
	s_waitcnt lgkmcnt(0)
	v_add_f32_e32 v1, v1, v2
	;; [unrolled: 3-line block ×6, first 2 shown]
	s_and_saveexec_b64 s[8:9], vcc
; %bb.789:
	ds_write_b32 v6, v1 offset:520
; %bb.790:
	s_or_b64 exec, exec, s[8:9]
	s_waitcnt lgkmcnt(0)
	s_barrier
	s_and_saveexec_b64 s[8:9], s[4:5]
; %bb.791:
	ds_read_b32 v1, v7 offset:520
; %bb.792:
	s_or_b64 exec, exec, s[8:9]
	scratch_load_dword v3, off, s32 offset:348 ; 4-byte Folded Reload
	s_waitcnt lgkmcnt(0)
	ds_bpermute_b32 v2, v69, v1
	s_waitcnt lgkmcnt(0)
	v_add_f32_e32 v1, v1, v2
	s_waitcnt vmcnt(0)
	v_lshlrev_b32_e32 v3, 2, v3
	v_and_b32_e32 v2, 0xffffff00, v3
	ds_bpermute_b32 v1, v2, v1
	s_and_saveexec_b64 s[4:5], s[6:7]
	s_cbranch_execz .LBB270_805
; %bb.793:
	s_waitcnt lgkmcnt(0)
	v_add_f32_e32 v1, 0x358637bd, v1
	v_div_scale_f32 v2, s[6:7], v1, v1, 1.0
	v_rcp_f32_e32 v3, v2
	v_div_scale_f32 v4, vcc, 1.0, v1, 1.0
	s_movk_i32 s6, 0x7f
	v_fma_f32 v5, -v2, v3, 1.0
	v_fmac_f32_e32 v3, v5, v3
	v_mul_f32_e32 v5, v4, v3
	v_fma_f32 v6, -v2, v5, v4
	v_fmac_f32_e32 v5, v6, v3
	v_fma_f32 v2, -v2, v5, v4
	v_div_fmas_f32 v2, v2, v3, v5
	v_div_fixup_f32 v4, v2, v1, 1.0
	v_xad_u32 v2, v72, -1, v0
	v_cmp_lt_u32_e32 vcc, s6, v2
	s_mov_b64 s[8:9], -1
	v_mov_b32_e32 v1, v72
	s_and_saveexec_b64 s[6:7], vcc
	s_cbranch_execz .LBB270_802
; %bb.794:
	v_lshrrev_b32_e32 v1, 7, v2
	v_add_u32_e32 v3, -1, v1
	v_lshrrev_b32_e32 v2, 1, v3
	v_mov_b32_e32 v5, v4
	v_add_u32_e32 v2, 1, v2
	v_cmp_lt_u32_e32 vcc, 13, v3
	v_mov_b32_e32 v7, 0
	s_and_saveexec_b64 s[8:9], vcc
	s_cbranch_execz .LBB270_798
; %bb.795:
	s_ashr_i32 s17, s16, 31
	s_lshl_b64 s[18:19], s[16:17], 2
	s_getpc_b64 s[20:21]
	s_add_u32 s20, s20, llvm.amdgcn.dynlds.offset.table@rel32@lo+4
	s_addc_u32 s21, s21, llvm.amdgcn.dynlds.offset.table@rel32@hi+12
	s_add_u32 s18, s20, s18
	s_addc_u32 s19, s21, s19
	s_load_dword s18, s[18:19], 0x0
	v_and_b32_e32 v3, -8, v2
	s_mov_b32 s17, 0
	s_waitcnt lgkmcnt(0)
	v_lshl_add_u32 v6, v72, 2, s18
	s_mov_b64 s[18:19], 0
.LBB270_796:                            ; =>This Inner Loop Header: Depth=1
	ds_read2st64_b32 v[8:9], v6 offset1:2
	ds_read2st64_b32 v[10:11], v6 offset0:4 offset1:6
	ds_read2st64_b32 v[14:15], v6 offset0:8 offset1:10
	;; [unrolled: 1-line block ×3, first 2 shown]
	v_add_u32_e32 v3, -8, v3
	s_waitcnt lgkmcnt(3)
	v_pk_mul_f32 v[8:9], v[4:5], v[8:9]
	s_waitcnt lgkmcnt(2)
	v_pk_mul_f32 v[10:11], v[4:5], v[10:11]
	ds_write2st64_b32 v6, v8, v9 offset1:2
	ds_write2st64_b32 v6, v10, v11 offset0:4 offset1:6
	ds_read2st64_b32 v[10:11], v6 offset0:16 offset1:18
	s_waitcnt lgkmcnt(4)
	v_pk_mul_f32 v[8:9], v[4:5], v[14:15]
	ds_write2st64_b32 v6, v8, v9 offset0:8 offset1:10
	s_waitcnt lgkmcnt(4)
	v_pk_mul_f32 v[8:9], v[4:5], v[16:17]
	ds_write2st64_b32 v6, v8, v9 offset0:12 offset1:14
	ds_read2st64_b32 v[8:9], v6 offset0:20 offset1:22
	s_waitcnt lgkmcnt(3)
	v_pk_mul_f32 v[10:11], v[4:5], v[10:11]
	ds_read2st64_b32 v[14:15], v6 offset0:24 offset1:26
	ds_write2st64_b32 v6, v10, v11 offset0:16 offset1:18
	ds_read2st64_b32 v[10:11], v6 offset0:28 offset1:30
	s_waitcnt lgkmcnt(3)
	v_pk_mul_f32 v[8:9], v[4:5], v[8:9]
	ds_write2st64_b32 v6, v8, v9 offset0:20 offset1:22
	s_waitcnt lgkmcnt(3)
	v_pk_mul_f32 v[8:9], v[4:5], v[14:15]
	ds_write2st64_b32 v6, v8, v9 offset0:24 offset1:26
	s_waitcnt lgkmcnt(2)
	v_pk_mul_f32 v[8:9], v[4:5], v[10:11]
	s_add_i32 s17, s17, 16
	v_cmp_eq_u32_e32 vcc, 0, v3
	ds_write2st64_b32 v6, v8, v9 offset0:28 offset1:30
	v_add_u32_e32 v6, 0x2000, v6
	s_or_b64 s[18:19], vcc, s[18:19]
	v_mov_b32_e32 v7, s17
	s_andn2_b64 exec, exec, s[18:19]
	s_cbranch_execnz .LBB270_796
; %bb.797:
	s_or_b64 exec, exec, s[18:19]
.LBB270_798:
	s_or_b64 exec, exec, s[8:9]
	v_and_b32_e32 v2, 7, v2
	v_cmp_ne_u32_e32 vcc, 0, v2
	s_and_saveexec_b64 s[8:9], vcc
	s_cbranch_execz .LBB270_801
; %bb.799:
	s_ashr_i32 s17, s16, 31
	s_lshl_b64 s[18:19], s[16:17], 2
	s_getpc_b64 s[20:21]
	s_add_u32 s20, s20, llvm.amdgcn.dynlds.offset.table@rel32@lo+4
	s_addc_u32 s21, s21, llvm.amdgcn.dynlds.offset.table@rel32@hi+12
	s_add_u32 s18, s20, s18
	s_addc_u32 s19, s21, s19
	s_load_dword s17, s[18:19], 0x0
	v_lshlrev_b32_e32 v3, 9, v7
	v_lshlrev_b32_e32 v6, 2, v72
	s_mov_b64 s[18:19], 0
	s_waitcnt lgkmcnt(0)
	v_add3_u32 v3, v3, v6, s17
.LBB270_800:                            ; =>This Inner Loop Header: Depth=1
	ds_read2st64_b32 v[6:7], v3 offset1:2
	v_add_u32_e32 v2, -1, v2
	v_cmp_eq_u32_e32 vcc, 0, v2
	s_or_b64 s[18:19], vcc, s[18:19]
	s_waitcnt lgkmcnt(0)
	v_pk_mul_f32 v[6:7], v[4:5], v[6:7]
	ds_write2st64_b32 v3, v6, v7 offset1:2
	v_add_u32_e32 v3, 0x400, v3
	s_andn2_b64 exec, exec, s[18:19]
	s_cbranch_execnz .LBB270_800
.LBB270_801:
	s_or_b64 exec, exec, s[8:9]
	v_add_u32_e32 v2, 1, v1
	v_and_b32_e32 v3, 0x3fffffe, v2
	v_cmp_ne_u32_e32 vcc, v2, v3
	v_lshl_add_u32 v1, v3, 7, v72
	s_orn2_b64 s[8:9], vcc, exec
.LBB270_802:
	s_or_b64 exec, exec, s[6:7]
	s_and_b64 exec, exec, s[8:9]
	s_cbranch_execz .LBB270_805
; %bb.803:
	s_ashr_i32 s17, s16, 31
	s_lshl_b64 s[6:7], s[16:17], 2
	s_getpc_b64 s[8:9]
	s_add_u32 s8, s8, llvm.amdgcn.dynlds.offset.table@rel32@lo+4
	s_addc_u32 s9, s9, llvm.amdgcn.dynlds.offset.table@rel32@hi+12
	s_add_u32 s6, s8, s6
	s_addc_u32 s7, s9, s7
	s_load_dword s6, s[6:7], 0x0
	s_waitcnt lgkmcnt(0)
	v_lshl_add_u32 v2, v1, 2, s6
	s_mov_b64 s[6:7], 0
.LBB270_804:                            ; =>This Inner Loop Header: Depth=1
	ds_read_b32 v3, v2
	v_add_u32_e32 v1, 0x80, v1
	v_cmp_ge_i32_e32 vcc, v1, v0
	s_or_b64 s[6:7], vcc, s[6:7]
	s_waitcnt lgkmcnt(0)
	v_mul_f32_e32 v3, v4, v3
	ds_write_b32 v2, v3
	v_add_u32_e32 v2, 0x200, v2
	s_andn2_b64 exec, exec, s[6:7]
	s_cbranch_execnz .LBB270_804
.LBB270_805:
	s_or_b64 exec, exec, s[4:5]
	s_waitcnt lgkmcnt(0)
	s_barrier
	s_and_saveexec_b64 s[4:5], s[2:3]
	s_xor_b64 s[2:3], exec, s[4:5]
	s_cbranch_execz .LBB270_807
; %bb.806:
                                        ; implicit-def: $vgpr0
	scratch_store_dwordx2 off, v[0:1], s32 offset:256 ; 8-byte Folded Spill
                                        ; implicit-def: $vgpr0_vgpr1
	s_ashr_i32 s17, s16, 31
                                        ; kill: killed $vgpr0_vgpr1
                                        ; implicit-def: $vgpr0_vgpr1
                                        ; implicit-def: $vgpr62
                                        ; implicit-def: $vgpr73
                                        ; implicit-def: $vgpr74
                                        ; implicit-def: $vgpr36_vgpr37
                                        ; kill: killed $vgpr0_vgpr1
                                        ; implicit-def: $vgpr22_vgpr23
                                        ; implicit-def: $vgpr18
                                        ; implicit-def: $vgpr38
                                        ; implicit-def: $vgpr0
                                        ; kill: killed $vgpr0
.LBB270_807:
	s_or_saveexec_b64 s[4:5], s[2:3]
	v_mov_b32_e32 v5, 0
	v_mov_b64_e32 v[34:35], s[16:17]
	v_and_b32_e32 v70, 3, v72
	v_mov_b32_e32 v4, 0
	v_mov_b32_e32 v9, 0
	;; [unrolled: 1-line block ×15, first 2 shown]
	s_xor_b64 exec, exec, s[4:5]
	s_cbranch_execz .LBB270_1611
; %bb.808:
	scratch_load_dword v0, off, s32 offset:400 ; 4-byte Folded Reload
	s_ashr_i32 s17, s16, 31
	s_lshl_b64 s[2:3], s[16:17], 2
	s_getpc_b64 s[8:9]
	s_add_u32 s8, s8, llvm.amdgcn.dynlds.offset.table@rel32@lo+4
	s_addc_u32 s9, s9, llvm.amdgcn.dynlds.offset.table@rel32@hi+12
	s_add_u32 s2, s8, s2
	s_addc_u32 s3, s9, s3
	s_load_dword s2, s[2:3], 0x0
	v_mov_b32_e32 v17, 0
	v_and_b32_e32 v4, 24, v38
	s_mov_b32 s6, -1
	v_lshl_add_u64 v[6:7], v[36:37], 0, v[18:19]
	v_and_b32_e32 v14, 0x1f8, v38
	s_mov_b32 s7, 0xffffff
	v_add_u32_e32 v71, -1, v73
	v_mov_b32_e32 v15, v17
	v_or_b32_e32 v34, 0x1e00, v38
	v_mov_b32_e32 v35, v17
	v_mov_b32_e32 v13, v62
	v_lshl_or_b32 v80, v74, 5, v4
	s_mov_b64 s[8:9], 0
	s_movk_i32 s24, 0x80
	s_movk_i32 s25, 0x7f
	s_mov_b32 s26, 0x8000
	v_mov_b32_e32 v82, 0x2000
	v_mov_b32_e32 v5, 0
	;; [unrolled: 1-line block ×17, first 2 shown]
	scratch_load_dwordx2 v[2:3], off, s32 offset:384 ; 8-byte Folded Reload
	s_waitcnt vmcnt(1)
	v_and_b32_e32 v16, 60, v0
	scratch_load_dwordx2 v[0:1], off, s32 offset:392 ; 8-byte Folded Reload
	s_waitcnt vmcnt(0)
	v_lshl_add_u64 v[0:1], v[0:1], 2, v[16:17]
	v_lshl_add_u64 v[2:3], v[2:3], 0, v[0:1]
	v_lshlrev_b32_e32 v0, 5, v70
	v_lshl_or_b32 v0, v74, 7, v0
	s_waitcnt lgkmcnt(0)
	v_add_u32_e32 v81, s2, v0
	s_branch .LBB270_810
.LBB270_809:                            ;   in Loop: Header=BB270_810 Depth=1
	s_or_b64 exec, exec, s[18:19]
	v_add_f32_e32 v0, v0, v1
	v_add_f32_e32 v20, v20, v0
	;; [unrolled: 1-line block ×22, first 2 shown]
	;;#ASMSTART
	v_pk_mul_f16 v0, v87, v11;

	;;#ASMEND
	;;#ASMSTART
	v_pk_mul_f16 v1, v85, v16;

	;;#ASMEND
	;; [unrolled: 4-line block ×4, first 2 shown]
	v_add_f32_e32 v36, v52, v53
	;;#ASMSTART
	v_pk_add_f16 v0, v0, v1;

	;;#ASMEND
	v_add_f32_e32 v4, v4, v36
	;;#ASMSTART
	v_pk_add_f16 v0, v0, v11;

	;;#ASMEND
	v_add_f32_e32 v36, v54, v55
	;;#ASMSTART
	v_pk_add_f16 v0, v0, v10;

	;;#ASMEND
	v_add_u32_e32 v74, 2, v74
	v_lshrrev_b32_e32 v1, 16, v0
	v_and_b32_e32 v0, 0xffff, v0
	;;#ASMSTART
	v_cvt_f32_f16 v0, v0;
	;;#ASMEND
	v_add_f32_e32 v9, v9, v36
	v_add_f32_e32 v36, v65, v66
	;; [unrolled: 1-line block ×3, first 2 shown]
	;;#ASMSTART
	v_cvt_f32_f16 v1, v1;
	;;#ASMEND
	v_cmp_ge_i32_e32 vcc, v74, v73
	v_add_f32_e32 v0, v0, v1
	v_add_f32_e32 v8, v8, v36
	;; [unrolled: 1-line block ×4, first 2 shown]
	v_lshl_add_u64 v[2:3], v[2:3], 0, 8
	v_add_u32_e32 v80, 64, v80
	s_or_b64 s[8:9], vcc, s[8:9]
	v_add_u32_e32 v81, 0x100, v81
	s_andn2_b64 exec, exec, s[8:9]
	s_cbranch_execz .LBB270_1610
.LBB270_810:                            ; =>This Inner Loop Header: Depth=1
	flat_load_dword v10, v[2:3]
	ds_read2_b64 v[36:39], v81 offset1:1
	ds_read2_b64 v[48:51], v81 offset0:2 offset1:3
	v_mov_b32_e32 v19, 0
	s_waitcnt lgkmcnt(0)
	;;#ASMSTART
	v_cvt_f16_f32 v0, v36;

	;;#ASMEND
	;;#ASMSTART
	v_cvt_f16_f32 v1, v37;

	;;#ASMEND
	;; [unrolled: 4-line block ×8, first 2 shown]
	scratch_load_dwordx2 v[36:37], off, s32 offset:256 ; 8-byte Folded Reload
	s_waitcnt vmcnt(0)
	v_mad_i64_i32 v[10:11], s[2:3], v10, v36, v[6:7]
	v_lshl_add_u64 v[36:37], v[10:11], 0, v[14:15]
	flat_load_dwordx2 v[48:49], v[36:37]
	flat_load_dword v38, v[22:23]
	s_waitcnt vmcnt(0) lgkmcnt(0)
	v_cmp_ne_u16_sdwa s[18:19], v48, v17 src0_sel:BYTE_0 src1_sel:DWORD
	s_and_saveexec_b64 s[2:3], s[18:19]
	s_cbranch_execz .LBB270_816
; %bb.811:                              ;   in Loop: Header=BB270_810 Depth=1
	v_cmp_ne_u16_sdwa s[20:21], v48, s24 src0_sel:BYTE_0 src1_sel:DWORD
	v_mov_b32_e32 v19, 0x8000
	s_and_saveexec_b64 s[18:19], s[20:21]
	s_cbranch_execz .LBB270_815
; %bb.812:                              ;   in Loop: Header=BB270_810 Depth=1
	v_and_b32_e32 v16, 0x7f, v48
	v_cmp_ne_u32_e32 vcc, s25, v16
	v_mov_b32_e32 v19, 0x7c01
	s_and_saveexec_b64 s[20:21], vcc
	s_cbranch_execz .LBB270_814
; %bb.813:                              ;   in Loop: Header=BB270_810 Depth=1
	v_and_b32_e32 v19, 7, v48
	v_ffbh_u32_e32 v50, v19
	v_min_u32_e32 v52, 32, v50
	v_subrev_u32_e32 v50, 28, v52
	v_lshlrev_b64 v[50:51], v50, v[48:49]
	v_lshrrev_b32_e32 v39, 3, v16
	v_sub_u32_e32 v51, 29, v52
	v_cmp_gt_u32_e32 vcc, 8, v16
	v_and_b32_e32 v50, 7, v50
	s_nop 0
	v_cndmask_b32_e32 v16, v39, v51, vcc
	v_lshl_add_u32 v16, v16, 10, v82
	v_lshlrev_b32_e32 v39, 8, v48
	v_and_b32_e32 v16, 0xfc00, v16
	v_cndmask_b32_e32 v19, v19, v50, vcc
	v_and_or_b32 v16, v39, s26, v16
	v_lshl_or_b32 v19, v19, 7, v16
.LBB270_814:                            ;   in Loop: Header=BB270_810 Depth=1
	s_or_b64 exec, exec, s[20:21]
.LBB270_815:                            ;   in Loop: Header=BB270_810 Depth=1
	s_or_b64 exec, exec, s[18:19]
.LBB270_816:                            ;   in Loop: Header=BB270_810 Depth=1
	s_or_b64 exec, exec, s[2:3]
	v_lshrrev_b16_e32 v16, 8, v48
	v_cmp_ne_u16_e32 vcc, 0, v16
	v_mov_b32_e32 v39, 0
	v_mov_b32_e32 v50, 0
	s_and_saveexec_b64 s[2:3], vcc
	s_cbranch_execz .LBB270_822
; %bb.817:                              ;   in Loop: Header=BB270_810 Depth=1
	v_cmp_ne_u16_e32 vcc, s24, v16
	v_bfrev_b32_e32 v50, 1
	s_and_saveexec_b64 s[18:19], vcc
	s_cbranch_execz .LBB270_821
; %bb.818:                              ;   in Loop: Header=BB270_810 Depth=1
	v_and_b32_e32 v51, 0x7f, v16
	v_cmp_ne_u32_e32 vcc, s25, v51
	v_mov_b32_e32 v50, 0x7c010000
	s_and_saveexec_b64 s[20:21], vcc
	s_cbranch_execz .LBB270_820
; %bb.819:                              ;   in Loop: Header=BB270_810 Depth=1
	v_and_b32_e32 v50, 7, v16
	v_ffbh_u32_e32 v52, v50
	v_min_u32_e32 v55, 32, v52
	v_subrev_u32_e32 v52, 28, v55
	v_lshlrev_b64 v[52:53], v52, v[16:17]
	v_lshrrev_b32_e32 v54, 3, v51
	v_sub_u32_e32 v53, 29, v55
	v_cmp_gt_u32_e32 vcc, 8, v51
	v_lshlrev_b32_e32 v16, 8, v16
	v_and_b32_e32 v52, 7, v52
	v_cndmask_b32_e32 v51, v54, v53, vcc
	v_lshl_add_u32 v51, v51, 10, v82
	v_and_or_b32 v16, v16, s26, v51
	v_cndmask_b32_e32 v50, v50, v52, vcc
	v_lshlrev_b32_e32 v16, 16, v16
	v_lshl_or_b32 v50, v50, 23, v16
.LBB270_820:                            ;   in Loop: Header=BB270_810 Depth=1
	s_or_b64 exec, exec, s[20:21]
.LBB270_821:                            ;   in Loop: Header=BB270_810 Depth=1
	s_or_b64 exec, exec, s[18:19]
.LBB270_822:                            ;   in Loop: Header=BB270_810 Depth=1
	s_or_b64 exec, exec, s[2:3]
	v_lshrrev_b32_e32 v16, 16, v48
	v_cmp_ne_u16_sdwa s[18:19], v16, v17 src0_sel:BYTE_0 src1_sel:DWORD
	s_and_saveexec_b64 s[2:3], s[18:19]
	s_cbranch_execz .LBB270_828
; %bb.823:                              ;   in Loop: Header=BB270_810 Depth=1
	v_cmp_ne_u16_sdwa s[20:21], v16, s24 src0_sel:BYTE_0 src1_sel:DWORD
	v_mov_b32_e32 v39, 0x8000
	s_and_saveexec_b64 s[18:19], s[20:21]
	s_cbranch_execz .LBB270_827
; %bb.824:                              ;   in Loop: Header=BB270_810 Depth=1
	v_bfe_u32 v51, v48, 16, 7
	v_cmp_ne_u32_e32 vcc, s25, v51
	v_mov_b32_e32 v39, 0x7c01
	s_and_saveexec_b64 s[20:21], vcc
	s_cbranch_execz .LBB270_826
; %bb.825:                              ;   in Loop: Header=BB270_810 Depth=1
	v_and_b32_e32 v39, 7, v16
	v_ffbh_u32_e32 v52, v39
	v_min_u32_e32 v55, 32, v52
	v_subrev_u32_e32 v52, 28, v55
	v_lshlrev_b64 v[52:53], v52, v[16:17]
	v_lshrrev_b32_e32 v54, 3, v51
	v_sub_u32_e32 v53, 29, v55
	v_cmp_gt_u32_e32 vcc, 8, v51
	v_lshlrev_b32_e32 v16, 8, v16
	v_and_b32_e32 v52, 7, v52
	v_cndmask_b32_e32 v51, v54, v53, vcc
	v_lshl_add_u32 v51, v51, 10, v82
	v_and_b32_e32 v51, 0xfc00, v51
	v_cndmask_b32_e32 v39, v39, v52, vcc
	v_and_or_b32 v16, v16, s26, v51
	v_lshl_or_b32 v39, v39, 7, v16
.LBB270_826:                            ;   in Loop: Header=BB270_810 Depth=1
	s_or_b64 exec, exec, s[20:21]
.LBB270_827:                            ;   in Loop: Header=BB270_810 Depth=1
	s_or_b64 exec, exec, s[18:19]
.LBB270_828:                            ;   in Loop: Header=BB270_810 Depth=1
	s_or_b64 exec, exec, s[2:3]
	v_cmp_lt_u32_e32 vcc, s7, v48
	v_mov_b32_e32 v51, 0
	v_mov_b32_e32 v52, 0
	s_and_saveexec_b64 s[2:3], vcc
	s_cbranch_execz .LBB270_834
; %bb.829:                              ;   in Loop: Header=BB270_810 Depth=1
	v_lshrrev_b32_e32 v16, 24, v48
	v_cmp_ne_u32_e32 vcc, s24, v16
	v_bfrev_b32_e32 v52, 1
	s_and_saveexec_b64 s[18:19], vcc
	s_cbranch_execz .LBB270_833
; %bb.830:                              ;   in Loop: Header=BB270_810 Depth=1
	v_and_b32_e32 v53, 0x7f, v16
	v_cmp_ne_u32_e32 vcc, s25, v53
	v_mov_b32_e32 v52, 0x7c010000
	s_and_saveexec_b64 s[20:21], vcc
	s_cbranch_execz .LBB270_832
; %bb.831:                              ;   in Loop: Header=BB270_810 Depth=1
	v_and_b32_e32 v52, 7, v16
	v_ffbh_u32_e32 v54, v52
	v_min_u32_e32 v85, 32, v54
	v_subrev_u32_e32 v54, 28, v85
	v_lshlrev_b64 v[54:55], v54, v[16:17]
	v_lshrrev_b32_e32 v84, 3, v53
	v_sub_u32_e32 v55, 29, v85
	v_cmp_gt_u32_e32 vcc, 8, v53
	v_lshlrev_b32_e32 v16, 8, v16
	v_and_b32_e32 v54, 7, v54
	v_cndmask_b32_e32 v53, v84, v55, vcc
	v_lshl_add_u32 v53, v53, 10, v82
	v_and_or_b32 v16, v16, s26, v53
	v_cndmask_b32_e32 v52, v52, v54, vcc
	v_lshlrev_b32_e32 v16, 16, v16
	v_lshl_or_b32 v52, v52, 23, v16
.LBB270_832:                            ;   in Loop: Header=BB270_810 Depth=1
	s_or_b64 exec, exec, s[20:21]
.LBB270_833:                            ;   in Loop: Header=BB270_810 Depth=1
	s_or_b64 exec, exec, s[18:19]
.LBB270_834:                            ;   in Loop: Header=BB270_810 Depth=1
	s_or_b64 exec, exec, s[2:3]
	v_mov_b32_e32 v16, v49
	v_cmp_ne_u16_sdwa s[18:19], v49, v17 src0_sel:BYTE_0 src1_sel:DWORD
	s_and_saveexec_b64 s[2:3], s[18:19]
	s_cbranch_execz .LBB270_840
; %bb.835:                              ;   in Loop: Header=BB270_810 Depth=1
	v_cmp_ne_u16_sdwa s[20:21], v49, s24 src0_sel:BYTE_0 src1_sel:DWORD
	v_mov_b32_e32 v51, 0x8000
	s_and_saveexec_b64 s[18:19], s[20:21]
	s_cbranch_execz .LBB270_839
; %bb.836:                              ;   in Loop: Header=BB270_810 Depth=1
	v_and_b32_e32 v53, 0x7f, v49
	v_cmp_ne_u32_e32 vcc, s25, v53
	v_mov_b32_e32 v51, 0x7c01
	s_and_saveexec_b64 s[20:21], vcc
	s_cbranch_execz .LBB270_838
; %bb.837:                              ;   in Loop: Header=BB270_810 Depth=1
	v_and_b32_e32 v51, 7, v49
	v_ffbh_u32_e32 v54, v51
	v_min_u32_e32 v85, 32, v54
	v_subrev_u32_e32 v54, 28, v85
	v_lshlrev_b64 v[54:55], v54, v[16:17]
	v_lshrrev_b32_e32 v84, 3, v53
	v_sub_u32_e32 v55, 29, v85
	v_cmp_gt_u32_e32 vcc, 8, v53
	v_and_b32_e32 v54, 7, v54
	s_nop 0
	v_cndmask_b32_e32 v53, v84, v55, vcc
	v_lshl_add_u32 v53, v53, 10, v82
	v_lshlrev_b32_e32 v55, 8, v49
	v_and_b32_e32 v53, 0xfc00, v53
	v_cndmask_b32_e32 v51, v51, v54, vcc
	v_and_or_b32 v53, v55, s26, v53
	v_lshl_or_b32 v51, v51, 7, v53
.LBB270_838:                            ;   in Loop: Header=BB270_810 Depth=1
	s_or_b64 exec, exec, s[20:21]
.LBB270_839:                            ;   in Loop: Header=BB270_810 Depth=1
	s_or_b64 exec, exec, s[18:19]
.LBB270_840:                            ;   in Loop: Header=BB270_810 Depth=1
	s_or_b64 exec, exec, s[2:3]
	v_lshrrev_b16_e32 v16, 8, v16
	v_cmp_ne_u16_e32 vcc, 0, v16
	v_mov_b32_e32 v54, 0
	v_mov_b32_e32 v53, 0
	s_and_saveexec_b64 s[2:3], vcc
	s_cbranch_execz .LBB270_846
; %bb.841:                              ;   in Loop: Header=BB270_810 Depth=1
	v_cmp_ne_u16_e32 vcc, s24, v16
	v_bfrev_b32_e32 v53, 1
	s_and_saveexec_b64 s[18:19], vcc
	s_cbranch_execz .LBB270_845
; %bb.842:                              ;   in Loop: Header=BB270_810 Depth=1
	v_and_b32_e32 v55, 0x7f, v16
	v_cmp_ne_u32_e32 vcc, s25, v55
	v_mov_b32_e32 v53, 0x7c010000
	s_and_saveexec_b64 s[20:21], vcc
	s_cbranch_execz .LBB270_844
; %bb.843:                              ;   in Loop: Header=BB270_810 Depth=1
	v_and_b32_e32 v53, 7, v16
	v_ffbh_u32_e32 v84, v53
	v_min_u32_e32 v87, 32, v84
	v_subrev_u32_e32 v84, 28, v87
	v_lshlrev_b64 v[84:85], v84, v[16:17]
	v_lshrrev_b32_e32 v86, 3, v55
	v_sub_u32_e32 v85, 29, v87
	v_cmp_gt_u32_e32 vcc, 8, v55
	v_lshlrev_b32_e32 v16, 8, v16
	v_and_b32_e32 v84, 7, v84
	v_cndmask_b32_e32 v55, v86, v85, vcc
	v_lshl_add_u32 v55, v55, 10, v82
	v_and_or_b32 v16, v16, s26, v55
	v_cndmask_b32_e32 v53, v53, v84, vcc
	v_lshlrev_b32_e32 v16, 16, v16
	v_lshl_or_b32 v53, v53, 23, v16
.LBB270_844:                            ;   in Loop: Header=BB270_810 Depth=1
	s_or_b64 exec, exec, s[20:21]
.LBB270_845:                            ;   in Loop: Header=BB270_810 Depth=1
	s_or_b64 exec, exec, s[18:19]
.LBB270_846:                            ;   in Loop: Header=BB270_810 Depth=1
	s_or_b64 exec, exec, s[2:3]
	v_lshrrev_b32_e32 v16, 16, v49
	v_cmp_ne_u16_sdwa s[18:19], v16, v17 src0_sel:BYTE_0 src1_sel:DWORD
	s_and_saveexec_b64 s[2:3], s[18:19]
	s_cbranch_execz .LBB270_852
; %bb.847:                              ;   in Loop: Header=BB270_810 Depth=1
	v_cmp_ne_u16_sdwa s[20:21], v16, s24 src0_sel:BYTE_0 src1_sel:DWORD
	v_mov_b32_e32 v54, 0x8000
	s_and_saveexec_b64 s[18:19], s[20:21]
	s_cbranch_execz .LBB270_851
; %bb.848:                              ;   in Loop: Header=BB270_810 Depth=1
	v_bfe_u32 v55, v49, 16, 7
	v_cmp_ne_u32_e32 vcc, s25, v55
	v_mov_b32_e32 v54, 0x7c01
	s_and_saveexec_b64 s[20:21], vcc
	s_cbranch_execz .LBB270_850
; %bb.849:                              ;   in Loop: Header=BB270_810 Depth=1
	v_and_b32_e32 v54, 7, v16
	v_ffbh_u32_e32 v84, v54
	v_min_u32_e32 v87, 32, v84
	v_subrev_u32_e32 v84, 28, v87
	v_lshlrev_b64 v[84:85], v84, v[16:17]
	v_lshrrev_b32_e32 v86, 3, v55
	v_sub_u32_e32 v85, 29, v87
	v_cmp_gt_u32_e32 vcc, 8, v55
	v_lshlrev_b32_e32 v16, 8, v16
	v_and_b32_e32 v84, 7, v84
	v_cndmask_b32_e32 v55, v86, v85, vcc
	v_lshl_add_u32 v55, v55, 10, v82
	v_and_b32_e32 v55, 0xfc00, v55
	v_cndmask_b32_e32 v54, v54, v84, vcc
	v_and_or_b32 v16, v16, s26, v55
	v_lshl_or_b32 v54, v54, 7, v16
.LBB270_850:                            ;   in Loop: Header=BB270_810 Depth=1
	s_or_b64 exec, exec, s[20:21]
.LBB270_851:                            ;   in Loop: Header=BB270_810 Depth=1
	s_or_b64 exec, exec, s[18:19]
.LBB270_852:                            ;   in Loop: Header=BB270_810 Depth=1
	s_or_b64 exec, exec, s[2:3]
	v_cmp_lt_u64_e32 vcc, s[6:7], v[48:49]
	v_mov_b32_e32 v55, 0
	s_and_saveexec_b64 s[2:3], vcc
	s_cbranch_execz .LBB270_858
; %bb.853:                              ;   in Loop: Header=BB270_810 Depth=1
	v_lshrrev_b32_e32 v16, 24, v49
	v_cmp_ne_u32_e32 vcc, s24, v16
	v_bfrev_b32_e32 v55, 1
	s_and_saveexec_b64 s[18:19], vcc
	s_cbranch_execz .LBB270_857
; %bb.854:                              ;   in Loop: Header=BB270_810 Depth=1
	v_and_b32_e32 v48, 0x7f, v16
	v_cmp_ne_u32_e32 vcc, s25, v48
	v_mov_b32_e32 v55, 0x7c010000
	s_and_saveexec_b64 s[20:21], vcc
	s_cbranch_execz .LBB270_856
; %bb.855:                              ;   in Loop: Header=BB270_810 Depth=1
	v_and_b32_e32 v49, 7, v16
	v_ffbh_u32_e32 v84, v49
	v_min_u32_e32 v86, 32, v84
	v_subrev_u32_e32 v84, 28, v86
	v_lshlrev_b64 v[84:85], v84, v[16:17]
	v_lshrrev_b32_e32 v55, 3, v48
	v_sub_u32_e32 v85, 29, v86
	v_cmp_gt_u32_e32 vcc, 8, v48
	v_lshlrev_b32_e32 v16, 8, v16
	s_nop 0
	v_cndmask_b32_e32 v48, v55, v85, vcc
	v_lshl_add_u32 v48, v48, 10, v82
	v_and_b32_e32 v55, 7, v84
	v_and_or_b32 v16, v16, s26, v48
	v_cndmask_b32_e32 v49, v49, v55, vcc
	v_lshlrev_b32_e32 v16, 16, v16
	v_lshl_or_b32 v55, v49, 23, v16
.LBB270_856:                            ;   in Loop: Header=BB270_810 Depth=1
	s_or_b64 exec, exec, s[20:21]
.LBB270_857:                            ;   in Loop: Header=BB270_810 Depth=1
	s_or_b64 exec, exec, s[18:19]
.LBB270_858:                            ;   in Loop: Header=BB270_810 Depth=1
	s_or_b64 exec, exec, s[2:3]
	v_cvt_f32_f16_sdwa v49, v50 dst_sel:DWORD dst_unused:UNUSED_PAD src0_sel:WORD_1
	v_cvt_f32_f16_sdwa v48, v52 dst_sel:DWORD dst_unused:UNUSED_PAD src0_sel:WORD_1
	v_or_b32_e32 v16, v50, v19
	v_or_b32_e32 v19, v52, v39
	v_cvt_f32_f16_e32 v84, v19
	v_cvt_f32_f16_e32 v85, v16
	v_pk_mul_f32 v[48:49], v[38:39], v[48:49] op_sel_hi:[0,1]
	v_cvt_pk_f16_f32 v16, v48, v49
	v_and_b32_e32 v39, 0xffff0000, v16
	v_pk_mul_f32 v[84:85], v[38:39], v[84:85] op_sel_hi:[0,1]
	v_lshlrev_b32_e32 v48, 16, v16
	v_cvt_pk_f16_f32 v16, v84, v85
	v_lshrrev_b32_e32 v49, 16, v16
	v_and_b32_e32 v50, 0xffff, v16
	v_or_b32_e32 v16, v53, v51
	v_or_b32_e32 v51, v55, v54
	v_cvt_f32_f16_e32 v84, v51
	v_cvt_f32_f16_e32 v85, v16
	v_cvt_f32_f16_sdwa v53, v53 dst_sel:DWORD dst_unused:UNUSED_PAD src0_sel:WORD_1
	v_cvt_f32_f16_sdwa v52, v55 dst_sel:DWORD dst_unused:UNUSED_PAD src0_sel:WORD_1
	v_cmp_eq_u32_e64 s[2:3], v71, v74
	v_pk_mul_f32 v[54:55], v[38:39], v[84:85] op_sel_hi:[0,1]
	v_cvt_pk_f16_f32 v54, v54, v55
	v_pk_mul_f32 v[52:53], v[38:39], v[52:53] op_sel_hi:[0,1]
	v_cvt_pk_f16_f32 v38, v52, v53
	v_and_b32_e32 v51, 0xffff0000, v38
	v_lshlrev_b32_e32 v38, 16, v38
	v_lshrrev_b32_e32 v55, 16, v54
	v_and_b32_e32 v54, 0xffff, v54
	v_or_b32_e32 v19, v39, v49
	v_or_b32_e32 v16, v48, v50
	;; [unrolled: 1-line block ×4, first 2 shown]
	v_add_u32_e32 v101, 2, v80
	v_or_b32_e32 v100, 1, v80
	v_or_b32_e32 v99, 3, v80
	;; [unrolled: 1-line block ×6, first 2 shown]
	s_and_saveexec_b64 s[18:19], s[2:3]
	s_cbranch_execz .LBB270_860
; %bb.859:                              ;   in Loop: Header=BB270_810 Depth=1
	v_cmp_lt_i32_e32 vcc, v80, v13
	s_nop 1
	v_cndmask_b32_e32 v16, 0, v49, vcc
	v_cmp_lt_i32_e32 vcc, v101, v62
	s_nop 1
	v_cndmask_b32_e32 v49, 0, v50, vcc
	;; [unrolled: 3-line block ×3, first 2 shown]
	v_cmp_lt_i32_e32 vcc, v99, v62
	v_or_b32_e32 v19, v16, v19
	s_nop 0
	v_cndmask_b32_e32 v39, 0, v48, vcc
	v_cmp_lt_i32_e32 vcc, v98, v13
	v_or_b32_e32 v16, v49, v39
	s_nop 0
	v_cndmask_b32_e32 v39, 0, v55, vcc
	v_cmp_lt_i32_e32 vcc, v97, v62
	s_nop 1
	v_cndmask_b32_e32 v48, 0, v54, vcc
	v_cmp_lt_i32_e32 vcc, v96, v13
	;; [unrolled: 3-line block ×3, first 2 shown]
	v_or_b32_e32 v53, v39, v49
	s_nop 0
	v_cndmask_b32_e32 v38, 0, v38, vcc
	v_or_b32_e32 v52, v48, v38
.LBB270_860:                            ;   in Loop: Header=BB270_810 Depth=1
	s_or_b64 exec, exec, s[18:19]
	v_and_b32_e32 v0, 0xffff, v0
	v_lshl_or_b32 v87, v1, 16, v0
	v_and_b32_e32 v0, 0xffff, v18
	v_lshl_or_b32 v85, v64, 16, v0
	;; [unrolled: 2-line block ×4, first 2 shown]
	;;#ASMSTART
	v_pk_mul_f16 v0, v87, v19;

	;;#ASMEND
	;;#ASMSTART
	v_pk_mul_f16 v1, v85, v16;

	;;#ASMEND
	;; [unrolled: 4-line block ×4, first 2 shown]
	s_nop 0
	;;#ASMSTART
	v_pk_add_f16 v0, v0, v1;

	;;#ASMEND
	s_nop 0
	;;#ASMSTART
	v_pk_add_f16 v0, v0, v16;

	;;#ASMEND
	;; [unrolled: 5-line block ×3, first 2 shown]
	s_nop 0
	v_lshrrev_b32_e32 v1, 16, v0
	v_and_b32_e32 v0, 0xffff, v0
	;;#ASMSTART
	v_cvt_f32_f16 v102, v0;
	;;#ASMEND
	;;#ASMSTART
	v_cvt_f32_f16 v103, v1;
	;;#ASMEND
	flat_load_dwordx2 v[48:49], v[36:37] offset:512
	flat_load_dword v38, v[22:23]
	v_mov_b32_e32 v1, 0
	v_mov_b32_e32 v0, 0
	s_waitcnt vmcnt(0) lgkmcnt(0)
	v_cmp_ne_u16_sdwa s[20:21], v48, v17 src0_sel:BYTE_0 src1_sel:DWORD
	s_and_saveexec_b64 s[18:19], s[20:21]
	s_cbranch_execz .LBB270_866
; %bb.861:                              ;   in Loop: Header=BB270_810 Depth=1
	v_cmp_ne_u16_sdwa s[22:23], v48, s24 src0_sel:BYTE_0 src1_sel:DWORD
	v_mov_b32_e32 v0, 0x8000
	s_and_saveexec_b64 s[20:21], s[22:23]
	s_cbranch_execz .LBB270_865
; %bb.862:                              ;   in Loop: Header=BB270_810 Depth=1
	v_and_b32_e32 v16, 0x7f, v48
	v_cmp_ne_u32_e32 vcc, s25, v16
	v_mov_b32_e32 v0, 0x7c01
	s_and_saveexec_b64 s[22:23], vcc
	s_cbranch_execz .LBB270_864
; %bb.863:                              ;   in Loop: Header=BB270_810 Depth=1
	v_and_b32_e32 v0, 7, v48
	v_ffbh_u32_e32 v18, v0
	v_min_u32_e32 v50, 32, v18
	v_subrev_u32_e32 v18, 28, v50
	v_lshlrev_b64 v[18:19], v18, v[48:49]
	v_lshrrev_b32_e32 v39, 3, v16
	v_sub_u32_e32 v19, 29, v50
	v_cmp_gt_u32_e32 vcc, 8, v16
	v_and_b32_e32 v18, 7, v18
	s_nop 0
	v_cndmask_b32_e32 v16, v39, v19, vcc
	v_lshl_add_u32 v16, v16, 10, v82
	v_lshlrev_b32_e32 v19, 8, v48
	v_and_b32_e32 v16, 0xfc00, v16
	v_cndmask_b32_e32 v0, v0, v18, vcc
	v_and_or_b32 v16, v19, s26, v16
	v_lshl_or_b32 v0, v0, 7, v16
.LBB270_864:                            ;   in Loop: Header=BB270_810 Depth=1
	s_or_b64 exec, exec, s[22:23]
.LBB270_865:                            ;   in Loop: Header=BB270_810 Depth=1
	s_or_b64 exec, exec, s[20:21]
.LBB270_866:                            ;   in Loop: Header=BB270_810 Depth=1
	s_or_b64 exec, exec, s[18:19]
	v_lshrrev_b16_e32 v16, 8, v48
	v_cmp_ne_u16_e32 vcc, 0, v16
	s_and_saveexec_b64 s[18:19], vcc
	s_cbranch_execz .LBB270_872
; %bb.867:                              ;   in Loop: Header=BB270_810 Depth=1
	v_cmp_ne_u16_e32 vcc, s24, v16
	v_bfrev_b32_e32 v1, 1
	s_and_saveexec_b64 s[20:21], vcc
	s_cbranch_execz .LBB270_871
; %bb.868:                              ;   in Loop: Header=BB270_810 Depth=1
	v_and_b32_e32 v18, 0x7f, v16
	v_cmp_ne_u32_e32 vcc, s25, v18
	v_mov_b32_e32 v1, 0x7c010000
	s_and_saveexec_b64 s[22:23], vcc
	s_cbranch_execz .LBB270_870
; %bb.869:                              ;   in Loop: Header=BB270_810 Depth=1
	v_and_b32_e32 v1, 7, v16
	v_ffbh_u32_e32 v39, v1
	v_min_u32_e32 v39, 32, v39
	v_lshrrev_b32_e32 v19, 3, v18
	v_subrev_u32_e32 v50, 28, v39
	v_sub_u32_e32 v39, 29, v39
	v_cmp_gt_u32_e32 vcc, 8, v18
	v_lshlrev_b64 v[50:51], v50, v[16:17]
	v_lshlrev_b32_e32 v16, 8, v16
	v_cndmask_b32_e32 v18, v19, v39, vcc
	v_lshl_add_u32 v18, v18, 10, v82
	v_and_b32_e32 v19, 7, v50
	v_and_or_b32 v16, v16, s26, v18
	v_cndmask_b32_e32 v1, v1, v19, vcc
	v_lshlrev_b32_e32 v16, 16, v16
	v_lshl_or_b32 v1, v1, 23, v16
.LBB270_870:                            ;   in Loop: Header=BB270_810 Depth=1
	s_or_b64 exec, exec, s[22:23]
.LBB270_871:                            ;   in Loop: Header=BB270_810 Depth=1
	s_or_b64 exec, exec, s[20:21]
.LBB270_872:                            ;   in Loop: Header=BB270_810 Depth=1
	s_or_b64 exec, exec, s[18:19]
	v_lshrrev_b32_e32 v16, 16, v48
	v_cmp_ne_u16_sdwa s[20:21], v16, v17 src0_sel:BYTE_0 src1_sel:DWORD
	v_mov_b32_e32 v19, 0
	v_mov_b32_e32 v18, 0
	s_and_saveexec_b64 s[18:19], s[20:21]
	s_cbranch_execz .LBB270_878
; %bb.873:                              ;   in Loop: Header=BB270_810 Depth=1
	v_cmp_ne_u16_sdwa s[22:23], v16, s24 src0_sel:BYTE_0 src1_sel:DWORD
	v_mov_b32_e32 v18, 0x8000
	s_and_saveexec_b64 s[20:21], s[22:23]
	s_cbranch_execz .LBB270_877
; %bb.874:                              ;   in Loop: Header=BB270_810 Depth=1
	v_bfe_u32 v39, v48, 16, 7
	v_cmp_ne_u32_e32 vcc, s25, v39
	v_mov_b32_e32 v18, 0x7c01
	s_and_saveexec_b64 s[22:23], vcc
	s_cbranch_execz .LBB270_876
; %bb.875:                              ;   in Loop: Header=BB270_810 Depth=1
	v_and_b32_e32 v18, 7, v16
	v_ffbh_u32_e32 v50, v18
	v_min_u32_e32 v53, 32, v50
	v_subrev_u32_e32 v50, 28, v53
	v_lshlrev_b64 v[50:51], v50, v[16:17]
	v_lshrrev_b32_e32 v52, 3, v39
	v_sub_u32_e32 v51, 29, v53
	v_cmp_gt_u32_e32 vcc, 8, v39
	v_lshlrev_b32_e32 v16, 8, v16
	v_and_b32_e32 v50, 7, v50
	v_cndmask_b32_e32 v39, v52, v51, vcc
	v_lshl_add_u32 v39, v39, 10, v82
	v_and_b32_e32 v39, 0xfc00, v39
	v_cndmask_b32_e32 v18, v18, v50, vcc
	v_and_or_b32 v16, v16, s26, v39
	v_lshl_or_b32 v18, v18, 7, v16
.LBB270_876:                            ;   in Loop: Header=BB270_810 Depth=1
	s_or_b64 exec, exec, s[22:23]
.LBB270_877:                            ;   in Loop: Header=BB270_810 Depth=1
	s_or_b64 exec, exec, s[20:21]
.LBB270_878:                            ;   in Loop: Header=BB270_810 Depth=1
	s_or_b64 exec, exec, s[18:19]
	v_cmp_lt_u32_e32 vcc, s7, v48
	s_and_saveexec_b64 s[18:19], vcc
	s_cbranch_execz .LBB270_884
; %bb.879:                              ;   in Loop: Header=BB270_810 Depth=1
	v_lshrrev_b32_e32 v16, 24, v48
	v_cmp_ne_u32_e32 vcc, s24, v16
	v_bfrev_b32_e32 v19, 1
	s_and_saveexec_b64 s[20:21], vcc
	s_cbranch_execz .LBB270_883
; %bb.880:                              ;   in Loop: Header=BB270_810 Depth=1
	v_and_b32_e32 v39, 0x7f, v16
	v_cmp_ne_u32_e32 vcc, s25, v39
	v_mov_b32_e32 v19, 0x7c010000
	s_and_saveexec_b64 s[22:23], vcc
	s_cbranch_execz .LBB270_882
; %bb.881:                              ;   in Loop: Header=BB270_810 Depth=1
	v_and_b32_e32 v19, 7, v16
	v_ffbh_u32_e32 v50, v19
	v_min_u32_e32 v53, 32, v50
	v_subrev_u32_e32 v50, 28, v53
	v_lshlrev_b64 v[50:51], v50, v[16:17]
	v_lshrrev_b32_e32 v52, 3, v39
	v_sub_u32_e32 v51, 29, v53
	v_cmp_gt_u32_e32 vcc, 8, v39
	v_lshlrev_b32_e32 v16, 8, v16
	v_and_b32_e32 v50, 7, v50
	v_cndmask_b32_e32 v39, v52, v51, vcc
	v_lshl_add_u32 v39, v39, 10, v82
	v_and_or_b32 v16, v16, s26, v39
	v_cndmask_b32_e32 v19, v19, v50, vcc
	v_lshlrev_b32_e32 v16, 16, v16
	v_lshl_or_b32 v19, v19, 23, v16
.LBB270_882:                            ;   in Loop: Header=BB270_810 Depth=1
	s_or_b64 exec, exec, s[22:23]
.LBB270_883:                            ;   in Loop: Header=BB270_810 Depth=1
	s_or_b64 exec, exec, s[20:21]
.LBB270_884:                            ;   in Loop: Header=BB270_810 Depth=1
	s_or_b64 exec, exec, s[18:19]
	v_mov_b32_e32 v16, v49
	v_cmp_ne_u16_sdwa s[20:21], v49, v17 src0_sel:BYTE_0 src1_sel:DWORD
	v_mov_b32_e32 v51, 0
	v_mov_b32_e32 v52, 0
	s_and_saveexec_b64 s[18:19], s[20:21]
	s_cbranch_execz .LBB270_890
; %bb.885:                              ;   in Loop: Header=BB270_810 Depth=1
	v_cmp_ne_u16_sdwa s[22:23], v49, s24 src0_sel:BYTE_0 src1_sel:DWORD
	v_mov_b32_e32 v52, 0x8000
	s_and_saveexec_b64 s[20:21], s[22:23]
	s_cbranch_execz .LBB270_889
; %bb.886:                              ;   in Loop: Header=BB270_810 Depth=1
	v_and_b32_e32 v39, 0x7f, v49
	v_cmp_ne_u32_e32 vcc, s25, v39
	v_mov_b32_e32 v52, 0x7c01
	s_and_saveexec_b64 s[22:23], vcc
	s_cbranch_execz .LBB270_888
; %bb.887:                              ;   in Loop: Header=BB270_810 Depth=1
	v_and_b32_e32 v50, 7, v49
	v_ffbh_u32_e32 v52, v50
	v_min_u32_e32 v55, 32, v52
	v_subrev_u32_e32 v52, 28, v55
	v_lshlrev_b64 v[52:53], v52, v[16:17]
	v_lshrrev_b32_e32 v54, 3, v39
	v_sub_u32_e32 v53, 29, v55
	v_cmp_gt_u32_e32 vcc, 8, v39
	v_and_b32_e32 v52, 7, v52
	s_nop 0
	v_cndmask_b32_e32 v39, v54, v53, vcc
	v_lshl_add_u32 v39, v39, 10, v82
	v_lshlrev_b32_e32 v53, 8, v49
	v_and_b32_e32 v39, 0xfc00, v39
	v_cndmask_b32_e32 v50, v50, v52, vcc
	v_and_or_b32 v39, v53, s26, v39
	v_lshl_or_b32 v52, v50, 7, v39
.LBB270_888:                            ;   in Loop: Header=BB270_810 Depth=1
	s_or_b64 exec, exec, s[22:23]
.LBB270_889:                            ;   in Loop: Header=BB270_810 Depth=1
	s_or_b64 exec, exec, s[20:21]
.LBB270_890:                            ;   in Loop: Header=BB270_810 Depth=1
	s_or_b64 exec, exec, s[18:19]
	v_lshrrev_b16_e32 v16, 8, v16
	v_cmp_ne_u16_e32 vcc, 0, v16
	v_mov_b32_e32 v53, 0
	s_and_saveexec_b64 s[18:19], vcc
	s_cbranch_execz .LBB270_896
; %bb.891:                              ;   in Loop: Header=BB270_810 Depth=1
	v_cmp_ne_u16_e32 vcc, s24, v16
	v_bfrev_b32_e32 v53, 1
	s_and_saveexec_b64 s[20:21], vcc
	s_cbranch_execz .LBB270_895
; %bb.892:                              ;   in Loop: Header=BB270_810 Depth=1
	v_and_b32_e32 v39, 0x7f, v16
	v_cmp_ne_u32_e32 vcc, s25, v39
	v_mov_b32_e32 v53, 0x7c010000
	s_and_saveexec_b64 s[22:23], vcc
	s_cbranch_execz .LBB270_894
; %bb.893:                              ;   in Loop: Header=BB270_810 Depth=1
	v_and_b32_e32 v50, 7, v16
	v_ffbh_u32_e32 v54, v50
	v_min_u32_e32 v64, 32, v54
	v_subrev_u32_e32 v54, 28, v64
	v_lshlrev_b64 v[54:55], v54, v[16:17]
	v_lshrrev_b32_e32 v53, 3, v39
	v_sub_u32_e32 v55, 29, v64
	v_cmp_gt_u32_e32 vcc, 8, v39
	v_lshlrev_b32_e32 v16, 8, v16
	s_nop 0
	v_cndmask_b32_e32 v39, v53, v55, vcc
	v_lshl_add_u32 v39, v39, 10, v82
	v_and_b32_e32 v53, 7, v54
	v_and_or_b32 v16, v16, s26, v39
	v_cndmask_b32_e32 v50, v50, v53, vcc
	v_lshlrev_b32_e32 v16, 16, v16
	v_lshl_or_b32 v53, v50, 23, v16
.LBB270_894:                            ;   in Loop: Header=BB270_810 Depth=1
	s_or_b64 exec, exec, s[22:23]
.LBB270_895:                            ;   in Loop: Header=BB270_810 Depth=1
	s_or_b64 exec, exec, s[20:21]
.LBB270_896:                            ;   in Loop: Header=BB270_810 Depth=1
	s_or_b64 exec, exec, s[18:19]
	v_lshrrev_b32_e32 v16, 16, v49
	v_cmp_ne_u16_sdwa s[20:21], v16, v17 src0_sel:BYTE_0 src1_sel:DWORD
	s_and_saveexec_b64 s[18:19], s[20:21]
	s_cbranch_execz .LBB270_902
; %bb.897:                              ;   in Loop: Header=BB270_810 Depth=1
	v_cmp_ne_u16_sdwa s[22:23], v16, s24 src0_sel:BYTE_0 src1_sel:DWORD
	v_mov_b32_e32 v51, 0x8000
	s_and_saveexec_b64 s[20:21], s[22:23]
	s_cbranch_execz .LBB270_901
; %bb.898:                              ;   in Loop: Header=BB270_810 Depth=1
	v_bfe_u32 v39, v49, 16, 7
	v_cmp_ne_u32_e32 vcc, s25, v39
	v_mov_b32_e32 v51, 0x7c01
	s_and_saveexec_b64 s[22:23], vcc
	s_cbranch_execz .LBB270_900
; %bb.899:                              ;   in Loop: Header=BB270_810 Depth=1
	v_and_b32_e32 v54, 7, v16
	v_ffbh_u32_e32 v50, v54
	v_min_u32_e32 v64, 32, v50
	v_subrev_u32_e32 v50, 28, v64
	v_lshlrev_b64 v[50:51], v50, v[16:17]
	v_lshrrev_b32_e32 v55, 3, v39
	v_sub_u32_e32 v51, 29, v64
	v_cmp_gt_u32_e32 vcc, 8, v39
	v_lshlrev_b32_e32 v16, 8, v16
	v_and_b32_e32 v50, 7, v50
	v_cndmask_b32_e32 v39, v55, v51, vcc
	v_lshl_add_u32 v39, v39, 10, v82
	v_and_b32_e32 v39, 0xfc00, v39
	v_cndmask_b32_e32 v50, v54, v50, vcc
	v_and_or_b32 v16, v16, s26, v39
	v_lshl_or_b32 v51, v50, 7, v16
.LBB270_900:                            ;   in Loop: Header=BB270_810 Depth=1
	s_or_b64 exec, exec, s[22:23]
.LBB270_901:                            ;   in Loop: Header=BB270_810 Depth=1
	s_or_b64 exec, exec, s[20:21]
.LBB270_902:                            ;   in Loop: Header=BB270_810 Depth=1
	s_or_b64 exec, exec, s[18:19]
	v_cmp_lt_u64_e32 vcc, s[6:7], v[48:49]
	v_mov_b32_e32 v48, 0
	s_and_saveexec_b64 s[18:19], vcc
	s_cbranch_execz .LBB270_908
; %bb.903:                              ;   in Loop: Header=BB270_810 Depth=1
	v_lshrrev_b32_e32 v16, 24, v49
	v_cmp_ne_u32_e32 vcc, s24, v16
	v_bfrev_b32_e32 v48, 1
	s_and_saveexec_b64 s[20:21], vcc
	s_cbranch_execz .LBB270_907
; %bb.904:                              ;   in Loop: Header=BB270_810 Depth=1
	v_and_b32_e32 v39, 0x7f, v16
	v_cmp_ne_u32_e32 vcc, s25, v39
	v_mov_b32_e32 v48, 0x7c010000
	s_and_saveexec_b64 s[22:23], vcc
	s_cbranch_execz .LBB270_906
; %bb.905:                              ;   in Loop: Header=BB270_810 Depth=1
	v_and_b32_e32 v50, 7, v16
	v_ffbh_u32_e32 v48, v50
	v_min_u32_e32 v55, 32, v48
	v_subrev_u32_e32 v48, 28, v55
	v_lshlrev_b64 v[48:49], v48, v[16:17]
	v_lshrrev_b32_e32 v54, 3, v39
	v_sub_u32_e32 v49, 29, v55
	v_cmp_gt_u32_e32 vcc, 8, v39
	v_lshlrev_b32_e32 v16, 8, v16
	v_and_b32_e32 v48, 7, v48
	v_cndmask_b32_e32 v39, v54, v49, vcc
	v_lshl_add_u32 v39, v39, 10, v82
	v_and_or_b32 v16, v16, s26, v39
	v_cndmask_b32_e32 v48, v50, v48, vcc
	v_lshlrev_b32_e32 v16, 16, v16
	v_lshl_or_b32 v48, v48, 23, v16
.LBB270_906:                            ;   in Loop: Header=BB270_810 Depth=1
	s_or_b64 exec, exec, s[22:23]
.LBB270_907:                            ;   in Loop: Header=BB270_810 Depth=1
	s_or_b64 exec, exec, s[20:21]
.LBB270_908:                            ;   in Loop: Header=BB270_810 Depth=1
	s_or_b64 exec, exec, s[18:19]
	v_cvt_f32_f16_sdwa v55, v1 dst_sel:DWORD dst_unused:UNUSED_PAD src0_sel:WORD_1
	v_cvt_f32_f16_sdwa v54, v19 dst_sel:DWORD dst_unused:UNUSED_PAD src0_sel:WORD_1
	v_or_b32_e32 v16, v1, v0
	v_or_b32_e32 v18, v19, v18
	v_cvt_f32_f16_e32 v18, v18
	v_cvt_f32_f16_e32 v19, v16
	v_pk_mul_f32 v[0:1], v[38:39], v[54:55] op_sel_hi:[0,1]
	v_cvt_pk_f16_f32 v0, v0, v1
	v_and_b32_e32 v39, 0xffff0000, v0
	v_lshlrev_b32_e32 v16, 16, v0
	v_pk_mul_f32 v[0:1], v[38:39], v[18:19] op_sel_hi:[0,1]
	v_cvt_pk_f16_f32 v0, v0, v1
	v_lshrrev_b32_e32 v49, 16, v0
	v_and_b32_e32 v50, 0xffff, v0
	v_or_b32_e32 v1, v53, v52
	v_or_b32_e32 v0, v48, v51
	v_cvt_f32_f16_e32 v0, v0
	v_cvt_f32_f16_e32 v1, v1
	v_cvt_f32_f16_sdwa v53, v53 dst_sel:DWORD dst_unused:UNUSED_PAD src0_sel:WORD_1
	v_cvt_f32_f16_sdwa v52, v48 dst_sel:DWORD dst_unused:UNUSED_PAD src0_sel:WORD_1
	v_or_b32_e32 v19, v39, v49
	v_pk_mul_f32 v[0:1], v[38:39], v[0:1] op_sel_hi:[0,1]
	v_cvt_pk_f16_f32 v18, v0, v1
	v_pk_mul_f32 v[0:1], v[38:39], v[52:53] op_sel_hi:[0,1]
	v_cvt_pk_f16_f32 v0, v0, v1
	v_and_b32_e32 v51, 0xffff0000, v0
	v_lshlrev_b32_e32 v38, 16, v0
	v_lshrrev_b32_e32 v53, 16, v18
	v_and_b32_e32 v52, 0xffff, v18
	v_or_b32_e32 v48, v16, v50
	v_or_b32_e32 v55, v51, v53
	;; [unrolled: 1-line block ×3, first 2 shown]
	s_and_saveexec_b64 s[18:19], s[2:3]
	s_cbranch_execz .LBB270_910
; %bb.909:                              ;   in Loop: Header=BB270_810 Depth=1
	v_cmp_lt_i32_e32 vcc, v80, v13
	s_nop 1
	v_cndmask_b32_e32 v0, 0, v49, vcc
	v_cmp_lt_i32_e32 vcc, v101, v62
	s_nop 1
	v_cndmask_b32_e32 v1, 0, v50, vcc
	;; [unrolled: 3-line block ×3, first 2 shown]
	v_cmp_lt_i32_e32 vcc, v99, v62
	v_or_b32_e32 v19, v0, v18
	s_nop 0
	v_cndmask_b32_e32 v16, 0, v16, vcc
	v_cmp_lt_i32_e32 vcc, v98, v13
	v_or_b32_e32 v48, v1, v16
	s_nop 0
	v_cndmask_b32_e32 v0, 0, v53, vcc
	v_cmp_lt_i32_e32 vcc, v97, v62
	s_nop 1
	v_cndmask_b32_e32 v1, 0, v52, vcc
	v_cmp_lt_i32_e32 vcc, v96, v13
	;; [unrolled: 3-line block ×3, first 2 shown]
	v_or_b32_e32 v55, v0, v16
	s_nop 0
	v_cndmask_b32_e32 v18, 0, v38, vcc
	v_or_b32_e32 v54, v1, v18
.LBB270_910:                            ;   in Loop: Header=BB270_810 Depth=1
	s_or_b64 exec, exec, s[18:19]
	;;#ASMSTART
	v_pk_mul_f16 v0, v87, v19;

	;;#ASMEND
	;;#ASMSTART
	v_pk_mul_f16 v1, v85, v48;

	;;#ASMEND
	;; [unrolled: 4-line block ×4, first 2 shown]
	s_nop 0
	;;#ASMSTART
	v_pk_add_f16 v0, v0, v1;

	;;#ASMEND
	s_nop 0
	;;#ASMSTART
	v_pk_add_f16 v0, v0, v16;

	;;#ASMEND
	;; [unrolled: 5-line block ×3, first 2 shown]
	s_nop 0
	v_lshrrev_b32_e32 v1, 16, v0
	v_and_b32_e32 v0, 0xffff, v0
	;;#ASMSTART
	v_cvt_f32_f16 v112, v0;
	;;#ASMEND
	;;#ASMSTART
	v_cvt_f32_f16 v113, v1;
	;;#ASMEND
	flat_load_dwordx2 v[48:49], v[36:37] offset:1024
	flat_load_dword v38, v[22:23]
	v_mov_b32_e32 v1, 0
	v_mov_b32_e32 v0, 0
	s_waitcnt vmcnt(0) lgkmcnt(0)
	v_cmp_ne_u16_sdwa s[20:21], v48, v17 src0_sel:BYTE_0 src1_sel:DWORD
	s_and_saveexec_b64 s[18:19], s[20:21]
	s_cbranch_execz .LBB270_916
; %bb.911:                              ;   in Loop: Header=BB270_810 Depth=1
	v_cmp_ne_u16_sdwa s[22:23], v48, s24 src0_sel:BYTE_0 src1_sel:DWORD
	v_mov_b32_e32 v0, 0x8000
	s_and_saveexec_b64 s[20:21], s[22:23]
	s_cbranch_execz .LBB270_915
; %bb.912:                              ;   in Loop: Header=BB270_810 Depth=1
	v_and_b32_e32 v16, 0x7f, v48
	v_cmp_ne_u32_e32 vcc, s25, v16
	v_mov_b32_e32 v0, 0x7c01
	s_and_saveexec_b64 s[22:23], vcc
	s_cbranch_execz .LBB270_914
; %bb.913:                              ;   in Loop: Header=BB270_810 Depth=1
	v_and_b32_e32 v0, 7, v48
	v_ffbh_u32_e32 v18, v0
	v_min_u32_e32 v50, 32, v18
	v_subrev_u32_e32 v18, 28, v50
	v_lshlrev_b64 v[18:19], v18, v[48:49]
	v_lshrrev_b32_e32 v39, 3, v16
	v_sub_u32_e32 v19, 29, v50
	v_cmp_gt_u32_e32 vcc, 8, v16
	v_and_b32_e32 v18, 7, v18
	s_nop 0
	v_cndmask_b32_e32 v16, v39, v19, vcc
	v_lshl_add_u32 v16, v16, 10, v82
	v_lshlrev_b32_e32 v19, 8, v48
	v_and_b32_e32 v16, 0xfc00, v16
	v_cndmask_b32_e32 v0, v0, v18, vcc
	v_and_or_b32 v16, v19, s26, v16
	v_lshl_or_b32 v0, v0, 7, v16
.LBB270_914:                            ;   in Loop: Header=BB270_810 Depth=1
	s_or_b64 exec, exec, s[22:23]
.LBB270_915:                            ;   in Loop: Header=BB270_810 Depth=1
	s_or_b64 exec, exec, s[20:21]
.LBB270_916:                            ;   in Loop: Header=BB270_810 Depth=1
	s_or_b64 exec, exec, s[18:19]
	v_lshrrev_b16_e32 v16, 8, v48
	v_cmp_ne_u16_e32 vcc, 0, v16
	s_and_saveexec_b64 s[18:19], vcc
	s_cbranch_execz .LBB270_922
; %bb.917:                              ;   in Loop: Header=BB270_810 Depth=1
	v_cmp_ne_u16_e32 vcc, s24, v16
	v_bfrev_b32_e32 v1, 1
	s_and_saveexec_b64 s[20:21], vcc
	s_cbranch_execz .LBB270_921
; %bb.918:                              ;   in Loop: Header=BB270_810 Depth=1
	v_and_b32_e32 v18, 0x7f, v16
	v_cmp_ne_u32_e32 vcc, s25, v18
	v_mov_b32_e32 v1, 0x7c010000
	s_and_saveexec_b64 s[22:23], vcc
	s_cbranch_execz .LBB270_920
; %bb.919:                              ;   in Loop: Header=BB270_810 Depth=1
	v_and_b32_e32 v1, 7, v16
	v_ffbh_u32_e32 v39, v1
	v_min_u32_e32 v39, 32, v39
	v_lshrrev_b32_e32 v19, 3, v18
	v_subrev_u32_e32 v50, 28, v39
	v_sub_u32_e32 v39, 29, v39
	v_cmp_gt_u32_e32 vcc, 8, v18
	v_lshlrev_b64 v[50:51], v50, v[16:17]
	v_lshlrev_b32_e32 v16, 8, v16
	v_cndmask_b32_e32 v18, v19, v39, vcc
	v_lshl_add_u32 v18, v18, 10, v82
	v_and_b32_e32 v19, 7, v50
	v_and_or_b32 v16, v16, s26, v18
	v_cndmask_b32_e32 v1, v1, v19, vcc
	v_lshlrev_b32_e32 v16, 16, v16
	v_lshl_or_b32 v1, v1, 23, v16
.LBB270_920:                            ;   in Loop: Header=BB270_810 Depth=1
	s_or_b64 exec, exec, s[22:23]
.LBB270_921:                            ;   in Loop: Header=BB270_810 Depth=1
	s_or_b64 exec, exec, s[20:21]
.LBB270_922:                            ;   in Loop: Header=BB270_810 Depth=1
	s_or_b64 exec, exec, s[18:19]
	v_lshrrev_b32_e32 v16, 16, v48
	v_cmp_ne_u16_sdwa s[20:21], v16, v17 src0_sel:BYTE_0 src1_sel:DWORD
	v_mov_b32_e32 v19, 0
	v_mov_b32_e32 v18, 0
	s_and_saveexec_b64 s[18:19], s[20:21]
	s_cbranch_execz .LBB270_928
; %bb.923:                              ;   in Loop: Header=BB270_810 Depth=1
	v_cmp_ne_u16_sdwa s[22:23], v16, s24 src0_sel:BYTE_0 src1_sel:DWORD
	v_mov_b32_e32 v18, 0x8000
	s_and_saveexec_b64 s[20:21], s[22:23]
	s_cbranch_execz .LBB270_927
; %bb.924:                              ;   in Loop: Header=BB270_810 Depth=1
	v_bfe_u32 v39, v48, 16, 7
	v_cmp_ne_u32_e32 vcc, s25, v39
	v_mov_b32_e32 v18, 0x7c01
	s_and_saveexec_b64 s[22:23], vcc
	s_cbranch_execz .LBB270_926
; %bb.925:                              ;   in Loop: Header=BB270_810 Depth=1
	v_and_b32_e32 v18, 7, v16
	v_ffbh_u32_e32 v50, v18
	v_min_u32_e32 v53, 32, v50
	v_subrev_u32_e32 v50, 28, v53
	v_lshlrev_b64 v[50:51], v50, v[16:17]
	v_lshrrev_b32_e32 v52, 3, v39
	v_sub_u32_e32 v51, 29, v53
	v_cmp_gt_u32_e32 vcc, 8, v39
	v_lshlrev_b32_e32 v16, 8, v16
	v_and_b32_e32 v50, 7, v50
	v_cndmask_b32_e32 v39, v52, v51, vcc
	v_lshl_add_u32 v39, v39, 10, v82
	v_and_b32_e32 v39, 0xfc00, v39
	v_cndmask_b32_e32 v18, v18, v50, vcc
	v_and_or_b32 v16, v16, s26, v39
	v_lshl_or_b32 v18, v18, 7, v16
.LBB270_926:                            ;   in Loop: Header=BB270_810 Depth=1
	s_or_b64 exec, exec, s[22:23]
.LBB270_927:                            ;   in Loop: Header=BB270_810 Depth=1
	s_or_b64 exec, exec, s[20:21]
.LBB270_928:                            ;   in Loop: Header=BB270_810 Depth=1
	s_or_b64 exec, exec, s[18:19]
	v_cmp_lt_u32_e32 vcc, s7, v48
	s_and_saveexec_b64 s[18:19], vcc
	s_cbranch_execz .LBB270_934
; %bb.929:                              ;   in Loop: Header=BB270_810 Depth=1
	v_lshrrev_b32_e32 v16, 24, v48
	v_cmp_ne_u32_e32 vcc, s24, v16
	v_bfrev_b32_e32 v19, 1
	s_and_saveexec_b64 s[20:21], vcc
	s_cbranch_execz .LBB270_933
; %bb.930:                              ;   in Loop: Header=BB270_810 Depth=1
	v_and_b32_e32 v39, 0x7f, v16
	v_cmp_ne_u32_e32 vcc, s25, v39
	v_mov_b32_e32 v19, 0x7c010000
	s_and_saveexec_b64 s[22:23], vcc
	s_cbranch_execz .LBB270_932
; %bb.931:                              ;   in Loop: Header=BB270_810 Depth=1
	v_and_b32_e32 v19, 7, v16
	v_ffbh_u32_e32 v50, v19
	v_min_u32_e32 v53, 32, v50
	v_subrev_u32_e32 v50, 28, v53
	v_lshlrev_b64 v[50:51], v50, v[16:17]
	v_lshrrev_b32_e32 v52, 3, v39
	v_sub_u32_e32 v51, 29, v53
	v_cmp_gt_u32_e32 vcc, 8, v39
	v_lshlrev_b32_e32 v16, 8, v16
	v_and_b32_e32 v50, 7, v50
	v_cndmask_b32_e32 v39, v52, v51, vcc
	v_lshl_add_u32 v39, v39, 10, v82
	v_and_or_b32 v16, v16, s26, v39
	v_cndmask_b32_e32 v19, v19, v50, vcc
	v_lshlrev_b32_e32 v16, 16, v16
	v_lshl_or_b32 v19, v19, 23, v16
.LBB270_932:                            ;   in Loop: Header=BB270_810 Depth=1
	s_or_b64 exec, exec, s[22:23]
.LBB270_933:                            ;   in Loop: Header=BB270_810 Depth=1
	s_or_b64 exec, exec, s[20:21]
.LBB270_934:                            ;   in Loop: Header=BB270_810 Depth=1
	s_or_b64 exec, exec, s[18:19]
	v_mov_b32_e32 v16, v49
	v_cmp_ne_u16_sdwa s[20:21], v49, v17 src0_sel:BYTE_0 src1_sel:DWORD
	v_mov_b32_e32 v51, 0
	v_mov_b32_e32 v52, 0
	s_and_saveexec_b64 s[18:19], s[20:21]
	s_cbranch_execz .LBB270_940
; %bb.935:                              ;   in Loop: Header=BB270_810 Depth=1
	v_cmp_ne_u16_sdwa s[22:23], v49, s24 src0_sel:BYTE_0 src1_sel:DWORD
	v_mov_b32_e32 v52, 0x8000
	s_and_saveexec_b64 s[20:21], s[22:23]
	s_cbranch_execz .LBB270_939
; %bb.936:                              ;   in Loop: Header=BB270_810 Depth=1
	v_and_b32_e32 v39, 0x7f, v49
	v_cmp_ne_u32_e32 vcc, s25, v39
	v_mov_b32_e32 v52, 0x7c01
	s_and_saveexec_b64 s[22:23], vcc
	s_cbranch_execz .LBB270_938
; %bb.937:                              ;   in Loop: Header=BB270_810 Depth=1
	v_and_b32_e32 v50, 7, v49
	v_ffbh_u32_e32 v52, v50
	v_min_u32_e32 v55, 32, v52
	v_subrev_u32_e32 v52, 28, v55
	v_lshlrev_b64 v[52:53], v52, v[16:17]
	v_lshrrev_b32_e32 v54, 3, v39
	v_sub_u32_e32 v53, 29, v55
	v_cmp_gt_u32_e32 vcc, 8, v39
	v_and_b32_e32 v52, 7, v52
	s_nop 0
	v_cndmask_b32_e32 v39, v54, v53, vcc
	v_lshl_add_u32 v39, v39, 10, v82
	v_lshlrev_b32_e32 v53, 8, v49
	v_and_b32_e32 v39, 0xfc00, v39
	v_cndmask_b32_e32 v50, v50, v52, vcc
	v_and_or_b32 v39, v53, s26, v39
	v_lshl_or_b32 v52, v50, 7, v39
.LBB270_938:                            ;   in Loop: Header=BB270_810 Depth=1
	s_or_b64 exec, exec, s[22:23]
.LBB270_939:                            ;   in Loop: Header=BB270_810 Depth=1
	s_or_b64 exec, exec, s[20:21]
.LBB270_940:                            ;   in Loop: Header=BB270_810 Depth=1
	s_or_b64 exec, exec, s[18:19]
	v_lshrrev_b16_e32 v16, 8, v16
	v_cmp_ne_u16_e32 vcc, 0, v16
	v_mov_b32_e32 v53, 0
	s_and_saveexec_b64 s[18:19], vcc
	s_cbranch_execz .LBB270_946
; %bb.941:                              ;   in Loop: Header=BB270_810 Depth=1
	v_cmp_ne_u16_e32 vcc, s24, v16
	v_bfrev_b32_e32 v53, 1
	s_and_saveexec_b64 s[20:21], vcc
	s_cbranch_execz .LBB270_945
; %bb.942:                              ;   in Loop: Header=BB270_810 Depth=1
	v_and_b32_e32 v39, 0x7f, v16
	v_cmp_ne_u32_e32 vcc, s25, v39
	v_mov_b32_e32 v53, 0x7c010000
	s_and_saveexec_b64 s[22:23], vcc
	s_cbranch_execz .LBB270_944
; %bb.943:                              ;   in Loop: Header=BB270_810 Depth=1
	v_and_b32_e32 v50, 7, v16
	v_ffbh_u32_e32 v54, v50
	v_min_u32_e32 v64, 32, v54
	v_subrev_u32_e32 v54, 28, v64
	v_lshlrev_b64 v[54:55], v54, v[16:17]
	v_lshrrev_b32_e32 v53, 3, v39
	v_sub_u32_e32 v55, 29, v64
	v_cmp_gt_u32_e32 vcc, 8, v39
	v_lshlrev_b32_e32 v16, 8, v16
	s_nop 0
	v_cndmask_b32_e32 v39, v53, v55, vcc
	v_lshl_add_u32 v39, v39, 10, v82
	v_and_b32_e32 v53, 7, v54
	v_and_or_b32 v16, v16, s26, v39
	v_cndmask_b32_e32 v50, v50, v53, vcc
	v_lshlrev_b32_e32 v16, 16, v16
	v_lshl_or_b32 v53, v50, 23, v16
.LBB270_944:                            ;   in Loop: Header=BB270_810 Depth=1
	s_or_b64 exec, exec, s[22:23]
.LBB270_945:                            ;   in Loop: Header=BB270_810 Depth=1
	s_or_b64 exec, exec, s[20:21]
.LBB270_946:                            ;   in Loop: Header=BB270_810 Depth=1
	s_or_b64 exec, exec, s[18:19]
	v_lshrrev_b32_e32 v16, 16, v49
	v_cmp_ne_u16_sdwa s[20:21], v16, v17 src0_sel:BYTE_0 src1_sel:DWORD
	s_and_saveexec_b64 s[18:19], s[20:21]
	s_cbranch_execz .LBB270_952
; %bb.947:                              ;   in Loop: Header=BB270_810 Depth=1
	v_cmp_ne_u16_sdwa s[22:23], v16, s24 src0_sel:BYTE_0 src1_sel:DWORD
	v_mov_b32_e32 v51, 0x8000
	s_and_saveexec_b64 s[20:21], s[22:23]
	s_cbranch_execz .LBB270_951
; %bb.948:                              ;   in Loop: Header=BB270_810 Depth=1
	v_bfe_u32 v39, v49, 16, 7
	v_cmp_ne_u32_e32 vcc, s25, v39
	v_mov_b32_e32 v51, 0x7c01
	s_and_saveexec_b64 s[22:23], vcc
	s_cbranch_execz .LBB270_950
; %bb.949:                              ;   in Loop: Header=BB270_810 Depth=1
	v_and_b32_e32 v54, 7, v16
	v_ffbh_u32_e32 v50, v54
	v_min_u32_e32 v64, 32, v50
	v_subrev_u32_e32 v50, 28, v64
	v_lshlrev_b64 v[50:51], v50, v[16:17]
	v_lshrrev_b32_e32 v55, 3, v39
	v_sub_u32_e32 v51, 29, v64
	v_cmp_gt_u32_e32 vcc, 8, v39
	v_lshlrev_b32_e32 v16, 8, v16
	v_and_b32_e32 v50, 7, v50
	v_cndmask_b32_e32 v39, v55, v51, vcc
	v_lshl_add_u32 v39, v39, 10, v82
	v_and_b32_e32 v39, 0xfc00, v39
	v_cndmask_b32_e32 v50, v54, v50, vcc
	v_and_or_b32 v16, v16, s26, v39
	v_lshl_or_b32 v51, v50, 7, v16
.LBB270_950:                            ;   in Loop: Header=BB270_810 Depth=1
	s_or_b64 exec, exec, s[22:23]
.LBB270_951:                            ;   in Loop: Header=BB270_810 Depth=1
	s_or_b64 exec, exec, s[20:21]
.LBB270_952:                            ;   in Loop: Header=BB270_810 Depth=1
	s_or_b64 exec, exec, s[18:19]
	v_cmp_lt_u64_e32 vcc, s[6:7], v[48:49]
	v_mov_b32_e32 v48, 0
	s_and_saveexec_b64 s[18:19], vcc
	s_cbranch_execz .LBB270_958
; %bb.953:                              ;   in Loop: Header=BB270_810 Depth=1
	v_lshrrev_b32_e32 v16, 24, v49
	v_cmp_ne_u32_e32 vcc, s24, v16
	v_bfrev_b32_e32 v48, 1
	s_and_saveexec_b64 s[20:21], vcc
	s_cbranch_execz .LBB270_957
; %bb.954:                              ;   in Loop: Header=BB270_810 Depth=1
	v_and_b32_e32 v39, 0x7f, v16
	v_cmp_ne_u32_e32 vcc, s25, v39
	v_mov_b32_e32 v48, 0x7c010000
	s_and_saveexec_b64 s[22:23], vcc
	s_cbranch_execz .LBB270_956
; %bb.955:                              ;   in Loop: Header=BB270_810 Depth=1
	v_and_b32_e32 v50, 7, v16
	v_ffbh_u32_e32 v48, v50
	v_min_u32_e32 v55, 32, v48
	v_subrev_u32_e32 v48, 28, v55
	v_lshlrev_b64 v[48:49], v48, v[16:17]
	v_lshrrev_b32_e32 v54, 3, v39
	v_sub_u32_e32 v49, 29, v55
	v_cmp_gt_u32_e32 vcc, 8, v39
	v_lshlrev_b32_e32 v16, 8, v16
	v_and_b32_e32 v48, 7, v48
	v_cndmask_b32_e32 v39, v54, v49, vcc
	v_lshl_add_u32 v39, v39, 10, v82
	v_and_or_b32 v16, v16, s26, v39
	v_cndmask_b32_e32 v48, v50, v48, vcc
	v_lshlrev_b32_e32 v16, 16, v16
	v_lshl_or_b32 v48, v48, 23, v16
.LBB270_956:                            ;   in Loop: Header=BB270_810 Depth=1
	s_or_b64 exec, exec, s[22:23]
.LBB270_957:                            ;   in Loop: Header=BB270_810 Depth=1
	s_or_b64 exec, exec, s[20:21]
.LBB270_958:                            ;   in Loop: Header=BB270_810 Depth=1
	s_or_b64 exec, exec, s[18:19]
	v_cvt_f32_f16_sdwa v55, v1 dst_sel:DWORD dst_unused:UNUSED_PAD src0_sel:WORD_1
	v_cvt_f32_f16_sdwa v54, v19 dst_sel:DWORD dst_unused:UNUSED_PAD src0_sel:WORD_1
	v_or_b32_e32 v16, v1, v0
	v_or_b32_e32 v18, v19, v18
	v_cvt_f32_f16_e32 v18, v18
	v_cvt_f32_f16_e32 v19, v16
	v_pk_mul_f32 v[0:1], v[38:39], v[54:55] op_sel_hi:[0,1]
	v_cvt_pk_f16_f32 v0, v0, v1
	v_and_b32_e32 v39, 0xffff0000, v0
	v_lshlrev_b32_e32 v16, 16, v0
	v_pk_mul_f32 v[0:1], v[38:39], v[18:19] op_sel_hi:[0,1]
	v_cvt_pk_f16_f32 v0, v0, v1
	v_lshrrev_b32_e32 v49, 16, v0
	v_and_b32_e32 v50, 0xffff, v0
	v_or_b32_e32 v1, v53, v52
	v_or_b32_e32 v0, v48, v51
	v_cvt_f32_f16_e32 v0, v0
	v_cvt_f32_f16_e32 v1, v1
	v_cvt_f32_f16_sdwa v53, v53 dst_sel:DWORD dst_unused:UNUSED_PAD src0_sel:WORD_1
	v_cvt_f32_f16_sdwa v52, v48 dst_sel:DWORD dst_unused:UNUSED_PAD src0_sel:WORD_1
	v_or_b32_e32 v19, v39, v49
	v_pk_mul_f32 v[0:1], v[38:39], v[0:1] op_sel_hi:[0,1]
	v_cvt_pk_f16_f32 v18, v0, v1
	v_pk_mul_f32 v[0:1], v[38:39], v[52:53] op_sel_hi:[0,1]
	v_cvt_pk_f16_f32 v0, v0, v1
	v_and_b32_e32 v51, 0xffff0000, v0
	v_lshlrev_b32_e32 v38, 16, v0
	v_lshrrev_b32_e32 v53, 16, v18
	v_and_b32_e32 v52, 0xffff, v18
	v_or_b32_e32 v48, v16, v50
	v_or_b32_e32 v55, v51, v53
	;; [unrolled: 1-line block ×3, first 2 shown]
	s_and_saveexec_b64 s[18:19], s[2:3]
	s_cbranch_execz .LBB270_960
; %bb.959:                              ;   in Loop: Header=BB270_810 Depth=1
	v_cmp_lt_i32_e32 vcc, v80, v13
	s_nop 1
	v_cndmask_b32_e32 v0, 0, v49, vcc
	v_cmp_lt_i32_e32 vcc, v101, v62
	s_nop 1
	v_cndmask_b32_e32 v1, 0, v50, vcc
	v_cmp_lt_i32_e32 vcc, v100, v13
	s_nop 1
	v_cndmask_b32_e32 v18, 0, v39, vcc
	v_cmp_lt_i32_e32 vcc, v99, v62
	v_or_b32_e32 v19, v0, v18
	s_nop 0
	v_cndmask_b32_e32 v16, 0, v16, vcc
	v_cmp_lt_i32_e32 vcc, v98, v13
	v_or_b32_e32 v48, v1, v16
	s_nop 0
	v_cndmask_b32_e32 v0, 0, v53, vcc
	v_cmp_lt_i32_e32 vcc, v97, v62
	s_nop 1
	v_cndmask_b32_e32 v1, 0, v52, vcc
	v_cmp_lt_i32_e32 vcc, v96, v13
	;; [unrolled: 3-line block ×3, first 2 shown]
	v_or_b32_e32 v55, v0, v16
	s_nop 0
	v_cndmask_b32_e32 v18, 0, v38, vcc
	v_or_b32_e32 v54, v1, v18
.LBB270_960:                            ;   in Loop: Header=BB270_810 Depth=1
	s_or_b64 exec, exec, s[18:19]
	;;#ASMSTART
	v_pk_mul_f16 v0, v87, v19;

	;;#ASMEND
	;;#ASMSTART
	v_pk_mul_f16 v1, v85, v48;

	;;#ASMEND
	;; [unrolled: 4-line block ×4, first 2 shown]
	s_nop 0
	;;#ASMSTART
	v_pk_add_f16 v0, v0, v1;

	;;#ASMEND
	s_nop 0
	;;#ASMSTART
	v_pk_add_f16 v0, v0, v16;

	;;#ASMEND
	;; [unrolled: 5-line block ×3, first 2 shown]
	s_nop 0
	v_lshrrev_b32_e32 v1, 16, v0
	v_and_b32_e32 v0, 0xffff, v0
	;;#ASMSTART
	v_cvt_f32_f16 v114, v0;
	;;#ASMEND
	;;#ASMSTART
	v_cvt_f32_f16 v115, v1;
	;;#ASMEND
	flat_load_dwordx2 v[48:49], v[36:37] offset:1536
	flat_load_dword v38, v[22:23]
	v_mov_b32_e32 v1, 0
	v_mov_b32_e32 v0, 0
	s_waitcnt vmcnt(0) lgkmcnt(0)
	v_cmp_ne_u16_sdwa s[20:21], v48, v17 src0_sel:BYTE_0 src1_sel:DWORD
	s_and_saveexec_b64 s[18:19], s[20:21]
	s_cbranch_execz .LBB270_966
; %bb.961:                              ;   in Loop: Header=BB270_810 Depth=1
	v_cmp_ne_u16_sdwa s[22:23], v48, s24 src0_sel:BYTE_0 src1_sel:DWORD
	v_mov_b32_e32 v0, 0x8000
	s_and_saveexec_b64 s[20:21], s[22:23]
	s_cbranch_execz .LBB270_965
; %bb.962:                              ;   in Loop: Header=BB270_810 Depth=1
	v_and_b32_e32 v16, 0x7f, v48
	v_cmp_ne_u32_e32 vcc, s25, v16
	v_mov_b32_e32 v0, 0x7c01
	s_and_saveexec_b64 s[22:23], vcc
	s_cbranch_execz .LBB270_964
; %bb.963:                              ;   in Loop: Header=BB270_810 Depth=1
	v_and_b32_e32 v0, 7, v48
	v_ffbh_u32_e32 v18, v0
	v_min_u32_e32 v50, 32, v18
	v_subrev_u32_e32 v18, 28, v50
	v_lshlrev_b64 v[18:19], v18, v[48:49]
	v_lshrrev_b32_e32 v39, 3, v16
	v_sub_u32_e32 v19, 29, v50
	v_cmp_gt_u32_e32 vcc, 8, v16
	v_and_b32_e32 v18, 7, v18
	s_nop 0
	v_cndmask_b32_e32 v16, v39, v19, vcc
	v_lshl_add_u32 v16, v16, 10, v82
	v_lshlrev_b32_e32 v19, 8, v48
	v_and_b32_e32 v16, 0xfc00, v16
	v_cndmask_b32_e32 v0, v0, v18, vcc
	v_and_or_b32 v16, v19, s26, v16
	v_lshl_or_b32 v0, v0, 7, v16
.LBB270_964:                            ;   in Loop: Header=BB270_810 Depth=1
	s_or_b64 exec, exec, s[22:23]
.LBB270_965:                            ;   in Loop: Header=BB270_810 Depth=1
	s_or_b64 exec, exec, s[20:21]
.LBB270_966:                            ;   in Loop: Header=BB270_810 Depth=1
	s_or_b64 exec, exec, s[18:19]
	v_lshrrev_b16_e32 v16, 8, v48
	v_cmp_ne_u16_e32 vcc, 0, v16
	s_and_saveexec_b64 s[18:19], vcc
	s_cbranch_execz .LBB270_972
; %bb.967:                              ;   in Loop: Header=BB270_810 Depth=1
	v_cmp_ne_u16_e32 vcc, s24, v16
	v_bfrev_b32_e32 v1, 1
	s_and_saveexec_b64 s[20:21], vcc
	s_cbranch_execz .LBB270_971
; %bb.968:                              ;   in Loop: Header=BB270_810 Depth=1
	v_and_b32_e32 v18, 0x7f, v16
	v_cmp_ne_u32_e32 vcc, s25, v18
	v_mov_b32_e32 v1, 0x7c010000
	s_and_saveexec_b64 s[22:23], vcc
	s_cbranch_execz .LBB270_970
; %bb.969:                              ;   in Loop: Header=BB270_810 Depth=1
	v_and_b32_e32 v1, 7, v16
	v_ffbh_u32_e32 v39, v1
	v_min_u32_e32 v39, 32, v39
	v_lshrrev_b32_e32 v19, 3, v18
	v_subrev_u32_e32 v50, 28, v39
	v_sub_u32_e32 v39, 29, v39
	v_cmp_gt_u32_e32 vcc, 8, v18
	v_lshlrev_b64 v[50:51], v50, v[16:17]
	v_lshlrev_b32_e32 v16, 8, v16
	v_cndmask_b32_e32 v18, v19, v39, vcc
	v_lshl_add_u32 v18, v18, 10, v82
	v_and_b32_e32 v19, 7, v50
	v_and_or_b32 v16, v16, s26, v18
	v_cndmask_b32_e32 v1, v1, v19, vcc
	v_lshlrev_b32_e32 v16, 16, v16
	v_lshl_or_b32 v1, v1, 23, v16
.LBB270_970:                            ;   in Loop: Header=BB270_810 Depth=1
	s_or_b64 exec, exec, s[22:23]
.LBB270_971:                            ;   in Loop: Header=BB270_810 Depth=1
	s_or_b64 exec, exec, s[20:21]
.LBB270_972:                            ;   in Loop: Header=BB270_810 Depth=1
	s_or_b64 exec, exec, s[18:19]
	v_lshrrev_b32_e32 v16, 16, v48
	v_cmp_ne_u16_sdwa s[20:21], v16, v17 src0_sel:BYTE_0 src1_sel:DWORD
	v_mov_b32_e32 v19, 0
	v_mov_b32_e32 v18, 0
	s_and_saveexec_b64 s[18:19], s[20:21]
	s_cbranch_execz .LBB270_978
; %bb.973:                              ;   in Loop: Header=BB270_810 Depth=1
	v_cmp_ne_u16_sdwa s[22:23], v16, s24 src0_sel:BYTE_0 src1_sel:DWORD
	v_mov_b32_e32 v18, 0x8000
	s_and_saveexec_b64 s[20:21], s[22:23]
	s_cbranch_execz .LBB270_977
; %bb.974:                              ;   in Loop: Header=BB270_810 Depth=1
	v_bfe_u32 v39, v48, 16, 7
	v_cmp_ne_u32_e32 vcc, s25, v39
	v_mov_b32_e32 v18, 0x7c01
	s_and_saveexec_b64 s[22:23], vcc
	s_cbranch_execz .LBB270_976
; %bb.975:                              ;   in Loop: Header=BB270_810 Depth=1
	v_and_b32_e32 v18, 7, v16
	v_ffbh_u32_e32 v50, v18
	v_min_u32_e32 v53, 32, v50
	v_subrev_u32_e32 v50, 28, v53
	v_lshlrev_b64 v[50:51], v50, v[16:17]
	v_lshrrev_b32_e32 v52, 3, v39
	v_sub_u32_e32 v51, 29, v53
	v_cmp_gt_u32_e32 vcc, 8, v39
	v_lshlrev_b32_e32 v16, 8, v16
	v_and_b32_e32 v50, 7, v50
	v_cndmask_b32_e32 v39, v52, v51, vcc
	v_lshl_add_u32 v39, v39, 10, v82
	v_and_b32_e32 v39, 0xfc00, v39
	v_cndmask_b32_e32 v18, v18, v50, vcc
	v_and_or_b32 v16, v16, s26, v39
	v_lshl_or_b32 v18, v18, 7, v16
.LBB270_976:                            ;   in Loop: Header=BB270_810 Depth=1
	s_or_b64 exec, exec, s[22:23]
.LBB270_977:                            ;   in Loop: Header=BB270_810 Depth=1
	s_or_b64 exec, exec, s[20:21]
.LBB270_978:                            ;   in Loop: Header=BB270_810 Depth=1
	s_or_b64 exec, exec, s[18:19]
	v_cmp_lt_u32_e32 vcc, s7, v48
	s_and_saveexec_b64 s[18:19], vcc
	s_cbranch_execz .LBB270_984
; %bb.979:                              ;   in Loop: Header=BB270_810 Depth=1
	v_lshrrev_b32_e32 v16, 24, v48
	v_cmp_ne_u32_e32 vcc, s24, v16
	v_bfrev_b32_e32 v19, 1
	s_and_saveexec_b64 s[20:21], vcc
	s_cbranch_execz .LBB270_983
; %bb.980:                              ;   in Loop: Header=BB270_810 Depth=1
	v_and_b32_e32 v39, 0x7f, v16
	v_cmp_ne_u32_e32 vcc, s25, v39
	v_mov_b32_e32 v19, 0x7c010000
	s_and_saveexec_b64 s[22:23], vcc
	s_cbranch_execz .LBB270_982
; %bb.981:                              ;   in Loop: Header=BB270_810 Depth=1
	v_and_b32_e32 v19, 7, v16
	v_ffbh_u32_e32 v50, v19
	v_min_u32_e32 v53, 32, v50
	v_subrev_u32_e32 v50, 28, v53
	v_lshlrev_b64 v[50:51], v50, v[16:17]
	v_lshrrev_b32_e32 v52, 3, v39
	v_sub_u32_e32 v51, 29, v53
	v_cmp_gt_u32_e32 vcc, 8, v39
	v_lshlrev_b32_e32 v16, 8, v16
	v_and_b32_e32 v50, 7, v50
	v_cndmask_b32_e32 v39, v52, v51, vcc
	v_lshl_add_u32 v39, v39, 10, v82
	v_and_or_b32 v16, v16, s26, v39
	v_cndmask_b32_e32 v19, v19, v50, vcc
	v_lshlrev_b32_e32 v16, 16, v16
	v_lshl_or_b32 v19, v19, 23, v16
.LBB270_982:                            ;   in Loop: Header=BB270_810 Depth=1
	s_or_b64 exec, exec, s[22:23]
.LBB270_983:                            ;   in Loop: Header=BB270_810 Depth=1
	s_or_b64 exec, exec, s[20:21]
.LBB270_984:                            ;   in Loop: Header=BB270_810 Depth=1
	s_or_b64 exec, exec, s[18:19]
	v_mov_b32_e32 v16, v49
	v_cmp_ne_u16_sdwa s[20:21], v49, v17 src0_sel:BYTE_0 src1_sel:DWORD
	v_mov_b32_e32 v51, 0
	v_mov_b32_e32 v52, 0
	s_and_saveexec_b64 s[18:19], s[20:21]
	s_cbranch_execz .LBB270_990
; %bb.985:                              ;   in Loop: Header=BB270_810 Depth=1
	v_cmp_ne_u16_sdwa s[22:23], v49, s24 src0_sel:BYTE_0 src1_sel:DWORD
	v_mov_b32_e32 v52, 0x8000
	s_and_saveexec_b64 s[20:21], s[22:23]
	s_cbranch_execz .LBB270_989
; %bb.986:                              ;   in Loop: Header=BB270_810 Depth=1
	v_and_b32_e32 v39, 0x7f, v49
	v_cmp_ne_u32_e32 vcc, s25, v39
	v_mov_b32_e32 v52, 0x7c01
	s_and_saveexec_b64 s[22:23], vcc
	s_cbranch_execz .LBB270_988
; %bb.987:                              ;   in Loop: Header=BB270_810 Depth=1
	v_and_b32_e32 v50, 7, v49
	v_ffbh_u32_e32 v52, v50
	v_min_u32_e32 v55, 32, v52
	v_subrev_u32_e32 v52, 28, v55
	v_lshlrev_b64 v[52:53], v52, v[16:17]
	v_lshrrev_b32_e32 v54, 3, v39
	v_sub_u32_e32 v53, 29, v55
	v_cmp_gt_u32_e32 vcc, 8, v39
	v_and_b32_e32 v52, 7, v52
	s_nop 0
	v_cndmask_b32_e32 v39, v54, v53, vcc
	v_lshl_add_u32 v39, v39, 10, v82
	v_lshlrev_b32_e32 v53, 8, v49
	v_and_b32_e32 v39, 0xfc00, v39
	v_cndmask_b32_e32 v50, v50, v52, vcc
	v_and_or_b32 v39, v53, s26, v39
	v_lshl_or_b32 v52, v50, 7, v39
.LBB270_988:                            ;   in Loop: Header=BB270_810 Depth=1
	s_or_b64 exec, exec, s[22:23]
.LBB270_989:                            ;   in Loop: Header=BB270_810 Depth=1
	s_or_b64 exec, exec, s[20:21]
.LBB270_990:                            ;   in Loop: Header=BB270_810 Depth=1
	s_or_b64 exec, exec, s[18:19]
	v_lshrrev_b16_e32 v16, 8, v16
	v_cmp_ne_u16_e32 vcc, 0, v16
	v_mov_b32_e32 v53, 0
	s_and_saveexec_b64 s[18:19], vcc
	s_cbranch_execz .LBB270_996
; %bb.991:                              ;   in Loop: Header=BB270_810 Depth=1
	v_cmp_ne_u16_e32 vcc, s24, v16
	v_bfrev_b32_e32 v53, 1
	s_and_saveexec_b64 s[20:21], vcc
	s_cbranch_execz .LBB270_995
; %bb.992:                              ;   in Loop: Header=BB270_810 Depth=1
	v_and_b32_e32 v39, 0x7f, v16
	v_cmp_ne_u32_e32 vcc, s25, v39
	v_mov_b32_e32 v53, 0x7c010000
	s_and_saveexec_b64 s[22:23], vcc
	s_cbranch_execz .LBB270_994
; %bb.993:                              ;   in Loop: Header=BB270_810 Depth=1
	v_and_b32_e32 v50, 7, v16
	v_ffbh_u32_e32 v54, v50
	v_min_u32_e32 v64, 32, v54
	v_subrev_u32_e32 v54, 28, v64
	v_lshlrev_b64 v[54:55], v54, v[16:17]
	v_lshrrev_b32_e32 v53, 3, v39
	v_sub_u32_e32 v55, 29, v64
	v_cmp_gt_u32_e32 vcc, 8, v39
	v_lshlrev_b32_e32 v16, 8, v16
	s_nop 0
	v_cndmask_b32_e32 v39, v53, v55, vcc
	v_lshl_add_u32 v39, v39, 10, v82
	v_and_b32_e32 v53, 7, v54
	v_and_or_b32 v16, v16, s26, v39
	v_cndmask_b32_e32 v50, v50, v53, vcc
	v_lshlrev_b32_e32 v16, 16, v16
	v_lshl_or_b32 v53, v50, 23, v16
.LBB270_994:                            ;   in Loop: Header=BB270_810 Depth=1
	s_or_b64 exec, exec, s[22:23]
.LBB270_995:                            ;   in Loop: Header=BB270_810 Depth=1
	s_or_b64 exec, exec, s[20:21]
.LBB270_996:                            ;   in Loop: Header=BB270_810 Depth=1
	s_or_b64 exec, exec, s[18:19]
	v_lshrrev_b32_e32 v16, 16, v49
	v_cmp_ne_u16_sdwa s[20:21], v16, v17 src0_sel:BYTE_0 src1_sel:DWORD
	s_and_saveexec_b64 s[18:19], s[20:21]
	s_cbranch_execz .LBB270_1002
; %bb.997:                              ;   in Loop: Header=BB270_810 Depth=1
	v_cmp_ne_u16_sdwa s[22:23], v16, s24 src0_sel:BYTE_0 src1_sel:DWORD
	v_mov_b32_e32 v51, 0x8000
	s_and_saveexec_b64 s[20:21], s[22:23]
	s_cbranch_execz .LBB270_1001
; %bb.998:                              ;   in Loop: Header=BB270_810 Depth=1
	v_bfe_u32 v39, v49, 16, 7
	v_cmp_ne_u32_e32 vcc, s25, v39
	v_mov_b32_e32 v51, 0x7c01
	s_and_saveexec_b64 s[22:23], vcc
	s_cbranch_execz .LBB270_1000
; %bb.999:                              ;   in Loop: Header=BB270_810 Depth=1
	v_and_b32_e32 v54, 7, v16
	v_ffbh_u32_e32 v50, v54
	v_min_u32_e32 v64, 32, v50
	v_subrev_u32_e32 v50, 28, v64
	v_lshlrev_b64 v[50:51], v50, v[16:17]
	v_lshrrev_b32_e32 v55, 3, v39
	v_sub_u32_e32 v51, 29, v64
	v_cmp_gt_u32_e32 vcc, 8, v39
	v_lshlrev_b32_e32 v16, 8, v16
	v_and_b32_e32 v50, 7, v50
	v_cndmask_b32_e32 v39, v55, v51, vcc
	v_lshl_add_u32 v39, v39, 10, v82
	v_and_b32_e32 v39, 0xfc00, v39
	v_cndmask_b32_e32 v50, v54, v50, vcc
	v_and_or_b32 v16, v16, s26, v39
	v_lshl_or_b32 v51, v50, 7, v16
.LBB270_1000:                           ;   in Loop: Header=BB270_810 Depth=1
	s_or_b64 exec, exec, s[22:23]
.LBB270_1001:                           ;   in Loop: Header=BB270_810 Depth=1
	s_or_b64 exec, exec, s[20:21]
.LBB270_1002:                           ;   in Loop: Header=BB270_810 Depth=1
	s_or_b64 exec, exec, s[18:19]
	v_cmp_lt_u64_e32 vcc, s[6:7], v[48:49]
	v_mov_b32_e32 v48, 0
	s_and_saveexec_b64 s[18:19], vcc
	s_cbranch_execz .LBB270_1008
; %bb.1003:                             ;   in Loop: Header=BB270_810 Depth=1
	v_lshrrev_b32_e32 v16, 24, v49
	v_cmp_ne_u32_e32 vcc, s24, v16
	v_bfrev_b32_e32 v48, 1
	s_and_saveexec_b64 s[20:21], vcc
	s_cbranch_execz .LBB270_1007
; %bb.1004:                             ;   in Loop: Header=BB270_810 Depth=1
	v_and_b32_e32 v39, 0x7f, v16
	v_cmp_ne_u32_e32 vcc, s25, v39
	v_mov_b32_e32 v48, 0x7c010000
	s_and_saveexec_b64 s[22:23], vcc
	s_cbranch_execz .LBB270_1006
; %bb.1005:                             ;   in Loop: Header=BB270_810 Depth=1
	v_and_b32_e32 v50, 7, v16
	v_ffbh_u32_e32 v48, v50
	v_min_u32_e32 v55, 32, v48
	v_subrev_u32_e32 v48, 28, v55
	v_lshlrev_b64 v[48:49], v48, v[16:17]
	v_lshrrev_b32_e32 v54, 3, v39
	v_sub_u32_e32 v49, 29, v55
	v_cmp_gt_u32_e32 vcc, 8, v39
	v_lshlrev_b32_e32 v16, 8, v16
	v_and_b32_e32 v48, 7, v48
	v_cndmask_b32_e32 v39, v54, v49, vcc
	v_lshl_add_u32 v39, v39, 10, v82
	v_and_or_b32 v16, v16, s26, v39
	v_cndmask_b32_e32 v48, v50, v48, vcc
	v_lshlrev_b32_e32 v16, 16, v16
	v_lshl_or_b32 v48, v48, 23, v16
.LBB270_1006:                           ;   in Loop: Header=BB270_810 Depth=1
	s_or_b64 exec, exec, s[22:23]
.LBB270_1007:                           ;   in Loop: Header=BB270_810 Depth=1
	s_or_b64 exec, exec, s[20:21]
.LBB270_1008:                           ;   in Loop: Header=BB270_810 Depth=1
	s_or_b64 exec, exec, s[18:19]
	v_cvt_f32_f16_sdwa v55, v1 dst_sel:DWORD dst_unused:UNUSED_PAD src0_sel:WORD_1
	v_cvt_f32_f16_sdwa v54, v19 dst_sel:DWORD dst_unused:UNUSED_PAD src0_sel:WORD_1
	v_or_b32_e32 v16, v1, v0
	v_or_b32_e32 v18, v19, v18
	v_cvt_f32_f16_e32 v18, v18
	v_cvt_f32_f16_e32 v19, v16
	v_pk_mul_f32 v[0:1], v[38:39], v[54:55] op_sel_hi:[0,1]
	v_cvt_pk_f16_f32 v0, v0, v1
	v_and_b32_e32 v39, 0xffff0000, v0
	v_lshlrev_b32_e32 v16, 16, v0
	v_pk_mul_f32 v[0:1], v[38:39], v[18:19] op_sel_hi:[0,1]
	v_cvt_pk_f16_f32 v0, v0, v1
	v_lshrrev_b32_e32 v49, 16, v0
	v_and_b32_e32 v50, 0xffff, v0
	v_or_b32_e32 v1, v53, v52
	v_or_b32_e32 v0, v48, v51
	v_cvt_f32_f16_e32 v0, v0
	v_cvt_f32_f16_e32 v1, v1
	v_cvt_f32_f16_sdwa v53, v53 dst_sel:DWORD dst_unused:UNUSED_PAD src0_sel:WORD_1
	v_cvt_f32_f16_sdwa v52, v48 dst_sel:DWORD dst_unused:UNUSED_PAD src0_sel:WORD_1
	v_or_b32_e32 v19, v39, v49
	v_pk_mul_f32 v[0:1], v[38:39], v[0:1] op_sel_hi:[0,1]
	v_cvt_pk_f16_f32 v18, v0, v1
	v_pk_mul_f32 v[0:1], v[38:39], v[52:53] op_sel_hi:[0,1]
	v_cvt_pk_f16_f32 v0, v0, v1
	v_and_b32_e32 v51, 0xffff0000, v0
	v_lshlrev_b32_e32 v38, 16, v0
	v_lshrrev_b32_e32 v53, 16, v18
	v_and_b32_e32 v52, 0xffff, v18
	v_or_b32_e32 v48, v16, v50
	v_or_b32_e32 v55, v51, v53
	;; [unrolled: 1-line block ×3, first 2 shown]
	s_and_saveexec_b64 s[18:19], s[2:3]
	s_cbranch_execz .LBB270_1010
; %bb.1009:                             ;   in Loop: Header=BB270_810 Depth=1
	v_cmp_lt_i32_e32 vcc, v80, v13
	s_nop 1
	v_cndmask_b32_e32 v0, 0, v49, vcc
	v_cmp_lt_i32_e32 vcc, v101, v62
	s_nop 1
	v_cndmask_b32_e32 v1, 0, v50, vcc
	;; [unrolled: 3-line block ×3, first 2 shown]
	v_cmp_lt_i32_e32 vcc, v99, v62
	v_or_b32_e32 v19, v0, v18
	s_nop 0
	v_cndmask_b32_e32 v16, 0, v16, vcc
	v_cmp_lt_i32_e32 vcc, v98, v13
	v_or_b32_e32 v48, v1, v16
	s_nop 0
	v_cndmask_b32_e32 v0, 0, v53, vcc
	v_cmp_lt_i32_e32 vcc, v97, v62
	s_nop 1
	v_cndmask_b32_e32 v1, 0, v52, vcc
	v_cmp_lt_i32_e32 vcc, v96, v13
	s_nop 1
	v_cndmask_b32_e32 v16, 0, v51, vcc
	v_cmp_lt_i32_e32 vcc, v86, v62
	v_or_b32_e32 v55, v0, v16
	s_nop 0
	v_cndmask_b32_e32 v18, 0, v38, vcc
	v_or_b32_e32 v54, v1, v18
.LBB270_1010:                           ;   in Loop: Header=BB270_810 Depth=1
	s_or_b64 exec, exec, s[18:19]
	;;#ASMSTART
	v_pk_mul_f16 v0, v87, v19;

	;;#ASMEND
	;;#ASMSTART
	v_pk_mul_f16 v1, v85, v48;

	;;#ASMEND
	;; [unrolled: 4-line block ×4, first 2 shown]
	s_nop 0
	;;#ASMSTART
	v_pk_add_f16 v0, v0, v1;

	;;#ASMEND
	s_nop 0
	;;#ASMSTART
	v_pk_add_f16 v0, v0, v16;

	;;#ASMEND
	;; [unrolled: 5-line block ×3, first 2 shown]
	s_nop 0
	v_lshrrev_b32_e32 v1, 16, v0
	v_and_b32_e32 v0, 0xffff, v0
	;;#ASMSTART
	v_cvt_f32_f16 v116, v0;
	;;#ASMEND
	;;#ASMSTART
	v_cvt_f32_f16 v117, v1;
	;;#ASMEND
	flat_load_dwordx2 v[48:49], v[36:37] offset:2048
	flat_load_dword v38, v[22:23]
	v_mov_b32_e32 v1, 0
	v_mov_b32_e32 v0, 0
	s_waitcnt vmcnt(0) lgkmcnt(0)
	v_cmp_ne_u16_sdwa s[20:21], v48, v17 src0_sel:BYTE_0 src1_sel:DWORD
	s_and_saveexec_b64 s[18:19], s[20:21]
	s_cbranch_execz .LBB270_1016
; %bb.1011:                             ;   in Loop: Header=BB270_810 Depth=1
	v_cmp_ne_u16_sdwa s[22:23], v48, s24 src0_sel:BYTE_0 src1_sel:DWORD
	v_mov_b32_e32 v0, 0x8000
	s_and_saveexec_b64 s[20:21], s[22:23]
	s_cbranch_execz .LBB270_1015
; %bb.1012:                             ;   in Loop: Header=BB270_810 Depth=1
	v_and_b32_e32 v16, 0x7f, v48
	v_cmp_ne_u32_e32 vcc, s25, v16
	v_mov_b32_e32 v0, 0x7c01
	s_and_saveexec_b64 s[22:23], vcc
	s_cbranch_execz .LBB270_1014
; %bb.1013:                             ;   in Loop: Header=BB270_810 Depth=1
	v_and_b32_e32 v0, 7, v48
	v_ffbh_u32_e32 v18, v0
	v_min_u32_e32 v50, 32, v18
	v_subrev_u32_e32 v18, 28, v50
	v_lshlrev_b64 v[18:19], v18, v[48:49]
	v_lshrrev_b32_e32 v39, 3, v16
	v_sub_u32_e32 v19, 29, v50
	v_cmp_gt_u32_e32 vcc, 8, v16
	v_and_b32_e32 v18, 7, v18
	s_nop 0
	v_cndmask_b32_e32 v16, v39, v19, vcc
	v_lshl_add_u32 v16, v16, 10, v82
	v_lshlrev_b32_e32 v19, 8, v48
	v_and_b32_e32 v16, 0xfc00, v16
	v_cndmask_b32_e32 v0, v0, v18, vcc
	v_and_or_b32 v16, v19, s26, v16
	v_lshl_or_b32 v0, v0, 7, v16
.LBB270_1014:                           ;   in Loop: Header=BB270_810 Depth=1
	s_or_b64 exec, exec, s[22:23]
.LBB270_1015:                           ;   in Loop: Header=BB270_810 Depth=1
	s_or_b64 exec, exec, s[20:21]
.LBB270_1016:                           ;   in Loop: Header=BB270_810 Depth=1
	s_or_b64 exec, exec, s[18:19]
	v_lshrrev_b16_e32 v16, 8, v48
	v_cmp_ne_u16_e32 vcc, 0, v16
	s_and_saveexec_b64 s[18:19], vcc
	s_cbranch_execz .LBB270_1022
; %bb.1017:                             ;   in Loop: Header=BB270_810 Depth=1
	v_cmp_ne_u16_e32 vcc, s24, v16
	v_bfrev_b32_e32 v1, 1
	s_and_saveexec_b64 s[20:21], vcc
	s_cbranch_execz .LBB270_1021
; %bb.1018:                             ;   in Loop: Header=BB270_810 Depth=1
	v_and_b32_e32 v18, 0x7f, v16
	v_cmp_ne_u32_e32 vcc, s25, v18
	v_mov_b32_e32 v1, 0x7c010000
	s_and_saveexec_b64 s[22:23], vcc
	s_cbranch_execz .LBB270_1020
; %bb.1019:                             ;   in Loop: Header=BB270_810 Depth=1
	v_and_b32_e32 v1, 7, v16
	v_ffbh_u32_e32 v39, v1
	v_min_u32_e32 v39, 32, v39
	v_lshrrev_b32_e32 v19, 3, v18
	v_subrev_u32_e32 v50, 28, v39
	v_sub_u32_e32 v39, 29, v39
	v_cmp_gt_u32_e32 vcc, 8, v18
	v_lshlrev_b64 v[50:51], v50, v[16:17]
	v_lshlrev_b32_e32 v16, 8, v16
	v_cndmask_b32_e32 v18, v19, v39, vcc
	v_lshl_add_u32 v18, v18, 10, v82
	v_and_b32_e32 v19, 7, v50
	v_and_or_b32 v16, v16, s26, v18
	v_cndmask_b32_e32 v1, v1, v19, vcc
	v_lshlrev_b32_e32 v16, 16, v16
	v_lshl_or_b32 v1, v1, 23, v16
.LBB270_1020:                           ;   in Loop: Header=BB270_810 Depth=1
	s_or_b64 exec, exec, s[22:23]
.LBB270_1021:                           ;   in Loop: Header=BB270_810 Depth=1
	s_or_b64 exec, exec, s[20:21]
.LBB270_1022:                           ;   in Loop: Header=BB270_810 Depth=1
	s_or_b64 exec, exec, s[18:19]
	v_lshrrev_b32_e32 v16, 16, v48
	v_cmp_ne_u16_sdwa s[20:21], v16, v17 src0_sel:BYTE_0 src1_sel:DWORD
	v_mov_b32_e32 v19, 0
	v_mov_b32_e32 v18, 0
	s_and_saveexec_b64 s[18:19], s[20:21]
	s_cbranch_execz .LBB270_1028
; %bb.1023:                             ;   in Loop: Header=BB270_810 Depth=1
	v_cmp_ne_u16_sdwa s[22:23], v16, s24 src0_sel:BYTE_0 src1_sel:DWORD
	v_mov_b32_e32 v18, 0x8000
	s_and_saveexec_b64 s[20:21], s[22:23]
	s_cbranch_execz .LBB270_1027
; %bb.1024:                             ;   in Loop: Header=BB270_810 Depth=1
	v_bfe_u32 v39, v48, 16, 7
	v_cmp_ne_u32_e32 vcc, s25, v39
	v_mov_b32_e32 v18, 0x7c01
	s_and_saveexec_b64 s[22:23], vcc
	s_cbranch_execz .LBB270_1026
; %bb.1025:                             ;   in Loop: Header=BB270_810 Depth=1
	v_and_b32_e32 v18, 7, v16
	v_ffbh_u32_e32 v50, v18
	v_min_u32_e32 v53, 32, v50
	v_subrev_u32_e32 v50, 28, v53
	v_lshlrev_b64 v[50:51], v50, v[16:17]
	v_lshrrev_b32_e32 v52, 3, v39
	v_sub_u32_e32 v51, 29, v53
	v_cmp_gt_u32_e32 vcc, 8, v39
	v_lshlrev_b32_e32 v16, 8, v16
	v_and_b32_e32 v50, 7, v50
	v_cndmask_b32_e32 v39, v52, v51, vcc
	v_lshl_add_u32 v39, v39, 10, v82
	v_and_b32_e32 v39, 0xfc00, v39
	v_cndmask_b32_e32 v18, v18, v50, vcc
	v_and_or_b32 v16, v16, s26, v39
	v_lshl_or_b32 v18, v18, 7, v16
.LBB270_1026:                           ;   in Loop: Header=BB270_810 Depth=1
	s_or_b64 exec, exec, s[22:23]
.LBB270_1027:                           ;   in Loop: Header=BB270_810 Depth=1
	s_or_b64 exec, exec, s[20:21]
.LBB270_1028:                           ;   in Loop: Header=BB270_810 Depth=1
	s_or_b64 exec, exec, s[18:19]
	v_cmp_lt_u32_e32 vcc, s7, v48
	s_and_saveexec_b64 s[18:19], vcc
	s_cbranch_execz .LBB270_1034
; %bb.1029:                             ;   in Loop: Header=BB270_810 Depth=1
	v_lshrrev_b32_e32 v16, 24, v48
	v_cmp_ne_u32_e32 vcc, s24, v16
	v_bfrev_b32_e32 v19, 1
	s_and_saveexec_b64 s[20:21], vcc
	s_cbranch_execz .LBB270_1033
; %bb.1030:                             ;   in Loop: Header=BB270_810 Depth=1
	v_and_b32_e32 v39, 0x7f, v16
	v_cmp_ne_u32_e32 vcc, s25, v39
	v_mov_b32_e32 v19, 0x7c010000
	s_and_saveexec_b64 s[22:23], vcc
	s_cbranch_execz .LBB270_1032
; %bb.1031:                             ;   in Loop: Header=BB270_810 Depth=1
	v_and_b32_e32 v19, 7, v16
	v_ffbh_u32_e32 v50, v19
	v_min_u32_e32 v53, 32, v50
	v_subrev_u32_e32 v50, 28, v53
	v_lshlrev_b64 v[50:51], v50, v[16:17]
	v_lshrrev_b32_e32 v52, 3, v39
	v_sub_u32_e32 v51, 29, v53
	v_cmp_gt_u32_e32 vcc, 8, v39
	v_lshlrev_b32_e32 v16, 8, v16
	v_and_b32_e32 v50, 7, v50
	v_cndmask_b32_e32 v39, v52, v51, vcc
	v_lshl_add_u32 v39, v39, 10, v82
	v_and_or_b32 v16, v16, s26, v39
	v_cndmask_b32_e32 v19, v19, v50, vcc
	v_lshlrev_b32_e32 v16, 16, v16
	v_lshl_or_b32 v19, v19, 23, v16
.LBB270_1032:                           ;   in Loop: Header=BB270_810 Depth=1
	s_or_b64 exec, exec, s[22:23]
.LBB270_1033:                           ;   in Loop: Header=BB270_810 Depth=1
	s_or_b64 exec, exec, s[20:21]
.LBB270_1034:                           ;   in Loop: Header=BB270_810 Depth=1
	s_or_b64 exec, exec, s[18:19]
	v_mov_b32_e32 v16, v49
	v_cmp_ne_u16_sdwa s[20:21], v49, v17 src0_sel:BYTE_0 src1_sel:DWORD
	v_mov_b32_e32 v51, 0
	v_mov_b32_e32 v52, 0
	s_and_saveexec_b64 s[18:19], s[20:21]
	s_cbranch_execz .LBB270_1040
; %bb.1035:                             ;   in Loop: Header=BB270_810 Depth=1
	v_cmp_ne_u16_sdwa s[22:23], v49, s24 src0_sel:BYTE_0 src1_sel:DWORD
	v_mov_b32_e32 v52, 0x8000
	s_and_saveexec_b64 s[20:21], s[22:23]
	s_cbranch_execz .LBB270_1039
; %bb.1036:                             ;   in Loop: Header=BB270_810 Depth=1
	v_and_b32_e32 v39, 0x7f, v49
	v_cmp_ne_u32_e32 vcc, s25, v39
	v_mov_b32_e32 v52, 0x7c01
	s_and_saveexec_b64 s[22:23], vcc
	s_cbranch_execz .LBB270_1038
; %bb.1037:                             ;   in Loop: Header=BB270_810 Depth=1
	v_and_b32_e32 v50, 7, v49
	v_ffbh_u32_e32 v52, v50
	v_min_u32_e32 v55, 32, v52
	v_subrev_u32_e32 v52, 28, v55
	v_lshlrev_b64 v[52:53], v52, v[16:17]
	v_lshrrev_b32_e32 v54, 3, v39
	v_sub_u32_e32 v53, 29, v55
	v_cmp_gt_u32_e32 vcc, 8, v39
	v_and_b32_e32 v52, 7, v52
	s_nop 0
	v_cndmask_b32_e32 v39, v54, v53, vcc
	v_lshl_add_u32 v39, v39, 10, v82
	v_lshlrev_b32_e32 v53, 8, v49
	v_and_b32_e32 v39, 0xfc00, v39
	v_cndmask_b32_e32 v50, v50, v52, vcc
	v_and_or_b32 v39, v53, s26, v39
	v_lshl_or_b32 v52, v50, 7, v39
.LBB270_1038:                           ;   in Loop: Header=BB270_810 Depth=1
	s_or_b64 exec, exec, s[22:23]
.LBB270_1039:                           ;   in Loop: Header=BB270_810 Depth=1
	s_or_b64 exec, exec, s[20:21]
.LBB270_1040:                           ;   in Loop: Header=BB270_810 Depth=1
	s_or_b64 exec, exec, s[18:19]
	v_lshrrev_b16_e32 v16, 8, v16
	v_cmp_ne_u16_e32 vcc, 0, v16
	v_mov_b32_e32 v53, 0
	s_and_saveexec_b64 s[18:19], vcc
	s_cbranch_execz .LBB270_1046
; %bb.1041:                             ;   in Loop: Header=BB270_810 Depth=1
	v_cmp_ne_u16_e32 vcc, s24, v16
	v_bfrev_b32_e32 v53, 1
	s_and_saveexec_b64 s[20:21], vcc
	s_cbranch_execz .LBB270_1045
; %bb.1042:                             ;   in Loop: Header=BB270_810 Depth=1
	v_and_b32_e32 v39, 0x7f, v16
	v_cmp_ne_u32_e32 vcc, s25, v39
	v_mov_b32_e32 v53, 0x7c010000
	s_and_saveexec_b64 s[22:23], vcc
	s_cbranch_execz .LBB270_1044
; %bb.1043:                             ;   in Loop: Header=BB270_810 Depth=1
	v_and_b32_e32 v50, 7, v16
	v_ffbh_u32_e32 v54, v50
	v_min_u32_e32 v64, 32, v54
	v_subrev_u32_e32 v54, 28, v64
	v_lshlrev_b64 v[54:55], v54, v[16:17]
	v_lshrrev_b32_e32 v53, 3, v39
	v_sub_u32_e32 v55, 29, v64
	v_cmp_gt_u32_e32 vcc, 8, v39
	v_lshlrev_b32_e32 v16, 8, v16
	s_nop 0
	v_cndmask_b32_e32 v39, v53, v55, vcc
	v_lshl_add_u32 v39, v39, 10, v82
	v_and_b32_e32 v53, 7, v54
	v_and_or_b32 v16, v16, s26, v39
	v_cndmask_b32_e32 v50, v50, v53, vcc
	v_lshlrev_b32_e32 v16, 16, v16
	v_lshl_or_b32 v53, v50, 23, v16
.LBB270_1044:                           ;   in Loop: Header=BB270_810 Depth=1
	s_or_b64 exec, exec, s[22:23]
.LBB270_1045:                           ;   in Loop: Header=BB270_810 Depth=1
	s_or_b64 exec, exec, s[20:21]
.LBB270_1046:                           ;   in Loop: Header=BB270_810 Depth=1
	s_or_b64 exec, exec, s[18:19]
	v_lshrrev_b32_e32 v16, 16, v49
	v_cmp_ne_u16_sdwa s[20:21], v16, v17 src0_sel:BYTE_0 src1_sel:DWORD
	s_and_saveexec_b64 s[18:19], s[20:21]
	s_cbranch_execz .LBB270_1052
; %bb.1047:                             ;   in Loop: Header=BB270_810 Depth=1
	v_cmp_ne_u16_sdwa s[22:23], v16, s24 src0_sel:BYTE_0 src1_sel:DWORD
	v_mov_b32_e32 v51, 0x8000
	s_and_saveexec_b64 s[20:21], s[22:23]
	s_cbranch_execz .LBB270_1051
; %bb.1048:                             ;   in Loop: Header=BB270_810 Depth=1
	v_bfe_u32 v39, v49, 16, 7
	v_cmp_ne_u32_e32 vcc, s25, v39
	v_mov_b32_e32 v51, 0x7c01
	s_and_saveexec_b64 s[22:23], vcc
	s_cbranch_execz .LBB270_1050
; %bb.1049:                             ;   in Loop: Header=BB270_810 Depth=1
	v_and_b32_e32 v54, 7, v16
	v_ffbh_u32_e32 v50, v54
	v_min_u32_e32 v64, 32, v50
	v_subrev_u32_e32 v50, 28, v64
	v_lshlrev_b64 v[50:51], v50, v[16:17]
	v_lshrrev_b32_e32 v55, 3, v39
	v_sub_u32_e32 v51, 29, v64
	v_cmp_gt_u32_e32 vcc, 8, v39
	v_lshlrev_b32_e32 v16, 8, v16
	v_and_b32_e32 v50, 7, v50
	v_cndmask_b32_e32 v39, v55, v51, vcc
	v_lshl_add_u32 v39, v39, 10, v82
	v_and_b32_e32 v39, 0xfc00, v39
	v_cndmask_b32_e32 v50, v54, v50, vcc
	v_and_or_b32 v16, v16, s26, v39
	v_lshl_or_b32 v51, v50, 7, v16
.LBB270_1050:                           ;   in Loop: Header=BB270_810 Depth=1
	s_or_b64 exec, exec, s[22:23]
.LBB270_1051:                           ;   in Loop: Header=BB270_810 Depth=1
	s_or_b64 exec, exec, s[20:21]
.LBB270_1052:                           ;   in Loop: Header=BB270_810 Depth=1
	s_or_b64 exec, exec, s[18:19]
	v_cmp_lt_u64_e32 vcc, s[6:7], v[48:49]
	v_mov_b32_e32 v48, 0
	s_and_saveexec_b64 s[18:19], vcc
	s_cbranch_execz .LBB270_1058
; %bb.1053:                             ;   in Loop: Header=BB270_810 Depth=1
	v_lshrrev_b32_e32 v16, 24, v49
	v_cmp_ne_u32_e32 vcc, s24, v16
	v_bfrev_b32_e32 v48, 1
	s_and_saveexec_b64 s[20:21], vcc
	s_cbranch_execz .LBB270_1057
; %bb.1054:                             ;   in Loop: Header=BB270_810 Depth=1
	v_and_b32_e32 v39, 0x7f, v16
	v_cmp_ne_u32_e32 vcc, s25, v39
	v_mov_b32_e32 v48, 0x7c010000
	s_and_saveexec_b64 s[22:23], vcc
	s_cbranch_execz .LBB270_1056
; %bb.1055:                             ;   in Loop: Header=BB270_810 Depth=1
	v_and_b32_e32 v50, 7, v16
	v_ffbh_u32_e32 v48, v50
	v_min_u32_e32 v55, 32, v48
	v_subrev_u32_e32 v48, 28, v55
	v_lshlrev_b64 v[48:49], v48, v[16:17]
	v_lshrrev_b32_e32 v54, 3, v39
	v_sub_u32_e32 v49, 29, v55
	v_cmp_gt_u32_e32 vcc, 8, v39
	v_lshlrev_b32_e32 v16, 8, v16
	v_and_b32_e32 v48, 7, v48
	v_cndmask_b32_e32 v39, v54, v49, vcc
	v_lshl_add_u32 v39, v39, 10, v82
	v_and_or_b32 v16, v16, s26, v39
	v_cndmask_b32_e32 v48, v50, v48, vcc
	v_lshlrev_b32_e32 v16, 16, v16
	v_lshl_or_b32 v48, v48, 23, v16
.LBB270_1056:                           ;   in Loop: Header=BB270_810 Depth=1
	s_or_b64 exec, exec, s[22:23]
.LBB270_1057:                           ;   in Loop: Header=BB270_810 Depth=1
	s_or_b64 exec, exec, s[20:21]
.LBB270_1058:                           ;   in Loop: Header=BB270_810 Depth=1
	s_or_b64 exec, exec, s[18:19]
	v_cvt_f32_f16_sdwa v55, v1 dst_sel:DWORD dst_unused:UNUSED_PAD src0_sel:WORD_1
	v_cvt_f32_f16_sdwa v54, v19 dst_sel:DWORD dst_unused:UNUSED_PAD src0_sel:WORD_1
	v_or_b32_e32 v16, v1, v0
	v_or_b32_e32 v18, v19, v18
	v_cvt_f32_f16_e32 v18, v18
	v_cvt_f32_f16_e32 v19, v16
	v_pk_mul_f32 v[0:1], v[38:39], v[54:55] op_sel_hi:[0,1]
	v_cvt_pk_f16_f32 v0, v0, v1
	v_and_b32_e32 v39, 0xffff0000, v0
	v_lshlrev_b32_e32 v16, 16, v0
	v_pk_mul_f32 v[0:1], v[38:39], v[18:19] op_sel_hi:[0,1]
	v_cvt_pk_f16_f32 v0, v0, v1
	v_lshrrev_b32_e32 v49, 16, v0
	v_and_b32_e32 v50, 0xffff, v0
	v_or_b32_e32 v1, v53, v52
	v_or_b32_e32 v0, v48, v51
	v_cvt_f32_f16_e32 v0, v0
	v_cvt_f32_f16_e32 v1, v1
	v_cvt_f32_f16_sdwa v53, v53 dst_sel:DWORD dst_unused:UNUSED_PAD src0_sel:WORD_1
	v_cvt_f32_f16_sdwa v52, v48 dst_sel:DWORD dst_unused:UNUSED_PAD src0_sel:WORD_1
	v_or_b32_e32 v19, v39, v49
	v_pk_mul_f32 v[0:1], v[38:39], v[0:1] op_sel_hi:[0,1]
	v_cvt_pk_f16_f32 v18, v0, v1
	v_pk_mul_f32 v[0:1], v[38:39], v[52:53] op_sel_hi:[0,1]
	v_cvt_pk_f16_f32 v0, v0, v1
	v_and_b32_e32 v51, 0xffff0000, v0
	v_lshlrev_b32_e32 v38, 16, v0
	v_lshrrev_b32_e32 v53, 16, v18
	v_and_b32_e32 v52, 0xffff, v18
	v_or_b32_e32 v48, v16, v50
	v_or_b32_e32 v55, v51, v53
	;; [unrolled: 1-line block ×3, first 2 shown]
	s_and_saveexec_b64 s[18:19], s[2:3]
	s_cbranch_execz .LBB270_1060
; %bb.1059:                             ;   in Loop: Header=BB270_810 Depth=1
	v_cmp_lt_i32_e32 vcc, v80, v13
	s_nop 1
	v_cndmask_b32_e32 v0, 0, v49, vcc
	v_cmp_lt_i32_e32 vcc, v101, v62
	s_nop 1
	v_cndmask_b32_e32 v1, 0, v50, vcc
	;; [unrolled: 3-line block ×3, first 2 shown]
	v_cmp_lt_i32_e32 vcc, v99, v62
	v_or_b32_e32 v19, v0, v18
	s_nop 0
	v_cndmask_b32_e32 v16, 0, v16, vcc
	v_cmp_lt_i32_e32 vcc, v98, v13
	v_or_b32_e32 v48, v1, v16
	s_nop 0
	v_cndmask_b32_e32 v0, 0, v53, vcc
	v_cmp_lt_i32_e32 vcc, v97, v62
	s_nop 1
	v_cndmask_b32_e32 v1, 0, v52, vcc
	v_cmp_lt_i32_e32 vcc, v96, v13
	;; [unrolled: 3-line block ×3, first 2 shown]
	v_or_b32_e32 v55, v0, v16
	s_nop 0
	v_cndmask_b32_e32 v18, 0, v38, vcc
	v_or_b32_e32 v54, v1, v18
.LBB270_1060:                           ;   in Loop: Header=BB270_810 Depth=1
	s_or_b64 exec, exec, s[18:19]
	;;#ASMSTART
	v_pk_mul_f16 v0, v87, v19;

	;;#ASMEND
	;;#ASMSTART
	v_pk_mul_f16 v1, v85, v48;

	;;#ASMEND
	;;#ASMSTART
	v_pk_mul_f16 v16, v84, v55;

	;;#ASMEND
	;;#ASMSTART
	v_pk_mul_f16 v18, v83, v54;

	;;#ASMEND
	s_nop 0
	;;#ASMSTART
	v_pk_add_f16 v0, v0, v1;

	;;#ASMEND
	s_nop 0
	;;#ASMSTART
	v_pk_add_f16 v0, v0, v16;

	;;#ASMEND
	;; [unrolled: 5-line block ×3, first 2 shown]
	s_nop 0
	v_lshrrev_b32_e32 v1, 16, v0
	v_and_b32_e32 v0, 0xffff, v0
	;;#ASMSTART
	v_cvt_f32_f16 v118, v0;
	;;#ASMEND
	;;#ASMSTART
	v_cvt_f32_f16 v119, v1;
	;;#ASMEND
	flat_load_dwordx2 v[48:49], v[36:37] offset:2560
	flat_load_dword v38, v[22:23]
	v_mov_b32_e32 v1, 0
	v_mov_b32_e32 v0, 0
	s_waitcnt vmcnt(0) lgkmcnt(0)
	v_cmp_ne_u16_sdwa s[20:21], v48, v17 src0_sel:BYTE_0 src1_sel:DWORD
	s_and_saveexec_b64 s[18:19], s[20:21]
	s_cbranch_execz .LBB270_1066
; %bb.1061:                             ;   in Loop: Header=BB270_810 Depth=1
	v_cmp_ne_u16_sdwa s[22:23], v48, s24 src0_sel:BYTE_0 src1_sel:DWORD
	v_mov_b32_e32 v0, 0x8000
	s_and_saveexec_b64 s[20:21], s[22:23]
	s_cbranch_execz .LBB270_1065
; %bb.1062:                             ;   in Loop: Header=BB270_810 Depth=1
	v_and_b32_e32 v16, 0x7f, v48
	v_cmp_ne_u32_e32 vcc, s25, v16
	v_mov_b32_e32 v0, 0x7c01
	s_and_saveexec_b64 s[22:23], vcc
	s_cbranch_execz .LBB270_1064
; %bb.1063:                             ;   in Loop: Header=BB270_810 Depth=1
	v_and_b32_e32 v0, 7, v48
	v_ffbh_u32_e32 v18, v0
	v_min_u32_e32 v50, 32, v18
	v_subrev_u32_e32 v18, 28, v50
	v_lshlrev_b64 v[18:19], v18, v[48:49]
	v_lshrrev_b32_e32 v39, 3, v16
	v_sub_u32_e32 v19, 29, v50
	v_cmp_gt_u32_e32 vcc, 8, v16
	v_and_b32_e32 v18, 7, v18
	s_nop 0
	v_cndmask_b32_e32 v16, v39, v19, vcc
	v_lshl_add_u32 v16, v16, 10, v82
	v_lshlrev_b32_e32 v19, 8, v48
	v_and_b32_e32 v16, 0xfc00, v16
	v_cndmask_b32_e32 v0, v0, v18, vcc
	v_and_or_b32 v16, v19, s26, v16
	v_lshl_or_b32 v0, v0, 7, v16
.LBB270_1064:                           ;   in Loop: Header=BB270_810 Depth=1
	s_or_b64 exec, exec, s[22:23]
.LBB270_1065:                           ;   in Loop: Header=BB270_810 Depth=1
	s_or_b64 exec, exec, s[20:21]
.LBB270_1066:                           ;   in Loop: Header=BB270_810 Depth=1
	s_or_b64 exec, exec, s[18:19]
	v_lshrrev_b16_e32 v16, 8, v48
	v_cmp_ne_u16_e32 vcc, 0, v16
	s_and_saveexec_b64 s[18:19], vcc
	s_cbranch_execz .LBB270_1072
; %bb.1067:                             ;   in Loop: Header=BB270_810 Depth=1
	v_cmp_ne_u16_e32 vcc, s24, v16
	v_bfrev_b32_e32 v1, 1
	s_and_saveexec_b64 s[20:21], vcc
	s_cbranch_execz .LBB270_1071
; %bb.1068:                             ;   in Loop: Header=BB270_810 Depth=1
	v_and_b32_e32 v18, 0x7f, v16
	v_cmp_ne_u32_e32 vcc, s25, v18
	v_mov_b32_e32 v1, 0x7c010000
	s_and_saveexec_b64 s[22:23], vcc
	s_cbranch_execz .LBB270_1070
; %bb.1069:                             ;   in Loop: Header=BB270_810 Depth=1
	v_and_b32_e32 v1, 7, v16
	v_ffbh_u32_e32 v39, v1
	v_min_u32_e32 v39, 32, v39
	v_lshrrev_b32_e32 v19, 3, v18
	v_subrev_u32_e32 v50, 28, v39
	v_sub_u32_e32 v39, 29, v39
	v_cmp_gt_u32_e32 vcc, 8, v18
	v_lshlrev_b64 v[50:51], v50, v[16:17]
	v_lshlrev_b32_e32 v16, 8, v16
	v_cndmask_b32_e32 v18, v19, v39, vcc
	v_lshl_add_u32 v18, v18, 10, v82
	v_and_b32_e32 v19, 7, v50
	v_and_or_b32 v16, v16, s26, v18
	v_cndmask_b32_e32 v1, v1, v19, vcc
	v_lshlrev_b32_e32 v16, 16, v16
	v_lshl_or_b32 v1, v1, 23, v16
.LBB270_1070:                           ;   in Loop: Header=BB270_810 Depth=1
	s_or_b64 exec, exec, s[22:23]
.LBB270_1071:                           ;   in Loop: Header=BB270_810 Depth=1
	s_or_b64 exec, exec, s[20:21]
.LBB270_1072:                           ;   in Loop: Header=BB270_810 Depth=1
	s_or_b64 exec, exec, s[18:19]
	v_lshrrev_b32_e32 v16, 16, v48
	v_cmp_ne_u16_sdwa s[20:21], v16, v17 src0_sel:BYTE_0 src1_sel:DWORD
	v_mov_b32_e32 v19, 0
	v_mov_b32_e32 v18, 0
	s_and_saveexec_b64 s[18:19], s[20:21]
	s_cbranch_execz .LBB270_1078
; %bb.1073:                             ;   in Loop: Header=BB270_810 Depth=1
	v_cmp_ne_u16_sdwa s[22:23], v16, s24 src0_sel:BYTE_0 src1_sel:DWORD
	v_mov_b32_e32 v18, 0x8000
	s_and_saveexec_b64 s[20:21], s[22:23]
	s_cbranch_execz .LBB270_1077
; %bb.1074:                             ;   in Loop: Header=BB270_810 Depth=1
	v_bfe_u32 v39, v48, 16, 7
	v_cmp_ne_u32_e32 vcc, s25, v39
	v_mov_b32_e32 v18, 0x7c01
	s_and_saveexec_b64 s[22:23], vcc
	s_cbranch_execz .LBB270_1076
; %bb.1075:                             ;   in Loop: Header=BB270_810 Depth=1
	v_and_b32_e32 v18, 7, v16
	v_ffbh_u32_e32 v50, v18
	v_min_u32_e32 v53, 32, v50
	v_subrev_u32_e32 v50, 28, v53
	v_lshlrev_b64 v[50:51], v50, v[16:17]
	v_lshrrev_b32_e32 v52, 3, v39
	v_sub_u32_e32 v51, 29, v53
	v_cmp_gt_u32_e32 vcc, 8, v39
	v_lshlrev_b32_e32 v16, 8, v16
	v_and_b32_e32 v50, 7, v50
	v_cndmask_b32_e32 v39, v52, v51, vcc
	v_lshl_add_u32 v39, v39, 10, v82
	v_and_b32_e32 v39, 0xfc00, v39
	v_cndmask_b32_e32 v18, v18, v50, vcc
	v_and_or_b32 v16, v16, s26, v39
	v_lshl_or_b32 v18, v18, 7, v16
.LBB270_1076:                           ;   in Loop: Header=BB270_810 Depth=1
	s_or_b64 exec, exec, s[22:23]
.LBB270_1077:                           ;   in Loop: Header=BB270_810 Depth=1
	s_or_b64 exec, exec, s[20:21]
.LBB270_1078:                           ;   in Loop: Header=BB270_810 Depth=1
	s_or_b64 exec, exec, s[18:19]
	v_cmp_lt_u32_e32 vcc, s7, v48
	s_and_saveexec_b64 s[18:19], vcc
	s_cbranch_execz .LBB270_1084
; %bb.1079:                             ;   in Loop: Header=BB270_810 Depth=1
	v_lshrrev_b32_e32 v16, 24, v48
	v_cmp_ne_u32_e32 vcc, s24, v16
	v_bfrev_b32_e32 v19, 1
	s_and_saveexec_b64 s[20:21], vcc
	s_cbranch_execz .LBB270_1083
; %bb.1080:                             ;   in Loop: Header=BB270_810 Depth=1
	v_and_b32_e32 v39, 0x7f, v16
	v_cmp_ne_u32_e32 vcc, s25, v39
	v_mov_b32_e32 v19, 0x7c010000
	s_and_saveexec_b64 s[22:23], vcc
	s_cbranch_execz .LBB270_1082
; %bb.1081:                             ;   in Loop: Header=BB270_810 Depth=1
	v_and_b32_e32 v19, 7, v16
	v_ffbh_u32_e32 v50, v19
	v_min_u32_e32 v53, 32, v50
	v_subrev_u32_e32 v50, 28, v53
	v_lshlrev_b64 v[50:51], v50, v[16:17]
	v_lshrrev_b32_e32 v52, 3, v39
	v_sub_u32_e32 v51, 29, v53
	v_cmp_gt_u32_e32 vcc, 8, v39
	v_lshlrev_b32_e32 v16, 8, v16
	v_and_b32_e32 v50, 7, v50
	v_cndmask_b32_e32 v39, v52, v51, vcc
	v_lshl_add_u32 v39, v39, 10, v82
	v_and_or_b32 v16, v16, s26, v39
	v_cndmask_b32_e32 v19, v19, v50, vcc
	v_lshlrev_b32_e32 v16, 16, v16
	v_lshl_or_b32 v19, v19, 23, v16
.LBB270_1082:                           ;   in Loop: Header=BB270_810 Depth=1
	s_or_b64 exec, exec, s[22:23]
.LBB270_1083:                           ;   in Loop: Header=BB270_810 Depth=1
	s_or_b64 exec, exec, s[20:21]
.LBB270_1084:                           ;   in Loop: Header=BB270_810 Depth=1
	s_or_b64 exec, exec, s[18:19]
	v_mov_b32_e32 v16, v49
	v_cmp_ne_u16_sdwa s[20:21], v49, v17 src0_sel:BYTE_0 src1_sel:DWORD
	v_mov_b32_e32 v51, 0
	v_mov_b32_e32 v52, 0
	s_and_saveexec_b64 s[18:19], s[20:21]
	s_cbranch_execz .LBB270_1090
; %bb.1085:                             ;   in Loop: Header=BB270_810 Depth=1
	v_cmp_ne_u16_sdwa s[22:23], v49, s24 src0_sel:BYTE_0 src1_sel:DWORD
	v_mov_b32_e32 v52, 0x8000
	s_and_saveexec_b64 s[20:21], s[22:23]
	s_cbranch_execz .LBB270_1089
; %bb.1086:                             ;   in Loop: Header=BB270_810 Depth=1
	v_and_b32_e32 v39, 0x7f, v49
	v_cmp_ne_u32_e32 vcc, s25, v39
	v_mov_b32_e32 v52, 0x7c01
	s_and_saveexec_b64 s[22:23], vcc
	s_cbranch_execz .LBB270_1088
; %bb.1087:                             ;   in Loop: Header=BB270_810 Depth=1
	v_and_b32_e32 v50, 7, v49
	v_ffbh_u32_e32 v52, v50
	v_min_u32_e32 v55, 32, v52
	v_subrev_u32_e32 v52, 28, v55
	v_lshlrev_b64 v[52:53], v52, v[16:17]
	v_lshrrev_b32_e32 v54, 3, v39
	v_sub_u32_e32 v53, 29, v55
	v_cmp_gt_u32_e32 vcc, 8, v39
	v_and_b32_e32 v52, 7, v52
	s_nop 0
	v_cndmask_b32_e32 v39, v54, v53, vcc
	v_lshl_add_u32 v39, v39, 10, v82
	v_lshlrev_b32_e32 v53, 8, v49
	v_and_b32_e32 v39, 0xfc00, v39
	v_cndmask_b32_e32 v50, v50, v52, vcc
	v_and_or_b32 v39, v53, s26, v39
	v_lshl_or_b32 v52, v50, 7, v39
.LBB270_1088:                           ;   in Loop: Header=BB270_810 Depth=1
	s_or_b64 exec, exec, s[22:23]
.LBB270_1089:                           ;   in Loop: Header=BB270_810 Depth=1
	s_or_b64 exec, exec, s[20:21]
.LBB270_1090:                           ;   in Loop: Header=BB270_810 Depth=1
	s_or_b64 exec, exec, s[18:19]
	v_lshrrev_b16_e32 v16, 8, v16
	v_cmp_ne_u16_e32 vcc, 0, v16
	v_mov_b32_e32 v53, 0
	s_and_saveexec_b64 s[18:19], vcc
	s_cbranch_execz .LBB270_1096
; %bb.1091:                             ;   in Loop: Header=BB270_810 Depth=1
	v_cmp_ne_u16_e32 vcc, s24, v16
	v_bfrev_b32_e32 v53, 1
	s_and_saveexec_b64 s[20:21], vcc
	s_cbranch_execz .LBB270_1095
; %bb.1092:                             ;   in Loop: Header=BB270_810 Depth=1
	v_and_b32_e32 v39, 0x7f, v16
	v_cmp_ne_u32_e32 vcc, s25, v39
	v_mov_b32_e32 v53, 0x7c010000
	s_and_saveexec_b64 s[22:23], vcc
	s_cbranch_execz .LBB270_1094
; %bb.1093:                             ;   in Loop: Header=BB270_810 Depth=1
	v_and_b32_e32 v50, 7, v16
	v_ffbh_u32_e32 v54, v50
	v_min_u32_e32 v64, 32, v54
	v_subrev_u32_e32 v54, 28, v64
	v_lshlrev_b64 v[54:55], v54, v[16:17]
	v_lshrrev_b32_e32 v53, 3, v39
	v_sub_u32_e32 v55, 29, v64
	v_cmp_gt_u32_e32 vcc, 8, v39
	v_lshlrev_b32_e32 v16, 8, v16
	s_nop 0
	v_cndmask_b32_e32 v39, v53, v55, vcc
	v_lshl_add_u32 v39, v39, 10, v82
	v_and_b32_e32 v53, 7, v54
	v_and_or_b32 v16, v16, s26, v39
	v_cndmask_b32_e32 v50, v50, v53, vcc
	v_lshlrev_b32_e32 v16, 16, v16
	v_lshl_or_b32 v53, v50, 23, v16
.LBB270_1094:                           ;   in Loop: Header=BB270_810 Depth=1
	s_or_b64 exec, exec, s[22:23]
.LBB270_1095:                           ;   in Loop: Header=BB270_810 Depth=1
	s_or_b64 exec, exec, s[20:21]
.LBB270_1096:                           ;   in Loop: Header=BB270_810 Depth=1
	s_or_b64 exec, exec, s[18:19]
	v_lshrrev_b32_e32 v16, 16, v49
	v_cmp_ne_u16_sdwa s[20:21], v16, v17 src0_sel:BYTE_0 src1_sel:DWORD
	s_and_saveexec_b64 s[18:19], s[20:21]
	s_cbranch_execz .LBB270_1102
; %bb.1097:                             ;   in Loop: Header=BB270_810 Depth=1
	v_cmp_ne_u16_sdwa s[22:23], v16, s24 src0_sel:BYTE_0 src1_sel:DWORD
	v_mov_b32_e32 v51, 0x8000
	s_and_saveexec_b64 s[20:21], s[22:23]
	s_cbranch_execz .LBB270_1101
; %bb.1098:                             ;   in Loop: Header=BB270_810 Depth=1
	v_bfe_u32 v39, v49, 16, 7
	v_cmp_ne_u32_e32 vcc, s25, v39
	v_mov_b32_e32 v51, 0x7c01
	s_and_saveexec_b64 s[22:23], vcc
	s_cbranch_execz .LBB270_1100
; %bb.1099:                             ;   in Loop: Header=BB270_810 Depth=1
	v_and_b32_e32 v54, 7, v16
	v_ffbh_u32_e32 v50, v54
	v_min_u32_e32 v64, 32, v50
	v_subrev_u32_e32 v50, 28, v64
	v_lshlrev_b64 v[50:51], v50, v[16:17]
	v_lshrrev_b32_e32 v55, 3, v39
	v_sub_u32_e32 v51, 29, v64
	v_cmp_gt_u32_e32 vcc, 8, v39
	v_lshlrev_b32_e32 v16, 8, v16
	v_and_b32_e32 v50, 7, v50
	v_cndmask_b32_e32 v39, v55, v51, vcc
	v_lshl_add_u32 v39, v39, 10, v82
	v_and_b32_e32 v39, 0xfc00, v39
	v_cndmask_b32_e32 v50, v54, v50, vcc
	v_and_or_b32 v16, v16, s26, v39
	v_lshl_or_b32 v51, v50, 7, v16
.LBB270_1100:                           ;   in Loop: Header=BB270_810 Depth=1
	s_or_b64 exec, exec, s[22:23]
.LBB270_1101:                           ;   in Loop: Header=BB270_810 Depth=1
	s_or_b64 exec, exec, s[20:21]
.LBB270_1102:                           ;   in Loop: Header=BB270_810 Depth=1
	s_or_b64 exec, exec, s[18:19]
	v_cmp_lt_u64_e32 vcc, s[6:7], v[48:49]
	v_mov_b32_e32 v48, 0
	s_and_saveexec_b64 s[18:19], vcc
	s_cbranch_execz .LBB270_1108
; %bb.1103:                             ;   in Loop: Header=BB270_810 Depth=1
	v_lshrrev_b32_e32 v16, 24, v49
	v_cmp_ne_u32_e32 vcc, s24, v16
	v_bfrev_b32_e32 v48, 1
	s_and_saveexec_b64 s[20:21], vcc
	s_cbranch_execz .LBB270_1107
; %bb.1104:                             ;   in Loop: Header=BB270_810 Depth=1
	v_and_b32_e32 v39, 0x7f, v16
	v_cmp_ne_u32_e32 vcc, s25, v39
	v_mov_b32_e32 v48, 0x7c010000
	s_and_saveexec_b64 s[22:23], vcc
	s_cbranch_execz .LBB270_1106
; %bb.1105:                             ;   in Loop: Header=BB270_810 Depth=1
	v_and_b32_e32 v50, 7, v16
	v_ffbh_u32_e32 v48, v50
	v_min_u32_e32 v55, 32, v48
	v_subrev_u32_e32 v48, 28, v55
	v_lshlrev_b64 v[48:49], v48, v[16:17]
	v_lshrrev_b32_e32 v54, 3, v39
	v_sub_u32_e32 v49, 29, v55
	v_cmp_gt_u32_e32 vcc, 8, v39
	v_lshlrev_b32_e32 v16, 8, v16
	v_and_b32_e32 v48, 7, v48
	v_cndmask_b32_e32 v39, v54, v49, vcc
	v_lshl_add_u32 v39, v39, 10, v82
	v_and_or_b32 v16, v16, s26, v39
	v_cndmask_b32_e32 v48, v50, v48, vcc
	v_lshlrev_b32_e32 v16, 16, v16
	v_lshl_or_b32 v48, v48, 23, v16
.LBB270_1106:                           ;   in Loop: Header=BB270_810 Depth=1
	s_or_b64 exec, exec, s[22:23]
.LBB270_1107:                           ;   in Loop: Header=BB270_810 Depth=1
	s_or_b64 exec, exec, s[20:21]
.LBB270_1108:                           ;   in Loop: Header=BB270_810 Depth=1
	s_or_b64 exec, exec, s[18:19]
	v_cvt_f32_f16_sdwa v55, v1 dst_sel:DWORD dst_unused:UNUSED_PAD src0_sel:WORD_1
	v_cvt_f32_f16_sdwa v54, v19 dst_sel:DWORD dst_unused:UNUSED_PAD src0_sel:WORD_1
	v_or_b32_e32 v16, v1, v0
	v_or_b32_e32 v18, v19, v18
	v_cvt_f32_f16_e32 v18, v18
	v_cvt_f32_f16_e32 v19, v16
	v_pk_mul_f32 v[0:1], v[38:39], v[54:55] op_sel_hi:[0,1]
	v_cvt_pk_f16_f32 v0, v0, v1
	v_and_b32_e32 v39, 0xffff0000, v0
	v_lshlrev_b32_e32 v16, 16, v0
	v_pk_mul_f32 v[0:1], v[38:39], v[18:19] op_sel_hi:[0,1]
	v_cvt_pk_f16_f32 v0, v0, v1
	v_lshrrev_b32_e32 v49, 16, v0
	v_and_b32_e32 v50, 0xffff, v0
	v_or_b32_e32 v1, v53, v52
	v_or_b32_e32 v0, v48, v51
	v_cvt_f32_f16_e32 v0, v0
	v_cvt_f32_f16_e32 v1, v1
	v_cvt_f32_f16_sdwa v53, v53 dst_sel:DWORD dst_unused:UNUSED_PAD src0_sel:WORD_1
	v_cvt_f32_f16_sdwa v52, v48 dst_sel:DWORD dst_unused:UNUSED_PAD src0_sel:WORD_1
	v_or_b32_e32 v19, v39, v49
	v_pk_mul_f32 v[0:1], v[38:39], v[0:1] op_sel_hi:[0,1]
	v_cvt_pk_f16_f32 v18, v0, v1
	v_pk_mul_f32 v[0:1], v[38:39], v[52:53] op_sel_hi:[0,1]
	v_cvt_pk_f16_f32 v0, v0, v1
	v_and_b32_e32 v51, 0xffff0000, v0
	v_lshlrev_b32_e32 v38, 16, v0
	v_lshrrev_b32_e32 v53, 16, v18
	v_and_b32_e32 v52, 0xffff, v18
	v_or_b32_e32 v48, v16, v50
	v_or_b32_e32 v55, v51, v53
	;; [unrolled: 1-line block ×3, first 2 shown]
	s_and_saveexec_b64 s[18:19], s[2:3]
	s_cbranch_execz .LBB270_1110
; %bb.1109:                             ;   in Loop: Header=BB270_810 Depth=1
	v_cmp_lt_i32_e32 vcc, v80, v13
	s_nop 1
	v_cndmask_b32_e32 v0, 0, v49, vcc
	v_cmp_lt_i32_e32 vcc, v101, v62
	s_nop 1
	v_cndmask_b32_e32 v1, 0, v50, vcc
	;; [unrolled: 3-line block ×3, first 2 shown]
	v_cmp_lt_i32_e32 vcc, v99, v62
	v_or_b32_e32 v19, v0, v18
	s_nop 0
	v_cndmask_b32_e32 v16, 0, v16, vcc
	v_cmp_lt_i32_e32 vcc, v98, v13
	v_or_b32_e32 v48, v1, v16
	s_nop 0
	v_cndmask_b32_e32 v0, 0, v53, vcc
	v_cmp_lt_i32_e32 vcc, v97, v62
	s_nop 1
	v_cndmask_b32_e32 v1, 0, v52, vcc
	v_cmp_lt_i32_e32 vcc, v96, v13
	;; [unrolled: 3-line block ×3, first 2 shown]
	v_or_b32_e32 v55, v0, v16
	s_nop 0
	v_cndmask_b32_e32 v18, 0, v38, vcc
	v_or_b32_e32 v54, v1, v18
.LBB270_1110:                           ;   in Loop: Header=BB270_810 Depth=1
	s_or_b64 exec, exec, s[18:19]
	;;#ASMSTART
	v_pk_mul_f16 v0, v87, v19;

	;;#ASMEND
	;;#ASMSTART
	v_pk_mul_f16 v1, v85, v48;

	;;#ASMEND
	;; [unrolled: 4-line block ×4, first 2 shown]
	s_nop 0
	;;#ASMSTART
	v_pk_add_f16 v0, v0, v1;

	;;#ASMEND
	s_nop 0
	;;#ASMSTART
	v_pk_add_f16 v0, v0, v16;

	;;#ASMEND
	;; [unrolled: 5-line block ×3, first 2 shown]
	s_nop 0
	v_lshrrev_b32_e32 v1, 16, v0
	v_and_b32_e32 v0, 0xffff, v0
	;;#ASMSTART
	v_cvt_f32_f16 v40, v0;
	;;#ASMEND
	;;#ASMSTART
	v_cvt_f32_f16 v41, v1;
	;;#ASMEND
	flat_load_dwordx2 v[48:49], v[36:37] offset:3072
	flat_load_dword v38, v[22:23]
	v_mov_b32_e32 v1, 0
	v_mov_b32_e32 v0, 0
	s_waitcnt vmcnt(0) lgkmcnt(0)
	v_cmp_ne_u16_sdwa s[20:21], v48, v17 src0_sel:BYTE_0 src1_sel:DWORD
	s_and_saveexec_b64 s[18:19], s[20:21]
	s_cbranch_execz .LBB270_1116
; %bb.1111:                             ;   in Loop: Header=BB270_810 Depth=1
	v_cmp_ne_u16_sdwa s[22:23], v48, s24 src0_sel:BYTE_0 src1_sel:DWORD
	v_mov_b32_e32 v0, 0x8000
	s_and_saveexec_b64 s[20:21], s[22:23]
	s_cbranch_execz .LBB270_1115
; %bb.1112:                             ;   in Loop: Header=BB270_810 Depth=1
	v_and_b32_e32 v16, 0x7f, v48
	v_cmp_ne_u32_e32 vcc, s25, v16
	v_mov_b32_e32 v0, 0x7c01
	s_and_saveexec_b64 s[22:23], vcc
	s_cbranch_execz .LBB270_1114
; %bb.1113:                             ;   in Loop: Header=BB270_810 Depth=1
	v_and_b32_e32 v0, 7, v48
	v_ffbh_u32_e32 v18, v0
	v_min_u32_e32 v50, 32, v18
	v_subrev_u32_e32 v18, 28, v50
	v_lshlrev_b64 v[18:19], v18, v[48:49]
	v_lshrrev_b32_e32 v39, 3, v16
	v_sub_u32_e32 v19, 29, v50
	v_cmp_gt_u32_e32 vcc, 8, v16
	v_and_b32_e32 v18, 7, v18
	s_nop 0
	v_cndmask_b32_e32 v16, v39, v19, vcc
	v_lshl_add_u32 v16, v16, 10, v82
	v_lshlrev_b32_e32 v19, 8, v48
	v_and_b32_e32 v16, 0xfc00, v16
	v_cndmask_b32_e32 v0, v0, v18, vcc
	v_and_or_b32 v16, v19, s26, v16
	v_lshl_or_b32 v0, v0, 7, v16
.LBB270_1114:                           ;   in Loop: Header=BB270_810 Depth=1
	s_or_b64 exec, exec, s[22:23]
.LBB270_1115:                           ;   in Loop: Header=BB270_810 Depth=1
	s_or_b64 exec, exec, s[20:21]
.LBB270_1116:                           ;   in Loop: Header=BB270_810 Depth=1
	s_or_b64 exec, exec, s[18:19]
	v_lshrrev_b16_e32 v16, 8, v48
	v_cmp_ne_u16_e32 vcc, 0, v16
	s_and_saveexec_b64 s[18:19], vcc
	s_cbranch_execz .LBB270_1122
; %bb.1117:                             ;   in Loop: Header=BB270_810 Depth=1
	v_cmp_ne_u16_e32 vcc, s24, v16
	v_bfrev_b32_e32 v1, 1
	s_and_saveexec_b64 s[20:21], vcc
	s_cbranch_execz .LBB270_1121
; %bb.1118:                             ;   in Loop: Header=BB270_810 Depth=1
	v_and_b32_e32 v18, 0x7f, v16
	v_cmp_ne_u32_e32 vcc, s25, v18
	v_mov_b32_e32 v1, 0x7c010000
	s_and_saveexec_b64 s[22:23], vcc
	s_cbranch_execz .LBB270_1120
; %bb.1119:                             ;   in Loop: Header=BB270_810 Depth=1
	v_and_b32_e32 v1, 7, v16
	v_ffbh_u32_e32 v39, v1
	v_min_u32_e32 v39, 32, v39
	v_lshrrev_b32_e32 v19, 3, v18
	v_subrev_u32_e32 v50, 28, v39
	v_sub_u32_e32 v39, 29, v39
	v_cmp_gt_u32_e32 vcc, 8, v18
	v_lshlrev_b64 v[50:51], v50, v[16:17]
	v_lshlrev_b32_e32 v16, 8, v16
	v_cndmask_b32_e32 v18, v19, v39, vcc
	v_lshl_add_u32 v18, v18, 10, v82
	v_and_b32_e32 v19, 7, v50
	v_and_or_b32 v16, v16, s26, v18
	v_cndmask_b32_e32 v1, v1, v19, vcc
	v_lshlrev_b32_e32 v16, 16, v16
	v_lshl_or_b32 v1, v1, 23, v16
.LBB270_1120:                           ;   in Loop: Header=BB270_810 Depth=1
	s_or_b64 exec, exec, s[22:23]
.LBB270_1121:                           ;   in Loop: Header=BB270_810 Depth=1
	s_or_b64 exec, exec, s[20:21]
.LBB270_1122:                           ;   in Loop: Header=BB270_810 Depth=1
	s_or_b64 exec, exec, s[18:19]
	v_lshrrev_b32_e32 v16, 16, v48
	v_cmp_ne_u16_sdwa s[20:21], v16, v17 src0_sel:BYTE_0 src1_sel:DWORD
	v_mov_b32_e32 v19, 0
	v_mov_b32_e32 v18, 0
	s_and_saveexec_b64 s[18:19], s[20:21]
	s_cbranch_execz .LBB270_1128
; %bb.1123:                             ;   in Loop: Header=BB270_810 Depth=1
	v_cmp_ne_u16_sdwa s[22:23], v16, s24 src0_sel:BYTE_0 src1_sel:DWORD
	v_mov_b32_e32 v18, 0x8000
	s_and_saveexec_b64 s[20:21], s[22:23]
	s_cbranch_execz .LBB270_1127
; %bb.1124:                             ;   in Loop: Header=BB270_810 Depth=1
	v_bfe_u32 v39, v48, 16, 7
	v_cmp_ne_u32_e32 vcc, s25, v39
	v_mov_b32_e32 v18, 0x7c01
	s_and_saveexec_b64 s[22:23], vcc
	s_cbranch_execz .LBB270_1126
; %bb.1125:                             ;   in Loop: Header=BB270_810 Depth=1
	v_and_b32_e32 v18, 7, v16
	v_ffbh_u32_e32 v50, v18
	v_min_u32_e32 v53, 32, v50
	v_subrev_u32_e32 v50, 28, v53
	v_lshlrev_b64 v[50:51], v50, v[16:17]
	v_lshrrev_b32_e32 v52, 3, v39
	v_sub_u32_e32 v51, 29, v53
	v_cmp_gt_u32_e32 vcc, 8, v39
	v_lshlrev_b32_e32 v16, 8, v16
	v_and_b32_e32 v50, 7, v50
	v_cndmask_b32_e32 v39, v52, v51, vcc
	v_lshl_add_u32 v39, v39, 10, v82
	v_and_b32_e32 v39, 0xfc00, v39
	v_cndmask_b32_e32 v18, v18, v50, vcc
	v_and_or_b32 v16, v16, s26, v39
	v_lshl_or_b32 v18, v18, 7, v16
.LBB270_1126:                           ;   in Loop: Header=BB270_810 Depth=1
	s_or_b64 exec, exec, s[22:23]
.LBB270_1127:                           ;   in Loop: Header=BB270_810 Depth=1
	s_or_b64 exec, exec, s[20:21]
.LBB270_1128:                           ;   in Loop: Header=BB270_810 Depth=1
	s_or_b64 exec, exec, s[18:19]
	v_cmp_lt_u32_e32 vcc, s7, v48
	s_and_saveexec_b64 s[18:19], vcc
	s_cbranch_execz .LBB270_1134
; %bb.1129:                             ;   in Loop: Header=BB270_810 Depth=1
	v_lshrrev_b32_e32 v16, 24, v48
	v_cmp_ne_u32_e32 vcc, s24, v16
	v_bfrev_b32_e32 v19, 1
	s_and_saveexec_b64 s[20:21], vcc
	s_cbranch_execz .LBB270_1133
; %bb.1130:                             ;   in Loop: Header=BB270_810 Depth=1
	v_and_b32_e32 v39, 0x7f, v16
	v_cmp_ne_u32_e32 vcc, s25, v39
	v_mov_b32_e32 v19, 0x7c010000
	s_and_saveexec_b64 s[22:23], vcc
	s_cbranch_execz .LBB270_1132
; %bb.1131:                             ;   in Loop: Header=BB270_810 Depth=1
	v_and_b32_e32 v19, 7, v16
	v_ffbh_u32_e32 v50, v19
	v_min_u32_e32 v53, 32, v50
	v_subrev_u32_e32 v50, 28, v53
	v_lshlrev_b64 v[50:51], v50, v[16:17]
	v_lshrrev_b32_e32 v52, 3, v39
	v_sub_u32_e32 v51, 29, v53
	v_cmp_gt_u32_e32 vcc, 8, v39
	v_lshlrev_b32_e32 v16, 8, v16
	v_and_b32_e32 v50, 7, v50
	v_cndmask_b32_e32 v39, v52, v51, vcc
	v_lshl_add_u32 v39, v39, 10, v82
	v_and_or_b32 v16, v16, s26, v39
	v_cndmask_b32_e32 v19, v19, v50, vcc
	v_lshlrev_b32_e32 v16, 16, v16
	v_lshl_or_b32 v19, v19, 23, v16
.LBB270_1132:                           ;   in Loop: Header=BB270_810 Depth=1
	s_or_b64 exec, exec, s[22:23]
.LBB270_1133:                           ;   in Loop: Header=BB270_810 Depth=1
	s_or_b64 exec, exec, s[20:21]
.LBB270_1134:                           ;   in Loop: Header=BB270_810 Depth=1
	s_or_b64 exec, exec, s[18:19]
	v_mov_b32_e32 v16, v49
	v_cmp_ne_u16_sdwa s[20:21], v49, v17 src0_sel:BYTE_0 src1_sel:DWORD
	v_mov_b32_e32 v51, 0
	v_mov_b32_e32 v52, 0
	s_and_saveexec_b64 s[18:19], s[20:21]
	s_cbranch_execz .LBB270_1140
; %bb.1135:                             ;   in Loop: Header=BB270_810 Depth=1
	v_cmp_ne_u16_sdwa s[22:23], v49, s24 src0_sel:BYTE_0 src1_sel:DWORD
	v_mov_b32_e32 v52, 0x8000
	s_and_saveexec_b64 s[20:21], s[22:23]
	s_cbranch_execz .LBB270_1139
; %bb.1136:                             ;   in Loop: Header=BB270_810 Depth=1
	v_and_b32_e32 v39, 0x7f, v49
	v_cmp_ne_u32_e32 vcc, s25, v39
	v_mov_b32_e32 v52, 0x7c01
	s_and_saveexec_b64 s[22:23], vcc
	s_cbranch_execz .LBB270_1138
; %bb.1137:                             ;   in Loop: Header=BB270_810 Depth=1
	v_and_b32_e32 v50, 7, v49
	v_ffbh_u32_e32 v52, v50
	v_min_u32_e32 v55, 32, v52
	v_subrev_u32_e32 v52, 28, v55
	v_lshlrev_b64 v[52:53], v52, v[16:17]
	v_lshrrev_b32_e32 v54, 3, v39
	v_sub_u32_e32 v53, 29, v55
	v_cmp_gt_u32_e32 vcc, 8, v39
	v_and_b32_e32 v52, 7, v52
	s_nop 0
	v_cndmask_b32_e32 v39, v54, v53, vcc
	v_lshl_add_u32 v39, v39, 10, v82
	v_lshlrev_b32_e32 v53, 8, v49
	v_and_b32_e32 v39, 0xfc00, v39
	v_cndmask_b32_e32 v50, v50, v52, vcc
	v_and_or_b32 v39, v53, s26, v39
	v_lshl_or_b32 v52, v50, 7, v39
.LBB270_1138:                           ;   in Loop: Header=BB270_810 Depth=1
	s_or_b64 exec, exec, s[22:23]
.LBB270_1139:                           ;   in Loop: Header=BB270_810 Depth=1
	s_or_b64 exec, exec, s[20:21]
.LBB270_1140:                           ;   in Loop: Header=BB270_810 Depth=1
	s_or_b64 exec, exec, s[18:19]
	v_lshrrev_b16_e32 v16, 8, v16
	v_cmp_ne_u16_e32 vcc, 0, v16
	v_mov_b32_e32 v53, 0
	s_and_saveexec_b64 s[18:19], vcc
	s_cbranch_execz .LBB270_1146
; %bb.1141:                             ;   in Loop: Header=BB270_810 Depth=1
	v_cmp_ne_u16_e32 vcc, s24, v16
	v_bfrev_b32_e32 v53, 1
	s_and_saveexec_b64 s[20:21], vcc
	s_cbranch_execz .LBB270_1145
; %bb.1142:                             ;   in Loop: Header=BB270_810 Depth=1
	v_and_b32_e32 v39, 0x7f, v16
	v_cmp_ne_u32_e32 vcc, s25, v39
	v_mov_b32_e32 v53, 0x7c010000
	s_and_saveexec_b64 s[22:23], vcc
	s_cbranch_execz .LBB270_1144
; %bb.1143:                             ;   in Loop: Header=BB270_810 Depth=1
	v_and_b32_e32 v50, 7, v16
	v_ffbh_u32_e32 v54, v50
	v_min_u32_e32 v64, 32, v54
	v_subrev_u32_e32 v54, 28, v64
	v_lshlrev_b64 v[54:55], v54, v[16:17]
	v_lshrrev_b32_e32 v53, 3, v39
	v_sub_u32_e32 v55, 29, v64
	v_cmp_gt_u32_e32 vcc, 8, v39
	v_lshlrev_b32_e32 v16, 8, v16
	s_nop 0
	v_cndmask_b32_e32 v39, v53, v55, vcc
	v_lshl_add_u32 v39, v39, 10, v82
	v_and_b32_e32 v53, 7, v54
	v_and_or_b32 v16, v16, s26, v39
	v_cndmask_b32_e32 v50, v50, v53, vcc
	v_lshlrev_b32_e32 v16, 16, v16
	v_lshl_or_b32 v53, v50, 23, v16
.LBB270_1144:                           ;   in Loop: Header=BB270_810 Depth=1
	s_or_b64 exec, exec, s[22:23]
.LBB270_1145:                           ;   in Loop: Header=BB270_810 Depth=1
	s_or_b64 exec, exec, s[20:21]
.LBB270_1146:                           ;   in Loop: Header=BB270_810 Depth=1
	s_or_b64 exec, exec, s[18:19]
	v_lshrrev_b32_e32 v16, 16, v49
	v_cmp_ne_u16_sdwa s[20:21], v16, v17 src0_sel:BYTE_0 src1_sel:DWORD
	s_and_saveexec_b64 s[18:19], s[20:21]
	s_cbranch_execz .LBB270_1152
; %bb.1147:                             ;   in Loop: Header=BB270_810 Depth=1
	v_cmp_ne_u16_sdwa s[22:23], v16, s24 src0_sel:BYTE_0 src1_sel:DWORD
	v_mov_b32_e32 v51, 0x8000
	s_and_saveexec_b64 s[20:21], s[22:23]
	s_cbranch_execz .LBB270_1151
; %bb.1148:                             ;   in Loop: Header=BB270_810 Depth=1
	v_bfe_u32 v39, v49, 16, 7
	v_cmp_ne_u32_e32 vcc, s25, v39
	v_mov_b32_e32 v51, 0x7c01
	s_and_saveexec_b64 s[22:23], vcc
	s_cbranch_execz .LBB270_1150
; %bb.1149:                             ;   in Loop: Header=BB270_810 Depth=1
	v_and_b32_e32 v54, 7, v16
	v_ffbh_u32_e32 v50, v54
	v_min_u32_e32 v64, 32, v50
	v_subrev_u32_e32 v50, 28, v64
	v_lshlrev_b64 v[50:51], v50, v[16:17]
	v_lshrrev_b32_e32 v55, 3, v39
	v_sub_u32_e32 v51, 29, v64
	v_cmp_gt_u32_e32 vcc, 8, v39
	v_lshlrev_b32_e32 v16, 8, v16
	v_and_b32_e32 v50, 7, v50
	v_cndmask_b32_e32 v39, v55, v51, vcc
	v_lshl_add_u32 v39, v39, 10, v82
	v_and_b32_e32 v39, 0xfc00, v39
	v_cndmask_b32_e32 v50, v54, v50, vcc
	v_and_or_b32 v16, v16, s26, v39
	v_lshl_or_b32 v51, v50, 7, v16
.LBB270_1150:                           ;   in Loop: Header=BB270_810 Depth=1
	s_or_b64 exec, exec, s[22:23]
.LBB270_1151:                           ;   in Loop: Header=BB270_810 Depth=1
	s_or_b64 exec, exec, s[20:21]
.LBB270_1152:                           ;   in Loop: Header=BB270_810 Depth=1
	s_or_b64 exec, exec, s[18:19]
	v_cmp_lt_u64_e32 vcc, s[6:7], v[48:49]
	v_mov_b32_e32 v48, 0
	s_and_saveexec_b64 s[18:19], vcc
	s_cbranch_execz .LBB270_1158
; %bb.1153:                             ;   in Loop: Header=BB270_810 Depth=1
	v_lshrrev_b32_e32 v16, 24, v49
	v_cmp_ne_u32_e32 vcc, s24, v16
	v_bfrev_b32_e32 v48, 1
	s_and_saveexec_b64 s[20:21], vcc
	s_cbranch_execz .LBB270_1157
; %bb.1154:                             ;   in Loop: Header=BB270_810 Depth=1
	v_and_b32_e32 v39, 0x7f, v16
	v_cmp_ne_u32_e32 vcc, s25, v39
	v_mov_b32_e32 v48, 0x7c010000
	s_and_saveexec_b64 s[22:23], vcc
	s_cbranch_execz .LBB270_1156
; %bb.1155:                             ;   in Loop: Header=BB270_810 Depth=1
	v_and_b32_e32 v50, 7, v16
	v_ffbh_u32_e32 v48, v50
	v_min_u32_e32 v55, 32, v48
	v_subrev_u32_e32 v48, 28, v55
	v_lshlrev_b64 v[48:49], v48, v[16:17]
	v_lshrrev_b32_e32 v54, 3, v39
	v_sub_u32_e32 v49, 29, v55
	v_cmp_gt_u32_e32 vcc, 8, v39
	v_lshlrev_b32_e32 v16, 8, v16
	v_and_b32_e32 v48, 7, v48
	v_cndmask_b32_e32 v39, v54, v49, vcc
	v_lshl_add_u32 v39, v39, 10, v82
	v_and_or_b32 v16, v16, s26, v39
	v_cndmask_b32_e32 v48, v50, v48, vcc
	v_lshlrev_b32_e32 v16, 16, v16
	v_lshl_or_b32 v48, v48, 23, v16
.LBB270_1156:                           ;   in Loop: Header=BB270_810 Depth=1
	s_or_b64 exec, exec, s[22:23]
.LBB270_1157:                           ;   in Loop: Header=BB270_810 Depth=1
	s_or_b64 exec, exec, s[20:21]
.LBB270_1158:                           ;   in Loop: Header=BB270_810 Depth=1
	s_or_b64 exec, exec, s[18:19]
	v_cvt_f32_f16_sdwa v55, v1 dst_sel:DWORD dst_unused:UNUSED_PAD src0_sel:WORD_1
	v_cvt_f32_f16_sdwa v54, v19 dst_sel:DWORD dst_unused:UNUSED_PAD src0_sel:WORD_1
	v_or_b32_e32 v16, v1, v0
	v_or_b32_e32 v18, v19, v18
	v_cvt_f32_f16_e32 v18, v18
	v_cvt_f32_f16_e32 v19, v16
	v_pk_mul_f32 v[0:1], v[38:39], v[54:55] op_sel_hi:[0,1]
	v_cvt_pk_f16_f32 v0, v0, v1
	v_and_b32_e32 v39, 0xffff0000, v0
	v_lshlrev_b32_e32 v16, 16, v0
	v_pk_mul_f32 v[0:1], v[38:39], v[18:19] op_sel_hi:[0,1]
	v_cvt_pk_f16_f32 v0, v0, v1
	v_lshrrev_b32_e32 v49, 16, v0
	v_and_b32_e32 v50, 0xffff, v0
	v_or_b32_e32 v1, v53, v52
	v_or_b32_e32 v0, v48, v51
	v_cvt_f32_f16_e32 v0, v0
	v_cvt_f32_f16_e32 v1, v1
	v_cvt_f32_f16_sdwa v53, v53 dst_sel:DWORD dst_unused:UNUSED_PAD src0_sel:WORD_1
	v_cvt_f32_f16_sdwa v52, v48 dst_sel:DWORD dst_unused:UNUSED_PAD src0_sel:WORD_1
	v_or_b32_e32 v19, v39, v49
	v_pk_mul_f32 v[0:1], v[38:39], v[0:1] op_sel_hi:[0,1]
	v_cvt_pk_f16_f32 v18, v0, v1
	v_pk_mul_f32 v[0:1], v[38:39], v[52:53] op_sel_hi:[0,1]
	v_cvt_pk_f16_f32 v0, v0, v1
	v_and_b32_e32 v51, 0xffff0000, v0
	v_lshlrev_b32_e32 v38, 16, v0
	v_lshrrev_b32_e32 v53, 16, v18
	v_and_b32_e32 v52, 0xffff, v18
	v_or_b32_e32 v48, v16, v50
	v_or_b32_e32 v55, v51, v53
	;; [unrolled: 1-line block ×3, first 2 shown]
	s_and_saveexec_b64 s[18:19], s[2:3]
	s_cbranch_execz .LBB270_1160
; %bb.1159:                             ;   in Loop: Header=BB270_810 Depth=1
	v_cmp_lt_i32_e32 vcc, v80, v13
	s_nop 1
	v_cndmask_b32_e32 v0, 0, v49, vcc
	v_cmp_lt_i32_e32 vcc, v101, v62
	s_nop 1
	v_cndmask_b32_e32 v1, 0, v50, vcc
	v_cmp_lt_i32_e32 vcc, v100, v13
	s_nop 1
	v_cndmask_b32_e32 v18, 0, v39, vcc
	v_cmp_lt_i32_e32 vcc, v99, v62
	v_or_b32_e32 v19, v0, v18
	s_nop 0
	v_cndmask_b32_e32 v16, 0, v16, vcc
	v_cmp_lt_i32_e32 vcc, v98, v13
	v_or_b32_e32 v48, v1, v16
	s_nop 0
	v_cndmask_b32_e32 v0, 0, v53, vcc
	v_cmp_lt_i32_e32 vcc, v97, v62
	s_nop 1
	v_cndmask_b32_e32 v1, 0, v52, vcc
	v_cmp_lt_i32_e32 vcc, v96, v13
	;; [unrolled: 3-line block ×3, first 2 shown]
	v_or_b32_e32 v55, v0, v16
	s_nop 0
	v_cndmask_b32_e32 v18, 0, v38, vcc
	v_or_b32_e32 v54, v1, v18
.LBB270_1160:                           ;   in Loop: Header=BB270_810 Depth=1
	s_or_b64 exec, exec, s[18:19]
	;;#ASMSTART
	v_pk_mul_f16 v0, v87, v19;

	;;#ASMEND
	;;#ASMSTART
	v_pk_mul_f16 v1, v85, v48;

	;;#ASMEND
	;; [unrolled: 4-line block ×4, first 2 shown]
	s_nop 0
	;;#ASMSTART
	v_pk_add_f16 v0, v0, v1;

	;;#ASMEND
	s_nop 0
	;;#ASMSTART
	v_pk_add_f16 v0, v0, v16;

	;;#ASMEND
	;; [unrolled: 5-line block ×3, first 2 shown]
	s_nop 0
	v_lshrrev_b32_e32 v1, 16, v0
	v_and_b32_e32 v0, 0xffff, v0
	;;#ASMSTART
	v_cvt_f32_f16 v42, v0;
	;;#ASMEND
	;;#ASMSTART
	v_cvt_f32_f16 v43, v1;
	;;#ASMEND
	flat_load_dwordx2 v[48:49], v[36:37] offset:3584
	flat_load_dword v38, v[22:23]
	v_mov_b32_e32 v1, 0
	v_mov_b32_e32 v0, 0
	s_waitcnt vmcnt(0) lgkmcnt(0)
	v_cmp_ne_u16_sdwa s[20:21], v48, v17 src0_sel:BYTE_0 src1_sel:DWORD
	s_and_saveexec_b64 s[18:19], s[20:21]
	s_cbranch_execz .LBB270_1166
; %bb.1161:                             ;   in Loop: Header=BB270_810 Depth=1
	v_cmp_ne_u16_sdwa s[22:23], v48, s24 src0_sel:BYTE_0 src1_sel:DWORD
	v_mov_b32_e32 v0, 0x8000
	s_and_saveexec_b64 s[20:21], s[22:23]
	s_cbranch_execz .LBB270_1165
; %bb.1162:                             ;   in Loop: Header=BB270_810 Depth=1
	v_and_b32_e32 v16, 0x7f, v48
	v_cmp_ne_u32_e32 vcc, s25, v16
	v_mov_b32_e32 v0, 0x7c01
	s_and_saveexec_b64 s[22:23], vcc
	s_cbranch_execz .LBB270_1164
; %bb.1163:                             ;   in Loop: Header=BB270_810 Depth=1
	v_and_b32_e32 v0, 7, v48
	v_ffbh_u32_e32 v18, v0
	v_min_u32_e32 v50, 32, v18
	v_subrev_u32_e32 v18, 28, v50
	v_lshlrev_b64 v[18:19], v18, v[48:49]
	v_lshrrev_b32_e32 v39, 3, v16
	v_sub_u32_e32 v19, 29, v50
	v_cmp_gt_u32_e32 vcc, 8, v16
	v_and_b32_e32 v18, 7, v18
	s_nop 0
	v_cndmask_b32_e32 v16, v39, v19, vcc
	v_lshl_add_u32 v16, v16, 10, v82
	v_lshlrev_b32_e32 v19, 8, v48
	v_and_b32_e32 v16, 0xfc00, v16
	v_cndmask_b32_e32 v0, v0, v18, vcc
	v_and_or_b32 v16, v19, s26, v16
	v_lshl_or_b32 v0, v0, 7, v16
.LBB270_1164:                           ;   in Loop: Header=BB270_810 Depth=1
	s_or_b64 exec, exec, s[22:23]
.LBB270_1165:                           ;   in Loop: Header=BB270_810 Depth=1
	s_or_b64 exec, exec, s[20:21]
.LBB270_1166:                           ;   in Loop: Header=BB270_810 Depth=1
	s_or_b64 exec, exec, s[18:19]
	v_lshrrev_b16_e32 v16, 8, v48
	v_cmp_ne_u16_e32 vcc, 0, v16
	s_and_saveexec_b64 s[18:19], vcc
	s_cbranch_execz .LBB270_1172
; %bb.1167:                             ;   in Loop: Header=BB270_810 Depth=1
	v_cmp_ne_u16_e32 vcc, s24, v16
	v_bfrev_b32_e32 v1, 1
	s_and_saveexec_b64 s[20:21], vcc
	s_cbranch_execz .LBB270_1171
; %bb.1168:                             ;   in Loop: Header=BB270_810 Depth=1
	v_and_b32_e32 v18, 0x7f, v16
	v_cmp_ne_u32_e32 vcc, s25, v18
	v_mov_b32_e32 v1, 0x7c010000
	s_and_saveexec_b64 s[22:23], vcc
	s_cbranch_execz .LBB270_1170
; %bb.1169:                             ;   in Loop: Header=BB270_810 Depth=1
	v_and_b32_e32 v1, 7, v16
	v_ffbh_u32_e32 v39, v1
	v_min_u32_e32 v39, 32, v39
	v_lshrrev_b32_e32 v19, 3, v18
	v_subrev_u32_e32 v50, 28, v39
	v_sub_u32_e32 v39, 29, v39
	v_cmp_gt_u32_e32 vcc, 8, v18
	v_lshlrev_b64 v[50:51], v50, v[16:17]
	v_lshlrev_b32_e32 v16, 8, v16
	v_cndmask_b32_e32 v18, v19, v39, vcc
	v_lshl_add_u32 v18, v18, 10, v82
	v_and_b32_e32 v19, 7, v50
	v_and_or_b32 v16, v16, s26, v18
	v_cndmask_b32_e32 v1, v1, v19, vcc
	v_lshlrev_b32_e32 v16, 16, v16
	v_lshl_or_b32 v1, v1, 23, v16
.LBB270_1170:                           ;   in Loop: Header=BB270_810 Depth=1
	s_or_b64 exec, exec, s[22:23]
.LBB270_1171:                           ;   in Loop: Header=BB270_810 Depth=1
	s_or_b64 exec, exec, s[20:21]
.LBB270_1172:                           ;   in Loop: Header=BB270_810 Depth=1
	s_or_b64 exec, exec, s[18:19]
	v_lshrrev_b32_e32 v16, 16, v48
	v_cmp_ne_u16_sdwa s[20:21], v16, v17 src0_sel:BYTE_0 src1_sel:DWORD
	v_mov_b32_e32 v19, 0
	v_mov_b32_e32 v18, 0
	s_and_saveexec_b64 s[18:19], s[20:21]
	s_cbranch_execz .LBB270_1178
; %bb.1173:                             ;   in Loop: Header=BB270_810 Depth=1
	v_cmp_ne_u16_sdwa s[22:23], v16, s24 src0_sel:BYTE_0 src1_sel:DWORD
	v_mov_b32_e32 v18, 0x8000
	s_and_saveexec_b64 s[20:21], s[22:23]
	s_cbranch_execz .LBB270_1177
; %bb.1174:                             ;   in Loop: Header=BB270_810 Depth=1
	v_bfe_u32 v39, v48, 16, 7
	v_cmp_ne_u32_e32 vcc, s25, v39
	v_mov_b32_e32 v18, 0x7c01
	s_and_saveexec_b64 s[22:23], vcc
	s_cbranch_execz .LBB270_1176
; %bb.1175:                             ;   in Loop: Header=BB270_810 Depth=1
	v_and_b32_e32 v18, 7, v16
	v_ffbh_u32_e32 v50, v18
	v_min_u32_e32 v53, 32, v50
	v_subrev_u32_e32 v50, 28, v53
	v_lshlrev_b64 v[50:51], v50, v[16:17]
	v_lshrrev_b32_e32 v52, 3, v39
	v_sub_u32_e32 v51, 29, v53
	v_cmp_gt_u32_e32 vcc, 8, v39
	v_lshlrev_b32_e32 v16, 8, v16
	v_and_b32_e32 v50, 7, v50
	v_cndmask_b32_e32 v39, v52, v51, vcc
	v_lshl_add_u32 v39, v39, 10, v82
	v_and_b32_e32 v39, 0xfc00, v39
	v_cndmask_b32_e32 v18, v18, v50, vcc
	v_and_or_b32 v16, v16, s26, v39
	v_lshl_or_b32 v18, v18, 7, v16
.LBB270_1176:                           ;   in Loop: Header=BB270_810 Depth=1
	s_or_b64 exec, exec, s[22:23]
.LBB270_1177:                           ;   in Loop: Header=BB270_810 Depth=1
	s_or_b64 exec, exec, s[20:21]
.LBB270_1178:                           ;   in Loop: Header=BB270_810 Depth=1
	s_or_b64 exec, exec, s[18:19]
	v_cmp_lt_u32_e32 vcc, s7, v48
	s_and_saveexec_b64 s[18:19], vcc
	s_cbranch_execz .LBB270_1184
; %bb.1179:                             ;   in Loop: Header=BB270_810 Depth=1
	v_lshrrev_b32_e32 v16, 24, v48
	v_cmp_ne_u32_e32 vcc, s24, v16
	v_bfrev_b32_e32 v19, 1
	s_and_saveexec_b64 s[20:21], vcc
	s_cbranch_execz .LBB270_1183
; %bb.1180:                             ;   in Loop: Header=BB270_810 Depth=1
	v_and_b32_e32 v39, 0x7f, v16
	v_cmp_ne_u32_e32 vcc, s25, v39
	v_mov_b32_e32 v19, 0x7c010000
	s_and_saveexec_b64 s[22:23], vcc
	s_cbranch_execz .LBB270_1182
; %bb.1181:                             ;   in Loop: Header=BB270_810 Depth=1
	v_and_b32_e32 v19, 7, v16
	v_ffbh_u32_e32 v50, v19
	v_min_u32_e32 v53, 32, v50
	v_subrev_u32_e32 v50, 28, v53
	v_lshlrev_b64 v[50:51], v50, v[16:17]
	v_lshrrev_b32_e32 v52, 3, v39
	v_sub_u32_e32 v51, 29, v53
	v_cmp_gt_u32_e32 vcc, 8, v39
	v_lshlrev_b32_e32 v16, 8, v16
	v_and_b32_e32 v50, 7, v50
	v_cndmask_b32_e32 v39, v52, v51, vcc
	v_lshl_add_u32 v39, v39, 10, v82
	v_and_or_b32 v16, v16, s26, v39
	v_cndmask_b32_e32 v19, v19, v50, vcc
	v_lshlrev_b32_e32 v16, 16, v16
	v_lshl_or_b32 v19, v19, 23, v16
.LBB270_1182:                           ;   in Loop: Header=BB270_810 Depth=1
	s_or_b64 exec, exec, s[22:23]
.LBB270_1183:                           ;   in Loop: Header=BB270_810 Depth=1
	s_or_b64 exec, exec, s[20:21]
.LBB270_1184:                           ;   in Loop: Header=BB270_810 Depth=1
	s_or_b64 exec, exec, s[18:19]
	v_mov_b32_e32 v16, v49
	v_cmp_ne_u16_sdwa s[20:21], v49, v17 src0_sel:BYTE_0 src1_sel:DWORD
	v_mov_b32_e32 v51, 0
	v_mov_b32_e32 v52, 0
	s_and_saveexec_b64 s[18:19], s[20:21]
	s_cbranch_execz .LBB270_1190
; %bb.1185:                             ;   in Loop: Header=BB270_810 Depth=1
	v_cmp_ne_u16_sdwa s[22:23], v49, s24 src0_sel:BYTE_0 src1_sel:DWORD
	v_mov_b32_e32 v52, 0x8000
	s_and_saveexec_b64 s[20:21], s[22:23]
	s_cbranch_execz .LBB270_1189
; %bb.1186:                             ;   in Loop: Header=BB270_810 Depth=1
	v_and_b32_e32 v39, 0x7f, v49
	v_cmp_ne_u32_e32 vcc, s25, v39
	v_mov_b32_e32 v52, 0x7c01
	s_and_saveexec_b64 s[22:23], vcc
	s_cbranch_execz .LBB270_1188
; %bb.1187:                             ;   in Loop: Header=BB270_810 Depth=1
	v_and_b32_e32 v50, 7, v49
	v_ffbh_u32_e32 v52, v50
	v_min_u32_e32 v55, 32, v52
	v_subrev_u32_e32 v52, 28, v55
	v_lshlrev_b64 v[52:53], v52, v[16:17]
	v_lshrrev_b32_e32 v54, 3, v39
	v_sub_u32_e32 v53, 29, v55
	v_cmp_gt_u32_e32 vcc, 8, v39
	v_and_b32_e32 v52, 7, v52
	s_nop 0
	v_cndmask_b32_e32 v39, v54, v53, vcc
	v_lshl_add_u32 v39, v39, 10, v82
	v_lshlrev_b32_e32 v53, 8, v49
	v_and_b32_e32 v39, 0xfc00, v39
	v_cndmask_b32_e32 v50, v50, v52, vcc
	v_and_or_b32 v39, v53, s26, v39
	v_lshl_or_b32 v52, v50, 7, v39
.LBB270_1188:                           ;   in Loop: Header=BB270_810 Depth=1
	s_or_b64 exec, exec, s[22:23]
.LBB270_1189:                           ;   in Loop: Header=BB270_810 Depth=1
	s_or_b64 exec, exec, s[20:21]
.LBB270_1190:                           ;   in Loop: Header=BB270_810 Depth=1
	s_or_b64 exec, exec, s[18:19]
	v_lshrrev_b16_e32 v16, 8, v16
	v_cmp_ne_u16_e32 vcc, 0, v16
	v_mov_b32_e32 v53, 0
	s_and_saveexec_b64 s[18:19], vcc
	s_cbranch_execz .LBB270_1196
; %bb.1191:                             ;   in Loop: Header=BB270_810 Depth=1
	v_cmp_ne_u16_e32 vcc, s24, v16
	v_bfrev_b32_e32 v53, 1
	s_and_saveexec_b64 s[20:21], vcc
	s_cbranch_execz .LBB270_1195
; %bb.1192:                             ;   in Loop: Header=BB270_810 Depth=1
	v_and_b32_e32 v39, 0x7f, v16
	v_cmp_ne_u32_e32 vcc, s25, v39
	v_mov_b32_e32 v53, 0x7c010000
	s_and_saveexec_b64 s[22:23], vcc
	s_cbranch_execz .LBB270_1194
; %bb.1193:                             ;   in Loop: Header=BB270_810 Depth=1
	v_and_b32_e32 v50, 7, v16
	v_ffbh_u32_e32 v54, v50
	v_min_u32_e32 v64, 32, v54
	v_subrev_u32_e32 v54, 28, v64
	v_lshlrev_b64 v[54:55], v54, v[16:17]
	v_lshrrev_b32_e32 v53, 3, v39
	v_sub_u32_e32 v55, 29, v64
	v_cmp_gt_u32_e32 vcc, 8, v39
	v_lshlrev_b32_e32 v16, 8, v16
	s_nop 0
	v_cndmask_b32_e32 v39, v53, v55, vcc
	v_lshl_add_u32 v39, v39, 10, v82
	v_and_b32_e32 v53, 7, v54
	v_and_or_b32 v16, v16, s26, v39
	v_cndmask_b32_e32 v50, v50, v53, vcc
	v_lshlrev_b32_e32 v16, 16, v16
	v_lshl_or_b32 v53, v50, 23, v16
.LBB270_1194:                           ;   in Loop: Header=BB270_810 Depth=1
	s_or_b64 exec, exec, s[22:23]
.LBB270_1195:                           ;   in Loop: Header=BB270_810 Depth=1
	s_or_b64 exec, exec, s[20:21]
.LBB270_1196:                           ;   in Loop: Header=BB270_810 Depth=1
	s_or_b64 exec, exec, s[18:19]
	v_lshrrev_b32_e32 v16, 16, v49
	v_cmp_ne_u16_sdwa s[20:21], v16, v17 src0_sel:BYTE_0 src1_sel:DWORD
	s_and_saveexec_b64 s[18:19], s[20:21]
	s_cbranch_execz .LBB270_1202
; %bb.1197:                             ;   in Loop: Header=BB270_810 Depth=1
	v_cmp_ne_u16_sdwa s[22:23], v16, s24 src0_sel:BYTE_0 src1_sel:DWORD
	v_mov_b32_e32 v51, 0x8000
	s_and_saveexec_b64 s[20:21], s[22:23]
	s_cbranch_execz .LBB270_1201
; %bb.1198:                             ;   in Loop: Header=BB270_810 Depth=1
	v_bfe_u32 v39, v49, 16, 7
	v_cmp_ne_u32_e32 vcc, s25, v39
	v_mov_b32_e32 v51, 0x7c01
	s_and_saveexec_b64 s[22:23], vcc
	s_cbranch_execz .LBB270_1200
; %bb.1199:                             ;   in Loop: Header=BB270_810 Depth=1
	v_and_b32_e32 v54, 7, v16
	v_ffbh_u32_e32 v50, v54
	v_min_u32_e32 v64, 32, v50
	v_subrev_u32_e32 v50, 28, v64
	v_lshlrev_b64 v[50:51], v50, v[16:17]
	v_lshrrev_b32_e32 v55, 3, v39
	v_sub_u32_e32 v51, 29, v64
	v_cmp_gt_u32_e32 vcc, 8, v39
	v_lshlrev_b32_e32 v16, 8, v16
	v_and_b32_e32 v50, 7, v50
	v_cndmask_b32_e32 v39, v55, v51, vcc
	v_lshl_add_u32 v39, v39, 10, v82
	v_and_b32_e32 v39, 0xfc00, v39
	v_cndmask_b32_e32 v50, v54, v50, vcc
	v_and_or_b32 v16, v16, s26, v39
	v_lshl_or_b32 v51, v50, 7, v16
.LBB270_1200:                           ;   in Loop: Header=BB270_810 Depth=1
	s_or_b64 exec, exec, s[22:23]
.LBB270_1201:                           ;   in Loop: Header=BB270_810 Depth=1
	s_or_b64 exec, exec, s[20:21]
.LBB270_1202:                           ;   in Loop: Header=BB270_810 Depth=1
	s_or_b64 exec, exec, s[18:19]
	v_cmp_lt_u64_e32 vcc, s[6:7], v[48:49]
	v_mov_b32_e32 v48, 0
	s_and_saveexec_b64 s[18:19], vcc
	s_cbranch_execz .LBB270_1208
; %bb.1203:                             ;   in Loop: Header=BB270_810 Depth=1
	v_lshrrev_b32_e32 v16, 24, v49
	v_cmp_ne_u32_e32 vcc, s24, v16
	v_bfrev_b32_e32 v48, 1
	s_and_saveexec_b64 s[20:21], vcc
	s_cbranch_execz .LBB270_1207
; %bb.1204:                             ;   in Loop: Header=BB270_810 Depth=1
	v_and_b32_e32 v39, 0x7f, v16
	v_cmp_ne_u32_e32 vcc, s25, v39
	v_mov_b32_e32 v48, 0x7c010000
	s_and_saveexec_b64 s[22:23], vcc
	s_cbranch_execz .LBB270_1206
; %bb.1205:                             ;   in Loop: Header=BB270_810 Depth=1
	v_and_b32_e32 v50, 7, v16
	v_ffbh_u32_e32 v48, v50
	v_min_u32_e32 v55, 32, v48
	v_subrev_u32_e32 v48, 28, v55
	v_lshlrev_b64 v[48:49], v48, v[16:17]
	v_lshrrev_b32_e32 v54, 3, v39
	v_sub_u32_e32 v49, 29, v55
	v_cmp_gt_u32_e32 vcc, 8, v39
	v_lshlrev_b32_e32 v16, 8, v16
	v_and_b32_e32 v48, 7, v48
	v_cndmask_b32_e32 v39, v54, v49, vcc
	v_lshl_add_u32 v39, v39, 10, v82
	v_and_or_b32 v16, v16, s26, v39
	v_cndmask_b32_e32 v48, v50, v48, vcc
	v_lshlrev_b32_e32 v16, 16, v16
	v_lshl_or_b32 v48, v48, 23, v16
.LBB270_1206:                           ;   in Loop: Header=BB270_810 Depth=1
	s_or_b64 exec, exec, s[22:23]
.LBB270_1207:                           ;   in Loop: Header=BB270_810 Depth=1
	s_or_b64 exec, exec, s[20:21]
.LBB270_1208:                           ;   in Loop: Header=BB270_810 Depth=1
	s_or_b64 exec, exec, s[18:19]
	v_cvt_f32_f16_sdwa v55, v1 dst_sel:DWORD dst_unused:UNUSED_PAD src0_sel:WORD_1
	v_cvt_f32_f16_sdwa v54, v19 dst_sel:DWORD dst_unused:UNUSED_PAD src0_sel:WORD_1
	v_or_b32_e32 v16, v1, v0
	v_or_b32_e32 v18, v19, v18
	v_cvt_f32_f16_e32 v18, v18
	v_cvt_f32_f16_e32 v19, v16
	v_pk_mul_f32 v[0:1], v[38:39], v[54:55] op_sel_hi:[0,1]
	v_cvt_pk_f16_f32 v0, v0, v1
	v_and_b32_e32 v39, 0xffff0000, v0
	v_lshlrev_b32_e32 v16, 16, v0
	v_pk_mul_f32 v[0:1], v[38:39], v[18:19] op_sel_hi:[0,1]
	v_cvt_pk_f16_f32 v0, v0, v1
	v_lshrrev_b32_e32 v49, 16, v0
	v_and_b32_e32 v50, 0xffff, v0
	v_or_b32_e32 v1, v53, v52
	v_or_b32_e32 v0, v48, v51
	v_cvt_f32_f16_e32 v0, v0
	v_cvt_f32_f16_e32 v1, v1
	v_cvt_f32_f16_sdwa v53, v53 dst_sel:DWORD dst_unused:UNUSED_PAD src0_sel:WORD_1
	v_cvt_f32_f16_sdwa v52, v48 dst_sel:DWORD dst_unused:UNUSED_PAD src0_sel:WORD_1
	v_or_b32_e32 v19, v39, v49
	v_pk_mul_f32 v[0:1], v[38:39], v[0:1] op_sel_hi:[0,1]
	v_cvt_pk_f16_f32 v18, v0, v1
	v_pk_mul_f32 v[0:1], v[38:39], v[52:53] op_sel_hi:[0,1]
	v_cvt_pk_f16_f32 v0, v0, v1
	v_and_b32_e32 v51, 0xffff0000, v0
	v_lshlrev_b32_e32 v38, 16, v0
	v_lshrrev_b32_e32 v53, 16, v18
	v_and_b32_e32 v52, 0xffff, v18
	v_or_b32_e32 v48, v16, v50
	v_or_b32_e32 v55, v51, v53
	;; [unrolled: 1-line block ×3, first 2 shown]
	s_and_saveexec_b64 s[18:19], s[2:3]
	s_cbranch_execz .LBB270_1210
; %bb.1209:                             ;   in Loop: Header=BB270_810 Depth=1
	v_cmp_lt_i32_e32 vcc, v80, v13
	s_nop 1
	v_cndmask_b32_e32 v0, 0, v49, vcc
	v_cmp_lt_i32_e32 vcc, v101, v62
	s_nop 1
	v_cndmask_b32_e32 v1, 0, v50, vcc
	;; [unrolled: 3-line block ×3, first 2 shown]
	v_cmp_lt_i32_e32 vcc, v99, v62
	v_or_b32_e32 v19, v0, v18
	s_nop 0
	v_cndmask_b32_e32 v16, 0, v16, vcc
	v_cmp_lt_i32_e32 vcc, v98, v13
	v_or_b32_e32 v48, v1, v16
	s_nop 0
	v_cndmask_b32_e32 v0, 0, v53, vcc
	v_cmp_lt_i32_e32 vcc, v97, v62
	s_nop 1
	v_cndmask_b32_e32 v1, 0, v52, vcc
	v_cmp_lt_i32_e32 vcc, v96, v13
	;; [unrolled: 3-line block ×3, first 2 shown]
	v_or_b32_e32 v55, v0, v16
	s_nop 0
	v_cndmask_b32_e32 v18, 0, v38, vcc
	v_or_b32_e32 v54, v1, v18
.LBB270_1210:                           ;   in Loop: Header=BB270_810 Depth=1
	s_or_b64 exec, exec, s[18:19]
	;;#ASMSTART
	v_pk_mul_f16 v0, v87, v19;

	;;#ASMEND
	;;#ASMSTART
	v_pk_mul_f16 v1, v85, v48;

	;;#ASMEND
	;; [unrolled: 4-line block ×4, first 2 shown]
	s_nop 0
	;;#ASMSTART
	v_pk_add_f16 v0, v0, v1;

	;;#ASMEND
	s_nop 0
	;;#ASMSTART
	v_pk_add_f16 v0, v0, v16;

	;;#ASMEND
	;; [unrolled: 5-line block ×3, first 2 shown]
	s_nop 0
	v_lshrrev_b32_e32 v1, 16, v0
	v_and_b32_e32 v0, 0xffff, v0
	;;#ASMSTART
	v_cvt_f32_f16 v44, v0;
	;;#ASMEND
	v_add_co_u32_e32 v0, vcc, 0x1000, v36
	;;#ASMSTART
	v_cvt_f32_f16 v45, v1;
	;;#ASMEND
	s_nop 1
	v_addc_co_u32_e32 v1, vcc, 0, v37, vcc
	flat_load_dwordx2 v[48:49], v[0:1]
	flat_load_dword v38, v[22:23]
	v_mov_b32_e32 v1, 0
	v_mov_b32_e32 v0, 0
	s_waitcnt vmcnt(0) lgkmcnt(0)
	v_cmp_ne_u16_sdwa s[20:21], v48, v17 src0_sel:BYTE_0 src1_sel:DWORD
	s_and_saveexec_b64 s[18:19], s[20:21]
	s_cbranch_execz .LBB270_1216
; %bb.1211:                             ;   in Loop: Header=BB270_810 Depth=1
	v_cmp_ne_u16_sdwa s[22:23], v48, s24 src0_sel:BYTE_0 src1_sel:DWORD
	v_mov_b32_e32 v0, 0x8000
	s_and_saveexec_b64 s[20:21], s[22:23]
	s_cbranch_execz .LBB270_1215
; %bb.1212:                             ;   in Loop: Header=BB270_810 Depth=1
	v_and_b32_e32 v16, 0x7f, v48
	v_cmp_ne_u32_e32 vcc, s25, v16
	v_mov_b32_e32 v0, 0x7c01
	s_and_saveexec_b64 s[22:23], vcc
	s_cbranch_execz .LBB270_1214
; %bb.1213:                             ;   in Loop: Header=BB270_810 Depth=1
	v_and_b32_e32 v0, 7, v48
	v_ffbh_u32_e32 v18, v0
	v_min_u32_e32 v50, 32, v18
	v_subrev_u32_e32 v18, 28, v50
	v_lshlrev_b64 v[18:19], v18, v[48:49]
	v_lshrrev_b32_e32 v39, 3, v16
	v_sub_u32_e32 v19, 29, v50
	v_cmp_gt_u32_e32 vcc, 8, v16
	v_and_b32_e32 v18, 7, v18
	s_nop 0
	v_cndmask_b32_e32 v16, v39, v19, vcc
	v_lshl_add_u32 v16, v16, 10, v82
	v_lshlrev_b32_e32 v19, 8, v48
	v_and_b32_e32 v16, 0xfc00, v16
	v_cndmask_b32_e32 v0, v0, v18, vcc
	v_and_or_b32 v16, v19, s26, v16
	v_lshl_or_b32 v0, v0, 7, v16
.LBB270_1214:                           ;   in Loop: Header=BB270_810 Depth=1
	s_or_b64 exec, exec, s[22:23]
.LBB270_1215:                           ;   in Loop: Header=BB270_810 Depth=1
	s_or_b64 exec, exec, s[20:21]
.LBB270_1216:                           ;   in Loop: Header=BB270_810 Depth=1
	s_or_b64 exec, exec, s[18:19]
	v_lshrrev_b16_e32 v16, 8, v48
	v_cmp_ne_u16_e32 vcc, 0, v16
	s_and_saveexec_b64 s[18:19], vcc
	s_cbranch_execz .LBB270_1222
; %bb.1217:                             ;   in Loop: Header=BB270_810 Depth=1
	v_cmp_ne_u16_e32 vcc, s24, v16
	v_bfrev_b32_e32 v1, 1
	s_and_saveexec_b64 s[20:21], vcc
	s_cbranch_execz .LBB270_1221
; %bb.1218:                             ;   in Loop: Header=BB270_810 Depth=1
	v_and_b32_e32 v18, 0x7f, v16
	v_cmp_ne_u32_e32 vcc, s25, v18
	v_mov_b32_e32 v1, 0x7c010000
	s_and_saveexec_b64 s[22:23], vcc
	s_cbranch_execz .LBB270_1220
; %bb.1219:                             ;   in Loop: Header=BB270_810 Depth=1
	v_and_b32_e32 v1, 7, v16
	v_ffbh_u32_e32 v39, v1
	v_min_u32_e32 v39, 32, v39
	v_lshrrev_b32_e32 v19, 3, v18
	v_subrev_u32_e32 v50, 28, v39
	v_sub_u32_e32 v39, 29, v39
	v_cmp_gt_u32_e32 vcc, 8, v18
	v_lshlrev_b64 v[50:51], v50, v[16:17]
	v_lshlrev_b32_e32 v16, 8, v16
	v_cndmask_b32_e32 v18, v19, v39, vcc
	v_lshl_add_u32 v18, v18, 10, v82
	v_and_b32_e32 v19, 7, v50
	v_and_or_b32 v16, v16, s26, v18
	v_cndmask_b32_e32 v1, v1, v19, vcc
	v_lshlrev_b32_e32 v16, 16, v16
	v_lshl_or_b32 v1, v1, 23, v16
.LBB270_1220:                           ;   in Loop: Header=BB270_810 Depth=1
	s_or_b64 exec, exec, s[22:23]
.LBB270_1221:                           ;   in Loop: Header=BB270_810 Depth=1
	s_or_b64 exec, exec, s[20:21]
.LBB270_1222:                           ;   in Loop: Header=BB270_810 Depth=1
	s_or_b64 exec, exec, s[18:19]
	v_lshrrev_b32_e32 v16, 16, v48
	v_cmp_ne_u16_sdwa s[20:21], v16, v17 src0_sel:BYTE_0 src1_sel:DWORD
	v_mov_b32_e32 v19, 0
	v_mov_b32_e32 v18, 0
	s_and_saveexec_b64 s[18:19], s[20:21]
	s_cbranch_execz .LBB270_1228
; %bb.1223:                             ;   in Loop: Header=BB270_810 Depth=1
	v_cmp_ne_u16_sdwa s[22:23], v16, s24 src0_sel:BYTE_0 src1_sel:DWORD
	v_mov_b32_e32 v18, 0x8000
	s_and_saveexec_b64 s[20:21], s[22:23]
	s_cbranch_execz .LBB270_1227
; %bb.1224:                             ;   in Loop: Header=BB270_810 Depth=1
	v_bfe_u32 v39, v48, 16, 7
	v_cmp_ne_u32_e32 vcc, s25, v39
	v_mov_b32_e32 v18, 0x7c01
	s_and_saveexec_b64 s[22:23], vcc
	s_cbranch_execz .LBB270_1226
; %bb.1225:                             ;   in Loop: Header=BB270_810 Depth=1
	v_and_b32_e32 v18, 7, v16
	v_ffbh_u32_e32 v50, v18
	v_min_u32_e32 v53, 32, v50
	v_subrev_u32_e32 v50, 28, v53
	v_lshlrev_b64 v[50:51], v50, v[16:17]
	v_lshrrev_b32_e32 v52, 3, v39
	v_sub_u32_e32 v51, 29, v53
	v_cmp_gt_u32_e32 vcc, 8, v39
	v_lshlrev_b32_e32 v16, 8, v16
	v_and_b32_e32 v50, 7, v50
	v_cndmask_b32_e32 v39, v52, v51, vcc
	v_lshl_add_u32 v39, v39, 10, v82
	v_and_b32_e32 v39, 0xfc00, v39
	v_cndmask_b32_e32 v18, v18, v50, vcc
	v_and_or_b32 v16, v16, s26, v39
	v_lshl_or_b32 v18, v18, 7, v16
.LBB270_1226:                           ;   in Loop: Header=BB270_810 Depth=1
	s_or_b64 exec, exec, s[22:23]
.LBB270_1227:                           ;   in Loop: Header=BB270_810 Depth=1
	s_or_b64 exec, exec, s[20:21]
.LBB270_1228:                           ;   in Loop: Header=BB270_810 Depth=1
	s_or_b64 exec, exec, s[18:19]
	v_cmp_lt_u32_e32 vcc, s7, v48
	s_and_saveexec_b64 s[18:19], vcc
	s_cbranch_execz .LBB270_1234
; %bb.1229:                             ;   in Loop: Header=BB270_810 Depth=1
	v_lshrrev_b32_e32 v16, 24, v48
	v_cmp_ne_u32_e32 vcc, s24, v16
	v_bfrev_b32_e32 v19, 1
	s_and_saveexec_b64 s[20:21], vcc
	s_cbranch_execz .LBB270_1233
; %bb.1230:                             ;   in Loop: Header=BB270_810 Depth=1
	v_and_b32_e32 v39, 0x7f, v16
	v_cmp_ne_u32_e32 vcc, s25, v39
	v_mov_b32_e32 v19, 0x7c010000
	s_and_saveexec_b64 s[22:23], vcc
	s_cbranch_execz .LBB270_1232
; %bb.1231:                             ;   in Loop: Header=BB270_810 Depth=1
	v_and_b32_e32 v19, 7, v16
	v_ffbh_u32_e32 v50, v19
	v_min_u32_e32 v53, 32, v50
	v_subrev_u32_e32 v50, 28, v53
	v_lshlrev_b64 v[50:51], v50, v[16:17]
	v_lshrrev_b32_e32 v52, 3, v39
	v_sub_u32_e32 v51, 29, v53
	v_cmp_gt_u32_e32 vcc, 8, v39
	v_lshlrev_b32_e32 v16, 8, v16
	v_and_b32_e32 v50, 7, v50
	v_cndmask_b32_e32 v39, v52, v51, vcc
	v_lshl_add_u32 v39, v39, 10, v82
	v_and_or_b32 v16, v16, s26, v39
	v_cndmask_b32_e32 v19, v19, v50, vcc
	v_lshlrev_b32_e32 v16, 16, v16
	v_lshl_or_b32 v19, v19, 23, v16
.LBB270_1232:                           ;   in Loop: Header=BB270_810 Depth=1
	s_or_b64 exec, exec, s[22:23]
.LBB270_1233:                           ;   in Loop: Header=BB270_810 Depth=1
	s_or_b64 exec, exec, s[20:21]
.LBB270_1234:                           ;   in Loop: Header=BB270_810 Depth=1
	s_or_b64 exec, exec, s[18:19]
	v_mov_b32_e32 v16, v49
	v_cmp_ne_u16_sdwa s[20:21], v49, v17 src0_sel:BYTE_0 src1_sel:DWORD
	v_mov_b32_e32 v51, 0
	v_mov_b32_e32 v52, 0
	s_and_saveexec_b64 s[18:19], s[20:21]
	s_cbranch_execz .LBB270_1240
; %bb.1235:                             ;   in Loop: Header=BB270_810 Depth=1
	v_cmp_ne_u16_sdwa s[22:23], v49, s24 src0_sel:BYTE_0 src1_sel:DWORD
	v_mov_b32_e32 v52, 0x8000
	s_and_saveexec_b64 s[20:21], s[22:23]
	s_cbranch_execz .LBB270_1239
; %bb.1236:                             ;   in Loop: Header=BB270_810 Depth=1
	v_and_b32_e32 v39, 0x7f, v49
	v_cmp_ne_u32_e32 vcc, s25, v39
	v_mov_b32_e32 v52, 0x7c01
	s_and_saveexec_b64 s[22:23], vcc
	s_cbranch_execz .LBB270_1238
; %bb.1237:                             ;   in Loop: Header=BB270_810 Depth=1
	v_and_b32_e32 v50, 7, v49
	v_ffbh_u32_e32 v52, v50
	v_min_u32_e32 v55, 32, v52
	v_subrev_u32_e32 v52, 28, v55
	v_lshlrev_b64 v[52:53], v52, v[16:17]
	v_lshrrev_b32_e32 v54, 3, v39
	v_sub_u32_e32 v53, 29, v55
	v_cmp_gt_u32_e32 vcc, 8, v39
	v_and_b32_e32 v52, 7, v52
	s_nop 0
	v_cndmask_b32_e32 v39, v54, v53, vcc
	v_lshl_add_u32 v39, v39, 10, v82
	v_lshlrev_b32_e32 v53, 8, v49
	v_and_b32_e32 v39, 0xfc00, v39
	v_cndmask_b32_e32 v50, v50, v52, vcc
	v_and_or_b32 v39, v53, s26, v39
	v_lshl_or_b32 v52, v50, 7, v39
.LBB270_1238:                           ;   in Loop: Header=BB270_810 Depth=1
	s_or_b64 exec, exec, s[22:23]
.LBB270_1239:                           ;   in Loop: Header=BB270_810 Depth=1
	s_or_b64 exec, exec, s[20:21]
.LBB270_1240:                           ;   in Loop: Header=BB270_810 Depth=1
	s_or_b64 exec, exec, s[18:19]
	v_lshrrev_b16_e32 v16, 8, v16
	v_cmp_ne_u16_e32 vcc, 0, v16
	v_mov_b32_e32 v53, 0
	s_and_saveexec_b64 s[18:19], vcc
	s_cbranch_execz .LBB270_1246
; %bb.1241:                             ;   in Loop: Header=BB270_810 Depth=1
	v_cmp_ne_u16_e32 vcc, s24, v16
	v_bfrev_b32_e32 v53, 1
	s_and_saveexec_b64 s[20:21], vcc
	s_cbranch_execz .LBB270_1245
; %bb.1242:                             ;   in Loop: Header=BB270_810 Depth=1
	v_and_b32_e32 v39, 0x7f, v16
	v_cmp_ne_u32_e32 vcc, s25, v39
	v_mov_b32_e32 v53, 0x7c010000
	s_and_saveexec_b64 s[22:23], vcc
	s_cbranch_execz .LBB270_1244
; %bb.1243:                             ;   in Loop: Header=BB270_810 Depth=1
	v_and_b32_e32 v50, 7, v16
	v_ffbh_u32_e32 v54, v50
	v_min_u32_e32 v64, 32, v54
	v_subrev_u32_e32 v54, 28, v64
	v_lshlrev_b64 v[54:55], v54, v[16:17]
	v_lshrrev_b32_e32 v53, 3, v39
	v_sub_u32_e32 v55, 29, v64
	v_cmp_gt_u32_e32 vcc, 8, v39
	v_lshlrev_b32_e32 v16, 8, v16
	s_nop 0
	v_cndmask_b32_e32 v39, v53, v55, vcc
	v_lshl_add_u32 v39, v39, 10, v82
	v_and_b32_e32 v53, 7, v54
	v_and_or_b32 v16, v16, s26, v39
	v_cndmask_b32_e32 v50, v50, v53, vcc
	v_lshlrev_b32_e32 v16, 16, v16
	v_lshl_or_b32 v53, v50, 23, v16
.LBB270_1244:                           ;   in Loop: Header=BB270_810 Depth=1
	s_or_b64 exec, exec, s[22:23]
.LBB270_1245:                           ;   in Loop: Header=BB270_810 Depth=1
	s_or_b64 exec, exec, s[20:21]
.LBB270_1246:                           ;   in Loop: Header=BB270_810 Depth=1
	s_or_b64 exec, exec, s[18:19]
	v_lshrrev_b32_e32 v16, 16, v49
	v_cmp_ne_u16_sdwa s[20:21], v16, v17 src0_sel:BYTE_0 src1_sel:DWORD
	s_and_saveexec_b64 s[18:19], s[20:21]
	s_cbranch_execz .LBB270_1252
; %bb.1247:                             ;   in Loop: Header=BB270_810 Depth=1
	v_cmp_ne_u16_sdwa s[22:23], v16, s24 src0_sel:BYTE_0 src1_sel:DWORD
	v_mov_b32_e32 v51, 0x8000
	s_and_saveexec_b64 s[20:21], s[22:23]
	s_cbranch_execz .LBB270_1251
; %bb.1248:                             ;   in Loop: Header=BB270_810 Depth=1
	v_bfe_u32 v39, v49, 16, 7
	v_cmp_ne_u32_e32 vcc, s25, v39
	v_mov_b32_e32 v51, 0x7c01
	s_and_saveexec_b64 s[22:23], vcc
	s_cbranch_execz .LBB270_1250
; %bb.1249:                             ;   in Loop: Header=BB270_810 Depth=1
	v_and_b32_e32 v54, 7, v16
	v_ffbh_u32_e32 v50, v54
	v_min_u32_e32 v64, 32, v50
	v_subrev_u32_e32 v50, 28, v64
	v_lshlrev_b64 v[50:51], v50, v[16:17]
	v_lshrrev_b32_e32 v55, 3, v39
	v_sub_u32_e32 v51, 29, v64
	v_cmp_gt_u32_e32 vcc, 8, v39
	v_lshlrev_b32_e32 v16, 8, v16
	v_and_b32_e32 v50, 7, v50
	v_cndmask_b32_e32 v39, v55, v51, vcc
	v_lshl_add_u32 v39, v39, 10, v82
	v_and_b32_e32 v39, 0xfc00, v39
	v_cndmask_b32_e32 v50, v54, v50, vcc
	v_and_or_b32 v16, v16, s26, v39
	v_lshl_or_b32 v51, v50, 7, v16
.LBB270_1250:                           ;   in Loop: Header=BB270_810 Depth=1
	s_or_b64 exec, exec, s[22:23]
.LBB270_1251:                           ;   in Loop: Header=BB270_810 Depth=1
	s_or_b64 exec, exec, s[20:21]
.LBB270_1252:                           ;   in Loop: Header=BB270_810 Depth=1
	s_or_b64 exec, exec, s[18:19]
	v_cmp_lt_u64_e32 vcc, s[6:7], v[48:49]
	v_mov_b32_e32 v48, 0
	s_and_saveexec_b64 s[18:19], vcc
	s_cbranch_execz .LBB270_1258
; %bb.1253:                             ;   in Loop: Header=BB270_810 Depth=1
	v_lshrrev_b32_e32 v16, 24, v49
	v_cmp_ne_u32_e32 vcc, s24, v16
	v_bfrev_b32_e32 v48, 1
	s_and_saveexec_b64 s[20:21], vcc
	s_cbranch_execz .LBB270_1257
; %bb.1254:                             ;   in Loop: Header=BB270_810 Depth=1
	v_and_b32_e32 v39, 0x7f, v16
	v_cmp_ne_u32_e32 vcc, s25, v39
	v_mov_b32_e32 v48, 0x7c010000
	s_and_saveexec_b64 s[22:23], vcc
	s_cbranch_execz .LBB270_1256
; %bb.1255:                             ;   in Loop: Header=BB270_810 Depth=1
	v_and_b32_e32 v50, 7, v16
	v_ffbh_u32_e32 v48, v50
	v_min_u32_e32 v55, 32, v48
	v_subrev_u32_e32 v48, 28, v55
	v_lshlrev_b64 v[48:49], v48, v[16:17]
	v_lshrrev_b32_e32 v54, 3, v39
	v_sub_u32_e32 v49, 29, v55
	v_cmp_gt_u32_e32 vcc, 8, v39
	v_lshlrev_b32_e32 v16, 8, v16
	v_and_b32_e32 v48, 7, v48
	v_cndmask_b32_e32 v39, v54, v49, vcc
	v_lshl_add_u32 v39, v39, 10, v82
	v_and_or_b32 v16, v16, s26, v39
	v_cndmask_b32_e32 v48, v50, v48, vcc
	v_lshlrev_b32_e32 v16, 16, v16
	v_lshl_or_b32 v48, v48, 23, v16
.LBB270_1256:                           ;   in Loop: Header=BB270_810 Depth=1
	s_or_b64 exec, exec, s[22:23]
.LBB270_1257:                           ;   in Loop: Header=BB270_810 Depth=1
	s_or_b64 exec, exec, s[20:21]
.LBB270_1258:                           ;   in Loop: Header=BB270_810 Depth=1
	s_or_b64 exec, exec, s[18:19]
	v_cvt_f32_f16_sdwa v55, v1 dst_sel:DWORD dst_unused:UNUSED_PAD src0_sel:WORD_1
	v_cvt_f32_f16_sdwa v54, v19 dst_sel:DWORD dst_unused:UNUSED_PAD src0_sel:WORD_1
	v_or_b32_e32 v16, v1, v0
	v_or_b32_e32 v18, v19, v18
	v_cvt_f32_f16_e32 v18, v18
	v_cvt_f32_f16_e32 v19, v16
	v_pk_mul_f32 v[0:1], v[38:39], v[54:55] op_sel_hi:[0,1]
	v_cvt_pk_f16_f32 v0, v0, v1
	v_and_b32_e32 v39, 0xffff0000, v0
	v_lshlrev_b32_e32 v16, 16, v0
	v_pk_mul_f32 v[0:1], v[38:39], v[18:19] op_sel_hi:[0,1]
	v_cvt_pk_f16_f32 v0, v0, v1
	v_lshrrev_b32_e32 v49, 16, v0
	v_and_b32_e32 v50, 0xffff, v0
	v_or_b32_e32 v1, v53, v52
	v_or_b32_e32 v0, v48, v51
	v_cvt_f32_f16_e32 v0, v0
	v_cvt_f32_f16_e32 v1, v1
	v_cvt_f32_f16_sdwa v53, v53 dst_sel:DWORD dst_unused:UNUSED_PAD src0_sel:WORD_1
	v_cvt_f32_f16_sdwa v52, v48 dst_sel:DWORD dst_unused:UNUSED_PAD src0_sel:WORD_1
	v_or_b32_e32 v19, v39, v49
	v_pk_mul_f32 v[0:1], v[38:39], v[0:1] op_sel_hi:[0,1]
	v_cvt_pk_f16_f32 v18, v0, v1
	v_pk_mul_f32 v[0:1], v[38:39], v[52:53] op_sel_hi:[0,1]
	v_cvt_pk_f16_f32 v0, v0, v1
	v_and_b32_e32 v51, 0xffff0000, v0
	v_lshlrev_b32_e32 v38, 16, v0
	v_lshrrev_b32_e32 v53, 16, v18
	v_and_b32_e32 v52, 0xffff, v18
	v_or_b32_e32 v48, v16, v50
	v_or_b32_e32 v55, v51, v53
	;; [unrolled: 1-line block ×3, first 2 shown]
	s_and_saveexec_b64 s[18:19], s[2:3]
	s_cbranch_execz .LBB270_1260
; %bb.1259:                             ;   in Loop: Header=BB270_810 Depth=1
	v_cmp_lt_i32_e32 vcc, v80, v13
	s_nop 1
	v_cndmask_b32_e32 v0, 0, v49, vcc
	v_cmp_lt_i32_e32 vcc, v101, v62
	s_nop 1
	v_cndmask_b32_e32 v1, 0, v50, vcc
	;; [unrolled: 3-line block ×3, first 2 shown]
	v_cmp_lt_i32_e32 vcc, v99, v62
	v_or_b32_e32 v19, v0, v18
	s_nop 0
	v_cndmask_b32_e32 v16, 0, v16, vcc
	v_cmp_lt_i32_e32 vcc, v98, v13
	v_or_b32_e32 v48, v1, v16
	s_nop 0
	v_cndmask_b32_e32 v0, 0, v53, vcc
	v_cmp_lt_i32_e32 vcc, v97, v62
	s_nop 1
	v_cndmask_b32_e32 v1, 0, v52, vcc
	v_cmp_lt_i32_e32 vcc, v96, v13
	;; [unrolled: 3-line block ×3, first 2 shown]
	v_or_b32_e32 v55, v0, v16
	s_nop 0
	v_cndmask_b32_e32 v18, 0, v38, vcc
	v_or_b32_e32 v54, v1, v18
.LBB270_1260:                           ;   in Loop: Header=BB270_810 Depth=1
	s_or_b64 exec, exec, s[18:19]
	;;#ASMSTART
	v_pk_mul_f16 v0, v87, v19;

	;;#ASMEND
	;;#ASMSTART
	v_pk_mul_f16 v1, v85, v48;

	;;#ASMEND
	;; [unrolled: 4-line block ×4, first 2 shown]
	s_nop 0
	;;#ASMSTART
	v_pk_add_f16 v0, v0, v1;

	;;#ASMEND
	s_nop 0
	;;#ASMSTART
	v_pk_add_f16 v0, v0, v16;

	;;#ASMEND
	;; [unrolled: 5-line block ×3, first 2 shown]
	s_nop 0
	v_lshrrev_b32_e32 v1, 16, v0
	v_and_b32_e32 v0, 0xffff, v0
	;;#ASMSTART
	v_cvt_f32_f16 v46, v0;
	;;#ASMEND
	v_add_co_u32_e32 v0, vcc, 0x1000, v36
	;;#ASMSTART
	v_cvt_f32_f16 v47, v1;
	;;#ASMEND
	s_nop 1
	v_addc_co_u32_e32 v1, vcc, 0, v37, vcc
	flat_load_dwordx2 v[48:49], v[0:1] offset:512
	flat_load_dword v38, v[22:23]
	v_mov_b32_e32 v1, 0
	v_mov_b32_e32 v0, 0
	s_waitcnt vmcnt(0) lgkmcnt(0)
	v_cmp_ne_u16_sdwa s[20:21], v48, v17 src0_sel:BYTE_0 src1_sel:DWORD
	s_and_saveexec_b64 s[18:19], s[20:21]
	s_cbranch_execz .LBB270_1266
; %bb.1261:                             ;   in Loop: Header=BB270_810 Depth=1
	v_cmp_ne_u16_sdwa s[22:23], v48, s24 src0_sel:BYTE_0 src1_sel:DWORD
	v_mov_b32_e32 v0, 0x8000
	s_and_saveexec_b64 s[20:21], s[22:23]
	s_cbranch_execz .LBB270_1265
; %bb.1262:                             ;   in Loop: Header=BB270_810 Depth=1
	v_and_b32_e32 v16, 0x7f, v48
	v_cmp_ne_u32_e32 vcc, s25, v16
	v_mov_b32_e32 v0, 0x7c01
	s_and_saveexec_b64 s[22:23], vcc
	s_cbranch_execz .LBB270_1264
; %bb.1263:                             ;   in Loop: Header=BB270_810 Depth=1
	v_and_b32_e32 v0, 7, v48
	v_ffbh_u32_e32 v18, v0
	v_min_u32_e32 v50, 32, v18
	v_subrev_u32_e32 v18, 28, v50
	v_lshlrev_b64 v[18:19], v18, v[48:49]
	v_lshrrev_b32_e32 v39, 3, v16
	v_sub_u32_e32 v19, 29, v50
	v_cmp_gt_u32_e32 vcc, 8, v16
	v_and_b32_e32 v18, 7, v18
	s_nop 0
	v_cndmask_b32_e32 v16, v39, v19, vcc
	v_lshl_add_u32 v16, v16, 10, v82
	v_lshlrev_b32_e32 v19, 8, v48
	v_and_b32_e32 v16, 0xfc00, v16
	v_cndmask_b32_e32 v0, v0, v18, vcc
	v_and_or_b32 v16, v19, s26, v16
	v_lshl_or_b32 v0, v0, 7, v16
.LBB270_1264:                           ;   in Loop: Header=BB270_810 Depth=1
	s_or_b64 exec, exec, s[22:23]
.LBB270_1265:                           ;   in Loop: Header=BB270_810 Depth=1
	s_or_b64 exec, exec, s[20:21]
.LBB270_1266:                           ;   in Loop: Header=BB270_810 Depth=1
	s_or_b64 exec, exec, s[18:19]
	v_lshrrev_b16_e32 v16, 8, v48
	v_cmp_ne_u16_e32 vcc, 0, v16
	s_and_saveexec_b64 s[18:19], vcc
	s_cbranch_execz .LBB270_1272
; %bb.1267:                             ;   in Loop: Header=BB270_810 Depth=1
	v_cmp_ne_u16_e32 vcc, s24, v16
	v_bfrev_b32_e32 v1, 1
	s_and_saveexec_b64 s[20:21], vcc
	s_cbranch_execz .LBB270_1271
; %bb.1268:                             ;   in Loop: Header=BB270_810 Depth=1
	v_and_b32_e32 v18, 0x7f, v16
	v_cmp_ne_u32_e32 vcc, s25, v18
	v_mov_b32_e32 v1, 0x7c010000
	s_and_saveexec_b64 s[22:23], vcc
	s_cbranch_execz .LBB270_1270
; %bb.1269:                             ;   in Loop: Header=BB270_810 Depth=1
	v_and_b32_e32 v1, 7, v16
	v_ffbh_u32_e32 v39, v1
	v_min_u32_e32 v39, 32, v39
	v_lshrrev_b32_e32 v19, 3, v18
	v_subrev_u32_e32 v50, 28, v39
	v_sub_u32_e32 v39, 29, v39
	v_cmp_gt_u32_e32 vcc, 8, v18
	v_lshlrev_b64 v[50:51], v50, v[16:17]
	v_lshlrev_b32_e32 v16, 8, v16
	v_cndmask_b32_e32 v18, v19, v39, vcc
	v_lshl_add_u32 v18, v18, 10, v82
	v_and_b32_e32 v19, 7, v50
	v_and_or_b32 v16, v16, s26, v18
	v_cndmask_b32_e32 v1, v1, v19, vcc
	v_lshlrev_b32_e32 v16, 16, v16
	v_lshl_or_b32 v1, v1, 23, v16
.LBB270_1270:                           ;   in Loop: Header=BB270_810 Depth=1
	s_or_b64 exec, exec, s[22:23]
.LBB270_1271:                           ;   in Loop: Header=BB270_810 Depth=1
	s_or_b64 exec, exec, s[20:21]
.LBB270_1272:                           ;   in Loop: Header=BB270_810 Depth=1
	s_or_b64 exec, exec, s[18:19]
	v_lshrrev_b32_e32 v16, 16, v48
	v_cmp_ne_u16_sdwa s[20:21], v16, v17 src0_sel:BYTE_0 src1_sel:DWORD
	v_mov_b32_e32 v19, 0
	v_mov_b32_e32 v18, 0
	s_and_saveexec_b64 s[18:19], s[20:21]
	s_cbranch_execz .LBB270_1278
; %bb.1273:                             ;   in Loop: Header=BB270_810 Depth=1
	v_cmp_ne_u16_sdwa s[22:23], v16, s24 src0_sel:BYTE_0 src1_sel:DWORD
	v_mov_b32_e32 v18, 0x8000
	s_and_saveexec_b64 s[20:21], s[22:23]
	s_cbranch_execz .LBB270_1277
; %bb.1274:                             ;   in Loop: Header=BB270_810 Depth=1
	v_bfe_u32 v39, v48, 16, 7
	v_cmp_ne_u32_e32 vcc, s25, v39
	v_mov_b32_e32 v18, 0x7c01
	s_and_saveexec_b64 s[22:23], vcc
	s_cbranch_execz .LBB270_1276
; %bb.1275:                             ;   in Loop: Header=BB270_810 Depth=1
	v_and_b32_e32 v18, 7, v16
	v_ffbh_u32_e32 v50, v18
	v_min_u32_e32 v53, 32, v50
	v_subrev_u32_e32 v50, 28, v53
	v_lshlrev_b64 v[50:51], v50, v[16:17]
	v_lshrrev_b32_e32 v52, 3, v39
	v_sub_u32_e32 v51, 29, v53
	v_cmp_gt_u32_e32 vcc, 8, v39
	v_lshlrev_b32_e32 v16, 8, v16
	v_and_b32_e32 v50, 7, v50
	v_cndmask_b32_e32 v39, v52, v51, vcc
	v_lshl_add_u32 v39, v39, 10, v82
	v_and_b32_e32 v39, 0xfc00, v39
	v_cndmask_b32_e32 v18, v18, v50, vcc
	v_and_or_b32 v16, v16, s26, v39
	v_lshl_or_b32 v18, v18, 7, v16
.LBB270_1276:                           ;   in Loop: Header=BB270_810 Depth=1
	s_or_b64 exec, exec, s[22:23]
.LBB270_1277:                           ;   in Loop: Header=BB270_810 Depth=1
	s_or_b64 exec, exec, s[20:21]
.LBB270_1278:                           ;   in Loop: Header=BB270_810 Depth=1
	s_or_b64 exec, exec, s[18:19]
	v_cmp_lt_u32_e32 vcc, s7, v48
	s_and_saveexec_b64 s[18:19], vcc
	s_cbranch_execz .LBB270_1284
; %bb.1279:                             ;   in Loop: Header=BB270_810 Depth=1
	v_lshrrev_b32_e32 v16, 24, v48
	v_cmp_ne_u32_e32 vcc, s24, v16
	v_bfrev_b32_e32 v19, 1
	s_and_saveexec_b64 s[20:21], vcc
	s_cbranch_execz .LBB270_1283
; %bb.1280:                             ;   in Loop: Header=BB270_810 Depth=1
	v_and_b32_e32 v39, 0x7f, v16
	v_cmp_ne_u32_e32 vcc, s25, v39
	v_mov_b32_e32 v19, 0x7c010000
	s_and_saveexec_b64 s[22:23], vcc
	s_cbranch_execz .LBB270_1282
; %bb.1281:                             ;   in Loop: Header=BB270_810 Depth=1
	v_and_b32_e32 v19, 7, v16
	v_ffbh_u32_e32 v50, v19
	v_min_u32_e32 v53, 32, v50
	v_subrev_u32_e32 v50, 28, v53
	v_lshlrev_b64 v[50:51], v50, v[16:17]
	v_lshrrev_b32_e32 v52, 3, v39
	v_sub_u32_e32 v51, 29, v53
	v_cmp_gt_u32_e32 vcc, 8, v39
	v_lshlrev_b32_e32 v16, 8, v16
	v_and_b32_e32 v50, 7, v50
	v_cndmask_b32_e32 v39, v52, v51, vcc
	v_lshl_add_u32 v39, v39, 10, v82
	v_and_or_b32 v16, v16, s26, v39
	v_cndmask_b32_e32 v19, v19, v50, vcc
	v_lshlrev_b32_e32 v16, 16, v16
	v_lshl_or_b32 v19, v19, 23, v16
.LBB270_1282:                           ;   in Loop: Header=BB270_810 Depth=1
	s_or_b64 exec, exec, s[22:23]
.LBB270_1283:                           ;   in Loop: Header=BB270_810 Depth=1
	s_or_b64 exec, exec, s[20:21]
.LBB270_1284:                           ;   in Loop: Header=BB270_810 Depth=1
	s_or_b64 exec, exec, s[18:19]
	v_mov_b32_e32 v16, v49
	v_cmp_ne_u16_sdwa s[20:21], v49, v17 src0_sel:BYTE_0 src1_sel:DWORD
	v_mov_b32_e32 v51, 0
	v_mov_b32_e32 v52, 0
	s_and_saveexec_b64 s[18:19], s[20:21]
	s_cbranch_execz .LBB270_1290
; %bb.1285:                             ;   in Loop: Header=BB270_810 Depth=1
	v_cmp_ne_u16_sdwa s[22:23], v49, s24 src0_sel:BYTE_0 src1_sel:DWORD
	v_mov_b32_e32 v52, 0x8000
	s_and_saveexec_b64 s[20:21], s[22:23]
	s_cbranch_execz .LBB270_1289
; %bb.1286:                             ;   in Loop: Header=BB270_810 Depth=1
	v_and_b32_e32 v39, 0x7f, v49
	v_cmp_ne_u32_e32 vcc, s25, v39
	v_mov_b32_e32 v52, 0x7c01
	s_and_saveexec_b64 s[22:23], vcc
	s_cbranch_execz .LBB270_1288
; %bb.1287:                             ;   in Loop: Header=BB270_810 Depth=1
	v_and_b32_e32 v50, 7, v49
	v_ffbh_u32_e32 v52, v50
	v_min_u32_e32 v55, 32, v52
	v_subrev_u32_e32 v52, 28, v55
	v_lshlrev_b64 v[52:53], v52, v[16:17]
	v_lshrrev_b32_e32 v54, 3, v39
	v_sub_u32_e32 v53, 29, v55
	v_cmp_gt_u32_e32 vcc, 8, v39
	v_and_b32_e32 v52, 7, v52
	s_nop 0
	v_cndmask_b32_e32 v39, v54, v53, vcc
	v_lshl_add_u32 v39, v39, 10, v82
	v_lshlrev_b32_e32 v53, 8, v49
	v_and_b32_e32 v39, 0xfc00, v39
	v_cndmask_b32_e32 v50, v50, v52, vcc
	v_and_or_b32 v39, v53, s26, v39
	v_lshl_or_b32 v52, v50, 7, v39
.LBB270_1288:                           ;   in Loop: Header=BB270_810 Depth=1
	s_or_b64 exec, exec, s[22:23]
.LBB270_1289:                           ;   in Loop: Header=BB270_810 Depth=1
	s_or_b64 exec, exec, s[20:21]
.LBB270_1290:                           ;   in Loop: Header=BB270_810 Depth=1
	s_or_b64 exec, exec, s[18:19]
	v_lshrrev_b16_e32 v16, 8, v16
	v_cmp_ne_u16_e32 vcc, 0, v16
	v_mov_b32_e32 v53, 0
	s_and_saveexec_b64 s[18:19], vcc
	s_cbranch_execz .LBB270_1296
; %bb.1291:                             ;   in Loop: Header=BB270_810 Depth=1
	v_cmp_ne_u16_e32 vcc, s24, v16
	v_bfrev_b32_e32 v53, 1
	s_and_saveexec_b64 s[20:21], vcc
	s_cbranch_execz .LBB270_1295
; %bb.1292:                             ;   in Loop: Header=BB270_810 Depth=1
	v_and_b32_e32 v39, 0x7f, v16
	v_cmp_ne_u32_e32 vcc, s25, v39
	v_mov_b32_e32 v53, 0x7c010000
	s_and_saveexec_b64 s[22:23], vcc
	s_cbranch_execz .LBB270_1294
; %bb.1293:                             ;   in Loop: Header=BB270_810 Depth=1
	v_and_b32_e32 v50, 7, v16
	v_ffbh_u32_e32 v54, v50
	v_min_u32_e32 v64, 32, v54
	v_subrev_u32_e32 v54, 28, v64
	v_lshlrev_b64 v[54:55], v54, v[16:17]
	v_lshrrev_b32_e32 v53, 3, v39
	v_sub_u32_e32 v55, 29, v64
	v_cmp_gt_u32_e32 vcc, 8, v39
	v_lshlrev_b32_e32 v16, 8, v16
	s_nop 0
	v_cndmask_b32_e32 v39, v53, v55, vcc
	v_lshl_add_u32 v39, v39, 10, v82
	v_and_b32_e32 v53, 7, v54
	v_and_or_b32 v16, v16, s26, v39
	v_cndmask_b32_e32 v50, v50, v53, vcc
	v_lshlrev_b32_e32 v16, 16, v16
	v_lshl_or_b32 v53, v50, 23, v16
.LBB270_1294:                           ;   in Loop: Header=BB270_810 Depth=1
	s_or_b64 exec, exec, s[22:23]
.LBB270_1295:                           ;   in Loop: Header=BB270_810 Depth=1
	s_or_b64 exec, exec, s[20:21]
.LBB270_1296:                           ;   in Loop: Header=BB270_810 Depth=1
	s_or_b64 exec, exec, s[18:19]
	v_lshrrev_b32_e32 v16, 16, v49
	v_cmp_ne_u16_sdwa s[20:21], v16, v17 src0_sel:BYTE_0 src1_sel:DWORD
	s_and_saveexec_b64 s[18:19], s[20:21]
	s_cbranch_execz .LBB270_1302
; %bb.1297:                             ;   in Loop: Header=BB270_810 Depth=1
	v_cmp_ne_u16_sdwa s[22:23], v16, s24 src0_sel:BYTE_0 src1_sel:DWORD
	v_mov_b32_e32 v51, 0x8000
	s_and_saveexec_b64 s[20:21], s[22:23]
	s_cbranch_execz .LBB270_1301
; %bb.1298:                             ;   in Loop: Header=BB270_810 Depth=1
	v_bfe_u32 v39, v49, 16, 7
	v_cmp_ne_u32_e32 vcc, s25, v39
	v_mov_b32_e32 v51, 0x7c01
	s_and_saveexec_b64 s[22:23], vcc
	s_cbranch_execz .LBB270_1300
; %bb.1299:                             ;   in Loop: Header=BB270_810 Depth=1
	v_and_b32_e32 v54, 7, v16
	v_ffbh_u32_e32 v50, v54
	v_min_u32_e32 v64, 32, v50
	v_subrev_u32_e32 v50, 28, v64
	v_lshlrev_b64 v[50:51], v50, v[16:17]
	v_lshrrev_b32_e32 v55, 3, v39
	v_sub_u32_e32 v51, 29, v64
	v_cmp_gt_u32_e32 vcc, 8, v39
	v_lshlrev_b32_e32 v16, 8, v16
	v_and_b32_e32 v50, 7, v50
	v_cndmask_b32_e32 v39, v55, v51, vcc
	v_lshl_add_u32 v39, v39, 10, v82
	v_and_b32_e32 v39, 0xfc00, v39
	v_cndmask_b32_e32 v50, v54, v50, vcc
	v_and_or_b32 v16, v16, s26, v39
	v_lshl_or_b32 v51, v50, 7, v16
.LBB270_1300:                           ;   in Loop: Header=BB270_810 Depth=1
	s_or_b64 exec, exec, s[22:23]
.LBB270_1301:                           ;   in Loop: Header=BB270_810 Depth=1
	s_or_b64 exec, exec, s[20:21]
.LBB270_1302:                           ;   in Loop: Header=BB270_810 Depth=1
	s_or_b64 exec, exec, s[18:19]
	v_cmp_lt_u64_e32 vcc, s[6:7], v[48:49]
	v_mov_b32_e32 v48, 0
	s_and_saveexec_b64 s[18:19], vcc
	s_cbranch_execz .LBB270_1308
; %bb.1303:                             ;   in Loop: Header=BB270_810 Depth=1
	v_lshrrev_b32_e32 v16, 24, v49
	v_cmp_ne_u32_e32 vcc, s24, v16
	v_bfrev_b32_e32 v48, 1
	s_and_saveexec_b64 s[20:21], vcc
	s_cbranch_execz .LBB270_1307
; %bb.1304:                             ;   in Loop: Header=BB270_810 Depth=1
	v_and_b32_e32 v39, 0x7f, v16
	v_cmp_ne_u32_e32 vcc, s25, v39
	v_mov_b32_e32 v48, 0x7c010000
	s_and_saveexec_b64 s[22:23], vcc
	s_cbranch_execz .LBB270_1306
; %bb.1305:                             ;   in Loop: Header=BB270_810 Depth=1
	v_and_b32_e32 v50, 7, v16
	v_ffbh_u32_e32 v48, v50
	v_min_u32_e32 v55, 32, v48
	v_subrev_u32_e32 v48, 28, v55
	v_lshlrev_b64 v[48:49], v48, v[16:17]
	v_lshrrev_b32_e32 v54, 3, v39
	v_sub_u32_e32 v49, 29, v55
	v_cmp_gt_u32_e32 vcc, 8, v39
	v_lshlrev_b32_e32 v16, 8, v16
	v_and_b32_e32 v48, 7, v48
	v_cndmask_b32_e32 v39, v54, v49, vcc
	v_lshl_add_u32 v39, v39, 10, v82
	v_and_or_b32 v16, v16, s26, v39
	v_cndmask_b32_e32 v48, v50, v48, vcc
	v_lshlrev_b32_e32 v16, 16, v16
	v_lshl_or_b32 v48, v48, 23, v16
.LBB270_1306:                           ;   in Loop: Header=BB270_810 Depth=1
	s_or_b64 exec, exec, s[22:23]
.LBB270_1307:                           ;   in Loop: Header=BB270_810 Depth=1
	s_or_b64 exec, exec, s[20:21]
.LBB270_1308:                           ;   in Loop: Header=BB270_810 Depth=1
	s_or_b64 exec, exec, s[18:19]
	v_cvt_f32_f16_sdwa v55, v1 dst_sel:DWORD dst_unused:UNUSED_PAD src0_sel:WORD_1
	v_cvt_f32_f16_sdwa v54, v19 dst_sel:DWORD dst_unused:UNUSED_PAD src0_sel:WORD_1
	v_or_b32_e32 v16, v1, v0
	v_or_b32_e32 v18, v19, v18
	v_cvt_f32_f16_e32 v18, v18
	v_cvt_f32_f16_e32 v19, v16
	v_pk_mul_f32 v[0:1], v[38:39], v[54:55] op_sel_hi:[0,1]
	v_cvt_pk_f16_f32 v0, v0, v1
	v_and_b32_e32 v39, 0xffff0000, v0
	v_lshlrev_b32_e32 v16, 16, v0
	v_pk_mul_f32 v[0:1], v[38:39], v[18:19] op_sel_hi:[0,1]
	v_cvt_pk_f16_f32 v0, v0, v1
	v_lshrrev_b32_e32 v49, 16, v0
	v_and_b32_e32 v50, 0xffff, v0
	v_or_b32_e32 v1, v53, v52
	v_or_b32_e32 v0, v48, v51
	v_cvt_f32_f16_e32 v0, v0
	v_cvt_f32_f16_e32 v1, v1
	v_cvt_f32_f16_sdwa v53, v53 dst_sel:DWORD dst_unused:UNUSED_PAD src0_sel:WORD_1
	v_cvt_f32_f16_sdwa v52, v48 dst_sel:DWORD dst_unused:UNUSED_PAD src0_sel:WORD_1
	v_or_b32_e32 v19, v39, v49
	v_pk_mul_f32 v[0:1], v[38:39], v[0:1] op_sel_hi:[0,1]
	v_cvt_pk_f16_f32 v18, v0, v1
	v_pk_mul_f32 v[0:1], v[38:39], v[52:53] op_sel_hi:[0,1]
	v_cvt_pk_f16_f32 v0, v0, v1
	v_and_b32_e32 v51, 0xffff0000, v0
	v_lshlrev_b32_e32 v38, 16, v0
	v_lshrrev_b32_e32 v53, 16, v18
	v_and_b32_e32 v52, 0xffff, v18
	v_or_b32_e32 v48, v16, v50
	v_or_b32_e32 v55, v51, v53
	;; [unrolled: 1-line block ×3, first 2 shown]
	s_and_saveexec_b64 s[18:19], s[2:3]
	s_cbranch_execz .LBB270_1310
; %bb.1309:                             ;   in Loop: Header=BB270_810 Depth=1
	v_cmp_lt_i32_e32 vcc, v80, v13
	s_nop 1
	v_cndmask_b32_e32 v0, 0, v49, vcc
	v_cmp_lt_i32_e32 vcc, v101, v62
	s_nop 1
	v_cndmask_b32_e32 v1, 0, v50, vcc
	;; [unrolled: 3-line block ×3, first 2 shown]
	v_cmp_lt_i32_e32 vcc, v99, v62
	v_or_b32_e32 v19, v0, v18
	s_nop 0
	v_cndmask_b32_e32 v16, 0, v16, vcc
	v_cmp_lt_i32_e32 vcc, v98, v13
	v_or_b32_e32 v48, v1, v16
	s_nop 0
	v_cndmask_b32_e32 v0, 0, v53, vcc
	v_cmp_lt_i32_e32 vcc, v97, v62
	s_nop 1
	v_cndmask_b32_e32 v1, 0, v52, vcc
	v_cmp_lt_i32_e32 vcc, v96, v13
	;; [unrolled: 3-line block ×3, first 2 shown]
	v_or_b32_e32 v55, v0, v16
	s_nop 0
	v_cndmask_b32_e32 v18, 0, v38, vcc
	v_or_b32_e32 v54, v1, v18
.LBB270_1310:                           ;   in Loop: Header=BB270_810 Depth=1
	s_or_b64 exec, exec, s[18:19]
	;;#ASMSTART
	v_pk_mul_f16 v0, v87, v19;

	;;#ASMEND
	;;#ASMSTART
	v_pk_mul_f16 v1, v85, v48;

	;;#ASMEND
	;; [unrolled: 4-line block ×4, first 2 shown]
	s_nop 0
	;;#ASMSTART
	v_pk_add_f16 v0, v0, v1;

	;;#ASMEND
	s_nop 0
	;;#ASMSTART
	v_pk_add_f16 v0, v0, v16;

	;;#ASMEND
	;; [unrolled: 5-line block ×3, first 2 shown]
	s_nop 0
	v_lshrrev_b32_e32 v1, 16, v0
	v_and_b32_e32 v0, 0xffff, v0
	;;#ASMSTART
	v_cvt_f32_f16 v56, v0;
	;;#ASMEND
	v_add_co_u32_e32 v0, vcc, 0x1000, v36
	;;#ASMSTART
	v_cvt_f32_f16 v57, v1;
	;;#ASMEND
	s_nop 1
	v_addc_co_u32_e32 v1, vcc, 0, v37, vcc
	flat_load_dwordx2 v[48:49], v[0:1] offset:1024
	flat_load_dword v38, v[22:23]
	v_mov_b32_e32 v1, 0
	v_mov_b32_e32 v0, 0
	s_waitcnt vmcnt(0) lgkmcnt(0)
	v_cmp_ne_u16_sdwa s[20:21], v48, v17 src0_sel:BYTE_0 src1_sel:DWORD
	s_and_saveexec_b64 s[18:19], s[20:21]
	s_cbranch_execz .LBB270_1316
; %bb.1311:                             ;   in Loop: Header=BB270_810 Depth=1
	v_cmp_ne_u16_sdwa s[22:23], v48, s24 src0_sel:BYTE_0 src1_sel:DWORD
	v_mov_b32_e32 v0, 0x8000
	s_and_saveexec_b64 s[20:21], s[22:23]
	s_cbranch_execz .LBB270_1315
; %bb.1312:                             ;   in Loop: Header=BB270_810 Depth=1
	v_and_b32_e32 v16, 0x7f, v48
	v_cmp_ne_u32_e32 vcc, s25, v16
	v_mov_b32_e32 v0, 0x7c01
	s_and_saveexec_b64 s[22:23], vcc
	s_cbranch_execz .LBB270_1314
; %bb.1313:                             ;   in Loop: Header=BB270_810 Depth=1
	v_and_b32_e32 v0, 7, v48
	v_ffbh_u32_e32 v18, v0
	v_min_u32_e32 v50, 32, v18
	v_subrev_u32_e32 v18, 28, v50
	v_lshlrev_b64 v[18:19], v18, v[48:49]
	v_lshrrev_b32_e32 v39, 3, v16
	v_sub_u32_e32 v19, 29, v50
	v_cmp_gt_u32_e32 vcc, 8, v16
	v_and_b32_e32 v18, 7, v18
	s_nop 0
	v_cndmask_b32_e32 v16, v39, v19, vcc
	v_lshl_add_u32 v16, v16, 10, v82
	v_lshlrev_b32_e32 v19, 8, v48
	v_and_b32_e32 v16, 0xfc00, v16
	v_cndmask_b32_e32 v0, v0, v18, vcc
	v_and_or_b32 v16, v19, s26, v16
	v_lshl_or_b32 v0, v0, 7, v16
.LBB270_1314:                           ;   in Loop: Header=BB270_810 Depth=1
	s_or_b64 exec, exec, s[22:23]
.LBB270_1315:                           ;   in Loop: Header=BB270_810 Depth=1
	s_or_b64 exec, exec, s[20:21]
.LBB270_1316:                           ;   in Loop: Header=BB270_810 Depth=1
	s_or_b64 exec, exec, s[18:19]
	v_lshrrev_b16_e32 v16, 8, v48
	v_cmp_ne_u16_e32 vcc, 0, v16
	s_and_saveexec_b64 s[18:19], vcc
	s_cbranch_execz .LBB270_1322
; %bb.1317:                             ;   in Loop: Header=BB270_810 Depth=1
	v_cmp_ne_u16_e32 vcc, s24, v16
	v_bfrev_b32_e32 v1, 1
	s_and_saveexec_b64 s[20:21], vcc
	s_cbranch_execz .LBB270_1321
; %bb.1318:                             ;   in Loop: Header=BB270_810 Depth=1
	v_and_b32_e32 v18, 0x7f, v16
	v_cmp_ne_u32_e32 vcc, s25, v18
	v_mov_b32_e32 v1, 0x7c010000
	s_and_saveexec_b64 s[22:23], vcc
	s_cbranch_execz .LBB270_1320
; %bb.1319:                             ;   in Loop: Header=BB270_810 Depth=1
	v_and_b32_e32 v1, 7, v16
	v_ffbh_u32_e32 v39, v1
	v_min_u32_e32 v39, 32, v39
	v_lshrrev_b32_e32 v19, 3, v18
	v_subrev_u32_e32 v50, 28, v39
	v_sub_u32_e32 v39, 29, v39
	v_cmp_gt_u32_e32 vcc, 8, v18
	v_lshlrev_b64 v[50:51], v50, v[16:17]
	v_lshlrev_b32_e32 v16, 8, v16
	v_cndmask_b32_e32 v18, v19, v39, vcc
	v_lshl_add_u32 v18, v18, 10, v82
	v_and_b32_e32 v19, 7, v50
	v_and_or_b32 v16, v16, s26, v18
	v_cndmask_b32_e32 v1, v1, v19, vcc
	v_lshlrev_b32_e32 v16, 16, v16
	v_lshl_or_b32 v1, v1, 23, v16
.LBB270_1320:                           ;   in Loop: Header=BB270_810 Depth=1
	s_or_b64 exec, exec, s[22:23]
.LBB270_1321:                           ;   in Loop: Header=BB270_810 Depth=1
	s_or_b64 exec, exec, s[20:21]
.LBB270_1322:                           ;   in Loop: Header=BB270_810 Depth=1
	s_or_b64 exec, exec, s[18:19]
	v_lshrrev_b32_e32 v16, 16, v48
	v_cmp_ne_u16_sdwa s[20:21], v16, v17 src0_sel:BYTE_0 src1_sel:DWORD
	v_mov_b32_e32 v19, 0
	v_mov_b32_e32 v18, 0
	s_and_saveexec_b64 s[18:19], s[20:21]
	s_cbranch_execz .LBB270_1328
; %bb.1323:                             ;   in Loop: Header=BB270_810 Depth=1
	v_cmp_ne_u16_sdwa s[22:23], v16, s24 src0_sel:BYTE_0 src1_sel:DWORD
	v_mov_b32_e32 v18, 0x8000
	s_and_saveexec_b64 s[20:21], s[22:23]
	s_cbranch_execz .LBB270_1327
; %bb.1324:                             ;   in Loop: Header=BB270_810 Depth=1
	v_bfe_u32 v39, v48, 16, 7
	v_cmp_ne_u32_e32 vcc, s25, v39
	v_mov_b32_e32 v18, 0x7c01
	s_and_saveexec_b64 s[22:23], vcc
	s_cbranch_execz .LBB270_1326
; %bb.1325:                             ;   in Loop: Header=BB270_810 Depth=1
	v_and_b32_e32 v18, 7, v16
	v_ffbh_u32_e32 v50, v18
	v_min_u32_e32 v53, 32, v50
	v_subrev_u32_e32 v50, 28, v53
	v_lshlrev_b64 v[50:51], v50, v[16:17]
	v_lshrrev_b32_e32 v52, 3, v39
	v_sub_u32_e32 v51, 29, v53
	v_cmp_gt_u32_e32 vcc, 8, v39
	v_lshlrev_b32_e32 v16, 8, v16
	v_and_b32_e32 v50, 7, v50
	v_cndmask_b32_e32 v39, v52, v51, vcc
	v_lshl_add_u32 v39, v39, 10, v82
	v_and_b32_e32 v39, 0xfc00, v39
	v_cndmask_b32_e32 v18, v18, v50, vcc
	v_and_or_b32 v16, v16, s26, v39
	v_lshl_or_b32 v18, v18, 7, v16
.LBB270_1326:                           ;   in Loop: Header=BB270_810 Depth=1
	s_or_b64 exec, exec, s[22:23]
.LBB270_1327:                           ;   in Loop: Header=BB270_810 Depth=1
	s_or_b64 exec, exec, s[20:21]
.LBB270_1328:                           ;   in Loop: Header=BB270_810 Depth=1
	s_or_b64 exec, exec, s[18:19]
	v_cmp_lt_u32_e32 vcc, s7, v48
	s_and_saveexec_b64 s[18:19], vcc
	s_cbranch_execz .LBB270_1334
; %bb.1329:                             ;   in Loop: Header=BB270_810 Depth=1
	v_lshrrev_b32_e32 v16, 24, v48
	v_cmp_ne_u32_e32 vcc, s24, v16
	v_bfrev_b32_e32 v19, 1
	s_and_saveexec_b64 s[20:21], vcc
	s_cbranch_execz .LBB270_1333
; %bb.1330:                             ;   in Loop: Header=BB270_810 Depth=1
	v_and_b32_e32 v39, 0x7f, v16
	v_cmp_ne_u32_e32 vcc, s25, v39
	v_mov_b32_e32 v19, 0x7c010000
	s_and_saveexec_b64 s[22:23], vcc
	s_cbranch_execz .LBB270_1332
; %bb.1331:                             ;   in Loop: Header=BB270_810 Depth=1
	v_and_b32_e32 v19, 7, v16
	v_ffbh_u32_e32 v50, v19
	v_min_u32_e32 v53, 32, v50
	v_subrev_u32_e32 v50, 28, v53
	v_lshlrev_b64 v[50:51], v50, v[16:17]
	v_lshrrev_b32_e32 v52, 3, v39
	v_sub_u32_e32 v51, 29, v53
	v_cmp_gt_u32_e32 vcc, 8, v39
	v_lshlrev_b32_e32 v16, 8, v16
	v_and_b32_e32 v50, 7, v50
	v_cndmask_b32_e32 v39, v52, v51, vcc
	v_lshl_add_u32 v39, v39, 10, v82
	v_and_or_b32 v16, v16, s26, v39
	v_cndmask_b32_e32 v19, v19, v50, vcc
	v_lshlrev_b32_e32 v16, 16, v16
	v_lshl_or_b32 v19, v19, 23, v16
.LBB270_1332:                           ;   in Loop: Header=BB270_810 Depth=1
	s_or_b64 exec, exec, s[22:23]
.LBB270_1333:                           ;   in Loop: Header=BB270_810 Depth=1
	s_or_b64 exec, exec, s[20:21]
.LBB270_1334:                           ;   in Loop: Header=BB270_810 Depth=1
	s_or_b64 exec, exec, s[18:19]
	v_mov_b32_e32 v16, v49
	v_cmp_ne_u16_sdwa s[20:21], v49, v17 src0_sel:BYTE_0 src1_sel:DWORD
	v_mov_b32_e32 v51, 0
	v_mov_b32_e32 v52, 0
	s_and_saveexec_b64 s[18:19], s[20:21]
	s_cbranch_execz .LBB270_1340
; %bb.1335:                             ;   in Loop: Header=BB270_810 Depth=1
	v_cmp_ne_u16_sdwa s[22:23], v49, s24 src0_sel:BYTE_0 src1_sel:DWORD
	v_mov_b32_e32 v52, 0x8000
	s_and_saveexec_b64 s[20:21], s[22:23]
	s_cbranch_execz .LBB270_1339
; %bb.1336:                             ;   in Loop: Header=BB270_810 Depth=1
	v_and_b32_e32 v39, 0x7f, v49
	v_cmp_ne_u32_e32 vcc, s25, v39
	v_mov_b32_e32 v52, 0x7c01
	s_and_saveexec_b64 s[22:23], vcc
	s_cbranch_execz .LBB270_1338
; %bb.1337:                             ;   in Loop: Header=BB270_810 Depth=1
	v_and_b32_e32 v50, 7, v49
	v_ffbh_u32_e32 v52, v50
	v_min_u32_e32 v55, 32, v52
	v_subrev_u32_e32 v52, 28, v55
	v_lshlrev_b64 v[52:53], v52, v[16:17]
	v_lshrrev_b32_e32 v54, 3, v39
	v_sub_u32_e32 v53, 29, v55
	v_cmp_gt_u32_e32 vcc, 8, v39
	v_and_b32_e32 v52, 7, v52
	s_nop 0
	v_cndmask_b32_e32 v39, v54, v53, vcc
	v_lshl_add_u32 v39, v39, 10, v82
	v_lshlrev_b32_e32 v53, 8, v49
	v_and_b32_e32 v39, 0xfc00, v39
	v_cndmask_b32_e32 v50, v50, v52, vcc
	v_and_or_b32 v39, v53, s26, v39
	v_lshl_or_b32 v52, v50, 7, v39
.LBB270_1338:                           ;   in Loop: Header=BB270_810 Depth=1
	s_or_b64 exec, exec, s[22:23]
.LBB270_1339:                           ;   in Loop: Header=BB270_810 Depth=1
	s_or_b64 exec, exec, s[20:21]
.LBB270_1340:                           ;   in Loop: Header=BB270_810 Depth=1
	s_or_b64 exec, exec, s[18:19]
	v_lshrrev_b16_e32 v16, 8, v16
	v_cmp_ne_u16_e32 vcc, 0, v16
	v_mov_b32_e32 v53, 0
	s_and_saveexec_b64 s[18:19], vcc
	s_cbranch_execz .LBB270_1346
; %bb.1341:                             ;   in Loop: Header=BB270_810 Depth=1
	v_cmp_ne_u16_e32 vcc, s24, v16
	v_bfrev_b32_e32 v53, 1
	s_and_saveexec_b64 s[20:21], vcc
	s_cbranch_execz .LBB270_1345
; %bb.1342:                             ;   in Loop: Header=BB270_810 Depth=1
	v_and_b32_e32 v39, 0x7f, v16
	v_cmp_ne_u32_e32 vcc, s25, v39
	v_mov_b32_e32 v53, 0x7c010000
	s_and_saveexec_b64 s[22:23], vcc
	s_cbranch_execz .LBB270_1344
; %bb.1343:                             ;   in Loop: Header=BB270_810 Depth=1
	v_and_b32_e32 v50, 7, v16
	v_ffbh_u32_e32 v54, v50
	v_min_u32_e32 v64, 32, v54
	v_subrev_u32_e32 v54, 28, v64
	v_lshlrev_b64 v[54:55], v54, v[16:17]
	v_lshrrev_b32_e32 v53, 3, v39
	v_sub_u32_e32 v55, 29, v64
	v_cmp_gt_u32_e32 vcc, 8, v39
	v_lshlrev_b32_e32 v16, 8, v16
	s_nop 0
	v_cndmask_b32_e32 v39, v53, v55, vcc
	v_lshl_add_u32 v39, v39, 10, v82
	v_and_b32_e32 v53, 7, v54
	v_and_or_b32 v16, v16, s26, v39
	v_cndmask_b32_e32 v50, v50, v53, vcc
	v_lshlrev_b32_e32 v16, 16, v16
	v_lshl_or_b32 v53, v50, 23, v16
.LBB270_1344:                           ;   in Loop: Header=BB270_810 Depth=1
	s_or_b64 exec, exec, s[22:23]
.LBB270_1345:                           ;   in Loop: Header=BB270_810 Depth=1
	s_or_b64 exec, exec, s[20:21]
.LBB270_1346:                           ;   in Loop: Header=BB270_810 Depth=1
	s_or_b64 exec, exec, s[18:19]
	v_lshrrev_b32_e32 v16, 16, v49
	v_cmp_ne_u16_sdwa s[20:21], v16, v17 src0_sel:BYTE_0 src1_sel:DWORD
	s_and_saveexec_b64 s[18:19], s[20:21]
	s_cbranch_execz .LBB270_1352
; %bb.1347:                             ;   in Loop: Header=BB270_810 Depth=1
	v_cmp_ne_u16_sdwa s[22:23], v16, s24 src0_sel:BYTE_0 src1_sel:DWORD
	v_mov_b32_e32 v51, 0x8000
	s_and_saveexec_b64 s[20:21], s[22:23]
	s_cbranch_execz .LBB270_1351
; %bb.1348:                             ;   in Loop: Header=BB270_810 Depth=1
	v_bfe_u32 v39, v49, 16, 7
	v_cmp_ne_u32_e32 vcc, s25, v39
	v_mov_b32_e32 v51, 0x7c01
	s_and_saveexec_b64 s[22:23], vcc
	s_cbranch_execz .LBB270_1350
; %bb.1349:                             ;   in Loop: Header=BB270_810 Depth=1
	v_and_b32_e32 v54, 7, v16
	v_ffbh_u32_e32 v50, v54
	v_min_u32_e32 v64, 32, v50
	v_subrev_u32_e32 v50, 28, v64
	v_lshlrev_b64 v[50:51], v50, v[16:17]
	v_lshrrev_b32_e32 v55, 3, v39
	v_sub_u32_e32 v51, 29, v64
	v_cmp_gt_u32_e32 vcc, 8, v39
	v_lshlrev_b32_e32 v16, 8, v16
	v_and_b32_e32 v50, 7, v50
	v_cndmask_b32_e32 v39, v55, v51, vcc
	v_lshl_add_u32 v39, v39, 10, v82
	v_and_b32_e32 v39, 0xfc00, v39
	v_cndmask_b32_e32 v50, v54, v50, vcc
	v_and_or_b32 v16, v16, s26, v39
	v_lshl_or_b32 v51, v50, 7, v16
.LBB270_1350:                           ;   in Loop: Header=BB270_810 Depth=1
	s_or_b64 exec, exec, s[22:23]
.LBB270_1351:                           ;   in Loop: Header=BB270_810 Depth=1
	s_or_b64 exec, exec, s[20:21]
.LBB270_1352:                           ;   in Loop: Header=BB270_810 Depth=1
	s_or_b64 exec, exec, s[18:19]
	v_cmp_lt_u64_e32 vcc, s[6:7], v[48:49]
	v_mov_b32_e32 v48, 0
	s_and_saveexec_b64 s[18:19], vcc
	s_cbranch_execz .LBB270_1358
; %bb.1353:                             ;   in Loop: Header=BB270_810 Depth=1
	v_lshrrev_b32_e32 v16, 24, v49
	v_cmp_ne_u32_e32 vcc, s24, v16
	v_bfrev_b32_e32 v48, 1
	s_and_saveexec_b64 s[20:21], vcc
	s_cbranch_execz .LBB270_1357
; %bb.1354:                             ;   in Loop: Header=BB270_810 Depth=1
	v_and_b32_e32 v39, 0x7f, v16
	v_cmp_ne_u32_e32 vcc, s25, v39
	v_mov_b32_e32 v48, 0x7c010000
	s_and_saveexec_b64 s[22:23], vcc
	s_cbranch_execz .LBB270_1356
; %bb.1355:                             ;   in Loop: Header=BB270_810 Depth=1
	v_and_b32_e32 v50, 7, v16
	v_ffbh_u32_e32 v48, v50
	v_min_u32_e32 v55, 32, v48
	v_subrev_u32_e32 v48, 28, v55
	v_lshlrev_b64 v[48:49], v48, v[16:17]
	v_lshrrev_b32_e32 v54, 3, v39
	v_sub_u32_e32 v49, 29, v55
	v_cmp_gt_u32_e32 vcc, 8, v39
	v_lshlrev_b32_e32 v16, 8, v16
	v_and_b32_e32 v48, 7, v48
	v_cndmask_b32_e32 v39, v54, v49, vcc
	v_lshl_add_u32 v39, v39, 10, v82
	v_and_or_b32 v16, v16, s26, v39
	v_cndmask_b32_e32 v48, v50, v48, vcc
	v_lshlrev_b32_e32 v16, 16, v16
	v_lshl_or_b32 v48, v48, 23, v16
.LBB270_1356:                           ;   in Loop: Header=BB270_810 Depth=1
	s_or_b64 exec, exec, s[22:23]
.LBB270_1357:                           ;   in Loop: Header=BB270_810 Depth=1
	s_or_b64 exec, exec, s[20:21]
.LBB270_1358:                           ;   in Loop: Header=BB270_810 Depth=1
	s_or_b64 exec, exec, s[18:19]
	v_cvt_f32_f16_sdwa v55, v1 dst_sel:DWORD dst_unused:UNUSED_PAD src0_sel:WORD_1
	v_cvt_f32_f16_sdwa v54, v19 dst_sel:DWORD dst_unused:UNUSED_PAD src0_sel:WORD_1
	v_or_b32_e32 v16, v1, v0
	v_or_b32_e32 v18, v19, v18
	v_cvt_f32_f16_e32 v18, v18
	v_cvt_f32_f16_e32 v19, v16
	v_pk_mul_f32 v[0:1], v[38:39], v[54:55] op_sel_hi:[0,1]
	v_cvt_pk_f16_f32 v0, v0, v1
	v_and_b32_e32 v39, 0xffff0000, v0
	v_lshlrev_b32_e32 v16, 16, v0
	v_pk_mul_f32 v[0:1], v[38:39], v[18:19] op_sel_hi:[0,1]
	v_cvt_pk_f16_f32 v0, v0, v1
	v_lshrrev_b32_e32 v49, 16, v0
	v_and_b32_e32 v50, 0xffff, v0
	v_or_b32_e32 v1, v53, v52
	v_or_b32_e32 v0, v48, v51
	v_cvt_f32_f16_e32 v0, v0
	v_cvt_f32_f16_e32 v1, v1
	v_cvt_f32_f16_sdwa v53, v53 dst_sel:DWORD dst_unused:UNUSED_PAD src0_sel:WORD_1
	v_cvt_f32_f16_sdwa v52, v48 dst_sel:DWORD dst_unused:UNUSED_PAD src0_sel:WORD_1
	v_or_b32_e32 v19, v39, v49
	v_pk_mul_f32 v[0:1], v[38:39], v[0:1] op_sel_hi:[0,1]
	v_cvt_pk_f16_f32 v18, v0, v1
	v_pk_mul_f32 v[0:1], v[38:39], v[52:53] op_sel_hi:[0,1]
	v_cvt_pk_f16_f32 v0, v0, v1
	v_and_b32_e32 v51, 0xffff0000, v0
	v_lshlrev_b32_e32 v38, 16, v0
	v_lshrrev_b32_e32 v53, 16, v18
	v_and_b32_e32 v52, 0xffff, v18
	v_or_b32_e32 v48, v16, v50
	v_or_b32_e32 v55, v51, v53
	;; [unrolled: 1-line block ×3, first 2 shown]
	s_and_saveexec_b64 s[18:19], s[2:3]
	s_cbranch_execz .LBB270_1360
; %bb.1359:                             ;   in Loop: Header=BB270_810 Depth=1
	v_cmp_lt_i32_e32 vcc, v80, v13
	s_nop 1
	v_cndmask_b32_e32 v0, 0, v49, vcc
	v_cmp_lt_i32_e32 vcc, v101, v62
	s_nop 1
	v_cndmask_b32_e32 v1, 0, v50, vcc
	;; [unrolled: 3-line block ×3, first 2 shown]
	v_cmp_lt_i32_e32 vcc, v99, v62
	v_or_b32_e32 v19, v0, v18
	s_nop 0
	v_cndmask_b32_e32 v16, 0, v16, vcc
	v_cmp_lt_i32_e32 vcc, v98, v13
	v_or_b32_e32 v48, v1, v16
	s_nop 0
	v_cndmask_b32_e32 v0, 0, v53, vcc
	v_cmp_lt_i32_e32 vcc, v97, v62
	s_nop 1
	v_cndmask_b32_e32 v1, 0, v52, vcc
	v_cmp_lt_i32_e32 vcc, v96, v13
	;; [unrolled: 3-line block ×3, first 2 shown]
	v_or_b32_e32 v55, v0, v16
	s_nop 0
	v_cndmask_b32_e32 v18, 0, v38, vcc
	v_or_b32_e32 v54, v1, v18
.LBB270_1360:                           ;   in Loop: Header=BB270_810 Depth=1
	s_or_b64 exec, exec, s[18:19]
	;;#ASMSTART
	v_pk_mul_f16 v0, v87, v19;

	;;#ASMEND
	;;#ASMSTART
	v_pk_mul_f16 v1, v85, v48;

	;;#ASMEND
	;; [unrolled: 4-line block ×4, first 2 shown]
	s_nop 0
	;;#ASMSTART
	v_pk_add_f16 v0, v0, v1;

	;;#ASMEND
	s_nop 0
	;;#ASMSTART
	v_pk_add_f16 v0, v0, v16;

	;;#ASMEND
	;; [unrolled: 5-line block ×3, first 2 shown]
	v_add_co_u32_e32 v18, vcc, 0x1000, v36
	v_lshrrev_b32_e32 v1, 16, v0
	v_and_b32_e32 v0, 0xffff, v0
	v_addc_co_u32_e32 v19, vcc, 0, v37, vcc
	;;#ASMSTART
	v_cvt_f32_f16 v0, v0;
	;;#ASMEND
	;;#ASMSTART
	v_cvt_f32_f16 v1, v1;
	;;#ASMEND
	flat_load_dwordx2 v[48:49], v[18:19] offset:1536
	flat_load_dword v38, v[22:23]
	v_mov_b32_e32 v19, 0
	v_mov_b32_e32 v18, 0
	s_waitcnt vmcnt(0) lgkmcnt(0)
	v_cmp_ne_u16_sdwa s[20:21], v48, v17 src0_sel:BYTE_0 src1_sel:DWORD
	s_and_saveexec_b64 s[18:19], s[20:21]
	s_cbranch_execz .LBB270_1366
; %bb.1361:                             ;   in Loop: Header=BB270_810 Depth=1
	v_cmp_ne_u16_sdwa s[22:23], v48, s24 src0_sel:BYTE_0 src1_sel:DWORD
	v_mov_b32_e32 v18, 0x8000
	s_and_saveexec_b64 s[20:21], s[22:23]
	s_cbranch_execz .LBB270_1365
; %bb.1362:                             ;   in Loop: Header=BB270_810 Depth=1
	v_and_b32_e32 v16, 0x7f, v48
	v_cmp_ne_u32_e32 vcc, s25, v16
	v_mov_b32_e32 v18, 0x7c01
	s_and_saveexec_b64 s[22:23], vcc
	s_cbranch_execz .LBB270_1364
; %bb.1363:                             ;   in Loop: Header=BB270_810 Depth=1
	v_and_b32_e32 v18, 7, v48
	v_ffbh_u32_e32 v50, v18
	v_min_u32_e32 v52, 32, v50
	v_subrev_u32_e32 v50, 28, v52
	v_lshlrev_b64 v[50:51], v50, v[48:49]
	v_lshrrev_b32_e32 v39, 3, v16
	v_sub_u32_e32 v51, 29, v52
	v_cmp_gt_u32_e32 vcc, 8, v16
	v_and_b32_e32 v50, 7, v50
	s_nop 0
	v_cndmask_b32_e32 v16, v39, v51, vcc
	v_lshl_add_u32 v16, v16, 10, v82
	v_lshlrev_b32_e32 v39, 8, v48
	v_and_b32_e32 v16, 0xfc00, v16
	v_cndmask_b32_e32 v18, v18, v50, vcc
	v_and_or_b32 v16, v39, s26, v16
	v_lshl_or_b32 v18, v18, 7, v16
.LBB270_1364:                           ;   in Loop: Header=BB270_810 Depth=1
	s_or_b64 exec, exec, s[22:23]
.LBB270_1365:                           ;   in Loop: Header=BB270_810 Depth=1
	s_or_b64 exec, exec, s[20:21]
.LBB270_1366:                           ;   in Loop: Header=BB270_810 Depth=1
	s_or_b64 exec, exec, s[18:19]
	v_lshrrev_b16_e32 v16, 8, v48
	v_cmp_ne_u16_e32 vcc, 0, v16
	s_and_saveexec_b64 s[18:19], vcc
	s_cbranch_execz .LBB270_1372
; %bb.1367:                             ;   in Loop: Header=BB270_810 Depth=1
	v_cmp_ne_u16_e32 vcc, s24, v16
	v_bfrev_b32_e32 v19, 1
	s_and_saveexec_b64 s[20:21], vcc
	s_cbranch_execz .LBB270_1371
; %bb.1368:                             ;   in Loop: Header=BB270_810 Depth=1
	v_and_b32_e32 v39, 0x7f, v16
	v_cmp_ne_u32_e32 vcc, s25, v39
	v_mov_b32_e32 v19, 0x7c010000
	s_and_saveexec_b64 s[22:23], vcc
	s_cbranch_execz .LBB270_1370
; %bb.1369:                             ;   in Loop: Header=BB270_810 Depth=1
	v_and_b32_e32 v19, 7, v16
	v_ffbh_u32_e32 v50, v19
	v_min_u32_e32 v53, 32, v50
	v_subrev_u32_e32 v50, 28, v53
	v_lshlrev_b64 v[50:51], v50, v[16:17]
	v_lshrrev_b32_e32 v52, 3, v39
	v_sub_u32_e32 v51, 29, v53
	v_cmp_gt_u32_e32 vcc, 8, v39
	v_lshlrev_b32_e32 v16, 8, v16
	v_and_b32_e32 v50, 7, v50
	v_cndmask_b32_e32 v39, v52, v51, vcc
	v_lshl_add_u32 v39, v39, 10, v82
	v_and_or_b32 v16, v16, s26, v39
	v_cndmask_b32_e32 v19, v19, v50, vcc
	v_lshlrev_b32_e32 v16, 16, v16
	v_lshl_or_b32 v19, v19, 23, v16
.LBB270_1370:                           ;   in Loop: Header=BB270_810 Depth=1
	s_or_b64 exec, exec, s[22:23]
.LBB270_1371:                           ;   in Loop: Header=BB270_810 Depth=1
	s_or_b64 exec, exec, s[20:21]
.LBB270_1372:                           ;   in Loop: Header=BB270_810 Depth=1
	s_or_b64 exec, exec, s[18:19]
	v_lshrrev_b32_e32 v16, 16, v48
	v_cmp_ne_u16_sdwa s[20:21], v16, v17 src0_sel:BYTE_0 src1_sel:DWORD
	v_mov_b32_e32 v50, 0
	v_mov_b32_e32 v39, 0
	s_and_saveexec_b64 s[18:19], s[20:21]
	s_cbranch_execz .LBB270_1378
; %bb.1373:                             ;   in Loop: Header=BB270_810 Depth=1
	v_cmp_ne_u16_sdwa s[22:23], v16, s24 src0_sel:BYTE_0 src1_sel:DWORD
	v_mov_b32_e32 v39, 0x8000
	s_and_saveexec_b64 s[20:21], s[22:23]
	s_cbranch_execz .LBB270_1377
; %bb.1374:                             ;   in Loop: Header=BB270_810 Depth=1
	v_bfe_u32 v51, v48, 16, 7
	v_cmp_ne_u32_e32 vcc, s25, v51
	v_mov_b32_e32 v39, 0x7c01
	s_and_saveexec_b64 s[22:23], vcc
	s_cbranch_execz .LBB270_1376
; %bb.1375:                             ;   in Loop: Header=BB270_810 Depth=1
	v_and_b32_e32 v39, 7, v16
	v_ffbh_u32_e32 v52, v39
	v_min_u32_e32 v55, 32, v52
	v_subrev_u32_e32 v52, 28, v55
	v_lshlrev_b64 v[52:53], v52, v[16:17]
	v_lshrrev_b32_e32 v54, 3, v51
	v_sub_u32_e32 v53, 29, v55
	v_cmp_gt_u32_e32 vcc, 8, v51
	v_lshlrev_b32_e32 v16, 8, v16
	v_and_b32_e32 v52, 7, v52
	v_cndmask_b32_e32 v51, v54, v53, vcc
	v_lshl_add_u32 v51, v51, 10, v82
	v_and_b32_e32 v51, 0xfc00, v51
	v_cndmask_b32_e32 v39, v39, v52, vcc
	v_and_or_b32 v16, v16, s26, v51
	v_lshl_or_b32 v39, v39, 7, v16
.LBB270_1376:                           ;   in Loop: Header=BB270_810 Depth=1
	s_or_b64 exec, exec, s[22:23]
.LBB270_1377:                           ;   in Loop: Header=BB270_810 Depth=1
	s_or_b64 exec, exec, s[20:21]
.LBB270_1378:                           ;   in Loop: Header=BB270_810 Depth=1
	s_or_b64 exec, exec, s[18:19]
	v_cmp_lt_u32_e32 vcc, s7, v48
	s_and_saveexec_b64 s[18:19], vcc
	s_cbranch_execz .LBB270_1384
; %bb.1379:                             ;   in Loop: Header=BB270_810 Depth=1
	v_lshrrev_b32_e32 v16, 24, v48
	v_cmp_ne_u32_e32 vcc, s24, v16
	v_bfrev_b32_e32 v50, 1
	s_and_saveexec_b64 s[20:21], vcc
	s_cbranch_execz .LBB270_1383
; %bb.1380:                             ;   in Loop: Header=BB270_810 Depth=1
	v_and_b32_e32 v51, 0x7f, v16
	v_cmp_ne_u32_e32 vcc, s25, v51
	v_mov_b32_e32 v50, 0x7c010000
	s_and_saveexec_b64 s[22:23], vcc
	s_cbranch_execz .LBB270_1382
; %bb.1381:                             ;   in Loop: Header=BB270_810 Depth=1
	v_and_b32_e32 v50, 7, v16
	v_ffbh_u32_e32 v52, v50
	v_min_u32_e32 v55, 32, v52
	v_subrev_u32_e32 v52, 28, v55
	v_lshlrev_b64 v[52:53], v52, v[16:17]
	v_lshrrev_b32_e32 v54, 3, v51
	v_sub_u32_e32 v53, 29, v55
	v_cmp_gt_u32_e32 vcc, 8, v51
	v_lshlrev_b32_e32 v16, 8, v16
	v_and_b32_e32 v52, 7, v52
	v_cndmask_b32_e32 v51, v54, v53, vcc
	v_lshl_add_u32 v51, v51, 10, v82
	v_and_or_b32 v16, v16, s26, v51
	v_cndmask_b32_e32 v50, v50, v52, vcc
	v_lshlrev_b32_e32 v16, 16, v16
	v_lshl_or_b32 v50, v50, 23, v16
.LBB270_1382:                           ;   in Loop: Header=BB270_810 Depth=1
	s_or_b64 exec, exec, s[22:23]
.LBB270_1383:                           ;   in Loop: Header=BB270_810 Depth=1
	s_or_b64 exec, exec, s[20:21]
.LBB270_1384:                           ;   in Loop: Header=BB270_810 Depth=1
	s_or_b64 exec, exec, s[18:19]
	v_mov_b32_e32 v16, v49
	v_cmp_ne_u16_sdwa s[20:21], v49, v17 src0_sel:BYTE_0 src1_sel:DWORD
	v_mov_b32_e32 v51, 0
	v_mov_b32_e32 v52, 0
	s_and_saveexec_b64 s[18:19], s[20:21]
	s_cbranch_execz .LBB270_1390
; %bb.1385:                             ;   in Loop: Header=BB270_810 Depth=1
	v_cmp_ne_u16_sdwa s[22:23], v49, s24 src0_sel:BYTE_0 src1_sel:DWORD
	v_mov_b32_e32 v52, 0x8000
	s_and_saveexec_b64 s[20:21], s[22:23]
	s_cbranch_execz .LBB270_1389
; %bb.1386:                             ;   in Loop: Header=BB270_810 Depth=1
	v_and_b32_e32 v53, 0x7f, v49
	v_cmp_ne_u32_e32 vcc, s25, v53
	v_mov_b32_e32 v52, 0x7c01
	s_and_saveexec_b64 s[22:23], vcc
	s_cbranch_execz .LBB270_1388
; %bb.1387:                             ;   in Loop: Header=BB270_810 Depth=1
	v_and_b32_e32 v52, 7, v49
	v_ffbh_u32_e32 v54, v52
	v_min_u32_e32 v65, 32, v54
	v_subrev_u32_e32 v54, 28, v65
	v_lshlrev_b64 v[54:55], v54, v[16:17]
	v_lshrrev_b32_e32 v64, 3, v53
	v_sub_u32_e32 v55, 29, v65
	v_cmp_gt_u32_e32 vcc, 8, v53
	v_and_b32_e32 v54, 7, v54
	s_nop 0
	v_cndmask_b32_e32 v53, v64, v55, vcc
	v_lshl_add_u32 v53, v53, 10, v82
	v_lshlrev_b32_e32 v55, 8, v49
	v_and_b32_e32 v53, 0xfc00, v53
	v_cndmask_b32_e32 v52, v52, v54, vcc
	v_and_or_b32 v53, v55, s26, v53
	v_lshl_or_b32 v52, v52, 7, v53
.LBB270_1388:                           ;   in Loop: Header=BB270_810 Depth=1
	s_or_b64 exec, exec, s[22:23]
.LBB270_1389:                           ;   in Loop: Header=BB270_810 Depth=1
	s_or_b64 exec, exec, s[20:21]
.LBB270_1390:                           ;   in Loop: Header=BB270_810 Depth=1
	s_or_b64 exec, exec, s[18:19]
	v_lshrrev_b16_e32 v16, 8, v16
	v_cmp_ne_u16_e32 vcc, 0, v16
	v_mov_b32_e32 v53, 0
	s_and_saveexec_b64 s[18:19], vcc
	s_cbranch_execz .LBB270_1396
; %bb.1391:                             ;   in Loop: Header=BB270_810 Depth=1
	v_cmp_ne_u16_e32 vcc, s24, v16
	v_bfrev_b32_e32 v53, 1
	s_and_saveexec_b64 s[20:21], vcc
	s_cbranch_execz .LBB270_1395
; %bb.1392:                             ;   in Loop: Header=BB270_810 Depth=1
	v_and_b32_e32 v54, 0x7f, v16
	v_cmp_ne_u32_e32 vcc, s25, v54
	v_mov_b32_e32 v53, 0x7c010000
	s_and_saveexec_b64 s[22:23], vcc
	s_cbranch_execz .LBB270_1394
; %bb.1393:                             ;   in Loop: Header=BB270_810 Depth=1
	v_and_b32_e32 v53, 7, v16
	v_ffbh_u32_e32 v64, v53
	v_min_u32_e32 v66, 32, v64
	v_subrev_u32_e32 v64, 28, v66
	v_lshlrev_b64 v[64:65], v64, v[16:17]
	v_lshrrev_b32_e32 v55, 3, v54
	v_sub_u32_e32 v65, 29, v66
	v_cmp_gt_u32_e32 vcc, 8, v54
	v_lshlrev_b32_e32 v16, 8, v16
	s_nop 0
	v_cndmask_b32_e32 v54, v55, v65, vcc
	v_lshl_add_u32 v54, v54, 10, v82
	v_and_b32_e32 v55, 7, v64
	v_and_or_b32 v16, v16, s26, v54
	v_cndmask_b32_e32 v53, v53, v55, vcc
	v_lshlrev_b32_e32 v16, 16, v16
	v_lshl_or_b32 v53, v53, 23, v16
.LBB270_1394:                           ;   in Loop: Header=BB270_810 Depth=1
	s_or_b64 exec, exec, s[22:23]
.LBB270_1395:                           ;   in Loop: Header=BB270_810 Depth=1
	s_or_b64 exec, exec, s[20:21]
.LBB270_1396:                           ;   in Loop: Header=BB270_810 Depth=1
	s_or_b64 exec, exec, s[18:19]
	v_lshrrev_b32_e32 v16, 16, v49
	v_cmp_ne_u16_sdwa s[20:21], v16, v17 src0_sel:BYTE_0 src1_sel:DWORD
	s_and_saveexec_b64 s[18:19], s[20:21]
	s_cbranch_execz .LBB270_1402
; %bb.1397:                             ;   in Loop: Header=BB270_810 Depth=1
	v_cmp_ne_u16_sdwa s[22:23], v16, s24 src0_sel:BYTE_0 src1_sel:DWORD
	v_mov_b32_e32 v51, 0x8000
	s_and_saveexec_b64 s[20:21], s[22:23]
	s_cbranch_execz .LBB270_1401
; %bb.1398:                             ;   in Loop: Header=BB270_810 Depth=1
	v_bfe_u32 v54, v49, 16, 7
	v_cmp_ne_u32_e32 vcc, s25, v54
	v_mov_b32_e32 v51, 0x7c01
	s_and_saveexec_b64 s[22:23], vcc
	s_cbranch_execz .LBB270_1400
; %bb.1399:                             ;   in Loop: Header=BB270_810 Depth=1
	v_and_b32_e32 v51, 7, v16
	v_ffbh_u32_e32 v64, v51
	v_min_u32_e32 v66, 32, v64
	v_subrev_u32_e32 v64, 28, v66
	v_lshlrev_b64 v[64:65], v64, v[16:17]
	v_lshrrev_b32_e32 v55, 3, v54
	v_sub_u32_e32 v65, 29, v66
	v_cmp_gt_u32_e32 vcc, 8, v54
	v_lshlrev_b32_e32 v16, 8, v16
	s_nop 0
	v_cndmask_b32_e32 v54, v55, v65, vcc
	v_lshl_add_u32 v54, v54, 10, v82
	v_and_b32_e32 v55, 7, v64
	v_and_b32_e32 v54, 0xfc00, v54
	v_cndmask_b32_e32 v51, v51, v55, vcc
	v_and_or_b32 v16, v16, s26, v54
	v_lshl_or_b32 v51, v51, 7, v16
.LBB270_1400:                           ;   in Loop: Header=BB270_810 Depth=1
	s_or_b64 exec, exec, s[22:23]
.LBB270_1401:                           ;   in Loop: Header=BB270_810 Depth=1
	s_or_b64 exec, exec, s[20:21]
.LBB270_1402:                           ;   in Loop: Header=BB270_810 Depth=1
	s_or_b64 exec, exec, s[18:19]
	v_cmp_lt_u64_e32 vcc, s[6:7], v[48:49]
	v_mov_b32_e32 v48, 0
	s_and_saveexec_b64 s[18:19], vcc
	s_cbranch_execz .LBB270_1408
; %bb.1403:                             ;   in Loop: Header=BB270_810 Depth=1
	v_lshrrev_b32_e32 v16, 24, v49
	v_cmp_ne_u32_e32 vcc, s24, v16
	v_bfrev_b32_e32 v48, 1
	s_and_saveexec_b64 s[20:21], vcc
	s_cbranch_execz .LBB270_1407
; %bb.1404:                             ;   in Loop: Header=BB270_810 Depth=1
	v_and_b32_e32 v49, 0x7f, v16
	v_cmp_ne_u32_e32 vcc, s25, v49
	v_mov_b32_e32 v48, 0x7c010000
	s_and_saveexec_b64 s[22:23], vcc
	s_cbranch_execz .LBB270_1406
; %bb.1405:                             ;   in Loop: Header=BB270_810 Depth=1
	v_and_b32_e32 v48, 7, v16
	v_ffbh_u32_e32 v54, v48
	v_min_u32_e32 v65, 32, v54
	v_subrev_u32_e32 v54, 28, v65
	v_lshlrev_b64 v[54:55], v54, v[16:17]
	v_lshrrev_b32_e32 v64, 3, v49
	v_sub_u32_e32 v55, 29, v65
	v_cmp_gt_u32_e32 vcc, 8, v49
	v_lshlrev_b32_e32 v16, 8, v16
	v_and_b32_e32 v54, 7, v54
	v_cndmask_b32_e32 v49, v64, v55, vcc
	v_lshl_add_u32 v49, v49, 10, v82
	v_and_or_b32 v16, v16, s26, v49
	v_cndmask_b32_e32 v48, v48, v54, vcc
	v_lshlrev_b32_e32 v16, 16, v16
	v_lshl_or_b32 v48, v48, 23, v16
.LBB270_1406:                           ;   in Loop: Header=BB270_810 Depth=1
	s_or_b64 exec, exec, s[22:23]
.LBB270_1407:                           ;   in Loop: Header=BB270_810 Depth=1
	s_or_b64 exec, exec, s[20:21]
.LBB270_1408:                           ;   in Loop: Header=BB270_810 Depth=1
	s_or_b64 exec, exec, s[18:19]
	v_cvt_f32_f16_sdwa v55, v19 dst_sel:DWORD dst_unused:UNUSED_PAD src0_sel:WORD_1
	v_cvt_f32_f16_sdwa v54, v50 dst_sel:DWORD dst_unused:UNUSED_PAD src0_sel:WORD_1
	v_or_b32_e32 v16, v19, v18
	v_or_b32_e32 v39, v50, v39
	;; [unrolled: 1-line block ×3, first 2 shown]
	v_pk_mul_f32 v[18:19], v[38:39], v[54:55] op_sel_hi:[0,1]
	v_cvt_f32_f16_e32 v54, v39
	v_cvt_f32_f16_e32 v55, v16
	v_cvt_pk_f16_f32 v16, v18, v19
	v_and_b32_e32 v39, 0xffff0000, v16
	v_lshlrev_b32_e32 v16, 16, v16
	v_pk_mul_f32 v[18:19], v[38:39], v[54:55] op_sel_hi:[0,1]
	v_cvt_pk_f16_f32 v18, v18, v19
	v_lshrrev_b32_e32 v49, 16, v18
	v_and_b32_e32 v50, 0xffff, v18
	v_or_b32_e32 v18, v53, v52
	v_cvt_f32_f16_e32 v54, v51
	v_cvt_f32_f16_e32 v55, v18
	v_cvt_f32_f16_sdwa v53, v53 dst_sel:DWORD dst_unused:UNUSED_PAD src0_sel:WORD_1
	v_cvt_f32_f16_sdwa v52, v48 dst_sel:DWORD dst_unused:UNUSED_PAD src0_sel:WORD_1
	v_or_b32_e32 v19, v39, v49
	v_pk_mul_f32 v[54:55], v[38:39], v[54:55] op_sel_hi:[0,1]
	v_cvt_pk_f16_f32 v18, v54, v55
	v_pk_mul_f32 v[52:53], v[38:39], v[52:53] op_sel_hi:[0,1]
	v_cvt_pk_f16_f32 v38, v52, v53
	v_and_b32_e32 v51, 0xffff0000, v38
	v_lshlrev_b32_e32 v38, 16, v38
	v_lshrrev_b32_e32 v53, 16, v18
	v_and_b32_e32 v52, 0xffff, v18
	v_or_b32_e32 v48, v16, v50
	v_or_b32_e32 v55, v51, v53
	v_or_b32_e32 v54, v38, v52
	s_and_saveexec_b64 s[18:19], s[2:3]
	s_cbranch_execz .LBB270_1410
; %bb.1409:                             ;   in Loop: Header=BB270_810 Depth=1
	v_cmp_lt_i32_e32 vcc, v80, v13
	s_nop 1
	v_cndmask_b32_e32 v18, 0, v49, vcc
	v_cmp_lt_i32_e32 vcc, v101, v62
	s_nop 1
	v_cndmask_b32_e32 v48, 0, v50, vcc
	v_cmp_lt_i32_e32 vcc, v100, v13
	s_nop 1
	v_cndmask_b32_e32 v19, 0, v39, vcc
	v_cmp_lt_i32_e32 vcc, v99, v62
	v_or_b32_e32 v19, v18, v19
	s_nop 0
	v_cndmask_b32_e32 v16, 0, v16, vcc
	v_cmp_lt_i32_e32 vcc, v98, v13
	v_or_b32_e32 v48, v48, v16
	s_nop 0
	v_cndmask_b32_e32 v16, 0, v53, vcc
	v_cmp_lt_i32_e32 vcc, v97, v62
	s_nop 1
	v_cndmask_b32_e32 v18, 0, v52, vcc
	v_cmp_lt_i32_e32 vcc, v96, v13
	;; [unrolled: 3-line block ×3, first 2 shown]
	v_or_b32_e32 v55, v16, v39
	s_nop 0
	v_cndmask_b32_e32 v38, 0, v38, vcc
	v_or_b32_e32 v54, v18, v38
.LBB270_1410:                           ;   in Loop: Header=BB270_810 Depth=1
	s_or_b64 exec, exec, s[18:19]
	;;#ASMSTART
	v_pk_mul_f16 v16, v87, v19;

	;;#ASMEND
	;;#ASMSTART
	v_pk_mul_f16 v18, v85, v48;

	;;#ASMEND
	;; [unrolled: 4-line block ×4, first 2 shown]
	s_nop 0
	;;#ASMSTART
	v_pk_add_f16 v16, v16, v18;

	;;#ASMEND
	s_nop 0
	;;#ASMSTART
	v_pk_add_f16 v16, v16, v19;

	;;#ASMEND
	;; [unrolled: 5-line block ×3, first 2 shown]
	v_add_co_u32_e32 v38, vcc, 0x1000, v36
	v_lshrrev_b32_e32 v19, 16, v16
	s_nop 0
	v_addc_co_u32_e32 v39, vcc, 0, v37, vcc
	v_and_b32_e32 v16, 0xffff, v16
	;;#ASMSTART
	v_cvt_f32_f16 v18, v16;
	;;#ASMEND
	;;#ASMSTART
	v_cvt_f32_f16 v64, v19;
	;;#ASMEND
	flat_load_dwordx2 v[48:49], v[38:39] offset:2048
	s_nop 0
	flat_load_dword v38, v[22:23]
	v_mov_b32_e32 v39, 0
	v_mov_b32_e32 v19, 0
	s_waitcnt vmcnt(0) lgkmcnt(0)
	v_cmp_ne_u16_sdwa s[20:21], v48, v17 src0_sel:BYTE_0 src1_sel:DWORD
	s_and_saveexec_b64 s[18:19], s[20:21]
	s_cbranch_execz .LBB270_1416
; %bb.1411:                             ;   in Loop: Header=BB270_810 Depth=1
	v_cmp_ne_u16_sdwa s[22:23], v48, s24 src0_sel:BYTE_0 src1_sel:DWORD
	v_mov_b32_e32 v19, 0x8000
	s_and_saveexec_b64 s[20:21], s[22:23]
	s_cbranch_execz .LBB270_1415
; %bb.1412:                             ;   in Loop: Header=BB270_810 Depth=1
	v_and_b32_e32 v16, 0x7f, v48
	v_cmp_ne_u32_e32 vcc, s25, v16
	v_mov_b32_e32 v19, 0x7c01
	s_and_saveexec_b64 s[22:23], vcc
	s_cbranch_execz .LBB270_1414
; %bb.1413:                             ;   in Loop: Header=BB270_810 Depth=1
	v_and_b32_e32 v19, 7, v48
	v_ffbh_u32_e32 v50, v19
	v_min_u32_e32 v53, 32, v50
	v_subrev_u32_e32 v50, 28, v53
	v_lshlrev_b64 v[50:51], v50, v[48:49]
	v_lshrrev_b32_e32 v52, 3, v16
	v_sub_u32_e32 v51, 29, v53
	v_cmp_gt_u32_e32 vcc, 8, v16
	v_and_b32_e32 v50, 7, v50
	s_nop 0
	v_cndmask_b32_e32 v16, v52, v51, vcc
	v_lshl_add_u32 v16, v16, 10, v82
	v_lshlrev_b32_e32 v51, 8, v48
	v_and_b32_e32 v16, 0xfc00, v16
	v_cndmask_b32_e32 v19, v19, v50, vcc
	v_and_or_b32 v16, v51, s26, v16
	v_lshl_or_b32 v19, v19, 7, v16
.LBB270_1414:                           ;   in Loop: Header=BB270_810 Depth=1
	s_or_b64 exec, exec, s[22:23]
.LBB270_1415:                           ;   in Loop: Header=BB270_810 Depth=1
	s_or_b64 exec, exec, s[20:21]
.LBB270_1416:                           ;   in Loop: Header=BB270_810 Depth=1
	s_or_b64 exec, exec, s[18:19]
	v_lshrrev_b16_e32 v16, 8, v48
	v_cmp_ne_u16_e32 vcc, 0, v16
	s_and_saveexec_b64 s[18:19], vcc
	s_cbranch_execz .LBB270_1422
; %bb.1417:                             ;   in Loop: Header=BB270_810 Depth=1
	v_cmp_ne_u16_e32 vcc, s24, v16
	v_bfrev_b32_e32 v39, 1
	s_and_saveexec_b64 s[20:21], vcc
	s_cbranch_execz .LBB270_1421
; %bb.1418:                             ;   in Loop: Header=BB270_810 Depth=1
	v_and_b32_e32 v50, 0x7f, v16
	v_cmp_ne_u32_e32 vcc, s25, v50
	v_mov_b32_e32 v39, 0x7c010000
	s_and_saveexec_b64 s[22:23], vcc
	s_cbranch_execz .LBB270_1420
; %bb.1419:                             ;   in Loop: Header=BB270_810 Depth=1
	v_and_b32_e32 v39, 7, v16
	v_ffbh_u32_e32 v52, v39
	v_min_u32_e32 v54, 32, v52
	v_subrev_u32_e32 v52, 28, v54
	v_lshlrev_b64 v[52:53], v52, v[16:17]
	v_lshrrev_b32_e32 v51, 3, v50
	v_sub_u32_e32 v53, 29, v54
	v_cmp_gt_u32_e32 vcc, 8, v50
	v_lshlrev_b32_e32 v16, 8, v16
	s_nop 0
	v_cndmask_b32_e32 v50, v51, v53, vcc
	v_lshl_add_u32 v50, v50, 10, v82
	v_and_b32_e32 v51, 7, v52
	v_and_or_b32 v16, v16, s26, v50
	v_cndmask_b32_e32 v39, v39, v51, vcc
	v_lshlrev_b32_e32 v16, 16, v16
	v_lshl_or_b32 v39, v39, 23, v16
.LBB270_1420:                           ;   in Loop: Header=BB270_810 Depth=1
	s_or_b64 exec, exec, s[22:23]
.LBB270_1421:                           ;   in Loop: Header=BB270_810 Depth=1
	s_or_b64 exec, exec, s[20:21]
.LBB270_1422:                           ;   in Loop: Header=BB270_810 Depth=1
	s_or_b64 exec, exec, s[18:19]
	v_lshrrev_b32_e32 v16, 16, v48
	v_cmp_ne_u16_sdwa s[20:21], v16, v17 src0_sel:BYTE_0 src1_sel:DWORD
	v_mov_b32_e32 v51, 0
	v_mov_b32_e32 v50, 0
	s_and_saveexec_b64 s[18:19], s[20:21]
	s_cbranch_execz .LBB270_1428
; %bb.1423:                             ;   in Loop: Header=BB270_810 Depth=1
	v_cmp_ne_u16_sdwa s[22:23], v16, s24 src0_sel:BYTE_0 src1_sel:DWORD
	v_mov_b32_e32 v50, 0x8000
	s_and_saveexec_b64 s[20:21], s[22:23]
	s_cbranch_execz .LBB270_1427
; %bb.1424:                             ;   in Loop: Header=BB270_810 Depth=1
	v_bfe_u32 v52, v48, 16, 7
	v_cmp_ne_u32_e32 vcc, s25, v52
	v_mov_b32_e32 v50, 0x7c01
	s_and_saveexec_b64 s[22:23], vcc
	s_cbranch_execz .LBB270_1426
; %bb.1425:                             ;   in Loop: Header=BB270_810 Depth=1
	v_and_b32_e32 v50, 7, v16
	v_ffbh_u32_e32 v54, v50
	v_min_u32_e32 v65, 32, v54
	v_subrev_u32_e32 v54, 28, v65
	v_lshlrev_b64 v[54:55], v54, v[16:17]
	v_lshrrev_b32_e32 v53, 3, v52
	v_sub_u32_e32 v55, 29, v65
	v_cmp_gt_u32_e32 vcc, 8, v52
	v_lshlrev_b32_e32 v16, 8, v16
	s_nop 0
	v_cndmask_b32_e32 v52, v53, v55, vcc
	v_lshl_add_u32 v52, v52, 10, v82
	v_and_b32_e32 v53, 7, v54
	v_and_b32_e32 v52, 0xfc00, v52
	v_cndmask_b32_e32 v50, v50, v53, vcc
	v_and_or_b32 v16, v16, s26, v52
	v_lshl_or_b32 v50, v50, 7, v16
.LBB270_1426:                           ;   in Loop: Header=BB270_810 Depth=1
	s_or_b64 exec, exec, s[22:23]
.LBB270_1427:                           ;   in Loop: Header=BB270_810 Depth=1
	s_or_b64 exec, exec, s[20:21]
.LBB270_1428:                           ;   in Loop: Header=BB270_810 Depth=1
	s_or_b64 exec, exec, s[18:19]
	v_cmp_lt_u32_e32 vcc, s7, v48
	s_and_saveexec_b64 s[18:19], vcc
	s_cbranch_execz .LBB270_1434
; %bb.1429:                             ;   in Loop: Header=BB270_810 Depth=1
	v_lshrrev_b32_e32 v16, 24, v48
	v_cmp_ne_u32_e32 vcc, s24, v16
	v_bfrev_b32_e32 v51, 1
	s_and_saveexec_b64 s[20:21], vcc
	s_cbranch_execz .LBB270_1433
; %bb.1430:                             ;   in Loop: Header=BB270_810 Depth=1
	v_and_b32_e32 v52, 0x7f, v16
	v_cmp_ne_u32_e32 vcc, s25, v52
	v_mov_b32_e32 v51, 0x7c010000
	s_and_saveexec_b64 s[22:23], vcc
	s_cbranch_execz .LBB270_1432
; %bb.1431:                             ;   in Loop: Header=BB270_810 Depth=1
	v_and_b32_e32 v51, 7, v16
	v_ffbh_u32_e32 v54, v51
	v_min_u32_e32 v65, 32, v54
	v_subrev_u32_e32 v54, 28, v65
	v_lshlrev_b64 v[54:55], v54, v[16:17]
	v_lshrrev_b32_e32 v53, 3, v52
	v_sub_u32_e32 v55, 29, v65
	v_cmp_gt_u32_e32 vcc, 8, v52
	v_lshlrev_b32_e32 v16, 8, v16
	s_nop 0
	v_cndmask_b32_e32 v52, v53, v55, vcc
	v_lshl_add_u32 v52, v52, 10, v82
	v_and_b32_e32 v53, 7, v54
	v_and_or_b32 v16, v16, s26, v52
	v_cndmask_b32_e32 v51, v51, v53, vcc
	v_lshlrev_b32_e32 v16, 16, v16
	v_lshl_or_b32 v51, v51, 23, v16
.LBB270_1432:                           ;   in Loop: Header=BB270_810 Depth=1
	s_or_b64 exec, exec, s[22:23]
.LBB270_1433:                           ;   in Loop: Header=BB270_810 Depth=1
	s_or_b64 exec, exec, s[20:21]
.LBB270_1434:                           ;   in Loop: Header=BB270_810 Depth=1
	s_or_b64 exec, exec, s[18:19]
	v_mov_b32_e32 v16, v49
	v_cmp_ne_u16_sdwa s[20:21], v49, v17 src0_sel:BYTE_0 src1_sel:DWORD
	v_mov_b32_e32 v52, 0
	v_mov_b32_e32 v53, 0
	s_and_saveexec_b64 s[18:19], s[20:21]
	s_cbranch_execz .LBB270_1440
; %bb.1435:                             ;   in Loop: Header=BB270_810 Depth=1
	v_cmp_ne_u16_sdwa s[22:23], v49, s24 src0_sel:BYTE_0 src1_sel:DWORD
	v_mov_b32_e32 v53, 0x8000
	s_and_saveexec_b64 s[20:21], s[22:23]
	s_cbranch_execz .LBB270_1439
; %bb.1436:                             ;   in Loop: Header=BB270_810 Depth=1
	v_and_b32_e32 v54, 0x7f, v49
	v_cmp_ne_u32_e32 vcc, s25, v54
	v_mov_b32_e32 v53, 0x7c01
	s_and_saveexec_b64 s[22:23], vcc
	s_cbranch_execz .LBB270_1438
; %bb.1437:                             ;   in Loop: Header=BB270_810 Depth=1
	v_and_b32_e32 v53, 7, v49
	v_ffbh_u32_e32 v65, v53
	v_min_u32_e32 v65, 32, v65
	v_lshrrev_b32_e32 v55, 3, v54
	v_subrev_u32_e32 v66, 28, v65
	v_sub_u32_e32 v65, 29, v65
	v_cmp_gt_u32_e32 vcc, 8, v54
	v_lshlrev_b64 v[58:59], v66, v[16:17]
	s_nop 0
	v_cndmask_b32_e32 v54, v55, v65, vcc
	v_lshl_add_u32 v54, v54, 10, v82
	v_lshlrev_b32_e32 v55, 8, v49
	v_and_b32_e32 v65, 7, v58
	v_and_b32_e32 v54, 0xfc00, v54
	v_cndmask_b32_e32 v53, v53, v65, vcc
	v_and_or_b32 v54, v55, s26, v54
	v_lshl_or_b32 v53, v53, 7, v54
.LBB270_1438:                           ;   in Loop: Header=BB270_810 Depth=1
	s_or_b64 exec, exec, s[22:23]
.LBB270_1439:                           ;   in Loop: Header=BB270_810 Depth=1
	s_or_b64 exec, exec, s[20:21]
.LBB270_1440:                           ;   in Loop: Header=BB270_810 Depth=1
	s_or_b64 exec, exec, s[18:19]
	v_lshrrev_b16_e32 v16, 8, v16
	v_cmp_ne_u16_e32 vcc, 0, v16
	v_mov_b32_e32 v54, 0
	s_and_saveexec_b64 s[18:19], vcc
	s_cbranch_execz .LBB270_1446
; %bb.1441:                             ;   in Loop: Header=BB270_810 Depth=1
	v_cmp_ne_u16_e32 vcc, s24, v16
	v_bfrev_b32_e32 v54, 1
	s_and_saveexec_b64 s[20:21], vcc
	s_cbranch_execz .LBB270_1445
; %bb.1442:                             ;   in Loop: Header=BB270_810 Depth=1
	v_and_b32_e32 v55, 0x7f, v16
	v_cmp_ne_u32_e32 vcc, s25, v55
	v_mov_b32_e32 v54, 0x7c010000
	s_and_saveexec_b64 s[22:23], vcc
	s_cbranch_execz .LBB270_1444
; %bb.1443:                             ;   in Loop: Header=BB270_810 Depth=1
	v_and_b32_e32 v54, 7, v16
	v_ffbh_u32_e32 v66, v54
	v_min_u32_e32 v66, 32, v66
	v_lshrrev_b32_e32 v65, 3, v55
	v_subrev_u32_e32 v58, 28, v66
	v_sub_u32_e32 v66, 29, v66
	v_cmp_gt_u32_e32 vcc, 8, v55
	v_lshlrev_b64 v[58:59], v58, v[16:17]
	v_lshlrev_b32_e32 v16, 8, v16
	v_cndmask_b32_e32 v55, v65, v66, vcc
	v_lshl_add_u32 v55, v55, 10, v82
	v_and_b32_e32 v65, 7, v58
	v_and_or_b32 v16, v16, s26, v55
	v_cndmask_b32_e32 v54, v54, v65, vcc
	v_lshlrev_b32_e32 v16, 16, v16
	v_lshl_or_b32 v54, v54, 23, v16
.LBB270_1444:                           ;   in Loop: Header=BB270_810 Depth=1
	s_or_b64 exec, exec, s[22:23]
.LBB270_1445:                           ;   in Loop: Header=BB270_810 Depth=1
	s_or_b64 exec, exec, s[20:21]
.LBB270_1446:                           ;   in Loop: Header=BB270_810 Depth=1
	s_or_b64 exec, exec, s[18:19]
	v_lshrrev_b32_e32 v16, 16, v49
	v_cmp_ne_u16_sdwa s[20:21], v16, v17 src0_sel:BYTE_0 src1_sel:DWORD
	s_and_saveexec_b64 s[18:19], s[20:21]
	s_cbranch_execz .LBB270_1452
; %bb.1447:                             ;   in Loop: Header=BB270_810 Depth=1
	v_cmp_ne_u16_sdwa s[22:23], v16, s24 src0_sel:BYTE_0 src1_sel:DWORD
	v_mov_b32_e32 v52, 0x8000
	s_and_saveexec_b64 s[20:21], s[22:23]
	s_cbranch_execz .LBB270_1451
; %bb.1448:                             ;   in Loop: Header=BB270_810 Depth=1
	v_bfe_u32 v55, v49, 16, 7
	v_cmp_ne_u32_e32 vcc, s25, v55
	v_mov_b32_e32 v52, 0x7c01
	s_and_saveexec_b64 s[22:23], vcc
	s_cbranch_execz .LBB270_1450
; %bb.1449:                             ;   in Loop: Header=BB270_810 Depth=1
	v_and_b32_e32 v52, 7, v16
	v_ffbh_u32_e32 v66, v52
	v_min_u32_e32 v66, 32, v66
	v_lshrrev_b32_e32 v65, 3, v55
	v_subrev_u32_e32 v58, 28, v66
	v_sub_u32_e32 v66, 29, v66
	v_cmp_gt_u32_e32 vcc, 8, v55
	v_lshlrev_b64 v[58:59], v58, v[16:17]
	v_lshlrev_b32_e32 v16, 8, v16
	v_cndmask_b32_e32 v55, v65, v66, vcc
	v_lshl_add_u32 v55, v55, 10, v82
	v_and_b32_e32 v65, 7, v58
	v_and_b32_e32 v55, 0xfc00, v55
	v_cndmask_b32_e32 v52, v52, v65, vcc
	v_and_or_b32 v16, v16, s26, v55
	v_lshl_or_b32 v52, v52, 7, v16
.LBB270_1450:                           ;   in Loop: Header=BB270_810 Depth=1
	s_or_b64 exec, exec, s[22:23]
.LBB270_1451:                           ;   in Loop: Header=BB270_810 Depth=1
	s_or_b64 exec, exec, s[20:21]
.LBB270_1452:                           ;   in Loop: Header=BB270_810 Depth=1
	s_or_b64 exec, exec, s[18:19]
	v_cmp_lt_u64_e32 vcc, s[6:7], v[48:49]
	v_mov_b32_e32 v48, 0
	s_and_saveexec_b64 s[18:19], vcc
	s_cbranch_execz .LBB270_1458
; %bb.1453:                             ;   in Loop: Header=BB270_810 Depth=1
	v_lshrrev_b32_e32 v16, 24, v49
	v_cmp_ne_u32_e32 vcc, s24, v16
	v_bfrev_b32_e32 v48, 1
	s_and_saveexec_b64 s[20:21], vcc
	s_cbranch_execz .LBB270_1457
; %bb.1454:                             ;   in Loop: Header=BB270_810 Depth=1
	v_and_b32_e32 v49, 0x7f, v16
	v_cmp_ne_u32_e32 vcc, s25, v49
	v_mov_b32_e32 v48, 0x7c010000
	s_and_saveexec_b64 s[22:23], vcc
	s_cbranch_execz .LBB270_1456
; %bb.1455:                             ;   in Loop: Header=BB270_810 Depth=1
	v_and_b32_e32 v48, 7, v16
	v_ffbh_u32_e32 v65, v48
	v_min_u32_e32 v65, 32, v65
	v_lshrrev_b32_e32 v55, 3, v49
	v_subrev_u32_e32 v66, 28, v65
	v_sub_u32_e32 v65, 29, v65
	v_cmp_gt_u32_e32 vcc, 8, v49
	v_lshlrev_b64 v[58:59], v66, v[16:17]
	v_lshlrev_b32_e32 v16, 8, v16
	v_cndmask_b32_e32 v49, v55, v65, vcc
	v_lshl_add_u32 v49, v49, 10, v82
	v_and_b32_e32 v55, 7, v58
	v_and_or_b32 v16, v16, s26, v49
	v_cndmask_b32_e32 v48, v48, v55, vcc
	v_lshlrev_b32_e32 v16, 16, v16
	v_lshl_or_b32 v48, v48, 23, v16
.LBB270_1456:                           ;   in Loop: Header=BB270_810 Depth=1
	s_or_b64 exec, exec, s[22:23]
.LBB270_1457:                           ;   in Loop: Header=BB270_810 Depth=1
	s_or_b64 exec, exec, s[20:21]
.LBB270_1458:                           ;   in Loop: Header=BB270_810 Depth=1
	s_or_b64 exec, exec, s[18:19]
	v_cvt_f32_f16_sdwa v59, v39 dst_sel:DWORD dst_unused:UNUSED_PAD src0_sel:WORD_1
	v_cvt_f32_f16_sdwa v58, v51 dst_sel:DWORD dst_unused:UNUSED_PAD src0_sel:WORD_1
	v_or_b32_e32 v16, v39, v19
	v_or_b32_e32 v19, v51, v50
	;; [unrolled: 1-line block ×3, first 2 shown]
	v_pk_mul_f32 v[50:51], v[38:39], v[58:59] op_sel_hi:[0,1]
	v_cvt_f32_f16_e32 v58, v19
	v_cvt_f32_f16_e32 v59, v16
	v_cvt_pk_f16_f32 v16, v50, v51
	v_and_b32_e32 v39, 0xffff0000, v16
	v_cvt_f32_f16_e32 v52, v52
	v_pk_mul_f32 v[50:51], v[38:39], v[58:59] op_sel_hi:[0,1]
	v_cvt_pk_f16_f32 v19, v50, v51
	v_or_b32_e32 v51, v54, v53
	v_cvt_f32_f16_e32 v53, v51
	v_cvt_f32_f16_sdwa v55, v54 dst_sel:DWORD dst_unused:UNUSED_PAD src0_sel:WORD_1
	v_cvt_f32_f16_sdwa v54, v48 dst_sel:DWORD dst_unused:UNUSED_PAD src0_sel:WORD_1
	v_lshlrev_b32_e32 v16, 16, v16
	v_pk_mul_f32 v[52:53], v[38:39], v[52:53] op_sel_hi:[0,1]
	v_cvt_pk_f16_f32 v65, v52, v53
	v_pk_mul_f32 v[52:53], v[38:39], v[54:55] op_sel_hi:[0,1]
	v_cvt_pk_f16_f32 v38, v52, v53
	v_lshrrev_b32_e32 v49, 16, v19
	v_and_b32_e32 v50, 0xffff, v19
	v_and_b32_e32 v51, 0xffff0000, v38
	v_lshlrev_b32_e32 v38, 16, v38
	v_lshrrev_b32_e32 v53, 16, v65
	v_and_b32_e32 v52, 0xffff, v65
	v_or_b32_e32 v19, v39, v49
	v_or_b32_e32 v48, v16, v50
	v_or_b32_e32 v55, v51, v53
	v_or_b32_e32 v54, v38, v52
	s_and_saveexec_b64 s[18:19], s[2:3]
	s_cbranch_execz .LBB270_1460
; %bb.1459:                             ;   in Loop: Header=BB270_810 Depth=1
	v_cmp_lt_i32_e32 vcc, v80, v13
	s_nop 1
	v_cndmask_b32_e32 v19, 0, v49, vcc
	v_cmp_lt_i32_e32 vcc, v101, v62
	s_nop 1
	v_cndmask_b32_e32 v48, 0, v50, vcc
	v_cmp_lt_i32_e32 vcc, v100, v13
	s_nop 1
	v_cndmask_b32_e32 v39, 0, v39, vcc
	v_cmp_lt_i32_e32 vcc, v99, v62
	v_or_b32_e32 v19, v19, v39
	s_nop 0
	v_cndmask_b32_e32 v16, 0, v16, vcc
	v_cmp_lt_i32_e32 vcc, v98, v13
	v_or_b32_e32 v48, v48, v16
	s_nop 0
	v_cndmask_b32_e32 v16, 0, v53, vcc
	v_cmp_lt_i32_e32 vcc, v97, v62
	s_nop 1
	v_cndmask_b32_e32 v39, 0, v52, vcc
	v_cmp_lt_i32_e32 vcc, v96, v13
	;; [unrolled: 3-line block ×3, first 2 shown]
	v_or_b32_e32 v55, v16, v49
	s_nop 0
	v_cndmask_b32_e32 v38, 0, v38, vcc
	v_or_b32_e32 v54, v39, v38
.LBB270_1460:                           ;   in Loop: Header=BB270_810 Depth=1
	s_or_b64 exec, exec, s[18:19]
	;;#ASMSTART
	v_pk_mul_f16 v16, v87, v19;

	;;#ASMEND
	;;#ASMSTART
	v_pk_mul_f16 v19, v85, v48;

	;;#ASMEND
	;; [unrolled: 4-line block ×4, first 2 shown]
	s_nop 0
	;;#ASMSTART
	v_pk_add_f16 v16, v16, v19;

	;;#ASMEND
	s_nop 0
	;;#ASMSTART
	v_pk_add_f16 v16, v16, v38;

	;;#ASMEND
	v_add_co_u32_e32 v38, vcc, 0x1000, v36
	;;#ASMSTART
	v_pk_add_f16 v16, v16, v39;

	;;#ASMEND
	s_nop 1
	v_addc_co_u32_e32 v39, vcc, 0, v37, vcc
	v_lshrrev_b32_e32 v19, 16, v16
	v_and_b32_e32 v16, 0xffff, v16
	;;#ASMSTART
	v_cvt_f32_f16 v65, v16;
	;;#ASMEND
	;;#ASMSTART
	v_cvt_f32_f16 v66, v19;
	;;#ASMEND
	flat_load_dwordx2 v[48:49], v[38:39] offset:2560
	s_nop 0
	flat_load_dword v38, v[22:23]
	v_mov_b32_e32 v39, 0
	v_mov_b32_e32 v19, 0
	s_waitcnt vmcnt(0) lgkmcnt(0)
	v_cmp_ne_u16_sdwa s[20:21], v48, v17 src0_sel:BYTE_0 src1_sel:DWORD
	s_and_saveexec_b64 s[18:19], s[20:21]
	s_cbranch_execz .LBB270_1466
; %bb.1461:                             ;   in Loop: Header=BB270_810 Depth=1
	v_cmp_ne_u16_sdwa s[22:23], v48, s24 src0_sel:BYTE_0 src1_sel:DWORD
	v_mov_b32_e32 v19, 0x8000
	s_and_saveexec_b64 s[20:21], s[22:23]
	s_cbranch_execz .LBB270_1465
; %bb.1462:                             ;   in Loop: Header=BB270_810 Depth=1
	v_and_b32_e32 v16, 0x7f, v48
	v_cmp_ne_u32_e32 vcc, s25, v16
	v_mov_b32_e32 v19, 0x7c01
	s_and_saveexec_b64 s[22:23], vcc
	s_cbranch_execz .LBB270_1464
; %bb.1463:                             ;   in Loop: Header=BB270_810 Depth=1
	v_and_b32_e32 v19, 7, v48
	v_ffbh_u32_e32 v50, v19
	v_min_u32_e32 v53, 32, v50
	v_subrev_u32_e32 v50, 28, v53
	v_lshlrev_b64 v[50:51], v50, v[48:49]
	v_lshrrev_b32_e32 v52, 3, v16
	v_sub_u32_e32 v51, 29, v53
	v_cmp_gt_u32_e32 vcc, 8, v16
	v_and_b32_e32 v50, 7, v50
	s_nop 0
	v_cndmask_b32_e32 v16, v52, v51, vcc
	v_lshl_add_u32 v16, v16, 10, v82
	v_lshlrev_b32_e32 v51, 8, v48
	v_and_b32_e32 v16, 0xfc00, v16
	v_cndmask_b32_e32 v19, v19, v50, vcc
	v_and_or_b32 v16, v51, s26, v16
	v_lshl_or_b32 v19, v19, 7, v16
.LBB270_1464:                           ;   in Loop: Header=BB270_810 Depth=1
	s_or_b64 exec, exec, s[22:23]
.LBB270_1465:                           ;   in Loop: Header=BB270_810 Depth=1
	s_or_b64 exec, exec, s[20:21]
.LBB270_1466:                           ;   in Loop: Header=BB270_810 Depth=1
	s_or_b64 exec, exec, s[18:19]
	v_lshrrev_b16_e32 v16, 8, v48
	v_cmp_ne_u16_e32 vcc, 0, v16
	s_and_saveexec_b64 s[18:19], vcc
	s_cbranch_execz .LBB270_1472
; %bb.1467:                             ;   in Loop: Header=BB270_810 Depth=1
	v_cmp_ne_u16_e32 vcc, s24, v16
	v_bfrev_b32_e32 v39, 1
	s_and_saveexec_b64 s[20:21], vcc
	s_cbranch_execz .LBB270_1471
; %bb.1468:                             ;   in Loop: Header=BB270_810 Depth=1
	v_and_b32_e32 v50, 0x7f, v16
	v_cmp_ne_u32_e32 vcc, s25, v50
	v_mov_b32_e32 v39, 0x7c010000
	s_and_saveexec_b64 s[22:23], vcc
	s_cbranch_execz .LBB270_1470
; %bb.1469:                             ;   in Loop: Header=BB270_810 Depth=1
	v_and_b32_e32 v39, 7, v16
	v_ffbh_u32_e32 v52, v39
	v_min_u32_e32 v54, 32, v52
	v_subrev_u32_e32 v52, 28, v54
	v_lshlrev_b64 v[52:53], v52, v[16:17]
	v_lshrrev_b32_e32 v51, 3, v50
	v_sub_u32_e32 v53, 29, v54
	v_cmp_gt_u32_e32 vcc, 8, v50
	v_lshlrev_b32_e32 v16, 8, v16
	s_nop 0
	v_cndmask_b32_e32 v50, v51, v53, vcc
	v_lshl_add_u32 v50, v50, 10, v82
	v_and_b32_e32 v51, 7, v52
	v_and_or_b32 v16, v16, s26, v50
	v_cndmask_b32_e32 v39, v39, v51, vcc
	v_lshlrev_b32_e32 v16, 16, v16
	v_lshl_or_b32 v39, v39, 23, v16
.LBB270_1470:                           ;   in Loop: Header=BB270_810 Depth=1
	s_or_b64 exec, exec, s[22:23]
.LBB270_1471:                           ;   in Loop: Header=BB270_810 Depth=1
	s_or_b64 exec, exec, s[20:21]
.LBB270_1472:                           ;   in Loop: Header=BB270_810 Depth=1
	s_or_b64 exec, exec, s[18:19]
	v_lshrrev_b32_e32 v16, 16, v48
	v_cmp_ne_u16_sdwa s[20:21], v16, v17 src0_sel:BYTE_0 src1_sel:DWORD
	v_mov_b32_e32 v51, 0
	v_mov_b32_e32 v50, 0
	s_and_saveexec_b64 s[18:19], s[20:21]
	s_cbranch_execz .LBB270_1478
; %bb.1473:                             ;   in Loop: Header=BB270_810 Depth=1
	v_cmp_ne_u16_sdwa s[22:23], v16, s24 src0_sel:BYTE_0 src1_sel:DWORD
	v_mov_b32_e32 v50, 0x8000
	s_and_saveexec_b64 s[20:21], s[22:23]
	s_cbranch_execz .LBB270_1477
; %bb.1474:                             ;   in Loop: Header=BB270_810 Depth=1
	v_bfe_u32 v52, v48, 16, 7
	v_cmp_ne_u32_e32 vcc, s25, v52
	v_mov_b32_e32 v50, 0x7c01
	s_and_saveexec_b64 s[22:23], vcc
	s_cbranch_execz .LBB270_1476
; %bb.1475:                             ;   in Loop: Header=BB270_810 Depth=1
	v_and_b32_e32 v50, 7, v16
	v_ffbh_u32_e32 v54, v50
	v_min_u32_e32 v58, 32, v54
	v_subrev_u32_e32 v54, 28, v58
	v_lshlrev_b64 v[54:55], v54, v[16:17]
	v_lshrrev_b32_e32 v53, 3, v52
	v_sub_u32_e32 v55, 29, v58
	v_cmp_gt_u32_e32 vcc, 8, v52
	v_lshlrev_b32_e32 v16, 8, v16
	s_nop 0
	v_cndmask_b32_e32 v52, v53, v55, vcc
	v_lshl_add_u32 v52, v52, 10, v82
	v_and_b32_e32 v53, 7, v54
	v_and_b32_e32 v52, 0xfc00, v52
	v_cndmask_b32_e32 v50, v50, v53, vcc
	v_and_or_b32 v16, v16, s26, v52
	v_lshl_or_b32 v50, v50, 7, v16
.LBB270_1476:                           ;   in Loop: Header=BB270_810 Depth=1
	s_or_b64 exec, exec, s[22:23]
.LBB270_1477:                           ;   in Loop: Header=BB270_810 Depth=1
	s_or_b64 exec, exec, s[20:21]
.LBB270_1478:                           ;   in Loop: Header=BB270_810 Depth=1
	s_or_b64 exec, exec, s[18:19]
	v_cmp_lt_u32_e32 vcc, s7, v48
	s_and_saveexec_b64 s[18:19], vcc
	s_cbranch_execz .LBB270_1484
; %bb.1479:                             ;   in Loop: Header=BB270_810 Depth=1
	v_lshrrev_b32_e32 v16, 24, v48
	v_cmp_ne_u32_e32 vcc, s24, v16
	v_bfrev_b32_e32 v51, 1
	s_and_saveexec_b64 s[20:21], vcc
	s_cbranch_execz .LBB270_1483
; %bb.1480:                             ;   in Loop: Header=BB270_810 Depth=1
	v_and_b32_e32 v52, 0x7f, v16
	v_cmp_ne_u32_e32 vcc, s25, v52
	v_mov_b32_e32 v51, 0x7c010000
	s_and_saveexec_b64 s[22:23], vcc
	s_cbranch_execz .LBB270_1482
; %bb.1481:                             ;   in Loop: Header=BB270_810 Depth=1
	v_and_b32_e32 v51, 7, v16
	v_ffbh_u32_e32 v54, v51
	v_min_u32_e32 v58, 32, v54
	v_subrev_u32_e32 v54, 28, v58
	v_lshlrev_b64 v[54:55], v54, v[16:17]
	v_lshrrev_b32_e32 v53, 3, v52
	v_sub_u32_e32 v55, 29, v58
	v_cmp_gt_u32_e32 vcc, 8, v52
	v_lshlrev_b32_e32 v16, 8, v16
	s_nop 0
	v_cndmask_b32_e32 v52, v53, v55, vcc
	v_lshl_add_u32 v52, v52, 10, v82
	v_and_b32_e32 v53, 7, v54
	v_and_or_b32 v16, v16, s26, v52
	v_cndmask_b32_e32 v51, v51, v53, vcc
	v_lshlrev_b32_e32 v16, 16, v16
	v_lshl_or_b32 v51, v51, 23, v16
.LBB270_1482:                           ;   in Loop: Header=BB270_810 Depth=1
	s_or_b64 exec, exec, s[22:23]
.LBB270_1483:                           ;   in Loop: Header=BB270_810 Depth=1
	s_or_b64 exec, exec, s[20:21]
.LBB270_1484:                           ;   in Loop: Header=BB270_810 Depth=1
	s_or_b64 exec, exec, s[18:19]
	v_mov_b32_e32 v16, v49
	v_cmp_ne_u16_sdwa s[20:21], v49, v17 src0_sel:BYTE_0 src1_sel:DWORD
	v_mov_b32_e32 v52, 0
	v_mov_b32_e32 v53, 0
	s_and_saveexec_b64 s[18:19], s[20:21]
	s_cbranch_execz .LBB270_1490
; %bb.1485:                             ;   in Loop: Header=BB270_810 Depth=1
	v_cmp_ne_u16_sdwa s[22:23], v49, s24 src0_sel:BYTE_0 src1_sel:DWORD
	v_mov_b32_e32 v53, 0x8000
	s_and_saveexec_b64 s[20:21], s[22:23]
	s_cbranch_execz .LBB270_1489
; %bb.1486:                             ;   in Loop: Header=BB270_810 Depth=1
	v_and_b32_e32 v54, 0x7f, v49
	v_cmp_ne_u32_e32 vcc, s25, v54
	v_mov_b32_e32 v53, 0x7c01
	s_and_saveexec_b64 s[22:23], vcc
	s_cbranch_execz .LBB270_1488
; %bb.1487:                             ;   in Loop: Header=BB270_810 Depth=1
	v_and_b32_e32 v53, 7, v49
	v_ffbh_u32_e32 v58, v53
	v_min_u32_e32 v60, 32, v58
	v_subrev_u32_e32 v58, 28, v60
	v_lshlrev_b64 v[58:59], v58, v[16:17]
	v_lshrrev_b32_e32 v55, 3, v54
	v_sub_u32_e32 v59, 29, v60
	v_cmp_gt_u32_e32 vcc, 8, v54
	v_and_b32_e32 v58, 7, v58
	s_nop 0
	v_cndmask_b32_e32 v54, v55, v59, vcc
	v_lshl_add_u32 v54, v54, 10, v82
	v_lshlrev_b32_e32 v55, 8, v49
	v_and_b32_e32 v54, 0xfc00, v54
	v_cndmask_b32_e32 v53, v53, v58, vcc
	v_and_or_b32 v54, v55, s26, v54
	v_lshl_or_b32 v53, v53, 7, v54
.LBB270_1488:                           ;   in Loop: Header=BB270_810 Depth=1
	s_or_b64 exec, exec, s[22:23]
.LBB270_1489:                           ;   in Loop: Header=BB270_810 Depth=1
	s_or_b64 exec, exec, s[20:21]
.LBB270_1490:                           ;   in Loop: Header=BB270_810 Depth=1
	s_or_b64 exec, exec, s[18:19]
	v_lshrrev_b16_e32 v16, 8, v16
	v_cmp_ne_u16_e32 vcc, 0, v16
	v_mov_b32_e32 v54, 0
	s_and_saveexec_b64 s[18:19], vcc
	s_cbranch_execz .LBB270_1496
; %bb.1491:                             ;   in Loop: Header=BB270_810 Depth=1
	v_cmp_ne_u16_e32 vcc, s24, v16
	v_bfrev_b32_e32 v54, 1
	s_and_saveexec_b64 s[20:21], vcc
	s_cbranch_execz .LBB270_1495
; %bb.1492:                             ;   in Loop: Header=BB270_810 Depth=1
	v_and_b32_e32 v55, 0x7f, v16
	v_cmp_ne_u32_e32 vcc, s25, v55
	v_mov_b32_e32 v54, 0x7c010000
	s_and_saveexec_b64 s[22:23], vcc
	s_cbranch_execz .LBB270_1494
; %bb.1493:                             ;   in Loop: Header=BB270_810 Depth=1
	v_and_b32_e32 v54, 7, v16
	v_ffbh_u32_e32 v58, v54
	v_min_u32_e32 v61, 32, v58
	v_subrev_u32_e32 v58, 28, v61
	v_lshlrev_b64 v[58:59], v58, v[16:17]
	v_lshrrev_b32_e32 v60, 3, v55
	v_sub_u32_e32 v59, 29, v61
	v_cmp_gt_u32_e32 vcc, 8, v55
	v_lshlrev_b32_e32 v16, 8, v16
	v_and_b32_e32 v58, 7, v58
	v_cndmask_b32_e32 v55, v60, v59, vcc
	v_lshl_add_u32 v55, v55, 10, v82
	v_and_or_b32 v16, v16, s26, v55
	v_cndmask_b32_e32 v54, v54, v58, vcc
	v_lshlrev_b32_e32 v16, 16, v16
	v_lshl_or_b32 v54, v54, 23, v16
.LBB270_1494:                           ;   in Loop: Header=BB270_810 Depth=1
	s_or_b64 exec, exec, s[22:23]
.LBB270_1495:                           ;   in Loop: Header=BB270_810 Depth=1
	s_or_b64 exec, exec, s[20:21]
.LBB270_1496:                           ;   in Loop: Header=BB270_810 Depth=1
	s_or_b64 exec, exec, s[18:19]
	v_lshrrev_b32_e32 v16, 16, v49
	v_cmp_ne_u16_sdwa s[20:21], v16, v17 src0_sel:BYTE_0 src1_sel:DWORD
	s_and_saveexec_b64 s[18:19], s[20:21]
	s_cbranch_execz .LBB270_1502
; %bb.1497:                             ;   in Loop: Header=BB270_810 Depth=1
	v_cmp_ne_u16_sdwa s[22:23], v16, s24 src0_sel:BYTE_0 src1_sel:DWORD
	v_mov_b32_e32 v52, 0x8000
	s_and_saveexec_b64 s[20:21], s[22:23]
	s_cbranch_execz .LBB270_1501
; %bb.1498:                             ;   in Loop: Header=BB270_810 Depth=1
	v_bfe_u32 v55, v49, 16, 7
	v_cmp_ne_u32_e32 vcc, s25, v55
	v_mov_b32_e32 v52, 0x7c01
	s_and_saveexec_b64 s[22:23], vcc
	s_cbranch_execz .LBB270_1500
; %bb.1499:                             ;   in Loop: Header=BB270_810 Depth=1
	v_and_b32_e32 v52, 7, v16
	v_ffbh_u32_e32 v58, v52
	v_min_u32_e32 v61, 32, v58
	v_subrev_u32_e32 v58, 28, v61
	v_lshlrev_b64 v[58:59], v58, v[16:17]
	v_lshrrev_b32_e32 v60, 3, v55
	v_sub_u32_e32 v59, 29, v61
	v_cmp_gt_u32_e32 vcc, 8, v55
	v_lshlrev_b32_e32 v16, 8, v16
	v_and_b32_e32 v58, 7, v58
	v_cndmask_b32_e32 v55, v60, v59, vcc
	v_lshl_add_u32 v55, v55, 10, v82
	v_and_b32_e32 v55, 0xfc00, v55
	v_cndmask_b32_e32 v52, v52, v58, vcc
	v_and_or_b32 v16, v16, s26, v55
	v_lshl_or_b32 v52, v52, 7, v16
.LBB270_1500:                           ;   in Loop: Header=BB270_810 Depth=1
	s_or_b64 exec, exec, s[22:23]
.LBB270_1501:                           ;   in Loop: Header=BB270_810 Depth=1
	s_or_b64 exec, exec, s[20:21]
.LBB270_1502:                           ;   in Loop: Header=BB270_810 Depth=1
	s_or_b64 exec, exec, s[18:19]
	v_cmp_lt_u64_e32 vcc, s[6:7], v[48:49]
	v_mov_b32_e32 v48, 0
	s_and_saveexec_b64 s[18:19], vcc
	s_cbranch_execz .LBB270_1508
; %bb.1503:                             ;   in Loop: Header=BB270_810 Depth=1
	v_lshrrev_b32_e32 v16, 24, v49
	v_cmp_ne_u32_e32 vcc, s24, v16
	v_bfrev_b32_e32 v48, 1
	s_and_saveexec_b64 s[20:21], vcc
	s_cbranch_execz .LBB270_1507
; %bb.1504:                             ;   in Loop: Header=BB270_810 Depth=1
	v_and_b32_e32 v49, 0x7f, v16
	v_cmp_ne_u32_e32 vcc, s25, v49
	v_mov_b32_e32 v48, 0x7c010000
	s_and_saveexec_b64 s[22:23], vcc
	s_cbranch_execz .LBB270_1506
; %bb.1505:                             ;   in Loop: Header=BB270_810 Depth=1
	v_and_b32_e32 v48, 7, v16
	v_ffbh_u32_e32 v58, v48
	v_min_u32_e32 v60, 32, v58
	v_subrev_u32_e32 v58, 28, v60
	v_lshlrev_b64 v[58:59], v58, v[16:17]
	v_lshrrev_b32_e32 v55, 3, v49
	v_sub_u32_e32 v59, 29, v60
	v_cmp_gt_u32_e32 vcc, 8, v49
	v_lshlrev_b32_e32 v16, 8, v16
	s_nop 0
	v_cndmask_b32_e32 v49, v55, v59, vcc
	v_lshl_add_u32 v49, v49, 10, v82
	v_and_b32_e32 v55, 7, v58
	v_and_or_b32 v16, v16, s26, v49
	v_cndmask_b32_e32 v48, v48, v55, vcc
	v_lshlrev_b32_e32 v16, 16, v16
	v_lshl_or_b32 v48, v48, 23, v16
.LBB270_1506:                           ;   in Loop: Header=BB270_810 Depth=1
	s_or_b64 exec, exec, s[22:23]
.LBB270_1507:                           ;   in Loop: Header=BB270_810 Depth=1
	s_or_b64 exec, exec, s[20:21]
.LBB270_1508:                           ;   in Loop: Header=BB270_810 Depth=1
	s_or_b64 exec, exec, s[18:19]
	v_cvt_f32_f16_sdwa v59, v39 dst_sel:DWORD dst_unused:UNUSED_PAD src0_sel:WORD_1
	v_cvt_f32_f16_sdwa v58, v51 dst_sel:DWORD dst_unused:UNUSED_PAD src0_sel:WORD_1
	v_or_b32_e32 v16, v39, v19
	v_or_b32_e32 v19, v51, v50
	;; [unrolled: 1-line block ×3, first 2 shown]
	v_pk_mul_f32 v[50:51], v[38:39], v[58:59] op_sel_hi:[0,1]
	v_cvt_f32_f16_e32 v58, v19
	v_cvt_f32_f16_e32 v59, v16
	v_cvt_pk_f16_f32 v16, v50, v51
	v_and_b32_e32 v39, 0xffff0000, v16
	v_cvt_f32_f16_e32 v52, v52
	v_pk_mul_f32 v[50:51], v[38:39], v[58:59] op_sel_hi:[0,1]
	v_cvt_pk_f16_f32 v19, v50, v51
	v_or_b32_e32 v51, v54, v53
	v_cvt_f32_f16_e32 v53, v51
	v_cvt_f32_f16_sdwa v55, v54 dst_sel:DWORD dst_unused:UNUSED_PAD src0_sel:WORD_1
	v_cvt_f32_f16_sdwa v54, v48 dst_sel:DWORD dst_unused:UNUSED_PAD src0_sel:WORD_1
	v_lshlrev_b32_e32 v16, 16, v16
	v_pk_mul_f32 v[52:53], v[38:39], v[52:53] op_sel_hi:[0,1]
	v_cvt_pk_f16_f32 v58, v52, v53
	v_pk_mul_f32 v[52:53], v[38:39], v[54:55] op_sel_hi:[0,1]
	v_cvt_pk_f16_f32 v38, v52, v53
	v_lshrrev_b32_e32 v49, 16, v19
	v_and_b32_e32 v50, 0xffff, v19
	v_and_b32_e32 v51, 0xffff0000, v38
	v_lshlrev_b32_e32 v38, 16, v38
	v_lshrrev_b32_e32 v53, 16, v58
	v_and_b32_e32 v52, 0xffff, v58
	v_or_b32_e32 v19, v39, v49
	v_or_b32_e32 v48, v16, v50
	;; [unrolled: 1-line block ×4, first 2 shown]
	s_and_saveexec_b64 s[18:19], s[2:3]
	s_cbranch_execz .LBB270_1510
; %bb.1509:                             ;   in Loop: Header=BB270_810 Depth=1
	v_cmp_lt_i32_e32 vcc, v80, v13
	s_nop 1
	v_cndmask_b32_e32 v19, 0, v49, vcc
	v_cmp_lt_i32_e32 vcc, v101, v62
	s_nop 1
	v_cndmask_b32_e32 v48, 0, v50, vcc
	;; [unrolled: 3-line block ×3, first 2 shown]
	v_cmp_lt_i32_e32 vcc, v99, v62
	v_or_b32_e32 v19, v19, v39
	s_nop 0
	v_cndmask_b32_e32 v16, 0, v16, vcc
	v_cmp_lt_i32_e32 vcc, v98, v13
	v_or_b32_e32 v48, v48, v16
	s_nop 0
	v_cndmask_b32_e32 v16, 0, v53, vcc
	v_cmp_lt_i32_e32 vcc, v97, v62
	s_nop 1
	v_cndmask_b32_e32 v39, 0, v52, vcc
	v_cmp_lt_i32_e32 vcc, v96, v13
	;; [unrolled: 3-line block ×3, first 2 shown]
	v_or_b32_e32 v55, v16, v49
	s_nop 0
	v_cndmask_b32_e32 v38, 0, v38, vcc
	v_or_b32_e32 v54, v39, v38
.LBB270_1510:                           ;   in Loop: Header=BB270_810 Depth=1
	s_or_b64 exec, exec, s[18:19]
	;;#ASMSTART
	v_pk_mul_f16 v16, v87, v19;

	;;#ASMEND
	;;#ASMSTART
	v_pk_mul_f16 v19, v85, v48;

	;;#ASMEND
	;; [unrolled: 4-line block ×4, first 2 shown]
	v_add_co_u32_e32 v36, vcc, 0x1000, v36
	;;#ASMSTART
	v_pk_add_f16 v16, v16, v19;

	;;#ASMEND
	s_nop 0
	;;#ASMSTART
	v_pk_add_f16 v16, v16, v38;

	;;#ASMEND
	s_nop 0
	v_addc_co_u32_e32 v37, vcc, 0, v37, vcc
	;;#ASMSTART
	v_pk_add_f16 v16, v16, v39;

	;;#ASMEND
	s_nop 0
	v_lshrrev_b32_e32 v19, 16, v16
	v_and_b32_e32 v16, 0xffff, v16
	;;#ASMSTART
	v_cvt_f32_f16 v54, v16;
	;;#ASMEND
	;;#ASMSTART
	v_cvt_f32_f16 v55, v19;
	;;#ASMEND
	flat_load_dwordx2 v[38:39], v[36:37] offset:3072
	s_nop 0
	flat_load_dword v36, v[22:23]
	v_mov_b32_e32 v37, 0
	v_mov_b32_e32 v19, 0
	s_waitcnt vmcnt(0) lgkmcnt(0)
	v_cmp_ne_u16_sdwa s[20:21], v38, v17 src0_sel:BYTE_0 src1_sel:DWORD
	s_and_saveexec_b64 s[18:19], s[20:21]
	s_cbranch_execz .LBB270_1516
; %bb.1511:                             ;   in Loop: Header=BB270_810 Depth=1
	v_cmp_ne_u16_sdwa s[22:23], v38, s24 src0_sel:BYTE_0 src1_sel:DWORD
	v_mov_b32_e32 v19, 0x8000
	s_and_saveexec_b64 s[20:21], s[22:23]
	s_cbranch_execz .LBB270_1515
; %bb.1512:                             ;   in Loop: Header=BB270_810 Depth=1
	v_and_b32_e32 v16, 0x7f, v38
	v_cmp_ne_u32_e32 vcc, s25, v16
	v_mov_b32_e32 v19, 0x7c01
	s_and_saveexec_b64 s[22:23], vcc
	s_cbranch_execz .LBB270_1514
; %bb.1513:                             ;   in Loop: Header=BB270_810 Depth=1
	v_and_b32_e32 v19, 7, v38
	v_ffbh_u32_e32 v48, v19
	v_min_u32_e32 v51, 32, v48
	v_subrev_u32_e32 v48, 28, v51
	v_lshlrev_b64 v[48:49], v48, v[38:39]
	v_lshrrev_b32_e32 v50, 3, v16
	v_sub_u32_e32 v49, 29, v51
	v_cmp_gt_u32_e32 vcc, 8, v16
	v_and_b32_e32 v48, 7, v48
	s_nop 0
	v_cndmask_b32_e32 v16, v50, v49, vcc
	v_lshl_add_u32 v16, v16, 10, v82
	v_lshlrev_b32_e32 v49, 8, v38
	v_and_b32_e32 v16, 0xfc00, v16
	v_cndmask_b32_e32 v19, v19, v48, vcc
	v_and_or_b32 v16, v49, s26, v16
	v_lshl_or_b32 v19, v19, 7, v16
.LBB270_1514:                           ;   in Loop: Header=BB270_810 Depth=1
	s_or_b64 exec, exec, s[22:23]
.LBB270_1515:                           ;   in Loop: Header=BB270_810 Depth=1
	s_or_b64 exec, exec, s[20:21]
.LBB270_1516:                           ;   in Loop: Header=BB270_810 Depth=1
	s_or_b64 exec, exec, s[18:19]
	v_lshrrev_b16_e32 v16, 8, v38
	v_cmp_ne_u16_e32 vcc, 0, v16
	s_and_saveexec_b64 s[18:19], vcc
	s_cbranch_execz .LBB270_1522
; %bb.1517:                             ;   in Loop: Header=BB270_810 Depth=1
	v_cmp_ne_u16_e32 vcc, s24, v16
	v_bfrev_b32_e32 v37, 1
	s_and_saveexec_b64 s[20:21], vcc
	s_cbranch_execz .LBB270_1521
; %bb.1518:                             ;   in Loop: Header=BB270_810 Depth=1
	v_and_b32_e32 v48, 0x7f, v16
	v_cmp_ne_u32_e32 vcc, s25, v48
	v_mov_b32_e32 v37, 0x7c010000
	s_and_saveexec_b64 s[22:23], vcc
	s_cbranch_execz .LBB270_1520
; %bb.1519:                             ;   in Loop: Header=BB270_810 Depth=1
	v_and_b32_e32 v37, 7, v16
	v_ffbh_u32_e32 v50, v37
	v_min_u32_e32 v52, 32, v50
	v_subrev_u32_e32 v50, 28, v52
	v_lshlrev_b64 v[50:51], v50, v[16:17]
	v_lshrrev_b32_e32 v49, 3, v48
	v_sub_u32_e32 v51, 29, v52
	v_cmp_gt_u32_e32 vcc, 8, v48
	v_lshlrev_b32_e32 v16, 8, v16
	s_nop 0
	v_cndmask_b32_e32 v48, v49, v51, vcc
	v_lshl_add_u32 v48, v48, 10, v82
	v_and_b32_e32 v49, 7, v50
	v_and_or_b32 v16, v16, s26, v48
	v_cndmask_b32_e32 v37, v37, v49, vcc
	v_lshlrev_b32_e32 v16, 16, v16
	v_lshl_or_b32 v37, v37, 23, v16
.LBB270_1520:                           ;   in Loop: Header=BB270_810 Depth=1
	s_or_b64 exec, exec, s[22:23]
.LBB270_1521:                           ;   in Loop: Header=BB270_810 Depth=1
	s_or_b64 exec, exec, s[20:21]
.LBB270_1522:                           ;   in Loop: Header=BB270_810 Depth=1
	s_or_b64 exec, exec, s[18:19]
	v_lshrrev_b32_e32 v16, 16, v38
	v_cmp_ne_u16_sdwa s[20:21], v16, v17 src0_sel:BYTE_0 src1_sel:DWORD
	v_mov_b32_e32 v49, 0
	v_mov_b32_e32 v48, 0
	s_and_saveexec_b64 s[18:19], s[20:21]
	s_cbranch_execz .LBB270_1528
; %bb.1523:                             ;   in Loop: Header=BB270_810 Depth=1
	v_cmp_ne_u16_sdwa s[22:23], v16, s24 src0_sel:BYTE_0 src1_sel:DWORD
	v_mov_b32_e32 v48, 0x8000
	s_and_saveexec_b64 s[20:21], s[22:23]
	s_cbranch_execz .LBB270_1527
; %bb.1524:                             ;   in Loop: Header=BB270_810 Depth=1
	v_bfe_u32 v50, v38, 16, 7
	v_cmp_ne_u32_e32 vcc, s25, v50
	v_mov_b32_e32 v48, 0x7c01
	s_and_saveexec_b64 s[22:23], vcc
	s_cbranch_execz .LBB270_1526
; %bb.1525:                             ;   in Loop: Header=BB270_810 Depth=1
	v_and_b32_e32 v48, 7, v16
	v_ffbh_u32_e32 v52, v48
	v_min_u32_e32 v58, 32, v52
	v_subrev_u32_e32 v52, 28, v58
	v_lshlrev_b64 v[52:53], v52, v[16:17]
	v_lshrrev_b32_e32 v51, 3, v50
	v_sub_u32_e32 v53, 29, v58
	v_cmp_gt_u32_e32 vcc, 8, v50
	v_lshlrev_b32_e32 v16, 8, v16
	s_nop 0
	v_cndmask_b32_e32 v50, v51, v53, vcc
	v_lshl_add_u32 v50, v50, 10, v82
	v_and_b32_e32 v51, 7, v52
	v_and_b32_e32 v50, 0xfc00, v50
	v_cndmask_b32_e32 v48, v48, v51, vcc
	v_and_or_b32 v16, v16, s26, v50
	v_lshl_or_b32 v48, v48, 7, v16
.LBB270_1526:                           ;   in Loop: Header=BB270_810 Depth=1
	s_or_b64 exec, exec, s[22:23]
.LBB270_1527:                           ;   in Loop: Header=BB270_810 Depth=1
	s_or_b64 exec, exec, s[20:21]
.LBB270_1528:                           ;   in Loop: Header=BB270_810 Depth=1
	s_or_b64 exec, exec, s[18:19]
	v_cmp_lt_u32_e32 vcc, s7, v38
	s_and_saveexec_b64 s[18:19], vcc
	s_cbranch_execz .LBB270_1534
; %bb.1529:                             ;   in Loop: Header=BB270_810 Depth=1
	v_lshrrev_b32_e32 v16, 24, v38
	v_cmp_ne_u32_e32 vcc, s24, v16
	v_bfrev_b32_e32 v49, 1
	s_and_saveexec_b64 s[20:21], vcc
	s_cbranch_execz .LBB270_1533
; %bb.1530:                             ;   in Loop: Header=BB270_810 Depth=1
	v_and_b32_e32 v50, 0x7f, v16
	v_cmp_ne_u32_e32 vcc, s25, v50
	v_mov_b32_e32 v49, 0x7c010000
	s_and_saveexec_b64 s[22:23], vcc
	s_cbranch_execz .LBB270_1532
; %bb.1531:                             ;   in Loop: Header=BB270_810 Depth=1
	v_and_b32_e32 v49, 7, v16
	v_ffbh_u32_e32 v52, v49
	v_min_u32_e32 v58, 32, v52
	v_subrev_u32_e32 v52, 28, v58
	v_lshlrev_b64 v[52:53], v52, v[16:17]
	v_lshrrev_b32_e32 v51, 3, v50
	v_sub_u32_e32 v53, 29, v58
	v_cmp_gt_u32_e32 vcc, 8, v50
	v_lshlrev_b32_e32 v16, 8, v16
	s_nop 0
	v_cndmask_b32_e32 v50, v51, v53, vcc
	v_lshl_add_u32 v50, v50, 10, v82
	v_and_b32_e32 v51, 7, v52
	v_and_or_b32 v16, v16, s26, v50
	v_cndmask_b32_e32 v49, v49, v51, vcc
	v_lshlrev_b32_e32 v16, 16, v16
	v_lshl_or_b32 v49, v49, 23, v16
.LBB270_1532:                           ;   in Loop: Header=BB270_810 Depth=1
	s_or_b64 exec, exec, s[22:23]
.LBB270_1533:                           ;   in Loop: Header=BB270_810 Depth=1
	s_or_b64 exec, exec, s[20:21]
.LBB270_1534:                           ;   in Loop: Header=BB270_810 Depth=1
	s_or_b64 exec, exec, s[18:19]
	v_mov_b32_e32 v16, v39
	v_cmp_ne_u16_sdwa s[20:21], v39, v17 src0_sel:BYTE_0 src1_sel:DWORD
	v_mov_b32_e32 v50, 0
	v_mov_b32_e32 v51, 0
	s_and_saveexec_b64 s[18:19], s[20:21]
	s_cbranch_execz .LBB270_1540
; %bb.1535:                             ;   in Loop: Header=BB270_810 Depth=1
	v_cmp_ne_u16_sdwa s[22:23], v39, s24 src0_sel:BYTE_0 src1_sel:DWORD
	v_mov_b32_e32 v51, 0x8000
	s_and_saveexec_b64 s[20:21], s[22:23]
	s_cbranch_execz .LBB270_1539
; %bb.1536:                             ;   in Loop: Header=BB270_810 Depth=1
	v_and_b32_e32 v52, 0x7f, v39
	v_cmp_ne_u32_e32 vcc, s25, v52
	v_mov_b32_e32 v51, 0x7c01
	s_and_saveexec_b64 s[22:23], vcc
	s_cbranch_execz .LBB270_1538
; %bb.1537:                             ;   in Loop: Header=BB270_810 Depth=1
	v_and_b32_e32 v51, 7, v39
	v_ffbh_u32_e32 v58, v51
	v_min_u32_e32 v60, 32, v58
	v_subrev_u32_e32 v58, 28, v60
	v_lshlrev_b64 v[58:59], v58, v[16:17]
	v_lshrrev_b32_e32 v53, 3, v52
	v_sub_u32_e32 v59, 29, v60
	v_cmp_gt_u32_e32 vcc, 8, v52
	v_and_b32_e32 v58, 7, v58
	s_nop 0
	v_cndmask_b32_e32 v52, v53, v59, vcc
	v_lshl_add_u32 v52, v52, 10, v82
	v_lshlrev_b32_e32 v53, 8, v39
	v_and_b32_e32 v52, 0xfc00, v52
	v_cndmask_b32_e32 v51, v51, v58, vcc
	v_and_or_b32 v52, v53, s26, v52
	v_lshl_or_b32 v51, v51, 7, v52
.LBB270_1538:                           ;   in Loop: Header=BB270_810 Depth=1
	s_or_b64 exec, exec, s[22:23]
.LBB270_1539:                           ;   in Loop: Header=BB270_810 Depth=1
	s_or_b64 exec, exec, s[20:21]
.LBB270_1540:                           ;   in Loop: Header=BB270_810 Depth=1
	s_or_b64 exec, exec, s[18:19]
	v_lshrrev_b16_e32 v16, 8, v16
	v_cmp_ne_u16_e32 vcc, 0, v16
	v_mov_b32_e32 v52, 0
	s_and_saveexec_b64 s[18:19], vcc
	s_cbranch_execz .LBB270_1546
; %bb.1541:                             ;   in Loop: Header=BB270_810 Depth=1
	v_cmp_ne_u16_e32 vcc, s24, v16
	v_bfrev_b32_e32 v52, 1
	s_and_saveexec_b64 s[20:21], vcc
	s_cbranch_execz .LBB270_1545
; %bb.1542:                             ;   in Loop: Header=BB270_810 Depth=1
	v_and_b32_e32 v53, 0x7f, v16
	v_cmp_ne_u32_e32 vcc, s25, v53
	v_mov_b32_e32 v52, 0x7c010000
	s_and_saveexec_b64 s[22:23], vcc
	s_cbranch_execz .LBB270_1544
; %bb.1543:                             ;   in Loop: Header=BB270_810 Depth=1
	v_and_b32_e32 v52, 7, v16
	v_ffbh_u32_e32 v58, v52
	v_min_u32_e32 v61, 32, v58
	v_subrev_u32_e32 v58, 28, v61
	v_lshlrev_b64 v[58:59], v58, v[16:17]
	v_lshrrev_b32_e32 v60, 3, v53
	v_sub_u32_e32 v59, 29, v61
	v_cmp_gt_u32_e32 vcc, 8, v53
	v_lshlrev_b32_e32 v16, 8, v16
	v_and_b32_e32 v58, 7, v58
	v_cndmask_b32_e32 v53, v60, v59, vcc
	v_lshl_add_u32 v53, v53, 10, v82
	v_and_or_b32 v16, v16, s26, v53
	v_cndmask_b32_e32 v52, v52, v58, vcc
	v_lshlrev_b32_e32 v16, 16, v16
	v_lshl_or_b32 v52, v52, 23, v16
.LBB270_1544:                           ;   in Loop: Header=BB270_810 Depth=1
	s_or_b64 exec, exec, s[22:23]
.LBB270_1545:                           ;   in Loop: Header=BB270_810 Depth=1
	s_or_b64 exec, exec, s[20:21]
.LBB270_1546:                           ;   in Loop: Header=BB270_810 Depth=1
	s_or_b64 exec, exec, s[18:19]
	v_lshrrev_b32_e32 v16, 16, v39
	v_cmp_ne_u16_sdwa s[20:21], v16, v17 src0_sel:BYTE_0 src1_sel:DWORD
	s_and_saveexec_b64 s[18:19], s[20:21]
	s_cbranch_execz .LBB270_1552
; %bb.1547:                             ;   in Loop: Header=BB270_810 Depth=1
	v_cmp_ne_u16_sdwa s[22:23], v16, s24 src0_sel:BYTE_0 src1_sel:DWORD
	v_mov_b32_e32 v50, 0x8000
	s_and_saveexec_b64 s[20:21], s[22:23]
	s_cbranch_execz .LBB270_1551
; %bb.1548:                             ;   in Loop: Header=BB270_810 Depth=1
	v_bfe_u32 v53, v39, 16, 7
	v_cmp_ne_u32_e32 vcc, s25, v53
	v_mov_b32_e32 v50, 0x7c01
	s_and_saveexec_b64 s[22:23], vcc
	s_cbranch_execz .LBB270_1550
; %bb.1549:                             ;   in Loop: Header=BB270_810 Depth=1
	v_and_b32_e32 v50, 7, v16
	v_ffbh_u32_e32 v58, v50
	v_min_u32_e32 v61, 32, v58
	v_subrev_u32_e32 v58, 28, v61
	v_lshlrev_b64 v[58:59], v58, v[16:17]
	v_lshrrev_b32_e32 v60, 3, v53
	v_sub_u32_e32 v59, 29, v61
	v_cmp_gt_u32_e32 vcc, 8, v53
	v_lshlrev_b32_e32 v16, 8, v16
	v_and_b32_e32 v58, 7, v58
	v_cndmask_b32_e32 v53, v60, v59, vcc
	v_lshl_add_u32 v53, v53, 10, v82
	v_and_b32_e32 v53, 0xfc00, v53
	v_cndmask_b32_e32 v50, v50, v58, vcc
	v_and_or_b32 v16, v16, s26, v53
	v_lshl_or_b32 v50, v50, 7, v16
.LBB270_1550:                           ;   in Loop: Header=BB270_810 Depth=1
	s_or_b64 exec, exec, s[22:23]
.LBB270_1551:                           ;   in Loop: Header=BB270_810 Depth=1
	s_or_b64 exec, exec, s[20:21]
.LBB270_1552:                           ;   in Loop: Header=BB270_810 Depth=1
	s_or_b64 exec, exec, s[18:19]
	v_cmp_lt_u64_e32 vcc, s[6:7], v[38:39]
	v_mov_b32_e32 v38, 0
	s_and_saveexec_b64 s[18:19], vcc
	s_cbranch_execz .LBB270_1558
; %bb.1553:                             ;   in Loop: Header=BB270_810 Depth=1
	v_lshrrev_b32_e32 v16, 24, v39
	v_cmp_ne_u32_e32 vcc, s24, v16
	v_bfrev_b32_e32 v38, 1
	s_and_saveexec_b64 s[20:21], vcc
	s_cbranch_execz .LBB270_1557
; %bb.1554:                             ;   in Loop: Header=BB270_810 Depth=1
	v_and_b32_e32 v39, 0x7f, v16
	v_cmp_ne_u32_e32 vcc, s25, v39
	v_mov_b32_e32 v38, 0x7c010000
	s_and_saveexec_b64 s[22:23], vcc
	s_cbranch_execz .LBB270_1556
; %bb.1555:                             ;   in Loop: Header=BB270_810 Depth=1
	v_and_b32_e32 v38, 7, v16
	v_ffbh_u32_e32 v58, v38
	v_min_u32_e32 v60, 32, v58
	v_subrev_u32_e32 v58, 28, v60
	v_lshlrev_b64 v[58:59], v58, v[16:17]
	v_lshrrev_b32_e32 v53, 3, v39
	v_sub_u32_e32 v59, 29, v60
	v_cmp_gt_u32_e32 vcc, 8, v39
	v_lshlrev_b32_e32 v16, 8, v16
	s_nop 0
	v_cndmask_b32_e32 v39, v53, v59, vcc
	v_lshl_add_u32 v39, v39, 10, v82
	v_and_b32_e32 v53, 7, v58
	v_and_or_b32 v16, v16, s26, v39
	v_cndmask_b32_e32 v38, v38, v53, vcc
	v_lshlrev_b32_e32 v16, 16, v16
	v_lshl_or_b32 v38, v38, 23, v16
.LBB270_1556:                           ;   in Loop: Header=BB270_810 Depth=1
	s_or_b64 exec, exec, s[22:23]
.LBB270_1557:                           ;   in Loop: Header=BB270_810 Depth=1
	s_or_b64 exec, exec, s[20:21]
.LBB270_1558:                           ;   in Loop: Header=BB270_810 Depth=1
	s_or_b64 exec, exec, s[18:19]
	v_cvt_f32_f16_sdwa v59, v37 dst_sel:DWORD dst_unused:UNUSED_PAD src0_sel:WORD_1
	v_cvt_f32_f16_sdwa v58, v49 dst_sel:DWORD dst_unused:UNUSED_PAD src0_sel:WORD_1
	v_or_b32_e32 v16, v37, v19
	v_or_b32_e32 v19, v49, v48
	;; [unrolled: 1-line block ×3, first 2 shown]
	v_pk_mul_f32 v[48:49], v[36:37], v[58:59] op_sel_hi:[0,1]
	v_cvt_f32_f16_e32 v58, v19
	v_cvt_f32_f16_e32 v59, v16
	v_cvt_pk_f16_f32 v16, v48, v49
	v_and_b32_e32 v37, 0xffff0000, v16
	v_cvt_f32_f16_e32 v50, v50
	v_pk_mul_f32 v[48:49], v[36:37], v[58:59] op_sel_hi:[0,1]
	v_cvt_pk_f16_f32 v19, v48, v49
	v_or_b32_e32 v49, v52, v51
	v_cvt_f32_f16_e32 v51, v49
	v_cvt_f32_f16_sdwa v53, v52 dst_sel:DWORD dst_unused:UNUSED_PAD src0_sel:WORD_1
	v_cvt_f32_f16_sdwa v52, v38 dst_sel:DWORD dst_unused:UNUSED_PAD src0_sel:WORD_1
	v_lshlrev_b32_e32 v16, 16, v16
	v_pk_mul_f32 v[50:51], v[36:37], v[50:51] op_sel_hi:[0,1]
	v_cvt_pk_f16_f32 v58, v50, v51
	v_pk_mul_f32 v[50:51], v[36:37], v[52:53] op_sel_hi:[0,1]
	v_cvt_pk_f16_f32 v36, v50, v51
	v_lshrrev_b32_e32 v39, 16, v19
	v_and_b32_e32 v48, 0xffff, v19
	v_and_b32_e32 v49, 0xffff0000, v36
	v_lshlrev_b32_e32 v36, 16, v36
	v_lshrrev_b32_e32 v51, 16, v58
	v_and_b32_e32 v50, 0xffff, v58
	v_or_b32_e32 v19, v37, v39
	v_or_b32_e32 v38, v16, v48
	v_or_b32_e32 v53, v49, v51
	v_or_b32_e32 v52, v36, v50
	s_and_saveexec_b64 s[18:19], s[2:3]
	s_cbranch_execz .LBB270_1560
; %bb.1559:                             ;   in Loop: Header=BB270_810 Depth=1
	v_cmp_lt_i32_e32 vcc, v80, v13
	s_nop 1
	v_cndmask_b32_e32 v19, 0, v39, vcc
	v_cmp_lt_i32_e32 vcc, v101, v62
	s_nop 1
	v_cndmask_b32_e32 v38, 0, v48, vcc
	;; [unrolled: 3-line block ×3, first 2 shown]
	v_cmp_lt_i32_e32 vcc, v99, v62
	v_or_b32_e32 v19, v19, v37
	s_nop 0
	v_cndmask_b32_e32 v16, 0, v16, vcc
	v_cmp_lt_i32_e32 vcc, v98, v13
	v_or_b32_e32 v38, v38, v16
	s_nop 0
	v_cndmask_b32_e32 v16, 0, v51, vcc
	v_cmp_lt_i32_e32 vcc, v97, v62
	s_nop 1
	v_cndmask_b32_e32 v37, 0, v50, vcc
	v_cmp_lt_i32_e32 vcc, v96, v13
	;; [unrolled: 3-line block ×3, first 2 shown]
	v_or_b32_e32 v53, v16, v39
	s_nop 0
	v_cndmask_b32_e32 v36, 0, v36, vcc
	v_or_b32_e32 v52, v37, v36
.LBB270_1560:                           ;   in Loop: Header=BB270_810 Depth=1
	s_or_b64 exec, exec, s[18:19]
	;;#ASMSTART
	v_pk_mul_f16 v16, v87, v19;

	;;#ASMEND
	;;#ASMSTART
	v_pk_mul_f16 v19, v85, v38;

	;;#ASMEND
	;; [unrolled: 4-line block ×4, first 2 shown]
	v_lshl_add_u64 v[10:11], v[10:11], 0, v[34:35]
	;;#ASMSTART
	v_pk_add_f16 v16, v16, v19;

	;;#ASMEND
	s_nop 0
	;;#ASMSTART
	v_pk_add_f16 v16, v16, v36;

	;;#ASMEND
	s_nop 0
	;; [unrolled: 5-line block ×3, first 2 shown]
	v_lshrrev_b32_e32 v19, 16, v16
	v_and_b32_e32 v16, 0xffff, v16
	;;#ASMSTART
	v_cvt_f32_f16 v52, v16;
	;;#ASMEND
	;;#ASMSTART
	v_cvt_f32_f16 v53, v19;
	;;#ASMEND
	flat_load_dwordx2 v[36:37], v[10:11]
	s_nop 0
	flat_load_dword v10, v[22:23]
	v_mov_b32_e32 v19, 0
	v_mov_b32_e32 v11, 0
	s_waitcnt vmcnt(0) lgkmcnt(0)
	v_cmp_ne_u16_sdwa s[20:21], v36, v17 src0_sel:BYTE_0 src1_sel:DWORD
	s_and_saveexec_b64 s[18:19], s[20:21]
	s_cbranch_execz .LBB270_1566
; %bb.1561:                             ;   in Loop: Header=BB270_810 Depth=1
	v_cmp_ne_u16_sdwa s[22:23], v36, s24 src0_sel:BYTE_0 src1_sel:DWORD
	v_mov_b32_e32 v11, 0x8000
	s_and_saveexec_b64 s[20:21], s[22:23]
	s_cbranch_execz .LBB270_1565
; %bb.1562:                             ;   in Loop: Header=BB270_810 Depth=1
	v_and_b32_e32 v16, 0x7f, v36
	v_cmp_ne_u32_e32 vcc, s25, v16
	v_mov_b32_e32 v11, 0x7c01
	s_and_saveexec_b64 s[22:23], vcc
	s_cbranch_execz .LBB270_1564
; %bb.1563:                             ;   in Loop: Header=BB270_810 Depth=1
	v_and_b32_e32 v11, 7, v36
	v_ffbh_u32_e32 v38, v11
	v_min_u32_e32 v49, 32, v38
	v_subrev_u32_e32 v38, 28, v49
	v_lshlrev_b64 v[38:39], v38, v[36:37]
	v_lshrrev_b32_e32 v48, 3, v16
	v_sub_u32_e32 v39, 29, v49
	v_cmp_gt_u32_e32 vcc, 8, v16
	v_and_b32_e32 v38, 7, v38
	s_nop 0
	v_cndmask_b32_e32 v16, v48, v39, vcc
	v_lshl_add_u32 v16, v16, 10, v82
	v_lshlrev_b32_e32 v39, 8, v36
	v_and_b32_e32 v16, 0xfc00, v16
	v_cndmask_b32_e32 v11, v11, v38, vcc
	v_and_or_b32 v16, v39, s26, v16
	v_lshl_or_b32 v11, v11, 7, v16
.LBB270_1564:                           ;   in Loop: Header=BB270_810 Depth=1
	s_or_b64 exec, exec, s[22:23]
.LBB270_1565:                           ;   in Loop: Header=BB270_810 Depth=1
	s_or_b64 exec, exec, s[20:21]
.LBB270_1566:                           ;   in Loop: Header=BB270_810 Depth=1
	s_or_b64 exec, exec, s[18:19]
	v_lshrrev_b16_e32 v16, 8, v36
	v_cmp_ne_u16_e32 vcc, 0, v16
	s_and_saveexec_b64 s[18:19], vcc
	s_cbranch_execz .LBB270_1572
; %bb.1567:                             ;   in Loop: Header=BB270_810 Depth=1
	v_cmp_ne_u16_e32 vcc, s24, v16
	v_bfrev_b32_e32 v19, 1
	s_and_saveexec_b64 s[20:21], vcc
	s_cbranch_execz .LBB270_1571
; %bb.1568:                             ;   in Loop: Header=BB270_810 Depth=1
	v_and_b32_e32 v38, 0x7f, v16
	v_cmp_ne_u32_e32 vcc, s25, v38
	v_mov_b32_e32 v19, 0x7c010000
	s_and_saveexec_b64 s[22:23], vcc
	s_cbranch_execz .LBB270_1570
; %bb.1569:                             ;   in Loop: Header=BB270_810 Depth=1
	v_and_b32_e32 v19, 7, v16
	v_ffbh_u32_e32 v48, v19
	v_min_u32_e32 v50, 32, v48
	v_subrev_u32_e32 v48, 28, v50
	v_lshlrev_b64 v[48:49], v48, v[16:17]
	v_lshrrev_b32_e32 v39, 3, v38
	v_sub_u32_e32 v49, 29, v50
	v_cmp_gt_u32_e32 vcc, 8, v38
	v_lshlrev_b32_e32 v16, 8, v16
	s_nop 0
	v_cndmask_b32_e32 v38, v39, v49, vcc
	v_lshl_add_u32 v38, v38, 10, v82
	v_and_b32_e32 v39, 7, v48
	v_and_or_b32 v16, v16, s26, v38
	v_cndmask_b32_e32 v19, v19, v39, vcc
	v_lshlrev_b32_e32 v16, 16, v16
	v_lshl_or_b32 v19, v19, 23, v16
.LBB270_1570:                           ;   in Loop: Header=BB270_810 Depth=1
	s_or_b64 exec, exec, s[22:23]
.LBB270_1571:                           ;   in Loop: Header=BB270_810 Depth=1
	s_or_b64 exec, exec, s[20:21]
.LBB270_1572:                           ;   in Loop: Header=BB270_810 Depth=1
	s_or_b64 exec, exec, s[18:19]
	v_lshrrev_b32_e32 v16, 16, v36
	v_cmp_ne_u16_sdwa s[20:21], v16, v17 src0_sel:BYTE_0 src1_sel:DWORD
	v_mov_b32_e32 v39, 0
	v_mov_b32_e32 v38, 0
	s_and_saveexec_b64 s[18:19], s[20:21]
	s_cbranch_execz .LBB270_1578
; %bb.1573:                             ;   in Loop: Header=BB270_810 Depth=1
	v_cmp_ne_u16_sdwa s[22:23], v16, s24 src0_sel:BYTE_0 src1_sel:DWORD
	v_mov_b32_e32 v38, 0x8000
	s_and_saveexec_b64 s[20:21], s[22:23]
	s_cbranch_execz .LBB270_1577
; %bb.1574:                             ;   in Loop: Header=BB270_810 Depth=1
	v_bfe_u32 v48, v36, 16, 7
	v_cmp_ne_u32_e32 vcc, s25, v48
	v_mov_b32_e32 v38, 0x7c01
	s_and_saveexec_b64 s[22:23], vcc
	s_cbranch_execz .LBB270_1576
; %bb.1575:                             ;   in Loop: Header=BB270_810 Depth=1
	v_and_b32_e32 v38, 7, v16
	v_ffbh_u32_e32 v50, v38
	v_min_u32_e32 v58, 32, v50
	v_subrev_u32_e32 v50, 28, v58
	v_lshlrev_b64 v[50:51], v50, v[16:17]
	v_lshrrev_b32_e32 v49, 3, v48
	v_sub_u32_e32 v51, 29, v58
	v_cmp_gt_u32_e32 vcc, 8, v48
	v_lshlrev_b32_e32 v16, 8, v16
	s_nop 0
	v_cndmask_b32_e32 v48, v49, v51, vcc
	v_lshl_add_u32 v48, v48, 10, v82
	v_and_b32_e32 v49, 7, v50
	v_and_b32_e32 v48, 0xfc00, v48
	v_cndmask_b32_e32 v38, v38, v49, vcc
	v_and_or_b32 v16, v16, s26, v48
	v_lshl_or_b32 v38, v38, 7, v16
.LBB270_1576:                           ;   in Loop: Header=BB270_810 Depth=1
	s_or_b64 exec, exec, s[22:23]
.LBB270_1577:                           ;   in Loop: Header=BB270_810 Depth=1
	s_or_b64 exec, exec, s[20:21]
.LBB270_1578:                           ;   in Loop: Header=BB270_810 Depth=1
	s_or_b64 exec, exec, s[18:19]
	v_cmp_lt_u32_e32 vcc, s7, v36
	s_and_saveexec_b64 s[18:19], vcc
	s_cbranch_execz .LBB270_1584
; %bb.1579:                             ;   in Loop: Header=BB270_810 Depth=1
	v_lshrrev_b32_e32 v16, 24, v36
	v_cmp_ne_u32_e32 vcc, s24, v16
	v_bfrev_b32_e32 v39, 1
	s_and_saveexec_b64 s[20:21], vcc
	s_cbranch_execz .LBB270_1583
; %bb.1580:                             ;   in Loop: Header=BB270_810 Depth=1
	v_and_b32_e32 v48, 0x7f, v16
	v_cmp_ne_u32_e32 vcc, s25, v48
	v_mov_b32_e32 v39, 0x7c010000
	s_and_saveexec_b64 s[22:23], vcc
	s_cbranch_execz .LBB270_1582
; %bb.1581:                             ;   in Loop: Header=BB270_810 Depth=1
	v_and_b32_e32 v39, 7, v16
	v_ffbh_u32_e32 v50, v39
	v_min_u32_e32 v58, 32, v50
	v_subrev_u32_e32 v50, 28, v58
	v_lshlrev_b64 v[50:51], v50, v[16:17]
	v_lshrrev_b32_e32 v49, 3, v48
	v_sub_u32_e32 v51, 29, v58
	v_cmp_gt_u32_e32 vcc, 8, v48
	v_lshlrev_b32_e32 v16, 8, v16
	s_nop 0
	v_cndmask_b32_e32 v48, v49, v51, vcc
	v_lshl_add_u32 v48, v48, 10, v82
	v_and_b32_e32 v49, 7, v50
	v_and_or_b32 v16, v16, s26, v48
	v_cndmask_b32_e32 v39, v39, v49, vcc
	v_lshlrev_b32_e32 v16, 16, v16
	v_lshl_or_b32 v39, v39, 23, v16
.LBB270_1582:                           ;   in Loop: Header=BB270_810 Depth=1
	s_or_b64 exec, exec, s[22:23]
.LBB270_1583:                           ;   in Loop: Header=BB270_810 Depth=1
	s_or_b64 exec, exec, s[20:21]
.LBB270_1584:                           ;   in Loop: Header=BB270_810 Depth=1
	s_or_b64 exec, exec, s[18:19]
	v_mov_b32_e32 v16, v37
	v_cmp_ne_u16_sdwa s[20:21], v37, v17 src0_sel:BYTE_0 src1_sel:DWORD
	v_mov_b32_e32 v48, 0
	v_mov_b32_e32 v49, 0
	s_and_saveexec_b64 s[18:19], s[20:21]
	s_cbranch_execz .LBB270_1590
; %bb.1585:                             ;   in Loop: Header=BB270_810 Depth=1
	v_cmp_ne_u16_sdwa s[22:23], v37, s24 src0_sel:BYTE_0 src1_sel:DWORD
	v_mov_b32_e32 v49, 0x8000
	s_and_saveexec_b64 s[20:21], s[22:23]
	s_cbranch_execz .LBB270_1589
; %bb.1586:                             ;   in Loop: Header=BB270_810 Depth=1
	v_and_b32_e32 v50, 0x7f, v37
	v_cmp_ne_u32_e32 vcc, s25, v50
	v_mov_b32_e32 v49, 0x7c01
	s_and_saveexec_b64 s[22:23], vcc
	s_cbranch_execz .LBB270_1588
; %bb.1587:                             ;   in Loop: Header=BB270_810 Depth=1
	v_and_b32_e32 v49, 7, v37
	v_ffbh_u32_e32 v58, v49
	v_min_u32_e32 v60, 32, v58
	v_subrev_u32_e32 v58, 28, v60
	v_lshlrev_b64 v[58:59], v58, v[16:17]
	v_lshrrev_b32_e32 v51, 3, v50
	v_sub_u32_e32 v59, 29, v60
	v_cmp_gt_u32_e32 vcc, 8, v50
	v_and_b32_e32 v58, 7, v58
	s_nop 0
	v_cndmask_b32_e32 v50, v51, v59, vcc
	v_lshl_add_u32 v50, v50, 10, v82
	v_lshlrev_b32_e32 v51, 8, v37
	v_and_b32_e32 v50, 0xfc00, v50
	v_cndmask_b32_e32 v49, v49, v58, vcc
	v_and_or_b32 v50, v51, s26, v50
	v_lshl_or_b32 v49, v49, 7, v50
.LBB270_1588:                           ;   in Loop: Header=BB270_810 Depth=1
	s_or_b64 exec, exec, s[22:23]
.LBB270_1589:                           ;   in Loop: Header=BB270_810 Depth=1
	s_or_b64 exec, exec, s[20:21]
.LBB270_1590:                           ;   in Loop: Header=BB270_810 Depth=1
	s_or_b64 exec, exec, s[18:19]
	v_lshrrev_b16_e32 v16, 8, v16
	v_cmp_ne_u16_e32 vcc, 0, v16
	v_mov_b32_e32 v50, 0
	s_and_saveexec_b64 s[18:19], vcc
	s_cbranch_execz .LBB270_1596
; %bb.1591:                             ;   in Loop: Header=BB270_810 Depth=1
	v_cmp_ne_u16_e32 vcc, s24, v16
	v_bfrev_b32_e32 v50, 1
	s_and_saveexec_b64 s[20:21], vcc
	s_cbranch_execz .LBB270_1595
; %bb.1592:                             ;   in Loop: Header=BB270_810 Depth=1
	v_and_b32_e32 v51, 0x7f, v16
	v_cmp_ne_u32_e32 vcc, s25, v51
	v_mov_b32_e32 v50, 0x7c010000
	s_and_saveexec_b64 s[22:23], vcc
	s_cbranch_execz .LBB270_1594
; %bb.1593:                             ;   in Loop: Header=BB270_810 Depth=1
	v_and_b32_e32 v50, 7, v16
	v_ffbh_u32_e32 v58, v50
	v_min_u32_e32 v61, 32, v58
	v_subrev_u32_e32 v58, 28, v61
	v_lshlrev_b64 v[58:59], v58, v[16:17]
	v_lshrrev_b32_e32 v60, 3, v51
	v_sub_u32_e32 v59, 29, v61
	v_cmp_gt_u32_e32 vcc, 8, v51
	v_lshlrev_b32_e32 v16, 8, v16
	v_and_b32_e32 v58, 7, v58
	v_cndmask_b32_e32 v51, v60, v59, vcc
	v_lshl_add_u32 v51, v51, 10, v82
	v_and_or_b32 v16, v16, s26, v51
	v_cndmask_b32_e32 v50, v50, v58, vcc
	v_lshlrev_b32_e32 v16, 16, v16
	v_lshl_or_b32 v50, v50, 23, v16
.LBB270_1594:                           ;   in Loop: Header=BB270_810 Depth=1
	s_or_b64 exec, exec, s[22:23]
.LBB270_1595:                           ;   in Loop: Header=BB270_810 Depth=1
	s_or_b64 exec, exec, s[20:21]
.LBB270_1596:                           ;   in Loop: Header=BB270_810 Depth=1
	s_or_b64 exec, exec, s[18:19]
	v_lshrrev_b32_e32 v16, 16, v37
	v_cmp_ne_u16_sdwa s[20:21], v16, v17 src0_sel:BYTE_0 src1_sel:DWORD
	s_and_saveexec_b64 s[18:19], s[20:21]
	s_cbranch_execz .LBB270_1602
; %bb.1597:                             ;   in Loop: Header=BB270_810 Depth=1
	v_cmp_ne_u16_sdwa s[22:23], v16, s24 src0_sel:BYTE_0 src1_sel:DWORD
	v_mov_b32_e32 v48, 0x8000
	s_and_saveexec_b64 s[20:21], s[22:23]
	s_cbranch_execz .LBB270_1601
; %bb.1598:                             ;   in Loop: Header=BB270_810 Depth=1
	v_bfe_u32 v51, v37, 16, 7
	v_cmp_ne_u32_e32 vcc, s25, v51
	v_mov_b32_e32 v48, 0x7c01
	s_and_saveexec_b64 s[22:23], vcc
	s_cbranch_execz .LBB270_1600
; %bb.1599:                             ;   in Loop: Header=BB270_810 Depth=1
	v_and_b32_e32 v48, 7, v16
	v_ffbh_u32_e32 v58, v48
	v_min_u32_e32 v61, 32, v58
	v_subrev_u32_e32 v58, 28, v61
	v_lshlrev_b64 v[58:59], v58, v[16:17]
	v_lshrrev_b32_e32 v60, 3, v51
	v_sub_u32_e32 v59, 29, v61
	v_cmp_gt_u32_e32 vcc, 8, v51
	v_lshlrev_b32_e32 v16, 8, v16
	v_and_b32_e32 v58, 7, v58
	v_cndmask_b32_e32 v51, v60, v59, vcc
	v_lshl_add_u32 v51, v51, 10, v82
	v_and_b32_e32 v51, 0xfc00, v51
	v_cndmask_b32_e32 v48, v48, v58, vcc
	v_and_or_b32 v16, v16, s26, v51
	v_lshl_or_b32 v48, v48, 7, v16
.LBB270_1600:                           ;   in Loop: Header=BB270_810 Depth=1
	s_or_b64 exec, exec, s[22:23]
.LBB270_1601:                           ;   in Loop: Header=BB270_810 Depth=1
	s_or_b64 exec, exec, s[20:21]
.LBB270_1602:                           ;   in Loop: Header=BB270_810 Depth=1
	s_or_b64 exec, exec, s[18:19]
	v_cmp_lt_u64_e32 vcc, s[6:7], v[36:37]
	v_mov_b32_e32 v51, 0
	s_and_saveexec_b64 s[18:19], vcc
	s_cbranch_execz .LBB270_1608
; %bb.1603:                             ;   in Loop: Header=BB270_810 Depth=1
	v_lshrrev_b32_e32 v16, 24, v37
	v_cmp_ne_u32_e32 vcc, s24, v16
	v_bfrev_b32_e32 v51, 1
	s_and_saveexec_b64 s[20:21], vcc
	s_cbranch_execz .LBB270_1607
; %bb.1604:                             ;   in Loop: Header=BB270_810 Depth=1
	v_and_b32_e32 v36, 0x7f, v16
	v_cmp_ne_u32_e32 vcc, s25, v36
	v_mov_b32_e32 v51, 0x7c010000
	s_and_saveexec_b64 s[22:23], vcc
	s_cbranch_execz .LBB270_1606
; %bb.1605:                             ;   in Loop: Header=BB270_810 Depth=1
	v_and_b32_e32 v37, 7, v16
	v_ffbh_u32_e32 v58, v37
	v_min_u32_e32 v60, 32, v58
	v_subrev_u32_e32 v58, 28, v60
	v_lshlrev_b64 v[58:59], v58, v[16:17]
	v_lshrrev_b32_e32 v51, 3, v36
	v_sub_u32_e32 v59, 29, v60
	v_cmp_gt_u32_e32 vcc, 8, v36
	v_lshlrev_b32_e32 v16, 8, v16
	s_nop 0
	v_cndmask_b32_e32 v36, v51, v59, vcc
	v_lshl_add_u32 v36, v36, 10, v82
	v_and_b32_e32 v51, 7, v58
	v_and_or_b32 v16, v16, s26, v36
	v_cndmask_b32_e32 v37, v37, v51, vcc
	v_lshlrev_b32_e32 v16, 16, v16
	v_lshl_or_b32 v51, v37, 23, v16
.LBB270_1606:                           ;   in Loop: Header=BB270_810 Depth=1
	s_or_b64 exec, exec, s[22:23]
.LBB270_1607:                           ;   in Loop: Header=BB270_810 Depth=1
	s_or_b64 exec, exec, s[20:21]
.LBB270_1608:                           ;   in Loop: Header=BB270_810 Depth=1
	s_or_b64 exec, exec, s[18:19]
	v_cvt_f32_f16_sdwa v37, v19 dst_sel:DWORD dst_unused:UNUSED_PAD src0_sel:WORD_1
	v_cvt_f32_f16_sdwa v36, v39 dst_sel:DWORD dst_unused:UNUSED_PAD src0_sel:WORD_1
	v_or_b32_e32 v11, v19, v11
	v_or_b32_e32 v16, v39, v38
	v_cvt_f32_f16_e32 v38, v16
	v_cvt_f32_f16_e32 v39, v11
	v_pk_mul_f32 v[36:37], v[10:11], v[36:37] op_sel_hi:[0,1]
	v_cvt_pk_f16_f32 v11, v36, v37
	v_or_b32_e32 v16, v50, v49
	v_or_b32_e32 v19, v51, v48
	v_pk_mul_f32 v[38:39], v[10:11], v[38:39] op_sel_hi:[0,1]
	v_cvt_f32_f16_e32 v48, v19
	v_cvt_f32_f16_e32 v49, v16
	v_and_b32_e32 v37, 0xffff0000, v11
	v_lshlrev_b32_e32 v36, 16, v11
	v_cvt_pk_f16_f32 v11, v38, v39
	v_cvt_f32_f16_sdwa v59, v50 dst_sel:DWORD dst_unused:UNUSED_PAD src0_sel:WORD_1
	v_cvt_f32_f16_sdwa v58, v51 dst_sel:DWORD dst_unused:UNUSED_PAD src0_sel:WORD_1
	v_lshrrev_b32_e32 v39, 16, v11
	v_and_b32_e32 v38, 0xffff, v11
	v_or_b32_e32 v11, v37, v39
	v_pk_mul_f32 v[48:49], v[10:11], v[48:49] op_sel_hi:[0,1]
	v_cvt_pk_f16_f32 v19, v48, v49
	v_pk_mul_f32 v[48:49], v[10:11], v[58:59] op_sel_hi:[0,1]
	v_cvt_pk_f16_f32 v10, v48, v49
	v_and_b32_e32 v49, 0xffff0000, v10
	v_lshlrev_b32_e32 v48, 16, v10
	v_lshrrev_b32_e32 v51, 16, v19
	v_and_b32_e32 v50, 0xffff, v19
	v_or_b32_e32 v16, v36, v38
	v_or_b32_e32 v19, v49, v51
	;; [unrolled: 1-line block ×3, first 2 shown]
	s_and_saveexec_b64 s[18:19], s[2:3]
	s_cbranch_execz .LBB270_809
; %bb.1609:                             ;   in Loop: Header=BB270_810 Depth=1
	v_cmp_lt_i32_e32 vcc, v80, v13
	s_nop 1
	v_cndmask_b32_e32 v10, 0, v39, vcc
	v_cmp_lt_i32_e32 vcc, v101, v62
	s_nop 1
	v_cndmask_b32_e32 v16, 0, v38, vcc
	;; [unrolled: 3-line block ×3, first 2 shown]
	v_cmp_lt_i32_e32 vcc, v99, v62
	v_or_b32_e32 v11, v10, v11
	s_nop 0
	v_cndmask_b32_e32 v19, 0, v36, vcc
	v_cmp_lt_i32_e32 vcc, v98, v13
	v_or_b32_e32 v16, v16, v19
	s_nop 0
	v_cndmask_b32_e32 v10, 0, v51, vcc
	v_cmp_lt_i32_e32 vcc, v97, v62
	s_nop 1
	v_cndmask_b32_e32 v36, 0, v50, vcc
	v_cmp_lt_i32_e32 vcc, v96, v13
	;; [unrolled: 3-line block ×3, first 2 shown]
	v_or_b32_e32 v19, v10, v19
	s_nop 0
	v_cndmask_b32_e32 v37, 0, v48, vcc
	v_or_b32_e32 v10, v36, v37
	s_branch .LBB270_809
.LBB270_1610:
	s_or_b64 exec, exec, s[8:9]
	v_mov_b64_e32 v[34:35], s[16:17]
.LBB270_1611:
	s_or_b64 exec, exec, s[4:5]
	s_getpc_b64 s[2:3]
	s_add_u32 s2, s2, llvm.amdgcn.dynlds.offset.table@rel32@lo+4
	s_addc_u32 s3, s3, llvm.amdgcn.dynlds.offset.table@rel32@hi+12
	v_lshl_add_u64 v[0:1], v[34:35], 2, s[2:3]
	s_barrier
	global_load_dword v22, v[0:1], off
	ds_bpermute_b32 v0, v68, v32
	ds_bpermute_b32 v1, v68, v33
	;; [unrolled: 1-line block ×6, first 2 shown]
	s_waitcnt lgkmcnt(4)
	v_pk_add_f32 v[0:1], v[32:33], v[0:1]
	ds_bpermute_b32 v2, v69, v0
	ds_bpermute_b32 v3, v69, v1
	;; [unrolled: 1-line block ×4, first 2 shown]
	s_waitcnt lgkmcnt(2)
	v_pk_add_f32 v[6:7], v[0:1], v[2:3]
	v_pk_add_f32 v[0:1], v[30:31], v[10:11]
	;; [unrolled: 1-line block ×3, first 2 shown]
	ds_bpermute_b32 v12, v68, v26
	ds_bpermute_b32 v13, v68, v27
	;; [unrolled: 1-line block ×6, first 2 shown]
	s_waitcnt lgkmcnt(4)
	v_pk_add_f32 v[18:19], v[26:27], v[12:13]
	ds_bpermute_b32 v26, v69, v18
	ds_bpermute_b32 v27, v69, v19
	v_pk_add_f32 v[24:25], v[24:25], v[14:15]
	ds_bpermute_b32 v30, v68, v20
	ds_bpermute_b32 v31, v68, v21
	;; [unrolled: 1-line block ×4, first 2 shown]
	s_waitcnt lgkmcnt(8)
	v_pk_add_f32 v[12:13], v[10:11], v[16:17]
	ds_bpermute_b32 v16, v68, v8
	ds_bpermute_b32 v17, v68, v9
	s_waitcnt lgkmcnt(6)
	v_pk_add_f32 v[10:11], v[18:19], v[26:27]
	ds_bpermute_b32 v18, v68, v4
	ds_bpermute_b32 v19, v68, v5
	v_pk_add_f32 v[14:15], v[0:1], v[2:3]
	s_waitcnt lgkmcnt(6)
	v_pk_add_f32 v[0:1], v[20:21], v[30:31]
	s_waitcnt lgkmcnt(4)
	v_pk_add_f32 v[2:3], v[24:25], v[28:29]
	ds_bpermute_b32 v20, v69, v0
	ds_bpermute_b32 v21, v69, v1
	s_waitcnt lgkmcnt(4)
	v_pk_add_f32 v[24:25], v[8:9], v[16:17]
	ds_bpermute_b32 v26, v69, v24
	ds_bpermute_b32 v27, v69, v25
	;; [unrolled: 4-line block ×3, first 2 shown]
	s_waitcnt lgkmcnt(4)
	v_pk_add_f32 v[8:9], v[0:1], v[20:21]
	v_and_b32_e32 v0, 0x3c3, v72
	s_waitcnt lgkmcnt(2)
	v_pk_add_f32 v[4:5], v[24:25], v[26:27]
	v_cmp_ne_u32_e32 vcc, 64, v0
	s_and_saveexec_b64 s[2:3], vcc
	s_xor_b64 s[2:3], exec, s[2:3]
; %bb.1612:
                                        ; implicit-def: $vgpr67
; %bb.1613:
	s_or_saveexec_b64 s[2:3], s[2:3]
	s_waitcnt lgkmcnt(0)
	v_pk_add_f32 v[16:17], v[16:17], v[18:19]
	s_xor_b64 exec, exec, s[2:3]
	s_cbranch_execz .LBB270_1615
; %bb.1614:
	s_waitcnt vmcnt(0)
	v_add_u32_e32 v1, v22, v67
	ds_write2_b32 v1, v6, v7 offset1:16
	ds_write2_b32 v1, v14, v15 offset0:32 offset1:48
	ds_write2_b32 v1, v12, v13 offset0:64 offset1:80
	;; [unrolled: 1-line block ×7, first 2 shown]
.LBB270_1615:
	s_or_b64 exec, exec, s[2:3]
	v_lshrrev_b32_e32 v1, 2, v72
	s_waitcnt lgkmcnt(0)
	s_barrier
	s_and_saveexec_b64 s[2:3], s[0:1]
	s_cbranch_execz .LBB270_1634
; %bb.1616:
	v_cmp_eq_u32_e32 vcc, 0, v70
	s_waitcnt vmcnt(0)
	v_lshl_add_u32 v18, v1, 2, v22
	s_and_saveexec_b64 s[0:1], vcc
	s_cbranch_execnz .LBB270_1637
; %bb.1617:
	s_or_b64 exec, exec, s[0:1]
	s_and_saveexec_b64 s[0:1], vcc
	s_cbranch_execnz .LBB270_1638
.LBB270_1618:
	s_or_b64 exec, exec, s[0:1]
	s_and_saveexec_b64 s[0:1], vcc
	s_cbranch_execnz .LBB270_1639
.LBB270_1619:
	s_or_b64 exec, exec, s[0:1]
	s_and_saveexec_b64 s[0:1], vcc
	s_cbranch_execnz .LBB270_1640
.LBB270_1620:
	s_or_b64 exec, exec, s[0:1]
	s_and_saveexec_b64 s[0:1], vcc
	s_cbranch_execnz .LBB270_1641
.LBB270_1621:
	s_or_b64 exec, exec, s[0:1]
	s_and_saveexec_b64 s[0:1], vcc
	s_cbranch_execnz .LBB270_1642
.LBB270_1622:
	s_or_b64 exec, exec, s[0:1]
	s_and_saveexec_b64 s[0:1], vcc
	s_cbranch_execnz .LBB270_1643
.LBB270_1623:
	s_or_b64 exec, exec, s[0:1]
	s_and_saveexec_b64 s[0:1], vcc
	s_cbranch_execnz .LBB270_1644
.LBB270_1624:
	s_or_b64 exec, exec, s[0:1]
	s_and_saveexec_b64 s[0:1], vcc
	s_cbranch_execnz .LBB270_1645
.LBB270_1625:
	s_or_b64 exec, exec, s[0:1]
	s_and_saveexec_b64 s[0:1], vcc
	s_cbranch_execnz .LBB270_1646
.LBB270_1626:
	s_or_b64 exec, exec, s[0:1]
	s_and_saveexec_b64 s[0:1], vcc
	s_cbranch_execnz .LBB270_1647
.LBB270_1627:
	s_or_b64 exec, exec, s[0:1]
	s_and_saveexec_b64 s[0:1], vcc
	s_cbranch_execnz .LBB270_1648
.LBB270_1628:
	s_or_b64 exec, exec, s[0:1]
	s_and_saveexec_b64 s[0:1], vcc
	s_cbranch_execnz .LBB270_1649
.LBB270_1629:
	s_or_b64 exec, exec, s[0:1]
	s_and_saveexec_b64 s[0:1], vcc
	s_cbranch_execnz .LBB270_1650
.LBB270_1630:
	s_or_b64 exec, exec, s[0:1]
	s_and_saveexec_b64 s[0:1], vcc
	s_cbranch_execnz .LBB270_1651
.LBB270_1631:
	s_or_b64 exec, exec, s[0:1]
	s_and_saveexec_b64 s[0:1], vcc
	s_cbranch_execz .LBB270_1633
.LBB270_1632:
	ds_read_b32 v18, v18 offset:960
	s_waitcnt lgkmcnt(0)
	v_add_f32_e32 v17, v18, v17
.LBB270_1633:
	s_or_b64 exec, exec, s[0:1]
.LBB270_1634:
	s_or_b64 exec, exec, s[2:3]
	v_cmp_eq_u32_e32 vcc, 0, v0
	s_barrier
	s_and_saveexec_b64 s[0:1], vcc
	s_cbranch_execz .LBB270_1636
; %bb.1635:
	s_and_b32 s2, 0xffff, s15
	s_cmp_lg_u32 s2, 0
	s_cselect_b64 s[2:3], -1, 0
	s_cmp_lg_u64 s[2:3], 0
	s_addc_u32 s4, s13, 0
	s_mul_i32 s2, s10, s4
	s_mul_i32 s2, s2, s11
	s_lshl_b32 s2, s2, 8
	s_ashr_i32 s3, s2, 31
	v_lshl_add_u64 v[18:19], s[2:3], 1, v[76:77]
	s_mul_i32 s2, s12, s4
	s_ashr_i32 s3, s2, 31
	v_lshl_add_u64 v[18:19], s[2:3], 1, v[18:19]
	s_lshl_b32 s2, s14, 8
	s_ashr_i32 s3, s2, 31
	v_lshl_add_u64 v[18:19], s[2:3], 1, v[18:19]
	v_lshlrev_b32_e32 v0, 1, v1
	v_mov_b32_e32 v1, 0
	v_lshl_add_u64 v[0:1], v[18:19], 0, v[0:1]
	;;#ASMSTART
	v_cvt_f16_f32 v6, v6;

	;;#ASMEND
	flat_store_short v[0:1], v6
	;;#ASMSTART
	v_cvt_f16_f32 v6, v7;

	;;#ASMEND
	flat_store_short v[0:1], v6 offset:32
	;;#ASMSTART
	v_cvt_f16_f32 v6, v14;

	;;#ASMEND
	flat_store_short v[0:1], v6 offset:64
	;; [unrolled: 5-line block ×15, first 2 shown]
.LBB270_1636:
	s_or_b64 exec, exec, s[0:1]
	scratch_load_dword v127, off, s32       ; 4-byte Folded Reload
	scratch_load_dword v126, off, s32 offset:4 ; 4-byte Folded Reload
	scratch_load_dword v125, off, s32 offset:8 ; 4-byte Folded Reload
	;; [unrolled: 1-line block ×47, first 2 shown]
	s_waitcnt vmcnt(0) lgkmcnt(0)
	s_setpc_b64 s[30:31]
.LBB270_1637:
	ds_read_b32 v19, v18
	s_waitcnt lgkmcnt(0)
	v_add_f32_e32 v6, v19, v6
	s_or_b64 exec, exec, s[0:1]
	s_and_saveexec_b64 s[0:1], vcc
	s_cbranch_execz .LBB270_1618
.LBB270_1638:
	ds_read_b32 v19, v18 offset:64
	s_waitcnt lgkmcnt(0)
	v_add_f32_e32 v7, v19, v7
	s_or_b64 exec, exec, s[0:1]
	s_and_saveexec_b64 s[0:1], vcc
	s_cbranch_execz .LBB270_1619
.LBB270_1639:
	ds_read_b32 v19, v18 offset:128
	s_waitcnt lgkmcnt(0)
	v_add_f32_e32 v14, v19, v14
	s_or_b64 exec, exec, s[0:1]
	s_and_saveexec_b64 s[0:1], vcc
	s_cbranch_execz .LBB270_1620
.LBB270_1640:
	ds_read_b32 v19, v18 offset:192
	s_waitcnt lgkmcnt(0)
	v_add_f32_e32 v15, v19, v15
	s_or_b64 exec, exec, s[0:1]
	s_and_saveexec_b64 s[0:1], vcc
	s_cbranch_execz .LBB270_1621
.LBB270_1641:
	ds_read_b32 v19, v18 offset:256
	s_waitcnt lgkmcnt(0)
	v_add_f32_e32 v12, v19, v12
	s_or_b64 exec, exec, s[0:1]
	s_and_saveexec_b64 s[0:1], vcc
	s_cbranch_execz .LBB270_1622
.LBB270_1642:
	ds_read_b32 v19, v18 offset:320
	s_waitcnt lgkmcnt(0)
	v_add_f32_e32 v13, v19, v13
	s_or_b64 exec, exec, s[0:1]
	s_and_saveexec_b64 s[0:1], vcc
	s_cbranch_execz .LBB270_1623
.LBB270_1643:
	ds_read_b32 v19, v18 offset:384
	s_waitcnt lgkmcnt(0)
	v_add_f32_e32 v10, v19, v10
	s_or_b64 exec, exec, s[0:1]
	s_and_saveexec_b64 s[0:1], vcc
	s_cbranch_execz .LBB270_1624
.LBB270_1644:
	ds_read_b32 v19, v18 offset:448
	s_waitcnt lgkmcnt(0)
	v_add_f32_e32 v11, v19, v11
	s_or_b64 exec, exec, s[0:1]
	s_and_saveexec_b64 s[0:1], vcc
	s_cbranch_execz .LBB270_1625
.LBB270_1645:
	ds_read_b32 v19, v18 offset:512
	s_waitcnt lgkmcnt(0)
	v_add_f32_e32 v2, v19, v2
	s_or_b64 exec, exec, s[0:1]
	s_and_saveexec_b64 s[0:1], vcc
	s_cbranch_execz .LBB270_1626
.LBB270_1646:
	ds_read_b32 v19, v18 offset:576
	s_waitcnt lgkmcnt(0)
	v_add_f32_e32 v3, v19, v3
	s_or_b64 exec, exec, s[0:1]
	s_and_saveexec_b64 s[0:1], vcc
	s_cbranch_execz .LBB270_1627
.LBB270_1647:
	ds_read_b32 v19, v18 offset:640
	s_waitcnt lgkmcnt(0)
	v_add_f32_e32 v8, v19, v8
	s_or_b64 exec, exec, s[0:1]
	s_and_saveexec_b64 s[0:1], vcc
	s_cbranch_execz .LBB270_1628
.LBB270_1648:
	ds_read_b32 v19, v18 offset:704
	s_waitcnt lgkmcnt(0)
	v_add_f32_e32 v9, v19, v9
	s_or_b64 exec, exec, s[0:1]
	s_and_saveexec_b64 s[0:1], vcc
	s_cbranch_execz .LBB270_1629
.LBB270_1649:
	ds_read_b32 v19, v18 offset:768
	s_waitcnt lgkmcnt(0)
	v_add_f32_e32 v4, v19, v4
	s_or_b64 exec, exec, s[0:1]
	s_and_saveexec_b64 s[0:1], vcc
	s_cbranch_execz .LBB270_1630
.LBB270_1650:
	ds_read_b32 v19, v18 offset:832
	s_waitcnt lgkmcnt(0)
	v_add_f32_e32 v5, v19, v5
	s_or_b64 exec, exec, s[0:1]
	s_and_saveexec_b64 s[0:1], vcc
	s_cbranch_execz .LBB270_1631
.LBB270_1651:
	ds_read_b32 v19, v18 offset:896
	s_waitcnt lgkmcnt(0)
	v_add_f32_e32 v16, v19, v16
	s_or_b64 exec, exec, s[0:1]
	s_and_saveexec_b64 s[0:1], vcc
	s_cbranch_execnz .LBB270_1632
	s_branch .LBB270_1633
.Lfunc_end270:
	.size	_ZN4vllm22paged_attention_kernelIthLi256ELi32ELi128ELNS_18Fp8KVCacheDataTypeE1ELb0ELi0EEEvPfS2_PT_PKS3_PKT0_S9_ifPKiSB_iPKfiiiSD_SD_iiiii, .Lfunc_end270-_ZN4vllm22paged_attention_kernelIthLi256ELi32ELi128ELNS_18Fp8KVCacheDataTypeE1ELb0ELi0EEEvPfS2_PT_PKS3_PKT0_S9_ifPKiSB_iPKfiiiSD_SD_iiiii
                                        ; -- End function
	.set .L_ZN4vllm22paged_attention_kernelIthLi256ELi32ELi128ELNS_18Fp8KVCacheDataTypeE1ELb0ELi0EEEvPfS2_PT_PKS3_PKT0_S9_ifPKiSB_iPKfiiiSD_SD_iiiii.num_vgpr, 128
	.set .L_ZN4vllm22paged_attention_kernelIthLi256ELi32ELi128ELNS_18Fp8KVCacheDataTypeE1ELb0ELi0EEEvPfS2_PT_PKS3_PKT0_S9_ifPKiSB_iPKfiiiSD_SD_iiiii.num_agpr, 0
	.set .L_ZN4vllm22paged_attention_kernelIthLi256ELi32ELi128ELNS_18Fp8KVCacheDataTypeE1ELb0ELi0EEEvPfS2_PT_PKS3_PKT0_S9_ifPKiSB_iPKfiiiSD_SD_iiiii.numbered_sgpr, 73
	.set .L_ZN4vllm22paged_attention_kernelIthLi256ELi32ELi128ELNS_18Fp8KVCacheDataTypeE1ELb0ELi0EEEvPfS2_PT_PKS3_PKT0_S9_ifPKiSB_iPKfiiiSD_SD_iiiii.num_named_barrier, 0
	.set .L_ZN4vllm22paged_attention_kernelIthLi256ELi32ELi128ELNS_18Fp8KVCacheDataTypeE1ELb0ELi0EEEvPfS2_PT_PKS3_PKT0_S9_ifPKiSB_iPKfiiiSD_SD_iiiii.private_seg_size, 456
	.set .L_ZN4vllm22paged_attention_kernelIthLi256ELi32ELi128ELNS_18Fp8KVCacheDataTypeE1ELb0ELi0EEEvPfS2_PT_PKS3_PKT0_S9_ifPKiSB_iPKfiiiSD_SD_iiiii.uses_vcc, 1
	.set .L_ZN4vllm22paged_attention_kernelIthLi256ELi32ELi128ELNS_18Fp8KVCacheDataTypeE1ELb0ELi0EEEvPfS2_PT_PKS3_PKT0_S9_ifPKiSB_iPKfiiiSD_SD_iiiii.uses_flat_scratch, 0
	.set .L_ZN4vllm22paged_attention_kernelIthLi256ELi32ELi128ELNS_18Fp8KVCacheDataTypeE1ELb0ELi0EEEvPfS2_PT_PKS3_PKT0_S9_ifPKiSB_iPKfiiiSD_SD_iiiii.has_dyn_sized_stack, 0
	.set .L_ZN4vllm22paged_attention_kernelIthLi256ELi32ELi128ELNS_18Fp8KVCacheDataTypeE1ELb0ELi0EEEvPfS2_PT_PKS3_PKT0_S9_ifPKiSB_iPKfiiiSD_SD_iiiii.has_recursion, 0
	.set .L_ZN4vllm22paged_attention_kernelIthLi256ELi32ELi128ELNS_18Fp8KVCacheDataTypeE1ELb0ELi0EEEvPfS2_PT_PKS3_PKT0_S9_ifPKiSB_iPKfiiiSD_SD_iiiii.has_indirect_call, 0
	.section	.AMDGPU.csdata,"",@progbits
; Function info:
; codeLenInByte = 70552
; TotalNumSgprs: 79
; NumVgprs: 128
; NumAgprs: 0
; TotalNumVgprs: 128
; ScratchSize: 456
; MemoryBound: 0
	.section	.text._ZN4vllm25paged_attention_v1_kernelIthLi256ELi32ELi128ELNS_18Fp8KVCacheDataTypeE1ELb0EEEvPT_PKS2_PKT0_S8_ifPKiSA_iPKfiiiSC_SC_iiiii,"axG",@progbits,_ZN4vllm25paged_attention_v1_kernelIthLi256ELi32ELi128ELNS_18Fp8KVCacheDataTypeE1ELb0EEEvPT_PKS2_PKT0_S8_ifPKiSA_iPKfiiiSC_SC_iiiii,comdat
	.protected	_ZN4vllm25paged_attention_v1_kernelIthLi256ELi32ELi128ELNS_18Fp8KVCacheDataTypeE1ELb0EEEvPT_PKS2_PKT0_S8_ifPKiSA_iPKfiiiSC_SC_iiiii ; -- Begin function _ZN4vllm25paged_attention_v1_kernelIthLi256ELi32ELi128ELNS_18Fp8KVCacheDataTypeE1ELb0EEEvPT_PKS2_PKT0_S8_ifPKiSA_iPKfiiiSC_SC_iiiii
	.globl	_ZN4vllm25paged_attention_v1_kernelIthLi256ELi32ELi128ELNS_18Fp8KVCacheDataTypeE1ELb0EEEvPT_PKS2_PKT0_S8_ifPKiSA_iPKfiiiSC_SC_iiiii
	.p2align	8
	.type	_ZN4vllm25paged_attention_v1_kernelIthLi256ELi32ELi128ELNS_18Fp8KVCacheDataTypeE1ELb0EEEvPT_PKS2_PKT0_S8_ifPKiSA_iPKfiiiSC_SC_iiiii,@function
_ZN4vllm25paged_attention_v1_kernelIthLi256ELi32ELi128ELNS_18Fp8KVCacheDataTypeE1ELb0EEEvPT_PKS2_PKT0_S8_ifPKiSA_iPKfiiiSC_SC_iiiii: ; @_ZN4vllm25paged_attention_v1_kernelIthLi256ELi32ELi128ELNS_18Fp8KVCacheDataTypeE1ELb0EEEvPT_PKS2_PKT0_S8_ifPKiSA_iPKfiiiSC_SC_iiiii
; %bb.0:
	s_load_dwordx8 s[16:23], s[0:1], 0x0
	s_load_dwordx4 s[36:39], s[0:1], 0x20
	s_load_dwordx2 s[6:7], s[0:1], 0x30
	s_load_dword s5, s[0:1], 0x38
	s_load_dwordx2 s[10:11], s[0:1], 0x40
	s_load_dwordx8 s[24:31], s[0:1], 0x48
	s_add_u32 s8, s0, 0x80
	s_addc_u32 s9, s1, 0
	s_getpc_b64 s[0:1]
	s_add_u32 s0, s0, _ZN4vllm22paged_attention_kernelIthLi256ELi32ELi128ELNS_18Fp8KVCacheDataTypeE1ELb0ELi0EEEvPfS2_PT_PKS3_PKT0_S9_ifPKiSB_iPKfiiiSD_SD_iiiii@rel32@lo+4
	s_addc_u32 s1, s1, _ZN4vllm22paged_attention_kernelIthLi256ELi32ELi128ELNS_18Fp8KVCacheDataTypeE1ELb0ELi0EEEvPfS2_PT_PKS3_PKT0_S9_ifPKiSB_iPKfiiiSD_SD_iiiii@rel32@hi+12
	s_mov_b32 s12, s2
	s_mov_b32 s13, s3
	s_mov_b32 s14, s4
	s_mov_b32 s15, 0
	v_mov_b32_e32 v31, v0
	s_waitcnt lgkmcnt(0)
	v_mov_b32_e32 v0, s16
	v_mov_b32_e32 v1, s17
	;; [unrolled: 1-line block ×24, first 2 shown]
	s_mov_b32 s32, 0
	s_swappc_b64 s[30:31], s[0:1]
	s_endpgm
	.section	.rodata,"a",@progbits
	.p2align	6, 0x0
	.amdhsa_kernel _ZN4vllm25paged_attention_v1_kernelIthLi256ELi32ELi128ELNS_18Fp8KVCacheDataTypeE1ELb0EEEvPT_PKS2_PKT0_S8_ifPKiSA_iPKfiiiSC_SC_iiiii
		.amdhsa_group_segment_fixed_size 528
		.amdhsa_private_segment_fixed_size 456
		.amdhsa_kernarg_size 384
		.amdhsa_user_sgpr_count 2
		.amdhsa_user_sgpr_dispatch_ptr 0
		.amdhsa_user_sgpr_queue_ptr 0
		.amdhsa_user_sgpr_kernarg_segment_ptr 1
		.amdhsa_user_sgpr_dispatch_id 0
		.amdhsa_user_sgpr_kernarg_preload_length 0
		.amdhsa_user_sgpr_kernarg_preload_offset 0
		.amdhsa_user_sgpr_private_segment_size 0
		.amdhsa_uses_dynamic_stack 0
		.amdhsa_enable_private_segment 1
		.amdhsa_system_sgpr_workgroup_id_x 1
		.amdhsa_system_sgpr_workgroup_id_y 1
		.amdhsa_system_sgpr_workgroup_id_z 1
		.amdhsa_system_sgpr_workgroup_info 0
		.amdhsa_system_vgpr_workitem_id 0
		.amdhsa_next_free_vgpr 128
		.amdhsa_next_free_sgpr 73
		.amdhsa_accum_offset 128
		.amdhsa_reserve_vcc 1
		.amdhsa_float_round_mode_32 0
		.amdhsa_float_round_mode_16_64 0
		.amdhsa_float_denorm_mode_32 3
		.amdhsa_float_denorm_mode_16_64 3
		.amdhsa_dx10_clamp 1
		.amdhsa_ieee_mode 1
		.amdhsa_fp16_overflow 0
		.amdhsa_tg_split 0
		.amdhsa_exception_fp_ieee_invalid_op 0
		.amdhsa_exception_fp_denorm_src 0
		.amdhsa_exception_fp_ieee_div_zero 0
		.amdhsa_exception_fp_ieee_overflow 0
		.amdhsa_exception_fp_ieee_underflow 0
		.amdhsa_exception_fp_ieee_inexact 0
		.amdhsa_exception_int_div_zero 0
	.end_amdhsa_kernel
	.section	.text._ZN4vllm25paged_attention_v1_kernelIthLi256ELi32ELi128ELNS_18Fp8KVCacheDataTypeE1ELb0EEEvPT_PKS2_PKT0_S8_ifPKiSA_iPKfiiiSC_SC_iiiii,"axG",@progbits,_ZN4vllm25paged_attention_v1_kernelIthLi256ELi32ELi128ELNS_18Fp8KVCacheDataTypeE1ELb0EEEvPT_PKS2_PKT0_S8_ifPKiSA_iPKfiiiSC_SC_iiiii,comdat
.Lfunc_end271:
	.size	_ZN4vllm25paged_attention_v1_kernelIthLi256ELi32ELi128ELNS_18Fp8KVCacheDataTypeE1ELb0EEEvPT_PKS2_PKT0_S8_ifPKiSA_iPKfiiiSC_SC_iiiii, .Lfunc_end271-_ZN4vllm25paged_attention_v1_kernelIthLi256ELi32ELi128ELNS_18Fp8KVCacheDataTypeE1ELb0EEEvPT_PKS2_PKT0_S8_ifPKiSA_iPKfiiiSC_SC_iiiii
                                        ; -- End function
	.set _ZN4vllm25paged_attention_v1_kernelIthLi256ELi32ELi128ELNS_18Fp8KVCacheDataTypeE1ELb0EEEvPT_PKS2_PKT0_S8_ifPKiSA_iPKfiiiSC_SC_iiiii.num_vgpr, max(32, .L_ZN4vllm22paged_attention_kernelIthLi256ELi32ELi128ELNS_18Fp8KVCacheDataTypeE1ELb0ELi0EEEvPfS2_PT_PKS3_PKT0_S9_ifPKiSB_iPKfiiiSD_SD_iiiii.num_vgpr)
	.set _ZN4vllm25paged_attention_v1_kernelIthLi256ELi32ELi128ELNS_18Fp8KVCacheDataTypeE1ELb0EEEvPT_PKS2_PKT0_S8_ifPKiSA_iPKfiiiSC_SC_iiiii.num_agpr, max(0, .L_ZN4vllm22paged_attention_kernelIthLi256ELi32ELi128ELNS_18Fp8KVCacheDataTypeE1ELb0ELi0EEEvPfS2_PT_PKS3_PKT0_S9_ifPKiSB_iPKfiiiSD_SD_iiiii.num_agpr)
	.set _ZN4vllm25paged_attention_v1_kernelIthLi256ELi32ELi128ELNS_18Fp8KVCacheDataTypeE1ELb0EEEvPT_PKS2_PKT0_S8_ifPKiSA_iPKfiiiSC_SC_iiiii.numbered_sgpr, max(40, .L_ZN4vllm22paged_attention_kernelIthLi256ELi32ELi128ELNS_18Fp8KVCacheDataTypeE1ELb0ELi0EEEvPfS2_PT_PKS3_PKT0_S9_ifPKiSB_iPKfiiiSD_SD_iiiii.numbered_sgpr)
	.set _ZN4vllm25paged_attention_v1_kernelIthLi256ELi32ELi128ELNS_18Fp8KVCacheDataTypeE1ELb0EEEvPT_PKS2_PKT0_S8_ifPKiSA_iPKfiiiSC_SC_iiiii.num_named_barrier, max(0, .L_ZN4vllm22paged_attention_kernelIthLi256ELi32ELi128ELNS_18Fp8KVCacheDataTypeE1ELb0ELi0EEEvPfS2_PT_PKS3_PKT0_S9_ifPKiSB_iPKfiiiSD_SD_iiiii.num_named_barrier)
	.set _ZN4vllm25paged_attention_v1_kernelIthLi256ELi32ELi128ELNS_18Fp8KVCacheDataTypeE1ELb0EEEvPT_PKS2_PKT0_S8_ifPKiSA_iPKfiiiSC_SC_iiiii.private_seg_size, 0+max(.L_ZN4vllm22paged_attention_kernelIthLi256ELi32ELi128ELNS_18Fp8KVCacheDataTypeE1ELb0ELi0EEEvPfS2_PT_PKS3_PKT0_S9_ifPKiSB_iPKfiiiSD_SD_iiiii.private_seg_size)
	.set _ZN4vllm25paged_attention_v1_kernelIthLi256ELi32ELi128ELNS_18Fp8KVCacheDataTypeE1ELb0EEEvPT_PKS2_PKT0_S8_ifPKiSA_iPKfiiiSC_SC_iiiii.uses_vcc, or(1, .L_ZN4vllm22paged_attention_kernelIthLi256ELi32ELi128ELNS_18Fp8KVCacheDataTypeE1ELb0ELi0EEEvPfS2_PT_PKS3_PKT0_S9_ifPKiSB_iPKfiiiSD_SD_iiiii.uses_vcc)
	.set _ZN4vllm25paged_attention_v1_kernelIthLi256ELi32ELi128ELNS_18Fp8KVCacheDataTypeE1ELb0EEEvPT_PKS2_PKT0_S8_ifPKiSA_iPKfiiiSC_SC_iiiii.uses_flat_scratch, or(0, .L_ZN4vllm22paged_attention_kernelIthLi256ELi32ELi128ELNS_18Fp8KVCacheDataTypeE1ELb0ELi0EEEvPfS2_PT_PKS3_PKT0_S9_ifPKiSB_iPKfiiiSD_SD_iiiii.uses_flat_scratch)
	.set _ZN4vllm25paged_attention_v1_kernelIthLi256ELi32ELi128ELNS_18Fp8KVCacheDataTypeE1ELb0EEEvPT_PKS2_PKT0_S8_ifPKiSA_iPKfiiiSC_SC_iiiii.has_dyn_sized_stack, or(0, .L_ZN4vllm22paged_attention_kernelIthLi256ELi32ELi128ELNS_18Fp8KVCacheDataTypeE1ELb0ELi0EEEvPfS2_PT_PKS3_PKT0_S9_ifPKiSB_iPKfiiiSD_SD_iiiii.has_dyn_sized_stack)
	.set _ZN4vllm25paged_attention_v1_kernelIthLi256ELi32ELi128ELNS_18Fp8KVCacheDataTypeE1ELb0EEEvPT_PKS2_PKT0_S8_ifPKiSA_iPKfiiiSC_SC_iiiii.has_recursion, or(0, .L_ZN4vllm22paged_attention_kernelIthLi256ELi32ELi128ELNS_18Fp8KVCacheDataTypeE1ELb0ELi0EEEvPfS2_PT_PKS3_PKT0_S9_ifPKiSB_iPKfiiiSD_SD_iiiii.has_recursion)
	.set _ZN4vllm25paged_attention_v1_kernelIthLi256ELi32ELi128ELNS_18Fp8KVCacheDataTypeE1ELb0EEEvPT_PKS2_PKT0_S8_ifPKiSA_iPKfiiiSC_SC_iiiii.has_indirect_call, or(0, .L_ZN4vllm22paged_attention_kernelIthLi256ELi32ELi128ELNS_18Fp8KVCacheDataTypeE1ELb0ELi0EEEvPfS2_PT_PKS3_PKT0_S9_ifPKiSB_iPKfiiiSD_SD_iiiii.has_indirect_call)
	.section	.AMDGPU.csdata,"",@progbits
; Kernel info:
; codeLenInByte = 212
; TotalNumSgprs: 79
; NumVgprs: 128
; NumAgprs: 0
; TotalNumVgprs: 128
; ScratchSize: 456
; MemoryBound: 0
; FloatMode: 240
; IeeeMode: 1
; LDSByteSize: 528 bytes/workgroup (compile time only)
; SGPRBlocks: 9
; VGPRBlocks: 15
; NumSGPRsForWavesPerEU: 79
; NumVGPRsForWavesPerEU: 128
; AccumOffset: 128
; Occupancy: 4
; WaveLimiterHint : 1
; COMPUTE_PGM_RSRC2:SCRATCH_EN: 1
; COMPUTE_PGM_RSRC2:USER_SGPR: 2
; COMPUTE_PGM_RSRC2:TRAP_HANDLER: 0
; COMPUTE_PGM_RSRC2:TGID_X_EN: 1
; COMPUTE_PGM_RSRC2:TGID_Y_EN: 1
; COMPUTE_PGM_RSRC2:TGID_Z_EN: 1
; COMPUTE_PGM_RSRC2:TIDIG_COMP_CNT: 0
; COMPUTE_PGM_RSRC3_GFX90A:ACCUM_OFFSET: 31
; COMPUTE_PGM_RSRC3_GFX90A:TG_SPLIT: 0
	.section	.text._ZN4vllm25paged_attention_v1_kernelI14__hip_bfloat16hLi32ELi8ELi128ELNS_18Fp8KVCacheDataTypeE1ELb1EEEvPT_PKS3_PKT0_S9_ifPKiSB_iPKfiiiSD_SD_iiiii,"axG",@progbits,_ZN4vllm25paged_attention_v1_kernelI14__hip_bfloat16hLi32ELi8ELi128ELNS_18Fp8KVCacheDataTypeE1ELb1EEEvPT_PKS3_PKT0_S9_ifPKiSB_iPKfiiiSD_SD_iiiii,comdat
	.protected	_ZN4vllm25paged_attention_v1_kernelI14__hip_bfloat16hLi32ELi8ELi128ELNS_18Fp8KVCacheDataTypeE1ELb1EEEvPT_PKS3_PKT0_S9_ifPKiSB_iPKfiiiSD_SD_iiiii ; -- Begin function _ZN4vllm25paged_attention_v1_kernelI14__hip_bfloat16hLi32ELi8ELi128ELNS_18Fp8KVCacheDataTypeE1ELb1EEEvPT_PKS3_PKT0_S9_ifPKiSB_iPKfiiiSD_SD_iiiii
	.globl	_ZN4vllm25paged_attention_v1_kernelI14__hip_bfloat16hLi32ELi8ELi128ELNS_18Fp8KVCacheDataTypeE1ELb1EEEvPT_PKS3_PKT0_S9_ifPKiSB_iPKfiiiSD_SD_iiiii
	.p2align	8
	.type	_ZN4vllm25paged_attention_v1_kernelI14__hip_bfloat16hLi32ELi8ELi128ELNS_18Fp8KVCacheDataTypeE1ELb1EEEvPT_PKS3_PKT0_S9_ifPKiSB_iPKfiiiSD_SD_iiiii,@function
_ZN4vllm25paged_attention_v1_kernelI14__hip_bfloat16hLi32ELi8ELi128ELNS_18Fp8KVCacheDataTypeE1ELb1EEEvPT_PKS3_PKT0_S9_ifPKiSB_iPKfiiiSD_SD_iiiii: ; @_ZN4vllm25paged_attention_v1_kernelI14__hip_bfloat16hLi32ELi8ELi128ELNS_18Fp8KVCacheDataTypeE1ELb1EEEvPT_PKS3_PKT0_S9_ifPKiSB_iPKfiiiSD_SD_iiiii
; %bb.0:
	s_load_dword s5, s[0:1], 0x80
	s_load_dwordx2 s[6:7], s[0:1], 0x30
	s_load_dwordx2 s[36:37], s[0:1], 0x20
	s_mov_b32 s10, s3
	s_ashr_i32 s11, s3, 31
	s_lshl_b64 s[8:9], s[10:11], 2
	s_waitcnt lgkmcnt(0)
	s_add_u32 s6, s6, s8
	s_addc_u32 s7, s7, s9
	s_abs_i32 s3, s36
	v_cvt_f32_u32_e32 v1, s3
	s_sub_i32 s11, 0, s3
	s_abs_i32 s9, s5
	s_xor_b32 s8, s5, s36
	v_rcp_iflag_f32_e32 v1, v1
	s_ashr_i32 s8, s8, 31
	s_mov_b32 s44, 0
	v_mul_f32_e32 v1, 0x4f7ffffe, v1
	v_cvt_u32_f32_e32 v1, v1
	s_nop 0
	v_readfirstlane_b32 s12, v1
	s_mul_i32 s11, s11, s12
	s_mul_hi_u32 s11, s12, s11
	s_add_i32 s12, s12, s11
	s_mul_hi_u32 s11, s9, s12
	s_mul_i32 s12, s11, s3
	s_sub_i32 s9, s9, s12
	s_add_i32 s12, s11, 1
	s_sub_i32 s13, s9, s3
	s_cmp_ge_u32 s9, s3
	s_cselect_b32 s11, s12, s11
	s_cselect_b32 s9, s13, s9
	s_add_i32 s12, s11, 1
	s_cmp_ge_u32 s9, s3
	s_cselect_b32 s3, s12, s11
	s_xor_b32 s3, s3, s8
	s_sub_i32 s15, s3, s8
	s_abs_i32 s12, s15
	v_cvt_f32_u32_e32 v1, s12
	s_load_dwordx2 s[8:9], s[0:1], 0x40
	s_sub_i32 s3, 0, s12
	s_abs_i32 s13, s2
	v_rcp_iflag_f32_e32 v1, v1
	s_nop 0
	v_mul_f32_e32 v1, 0x4f7ffffe, v1
	v_cvt_u32_f32_e32 v1, v1
	s_nop 0
	v_readfirstlane_b32 s11, v1
	s_mul_i32 s3, s3, s11
	s_mul_hi_u32 s3, s11, s3
	s_add_i32 s11, s11, s3
	s_waitcnt lgkmcnt(0)
	s_cmp_eq_u64 s[8:9], 0
	s_mul_hi_u32 s14, s13, s11
	s_cbranch_scc1 .LBB272_2
; %bb.1:
	s_ashr_i32 s3, s2, 31
	s_lshl_b64 s[16:17], s[2:3], 2
	s_add_u32 s8, s8, s16
	s_addc_u32 s9, s9, s17
	s_load_dword s44, s[8:9], 0x0
.LBB272_2:
	s_load_dword s11, s[6:7], 0x0
	s_load_dwordx4 s[16:19], s[0:1], 0x48
	s_ashr_i32 s8, s2, 31
	s_ashr_i32 s9, s15, 31
	v_and_b32_e32 v2, 7, v0
	s_lshl_b32 s24, s2, 5
	v_cmp_gt_u32_e32 vcc, 32, v0
	s_and_saveexec_b64 s[6:7], vcc
	s_cbranch_execz .LBB272_4
; %bb.3:
	s_load_dwordx2 s[20:21], s[0:1], 0x8
	s_waitcnt lgkmcnt(0)
	s_mul_i32 s22, s16, s10
	s_ashr_i32 s23, s22, 31
	s_lshl_b64 s[22:23], s[22:23], 1
	v_lshlrev_b32_e32 v1, 1, v0
	s_add_u32 s3, s20, s22
	s_addc_u32 s15, s21, s23
	s_ashr_i32 s25, s24, 31
	s_lshl_b64 s[20:21], s[24:25], 1
	s_add_u32 s20, s3, s20
	s_addc_u32 s21, s15, s21
	global_load_ushort v1, v1, s[20:21]
	v_lshrrev_b32_e32 v3, 2, v0
	v_and_b32_e32 v3, 0xfe, v3
	v_lshl_add_u32 v3, v2, 3, v3
	s_waitcnt vmcnt(0)
	ds_write_b16 v3, v1
.LBB272_4:
	s_or_b64 exec, exec, s[6:7]
	s_mul_i32 s7, s14, s12
	s_sub_i32 s7, s13, s7
	s_xor_b32 s6, s8, s9
	s_add_i32 s8, s14, 1
	s_sub_i32 s9, s7, s12
	s_load_dwordx4 s[20:23], s[0:1], 0x68
	s_load_dword s3, s[0:1], 0x78
	s_cmp_ge_u32 s7, s12
	s_cselect_b32 s8, s8, s14
	s_cselect_b32 s7, s9, s7
	s_add_i32 s9, s8, 1
	s_cmp_ge_u32 s7, s12
	s_cselect_b32 s7, s9, s8
	s_waitcnt lgkmcnt(0)
	s_abs_i32 s25, s23
	v_cvt_f32_u32_e32 v1, s25
	s_xor_b32 s7, s7, s6
	s_sub_i32 s43, s7, s6
	s_sub_i32 s6, 0, s25
	v_rcp_iflag_f32_e32 v1, v1
	s_add_i32 s12, s11, -1
	s_abs_i32 s8, s12
	v_mul_f32_e32 v1, 0x4f7ffffe, v1
	v_cvt_u32_f32_e32 v1, v1
	s_barrier
	v_readfirstlane_b32 s33, v1
	s_mul_i32 s6, s6, s33
	s_mul_hi_u32 s6, s33, s6
	s_add_i32 s33, s33, s6
	s_cmp_lt_i32 s3, 0
	s_mul_hi_u32 s9, s8, s33
	s_cbranch_scc0 .LBB272_6
; %bb.5:
	s_mul_i32 s6, s20, s36
	s_add_i32 s6, s43, s6
	s_mul_i32 s6, s6, s3
	s_sub_i32 s36, 1, s6
	s_mov_b64 s[6:7], 0
	s_branch .LBB272_7
.LBB272_6:
	s_mov_b64 s[6:7], -1
                                        ; implicit-def: $sgpr36
.LBB272_7:
	s_load_dwordx2 s[28:29], s[0:1], 0x28
	s_ashr_i32 s16, s12, 31
	s_andn2_b64 vcc, exec, s[6:7]
	s_ashr_i32 s23, s23, 31
	s_cbranch_vccnz .LBB272_9
; %bb.8:
	s_mul_i32 s6, s5, s20
	s_add_i32 s2, s6, s2
	s_mul_i32 s2, s2, s3
	s_add_i32 s36, s2, 1
.LBB272_9:
	s_load_dword s2, s[0:1], 0x38
	s_load_dwordx2 s[26:27], s[0:1], 0x0
	s_load_dwordx2 s[34:35], s[0:1], 0x18
	s_load_dword s20, s[0:1], 0x88
	s_load_dwordx4 s[12:15], s[0:1], 0x58
	s_mul_i32 s3, s9, s25
	s_waitcnt lgkmcnt(0)
	s_mul_i32 s30, s2, s10
	s_sub_i32 s3, s8, s3
	s_ashr_i32 s31, s30, 31
	s_xor_b32 s2, s16, s23
	s_add_i32 s6, s9, 1
	s_sub_i32 s7, s3, s25
	s_cmp_ge_u32 s3, s25
	s_cselect_b32 s6, s6, s9
	s_cselect_b32 s3, s7, s3
	s_add_i32 s7, s6, 1
	s_cmp_ge_u32 s3, s25
	s_cselect_b32 s3, s7, s6
	s_xor_b32 s3, s3, s2
	s_sub_i32 s16, s3, s2
	s_add_i32 s2, s11, 7
	s_ashr_i32 s3, s2, 31
	s_lshr_b32 s3, s3, 29
	s_add_i32 s2, s2, s3
	s_ashr_i32 s42, s2, 3
	v_lshrrev_b32_e32 v1, 6, v0
	v_cmp_gt_i32_e64 s[2:3], s42, v1
	v_mov_b32_e32 v10, 0xff7fffff
	s_mul_i32 s43, s43, s18
	v_lshrrev_b32_e32 v6, 4, v0
	v_lshlrev_b32_e32 v16, 3, v1
	v_mbcnt_lo_u32_b32 v7, -1, 0
	s_and_saveexec_b64 s[18:19], s[2:3]
	s_cbranch_execz .LBB272_21
; %bb.10:
	s_load_dwordx2 s[0:1], s[0:1], 0x10
	s_sub_i32 s45, s16, s21
	s_ashr_i32 s7, s43, 31
	v_bfe_u32 v8, v0, 3, 3
	v_mov_b32_e32 v5, 0
	s_waitcnt lgkmcnt(0)
	s_add_u32 s6, s0, s43
	s_addc_u32 s7, s1, s7
	s_abs_i32 s46, s22
	v_cvt_f32_u32_e32 v3, s46
	v_lshlrev_b32_e32 v4, 4, v8
	v_lshl_add_u64 v[12:13], s[6:7], 0, v[4:5]
	s_sub_i32 s6, 0, s46
	v_rcp_iflag_f32_e32 v3, v3
	v_cmp_eq_u32_e32 vcc, 0, v2
	v_lshlrev_b32_e32 v9, 3, v2
	v_mbcnt_hi_u32_b32 v17, -1, v7
	v_mul_f32_e32 v3, 0x4f7ffffe, v3
	v_cvt_u32_f32_e32 v10, v3
	v_mov_b32_e32 v3, v5
	v_lshl_add_u64 v[2:3], v[12:13], 0, v[2:3]
	s_mov_b32 s47, s17
	v_mul_lo_u32 v4, s6, v10
	v_mul_hi_u32 v4, v10, v4
	v_add_u32_e32 v11, v10, v4
	v_subrev_u32_e32 v10, s11, v8
	s_lshl_b64 s[6:7], s[30:31], 2
	v_add_u32_e32 v13, 1, v10
	v_lshlrev_b32_e32 v10, 2, v8
	s_add_u32 s6, s28, s6
	v_lshl_or_b32 v10, v1, 5, v10
	v_and_b32_e32 v4, 60, v6
	s_addc_u32 s7, s29, s7
	v_add_u32_e32 v14, 0x50, v10
	v_and_b32_e32 v10, 64, v17
	v_cmp_neq_f32_e64 s[0:1], s44, 0
	v_lshl_add_u64 v[4:5], s[6:7], 0, v[4:5]
	v_lshlrev_b32_e32 v12, 3, v1
	v_mov_b32_e32 v15, 0xff7fffff
	s_mov_b64 s[38:39], 0
	v_add_u32_e32 v18, 64, v10
	v_xor_b32_e32 v19, 4, v17
	v_xor_b32_e32 v20, 2, v17
	;; [unrolled: 1-line block ×3, first 2 shown]
	v_mov_b32_e32 v10, 0xff7fffff
	v_mov_b32_e32 v22, v1
	s_branch .LBB272_13
.LBB272_11:                             ;   in Loop: Header=BB272_13 Depth=1
	s_or_b64 exec, exec, s[40:41]
.LBB272_12:                             ;   in Loop: Header=BB272_13 Depth=1
	s_or_b64 exec, exec, s[8:9]
	v_add_u32_e32 v22, 2, v22
	v_cmp_le_i32_e64 s[6:7], s42, v22
	v_lshl_add_u64 v[4:5], v[4:5], 0, 8
	v_add_u32_e32 v12, 16, v12
	s_or_b64 s[38:39], s[6:7], s[38:39]
	v_add_u32_e32 v14, 64, v14
	s_andn2_b64 exec, exec, s[38:39]
	s_cbranch_execz .LBB272_20
.LBB272_13:                             ; =>This Inner Loop Header: Depth=1
	v_mul_hi_u32 v23, v12, s33
	s_waitcnt lgkmcnt(0)
	v_mul_lo_u32 v24, v23, s25
	v_sub_u32_e32 v24, v12, v24
	v_add_u32_e32 v25, 1, v23
	v_cmp_le_u32_e64 s[6:7], s25, v24
	s_nop 1
	v_cndmask_b32_e64 v23, v23, v25, s[6:7]
	v_subrev_u32_e32 v25, s25, v24
	v_cndmask_b32_e64 v24, v24, v25, s[6:7]
	v_add_u32_e32 v25, 1, v23
	v_cmp_le_u32_e64 s[6:7], s25, v24
	s_nop 1
	v_cndmask_b32_e64 v23, v23, v25, s[6:7]
	v_xor_b32_e32 v23, s23, v23
	v_subrev_u32_e32 v23, s23, v23
	v_add_u32_e32 v24, s36, v23
	v_sub_u32_e32 v26, 0, v24
	v_ashrrev_i32_e32 v25, 31, v24
	v_max_i32_e32 v24, v24, v26
	v_mul_hi_u32 v26, v24, v11
	v_mul_lo_u32 v26, v26, s46
	v_sub_u32_e32 v24, v24, v26
	v_subrev_u32_e32 v26, s46, v24
	v_cmp_le_u32_e64 s[6:7], s46, v24
	v_cmp_ge_i32_e64 s[8:9], s45, v23
	s_nop 0
	v_cndmask_b32_e64 v24, v24, v26, s[6:7]
	v_subrev_u32_e32 v26, s46, v24
	v_cmp_le_u32_e64 s[6:7], s46, v24
	s_nop 1
	v_cndmask_b32_e64 v24, v24, v26, s[6:7]
	v_xor_b32_e32 v24, v24, v25
	v_sub_u32_e32 v24, v24, v25
	v_cmp_ne_u32_e64 s[6:7], 0, v24
	s_and_b64 s[6:7], s[6:7], s[8:9]
	s_and_saveexec_b64 s[8:9], s[6:7]
	s_xor_b64 s[6:7], exec, s[8:9]
	s_cbranch_execz .LBB272_17
; %bb.14:                               ;   in Loop: Header=BB272_13 Depth=1
	s_and_saveexec_b64 s[8:9], vcc
; %bb.15:                               ;   in Loop: Header=BB272_13 Depth=1
	ds_write_b32 v14, v15
; %bb.16:                               ;   in Loop: Header=BB272_13 Depth=1
	s_or_b64 exec, exec, s[8:9]
.LBB272_17:                             ;   in Loop: Header=BB272_13 Depth=1
	s_andn2_saveexec_b64 s[8:9], s[6:7]
	s_cbranch_execz .LBB272_12
; %bb.18:                               ;   in Loop: Header=BB272_13 Depth=1
	global_load_dword v23, v[4:5], off
	s_waitcnt vmcnt(0)
	v_mad_i64_i32 v[24:25], s[6:7], v23, s47, v[2:3]
	global_load_ubyte v23, v[24:25], off
	global_load_ubyte v26, v[24:25], off offset:8
	global_load_ubyte v27, v[24:25], off offset:128
	;; [unrolled: 1-line block ×3, first 2 shown]
	v_cmp_lt_i32_e64 s[6:7], v19, v18
	ds_read_b64 v[24:25], v9
	s_waitcnt lgkmcnt(0)
	v_lshlrev_b32_e32 v30, 16, v24
	v_cndmask_b32_e64 v29, v17, v19, s[6:7]
	s_load_dword s6, s[12:13], 0x0
	v_and_b32_e32 v24, 0xffff0000, v24
	v_lshlrev_b32_e32 v31, 16, v25
	v_and_b32_e32 v25, 0xffff0000, v25
	v_lshlrev_b32_e32 v29, 2, v29
	s_waitcnt vmcnt(3)
	v_cvt_f32_fp8_e32 v23, v23
	s_waitcnt vmcnt(2)
	v_cvt_f32_fp8_e32 v26, v26
	;; [unrolled: 2-line block ×4, first 2 shown]
	s_waitcnt lgkmcnt(0)
	v_mul_f32_e32 v23, s6, v23
	v_mul_f32_e32 v26, s6, v26
	v_cvt_pk_bf16_f32 v26, v26, s0
	v_mul_f32_e32 v27, s6, v27
	v_cvt_pk_bf16_f32 v23, v23, s0
	v_lshlrev_b32_e32 v26, 16, v26
	v_mul_f32_e32 v28, s6, v28
	v_cvt_pk_bf16_f32 v27, v27, s0
	v_lshlrev_b32_e32 v23, 16, v23
	;; [unrolled: 3-line block ×3, first 2 shown]
	v_fmac_f32_e32 v24, v30, v23
	v_fmac_f32_e32 v24, v31, v27
	v_lshlrev_b32_e32 v23, 16, v28
	v_fmac_f32_e32 v24, v25, v23
	ds_bpermute_b32 v23, v29, v24
	v_cmp_lt_i32_e64 s[6:7], v20, v18
	s_waitcnt lgkmcnt(0)
	v_add_f32_e32 v23, v24, v23
	v_cndmask_b32_e64 v25, v17, v20, s[6:7]
	v_lshlrev_b32_e32 v25, 2, v25
	ds_bpermute_b32 v24, v25, v23
	v_cmp_lt_i32_e64 s[6:7], v21, v18
	s_waitcnt lgkmcnt(0)
	v_add_f32_e32 v23, v23, v24
	v_cndmask_b32_e64 v25, v17, v21, s[6:7]
	v_lshlrev_b32_e32 v25, 2, v25
	ds_bpermute_b32 v24, v25, v23
	s_and_saveexec_b64 s[40:41], vcc
	s_cbranch_execz .LBB272_11
; %bb.19:                               ;   in Loop: Header=BB272_13 Depth=1
	v_add_u32_e32 v25, v13, v12
	v_cvt_f32_i32_e32 v25, v25
	s_waitcnt lgkmcnt(0)
	v_add_f32_e32 v23, v23, v24
	v_add_u32_e32 v26, v8, v12
	v_cmp_gt_i32_e64 s[6:7], s11, v26
	v_mul_f32_e32 v24, s44, v25
	v_cndmask_b32_e64 v24, 0, v24, s[0:1]
	v_fmac_f32_e32 v24, s37, v23
	v_cndmask_b32_e64 v23, 0, v24, s[6:7]
	ds_write_b32 v14, v23
	v_max_f32_e32 v23, v10, v10
	v_max_f32_e32 v23, v23, v24
	v_cndmask_b32_e64 v10, v10, v23, s[6:7]
	s_branch .LBB272_11
.LBB272_20:
	s_or_b64 exec, exec, s[38:39]
.LBB272_21:
	s_or_b64 exec, exec, s[18:19]
	v_mbcnt_hi_u32_b32 v2, -1, v7
	v_and_b32_e32 v11, 64, v2
	v_add_u32_e32 v3, 64, v11
	v_xor_b32_e32 v4, 32, v2
	v_cmp_lt_i32_e32 vcc, v4, v3
	v_xor_b32_e32 v8, 16, v2
	v_max_f32_e32 v7, v10, v10
	v_cndmask_b32_e32 v4, v2, v4, vcc
	v_lshlrev_b32_e32 v5, 2, v4
	ds_bpermute_b32 v4, v5, v10
	v_cmp_lt_i32_e32 vcc, v8, v3
	v_xor_b32_e32 v9, 8, v2
	v_and_b32_e32 v17, 63, v0
	s_waitcnt lgkmcnt(0)
	v_max_f32_e32 v4, v4, v4
	v_max_f32_e32 v4, v7, v4
	v_cndmask_b32_e32 v7, v2, v8, vcc
	v_lshlrev_b32_e32 v8, 2, v7
	ds_bpermute_b32 v7, v8, v4
	v_cmp_lt_i32_e32 vcc, v9, v3
	s_waitcnt lgkmcnt(0)
	v_max_f32_e32 v7, v7, v7
	v_max_f32_e32 v7, v4, v7
	v_cndmask_b32_e32 v4, v2, v9, vcc
	v_lshlrev_b32_e32 v10, 2, v4
	ds_bpermute_b32 v9, v10, v7
	v_cmp_eq_u32_e32 vcc, 0, v17
	v_lshlrev_b32_e32 v4, 2, v1
	s_and_saveexec_b64 s[0:1], vcc
	s_cbranch_execz .LBB272_23
; %bb.22:
	s_waitcnt lgkmcnt(0)
	v_max_f32_e32 v9, v9, v9
	v_max_f32_e32 v7, v7, v7
	;; [unrolled: 1-line block ×3, first 2 shown]
	ds_write_b32 v4, v7 offset:64
.LBB272_23:
	s_or_b64 exec, exec, s[0:1]
	v_cmp_gt_u32_e64 s[0:1], 2, v17
	v_mov_b32_e32 v12, 0xff7fffff
	v_lshlrev_b32_e32 v7, 2, v17
	s_waitcnt lgkmcnt(0)
	s_barrier
	s_and_saveexec_b64 s[6:7], s[0:1]
; %bb.24:
	ds_read_b32 v12, v7 offset:64
; %bb.25:
	s_or_b64 exec, exec, s[6:7]
	v_xor_b32_e32 v9, 1, v2
	v_cmp_lt_i32_e64 s[6:7], v9, v3
	v_lshlrev_b32_e32 v11, 2, v11
	s_nop 0
	v_cndmask_b32_e64 v9, v2, v9, s[6:7]
	v_lshlrev_b32_e32 v9, 2, v9
	s_waitcnt lgkmcnt(0)
	ds_bpermute_b32 v13, v9, v12
	v_max_f32_e32 v12, v12, v12
	s_lshl_b32 s6, s42, 3
	s_min_i32 s37, s6, s11
	v_cmp_gt_i32_e64 s[6:7], s37, v0
	s_waitcnt lgkmcnt(0)
	v_max_f32_e32 v13, v13, v13
	v_max_f32_e32 v12, v12, v13
	ds_bpermute_b32 v12, v11, v12
	v_mov_b32_e32 v11, 0
	s_and_saveexec_b64 s[12:13], s[6:7]
	s_cbranch_execz .LBB272_29
; %bb.26:
	v_mov_b32_e32 v11, 0x50
	v_lshl_add_u32 v13, v0, 2, v11
	v_mov_b32_e32 v11, 0
	s_mov_b64 s[18:19], 0
	v_mov_b32_e32 v14, v0
.LBB272_27:                             ; =>This Inner Loop Header: Depth=1
	ds_read_b32 v15, v13
	v_add_u32_e32 v14, 0x80, v14
	v_cmp_le_i32_e64 s[8:9], s37, v14
	s_or_b64 s[18:19], s[8:9], s[18:19]
	s_waitcnt lgkmcnt(0)
	v_sub_f32_e32 v15, v15, v12
	v_mul_f32_e32 v15, 0x3fb8aa3b, v15
	v_exp_f32_e32 v15, v15
	ds_write_b32 v13, v15
	v_add_f32_e32 v11, v11, v15
	v_add_u32_e32 v13, 0x200, v13
	s_andn2_b64 exec, exec, s[18:19]
	s_cbranch_execnz .LBB272_27
; %bb.28:
	s_or_b64 exec, exec, s[18:19]
.LBB272_29:
	s_or_b64 exec, exec, s[12:13]
	ds_bpermute_b32 v5, v5, v11
	s_waitcnt lgkmcnt(0)
	v_add_f32_e32 v5, v11, v5
	ds_bpermute_b32 v8, v8, v5
	s_waitcnt lgkmcnt(0)
	v_add_f32_e32 v5, v5, v8
	ds_bpermute_b32 v8, v10, v5
	v_xor_b32_e32 v10, 4, v2
	v_cmp_lt_i32_e64 s[8:9], v10, v3
	s_waitcnt lgkmcnt(0)
	v_add_f32_e32 v5, v5, v8
	v_cndmask_b32_e64 v10, v2, v10, s[8:9]
	v_lshlrev_b32_e32 v10, 2, v10
	ds_bpermute_b32 v8, v10, v5
	v_xor_b32_e32 v10, 2, v2
	v_cmp_lt_i32_e64 s[8:9], v10, v3
	s_waitcnt lgkmcnt(0)
	v_add_f32_e32 v5, v5, v8
	v_cndmask_b32_e64 v3, v2, v10, s[8:9]
	v_lshlrev_b32_e32 v3, 2, v3
	ds_bpermute_b32 v3, v3, v5
	s_waitcnt lgkmcnt(0)
	v_add_f32_e32 v3, v5, v3
	ds_bpermute_b32 v5, v9, v3
	s_waitcnt lgkmcnt(0)
	v_add_f32_e32 v3, v3, v5
	s_and_saveexec_b64 s[8:9], vcc
; %bb.30:
	ds_write_b32 v4, v3 offset:72
; %bb.31:
	s_or_b64 exec, exec, s[8:9]
	s_waitcnt lgkmcnt(0)
	s_barrier
	s_and_saveexec_b64 s[8:9], s[0:1]
; %bb.32:
	ds_read_b32 v3, v7 offset:72
; %bb.33:
	s_or_b64 exec, exec, s[8:9]
	s_waitcnt lgkmcnt(0)
	ds_bpermute_b32 v4, v9, v3
	v_lshlrev_b32_e32 v2, 2, v2
	v_and_b32_e32 v2, 0x100, v2
	s_waitcnt lgkmcnt(0)
	v_add_f32_e32 v3, v3, v4
	ds_bpermute_b32 v2, v2, v3
	s_and_saveexec_b64 s[0:1], s[6:7]
	s_cbranch_execz .LBB272_46
; %bb.34:
	s_waitcnt lgkmcnt(0)
	v_add_f32_e32 v2, 0x358637bd, v2
	v_div_scale_f32 v3, s[6:7], v2, v2, 1.0
	v_rcp_f32_e32 v4, v3
	v_div_scale_f32 v5, vcc, 1.0, v2, 1.0
	s_movk_i32 s6, 0x7f
	v_fma_f32 v7, -v3, v4, 1.0
	v_fmac_f32_e32 v4, v7, v4
	v_mul_f32_e32 v7, v5, v4
	v_fma_f32 v8, -v3, v7, v5
	v_fmac_f32_e32 v7, v8, v4
	v_fma_f32 v3, -v3, v7, v5
	v_div_fmas_f32 v3, v3, v4, v7
	v_xad_u32 v4, v0, -1, s37
	v_div_fixup_f32 v2, v3, v2, 1.0
	v_cmp_lt_u32_e32 vcc, s6, v4
	s_mov_b64 s[8:9], -1
	v_mov_b32_e32 v3, v0
	s_and_saveexec_b64 s[6:7], vcc
	s_cbranch_execz .LBB272_43
; %bb.35:
	v_lshrrev_b32_e32 v4, 7, v4
	v_add_u32_e32 v7, -1, v4
	v_lshrrev_b32_e32 v5, 1, v7
	v_mov_b32_e32 v3, v2
	v_add_u32_e32 v5, 1, v5
	v_cmp_lt_u32_e32 vcc, 13, v7
	v_mov_b32_e32 v9, 0
	s_and_saveexec_b64 s[8:9], vcc
	s_cbranch_execz .LBB272_39
; %bb.36:
	v_mov_b32_e32 v8, 0x50
	v_and_b32_e32 v7, -8, v5
	v_lshl_add_u32 v8, v0, 2, v8
	s_mov_b32 s18, 0
	s_mov_b64 s[12:13], 0
.LBB272_37:                             ; =>This Inner Loop Header: Depth=1
	ds_read2st64_b32 v[10:11], v8 offset1:2
	ds_read2st64_b32 v[12:13], v8 offset0:4 offset1:6
	ds_read2st64_b32 v[14:15], v8 offset0:8 offset1:10
	;; [unrolled: 1-line block ×3, first 2 shown]
	v_add_u32_e32 v7, -8, v7
	s_waitcnt lgkmcnt(3)
	v_pk_mul_f32 v[10:11], v[2:3], v[10:11]
	s_waitcnt lgkmcnt(2)
	v_pk_mul_f32 v[12:13], v[2:3], v[12:13]
	ds_write2st64_b32 v8, v10, v11 offset1:2
	ds_write2st64_b32 v8, v12, v13 offset0:4 offset1:6
	ds_read2st64_b32 v[12:13], v8 offset0:16 offset1:18
	s_waitcnt lgkmcnt(4)
	v_pk_mul_f32 v[10:11], v[2:3], v[14:15]
	ds_write2st64_b32 v8, v10, v11 offset0:8 offset1:10
	s_waitcnt lgkmcnt(4)
	v_pk_mul_f32 v[10:11], v[2:3], v[18:19]
	ds_write2st64_b32 v8, v10, v11 offset0:12 offset1:14
	ds_read2st64_b32 v[10:11], v8 offset0:20 offset1:22
	s_waitcnt lgkmcnt(3)
	v_pk_mul_f32 v[12:13], v[2:3], v[12:13]
	ds_read2st64_b32 v[14:15], v8 offset0:24 offset1:26
	ds_write2st64_b32 v8, v12, v13 offset0:16 offset1:18
	ds_read2st64_b32 v[12:13], v8 offset0:28 offset1:30
	s_waitcnt lgkmcnt(3)
	v_pk_mul_f32 v[10:11], v[2:3], v[10:11]
	ds_write2st64_b32 v8, v10, v11 offset0:20 offset1:22
	s_waitcnt lgkmcnt(3)
	v_pk_mul_f32 v[10:11], v[2:3], v[14:15]
	ds_write2st64_b32 v8, v10, v11 offset0:24 offset1:26
	s_waitcnt lgkmcnt(2)
	v_pk_mul_f32 v[10:11], v[2:3], v[12:13]
	s_add_i32 s18, s18, 16
	v_cmp_eq_u32_e32 vcc, 0, v7
	ds_write2st64_b32 v8, v10, v11 offset0:28 offset1:30
	v_add_u32_e32 v8, 0x2000, v8
	s_or_b64 s[12:13], vcc, s[12:13]
	v_mov_b32_e32 v9, s18
	s_andn2_b64 exec, exec, s[12:13]
	s_cbranch_execnz .LBB272_37
; %bb.38:
	s_or_b64 exec, exec, s[12:13]
.LBB272_39:
	s_or_b64 exec, exec, s[8:9]
	v_and_b32_e32 v5, 7, v5
	v_cmp_ne_u32_e32 vcc, 0, v5
	s_and_saveexec_b64 s[8:9], vcc
	s_cbranch_execz .LBB272_42
; %bb.40:
	v_lshlrev_b32_e32 v7, 9, v9
	v_lshlrev_b32_e32 v8, 2, v0
	s_movk_i32 s12, 0x50
	v_add3_u32 v7, v7, v8, s12
	s_mov_b64 s[12:13], 0
.LBB272_41:                             ; =>This Inner Loop Header: Depth=1
	ds_read2st64_b32 v[8:9], v7 offset1:2
	v_add_u32_e32 v5, -1, v5
	v_cmp_eq_u32_e32 vcc, 0, v5
	s_or_b64 s[12:13], vcc, s[12:13]
	s_waitcnt lgkmcnt(0)
	v_pk_mul_f32 v[8:9], v[2:3], v[8:9]
	ds_write2st64_b32 v7, v8, v9 offset1:2
	v_add_u32_e32 v7, 0x400, v7
	s_andn2_b64 exec, exec, s[12:13]
	s_cbranch_execnz .LBB272_41
.LBB272_42:
	s_or_b64 exec, exec, s[8:9]
	v_add_u32_e32 v4, 1, v4
	v_and_b32_e32 v5, 0x3fffffe, v4
	v_cmp_ne_u32_e32 vcc, v4, v5
	v_lshl_add_u32 v3, v5, 7, v0
	s_orn2_b64 s[8:9], vcc, exec
.LBB272_43:
	s_or_b64 exec, exec, s[6:7]
	s_and_b64 exec, exec, s[8:9]
	s_cbranch_execz .LBB272_46
; %bb.44:
	v_mov_b32_e32 v4, 0x50
	v_lshl_add_u32 v4, v3, 2, v4
	s_mov_b64 s[6:7], 0
.LBB272_45:                             ; =>This Inner Loop Header: Depth=1
	ds_read_b32 v5, v4
	v_add_u32_e32 v3, 0x80, v3
	v_cmp_le_i32_e32 vcc, s37, v3
	s_or_b64 s[6:7], vcc, s[6:7]
	s_waitcnt lgkmcnt(0)
	v_mul_f32_e32 v5, v2, v5
	ds_write_b32 v4, v5
	v_add_u32_e32 v4, 0x200, v4
	s_andn2_b64 exec, exec, s[6:7]
	s_cbranch_execnz .LBB272_45
.LBB272_46:
	s_or_b64 exec, exec, s[0:1]
	v_mov_b32_e32 v11, 0
	s_waitcnt lgkmcnt(0)
	s_barrier
	s_and_saveexec_b64 s[6:7], s[2:3]
	s_cbranch_execz .LBB272_56
; %bb.47:
	s_sub_i32 s18, s16, s21
	s_ashr_i32 s1, s43, 31
	s_add_u32 s0, s34, s43
	s_addc_u32 s1, s35, s1
	s_abs_i32 s19, s22
	v_cvt_f32_u32_e32 v2, s19
	v_lshlrev_b32_e32 v10, 3, v17
	v_mov_b32_e32 v11, 0
	v_lshl_add_u64 v[12:13], s[0:1], 0, v[10:11]
	v_rcp_iflag_f32_e32 v2, v2
	s_sub_i32 s0, 0, s19
	s_add_i32 s22, s42, -1
	v_and_b32_e32 v10, 60, v6
	v_mul_f32_e32 v2, 0x4f7ffffe, v2
	v_cvt_u32_f32_e32 v2, v2
	s_mov_b32 s21, s17
	v_cmp_gt_u32_e32 vcc, 32, v17
	s_mov_b64 s[8:9], 0
	v_mul_lo_u32 v3, s0, v2
	s_lshl_b64 s[0:1], s[30:31], 2
	v_mul_hi_u32 v3, v2, v3
	s_add_u32 s0, s28, s0
	v_add_u32_e32 v18, v2, v3
	s_addc_u32 s1, s29, s1
	v_mov_b32_e32 v2, 0x50
	v_lshl_add_u64 v[14:15], s[0:1], 0, v[10:11]
	v_lshl_add_u32 v10, v1, 5, v2
	s_branch .LBB272_51
.LBB272_48:                             ;   in Loop: Header=BB272_51 Depth=1
	s_or_b64 exec, exec, s[16:17]
	v_cvt_pk_bf16_f32 v6, v6, s0
	v_cvt_pk_bf16_f32 v7, v7, s0
	;; [unrolled: 1-line block ×6, first 2 shown]
	v_lshlrev_b32_e32 v7, 16, v7
	v_lshlrev_b32_e32 v26, 16, v26
	;; [unrolled: 1-line block ×8, first 2 shown]
	v_cvt_pk_bf16_f32 v4, v4, s0
	v_cvt_pk_bf16_f32 v5, v5, s0
	v_mul_f32_e32 v7, v7, v26
	v_mul_f32_e32 v6, v6, v25
	;; [unrolled: 1-line block ×4, first 2 shown]
	v_lshlrev_b32_e32 v3, 16, v3
	v_lshlrev_b32_e32 v22, 16, v22
	;; [unrolled: 1-line block ×4, first 2 shown]
	v_cvt_pk_bf16_f32 v7, v7, s0
	v_cvt_pk_bf16_f32 v6, v6, s0
	;; [unrolled: 1-line block ×4, first 2 shown]
	v_mul_f32_e32 v3, v3, v22
	v_mul_f32_e32 v2, v2, v21
	v_lshlrev_b32_e32 v5, 16, v5
	v_lshlrev_b32_e32 v20, 16, v20
	;; [unrolled: 1-line block ×4, first 2 shown]
	v_cvt_pk_bf16_f32 v3, v3, s0
	v_cvt_pk_bf16_f32 v2, v2, s0
	v_mul_f32_e32 v5, v5, v20
	v_mul_f32_e32 v4, v4, v19
	v_lshlrev_b32_e32 v6, 16, v6
	v_lshlrev_b32_e32 v7, 16, v7
	;; [unrolled: 1-line block ×4, first 2 shown]
	v_cvt_pk_bf16_f32 v5, v5, s0
	v_cvt_pk_bf16_f32 v4, v4, s0
	v_lshlrev_b32_e32 v2, 16, v2
	v_lshlrev_b32_e32 v3, 16, v3
	v_add_f32_e32 v6, v7, v6
	v_add_f32_e32 v7, v9, v8
	v_lshlrev_b32_e32 v4, 16, v4
	v_lshlrev_b32_e32 v5, 16, v5
	v_add_f32_e32 v6, v7, v6
	v_add_f32_e32 v2, v3, v2
	;; [unrolled: 1-line block ×6, first 2 shown]
.LBB272_49:                             ;   in Loop: Header=BB272_51 Depth=1
	s_or_b64 exec, exec, s[12:13]
.LBB272_50:                             ;   in Loop: Header=BB272_51 Depth=1
	s_or_b64 exec, exec, s[2:3]
	v_add_u32_e32 v1, 2, v1
	v_cmp_le_i32_e64 s[0:1], s42, v1
	v_lshl_add_u64 v[14:15], v[14:15], 0, 8
	v_add_u32_e32 v16, 16, v16
	s_or_b64 s[8:9], s[0:1], s[8:9]
	v_add_u32_e32 v10, 64, v10
	s_andn2_b64 exec, exec, s[8:9]
	s_cbranch_execz .LBB272_55
.LBB272_51:                             ; =>This Inner Loop Header: Depth=1
	v_mul_hi_u32 v2, v16, s33
	v_mul_lo_u32 v3, v2, s25
	v_sub_u32_e32 v3, v16, v3
	v_add_u32_e32 v4, 1, v2
	v_cmp_le_u32_e64 s[0:1], s25, v3
	s_nop 1
	v_cndmask_b32_e64 v2, v2, v4, s[0:1]
	v_subrev_u32_e32 v4, s25, v3
	v_cndmask_b32_e64 v3, v3, v4, s[0:1]
	v_add_u32_e32 v4, 1, v2
	v_cmp_le_u32_e64 s[0:1], s25, v3
	s_nop 1
	v_cndmask_b32_e64 v2, v2, v4, s[0:1]
	v_xor_b32_e32 v2, s23, v2
	v_subrev_u32_e32 v2, s23, v2
	v_add_u32_e32 v3, s36, v2
	v_sub_u32_e32 v5, 0, v3
	v_ashrrev_i32_e32 v4, 31, v3
	v_max_i32_e32 v3, v3, v5
	v_mul_hi_u32 v5, v3, v18
	v_mul_lo_u32 v5, v5, s19
	v_sub_u32_e32 v3, v3, v5
	v_subrev_u32_e32 v5, s19, v3
	v_cmp_le_u32_e64 s[0:1], s19, v3
	v_cmp_lt_i32_e64 s[2:3], s18, v2
	s_nop 0
	v_cndmask_b32_e64 v3, v3, v5, s[0:1]
	v_subrev_u32_e32 v5, s19, v3
	v_cmp_le_u32_e64 s[0:1], s19, v3
	s_nop 1
	v_cndmask_b32_e64 v3, v3, v5, s[0:1]
	v_xor_b32_e32 v3, v3, v4
	v_sub_u32_e32 v3, v3, v4
	v_cmp_eq_u32_e64 s[0:1], 0, v3
	s_or_b64 s[0:1], s[0:1], s[2:3]
	s_and_saveexec_b64 s[2:3], s[0:1]
	s_cbranch_execz .LBB272_50
; %bb.52:                               ;   in Loop: Header=BB272_51 Depth=1
	s_and_saveexec_b64 s[12:13], vcc
	s_cbranch_execz .LBB272_49
; %bb.53:                               ;   in Loop: Header=BB272_51 Depth=1
	global_load_dword v2, v[14:15], off
	s_waitcnt vmcnt(0)
	v_mad_i64_i32 v[2:3], s[0:1], v2, s21, v[12:13]
	global_load_dwordx2 v[20:21], v[2:3], off
	ds_read2_b64 v[6:9], v10 offset1:1
	ds_read2_b64 v[2:5], v10 offset0:2 offset1:3
	s_load_dword s16, s[14:15], 0x0
	v_cmp_eq_u32_e64 s[0:1], s22, v1
	s_waitcnt vmcnt(0)
	v_and_b32_e32 v19, 0xff, v20
	v_bfe_u32 v22, v20, 8, 8
	v_bfe_u32 v23, v20, 16, 8
	v_lshrrev_b32_e32 v20, 24, v20
	v_and_b32_e32 v24, 0xff, v21
	v_bfe_u32 v25, v21, 8, 8
	v_bfe_u32 v26, v21, 16, 8
	v_lshrrev_b32_e32 v21, 24, v21
	v_cvt_f32_fp8_e32 v19, v19
	v_cvt_f32_fp8_e32 v22, v22
	;; [unrolled: 1-line block ×8, first 2 shown]
	s_waitcnt lgkmcnt(0)
	v_mul_f32_e32 v19, s16, v19
	v_mul_f32_e32 v22, s16, v22
	;; [unrolled: 1-line block ×8, first 2 shown]
	v_cvt_pk_bf16_f32 v25, v19, s0
	v_cvt_pk_bf16_f32 v26, v22, s0
	;; [unrolled: 1-line block ×8, first 2 shown]
	s_and_saveexec_b64 s[16:17], s[0:1]
	s_cbranch_execz .LBB272_48
; %bb.54:                               ;   in Loop: Header=BB272_51 Depth=1
	v_cmp_gt_i32_e64 s[0:1], s11, v16
	v_add_u32_e32 v27, 1, v16
	s_nop 0
	v_cndmask_b32_e64 v25, 0, v25, s[0:1]
	v_cmp_gt_i32_e64 s[0:1], s11, v27
	v_add_u32_e32 v27, 2, v16
	s_nop 0
	v_cndmask_b32_e64 v26, 0, v26, s[0:1]
	;; [unrolled: 4-line block ×7, first 2 shown]
	v_cmp_gt_i32_e64 s[0:1], s11, v27
	s_nop 1
	v_cndmask_b32_e64 v20, 0, v20, s[0:1]
	s_branch .LBB272_48
.LBB272_55:
	s_or_b64 exec, exec, s[8:9]
.LBB272_56:
	s_or_b64 exec, exec, s[6:7]
	v_and_b32_e32 v1, 0x3c0, v0
	v_cmp_eq_u32_e64 s[0:1], 64, v1
	v_cmp_gt_u32_e64 s[2:3], 32, v17
	v_mov_b32_e32 v1, 0x50
	v_cmp_lt_u32_e32 vcc, 31, v17
	v_lshl_add_u32 v1, v17, 2, v1
	s_and_b64 s[2:3], s[0:1], s[2:3]
	s_barrier
	s_and_saveexec_b64 s[0:1], s[2:3]
; %bb.57:
	ds_write_b32 v1, v11
; %bb.58:
	s_or_b64 exec, exec, s[0:1]
	v_cmp_gt_u32_e64 s[0:1], 64, v0
	s_xor_b64 s[2:3], vcc, -1
	s_and_b64 s[2:3], s[0:1], s[2:3]
	s_waitcnt lgkmcnt(0)
	s_barrier
	s_and_saveexec_b64 s[0:1], s[2:3]
	s_cbranch_execz .LBB272_60
; %bb.59:
	ds_read_b32 v1, v1
	s_waitcnt lgkmcnt(0)
	v_add_f32_e32 v11, v11, v1
.LBB272_60:
	s_or_b64 exec, exec, s[0:1]
	v_cmp_gt_u32_e32 vcc, 64, v0
	v_cmp_gt_u32_e64 s[0:1], 32, v17
	s_and_b64 s[0:1], vcc, s[0:1]
	s_barrier
	s_and_saveexec_b64 s[2:3], s[0:1]
	s_cbranch_execz .LBB272_62
; %bb.61:
	s_mul_i32 s0, s10, s20
	s_mul_i32 s0, s0, s5
	s_lshl_b32 s0, s0, 5
	s_ashr_i32 s1, s0, 31
	s_lshl_b64 s[0:1], s[0:1], 1
	s_add_u32 s2, s26, s0
	s_mul_i32 s0, s20, s24
	s_addc_u32 s3, s27, s1
	s_ashr_i32 s1, s0, 31
	s_lshl_b64 s[0:1], s[0:1], 1
	s_add_u32 s2, s2, s0
	s_addc_u32 s3, s3, s1
	s_lshl_b32 s0, s4, 5
	s_ashr_i32 s1, s0, 31
	s_lshl_b64 s[0:1], s[0:1], 1
	s_add_u32 s0, s2, s0
	s_addc_u32 s1, s3, s1
	v_lshlrev_b32_e32 v0, 1, v17
	v_cvt_pk_bf16_f32 v1, v11, s0
	global_store_short v0, v1, s[0:1]
.LBB272_62:
	s_endpgm
	.section	.rodata,"a",@progbits
	.p2align	6, 0x0
	.amdhsa_kernel _ZN4vllm25paged_attention_v1_kernelI14__hip_bfloat16hLi32ELi8ELi128ELNS_18Fp8KVCacheDataTypeE1ELb1EEEvPT_PKS3_PKT0_S9_ifPKiSB_iPKfiiiSD_SD_iiiii
		.amdhsa_group_segment_fixed_size 80
		.amdhsa_private_segment_fixed_size 0
		.amdhsa_kernarg_size 384
		.amdhsa_user_sgpr_count 2
		.amdhsa_user_sgpr_dispatch_ptr 0
		.amdhsa_user_sgpr_queue_ptr 0
		.amdhsa_user_sgpr_kernarg_segment_ptr 1
		.amdhsa_user_sgpr_dispatch_id 0
		.amdhsa_user_sgpr_kernarg_preload_length 0
		.amdhsa_user_sgpr_kernarg_preload_offset 0
		.amdhsa_user_sgpr_private_segment_size 0
		.amdhsa_uses_dynamic_stack 0
		.amdhsa_enable_private_segment 0
		.amdhsa_system_sgpr_workgroup_id_x 1
		.amdhsa_system_sgpr_workgroup_id_y 1
		.amdhsa_system_sgpr_workgroup_id_z 1
		.amdhsa_system_sgpr_workgroup_info 0
		.amdhsa_system_vgpr_workitem_id 0
		.amdhsa_next_free_vgpr 32
		.amdhsa_next_free_sgpr 48
		.amdhsa_accum_offset 32
		.amdhsa_reserve_vcc 1
		.amdhsa_float_round_mode_32 0
		.amdhsa_float_round_mode_16_64 0
		.amdhsa_float_denorm_mode_32 3
		.amdhsa_float_denorm_mode_16_64 3
		.amdhsa_dx10_clamp 1
		.amdhsa_ieee_mode 1
		.amdhsa_fp16_overflow 0
		.amdhsa_tg_split 0
		.amdhsa_exception_fp_ieee_invalid_op 0
		.amdhsa_exception_fp_denorm_src 0
		.amdhsa_exception_fp_ieee_div_zero 0
		.amdhsa_exception_fp_ieee_overflow 0
		.amdhsa_exception_fp_ieee_underflow 0
		.amdhsa_exception_fp_ieee_inexact 0
		.amdhsa_exception_int_div_zero 0
	.end_amdhsa_kernel
	.section	.text._ZN4vllm25paged_attention_v1_kernelI14__hip_bfloat16hLi32ELi8ELi128ELNS_18Fp8KVCacheDataTypeE1ELb1EEEvPT_PKS3_PKT0_S9_ifPKiSB_iPKfiiiSD_SD_iiiii,"axG",@progbits,_ZN4vllm25paged_attention_v1_kernelI14__hip_bfloat16hLi32ELi8ELi128ELNS_18Fp8KVCacheDataTypeE1ELb1EEEvPT_PKS3_PKT0_S9_ifPKiSB_iPKfiiiSD_SD_iiiii,comdat
.Lfunc_end272:
	.size	_ZN4vllm25paged_attention_v1_kernelI14__hip_bfloat16hLi32ELi8ELi128ELNS_18Fp8KVCacheDataTypeE1ELb1EEEvPT_PKS3_PKT0_S9_ifPKiSB_iPKfiiiSD_SD_iiiii, .Lfunc_end272-_ZN4vllm25paged_attention_v1_kernelI14__hip_bfloat16hLi32ELi8ELi128ELNS_18Fp8KVCacheDataTypeE1ELb1EEEvPT_PKS3_PKT0_S9_ifPKiSB_iPKfiiiSD_SD_iiiii
                                        ; -- End function
	.set _ZN4vllm25paged_attention_v1_kernelI14__hip_bfloat16hLi32ELi8ELi128ELNS_18Fp8KVCacheDataTypeE1ELb1EEEvPT_PKS3_PKT0_S9_ifPKiSB_iPKfiiiSD_SD_iiiii.num_vgpr, 32
	.set _ZN4vllm25paged_attention_v1_kernelI14__hip_bfloat16hLi32ELi8ELi128ELNS_18Fp8KVCacheDataTypeE1ELb1EEEvPT_PKS3_PKT0_S9_ifPKiSB_iPKfiiiSD_SD_iiiii.num_agpr, 0
	.set _ZN4vllm25paged_attention_v1_kernelI14__hip_bfloat16hLi32ELi8ELi128ELNS_18Fp8KVCacheDataTypeE1ELb1EEEvPT_PKS3_PKT0_S9_ifPKiSB_iPKfiiiSD_SD_iiiii.numbered_sgpr, 48
	.set _ZN4vllm25paged_attention_v1_kernelI14__hip_bfloat16hLi32ELi8ELi128ELNS_18Fp8KVCacheDataTypeE1ELb1EEEvPT_PKS3_PKT0_S9_ifPKiSB_iPKfiiiSD_SD_iiiii.num_named_barrier, 0
	.set _ZN4vllm25paged_attention_v1_kernelI14__hip_bfloat16hLi32ELi8ELi128ELNS_18Fp8KVCacheDataTypeE1ELb1EEEvPT_PKS3_PKT0_S9_ifPKiSB_iPKfiiiSD_SD_iiiii.private_seg_size, 0
	.set _ZN4vllm25paged_attention_v1_kernelI14__hip_bfloat16hLi32ELi8ELi128ELNS_18Fp8KVCacheDataTypeE1ELb1EEEvPT_PKS3_PKT0_S9_ifPKiSB_iPKfiiiSD_SD_iiiii.uses_vcc, 1
	.set _ZN4vllm25paged_attention_v1_kernelI14__hip_bfloat16hLi32ELi8ELi128ELNS_18Fp8KVCacheDataTypeE1ELb1EEEvPT_PKS3_PKT0_S9_ifPKiSB_iPKfiiiSD_SD_iiiii.uses_flat_scratch, 0
	.set _ZN4vllm25paged_attention_v1_kernelI14__hip_bfloat16hLi32ELi8ELi128ELNS_18Fp8KVCacheDataTypeE1ELb1EEEvPT_PKS3_PKT0_S9_ifPKiSB_iPKfiiiSD_SD_iiiii.has_dyn_sized_stack, 0
	.set _ZN4vllm25paged_attention_v1_kernelI14__hip_bfloat16hLi32ELi8ELi128ELNS_18Fp8KVCacheDataTypeE1ELb1EEEvPT_PKS3_PKT0_S9_ifPKiSB_iPKfiiiSD_SD_iiiii.has_recursion, 0
	.set _ZN4vllm25paged_attention_v1_kernelI14__hip_bfloat16hLi32ELi8ELi128ELNS_18Fp8KVCacheDataTypeE1ELb1EEEvPT_PKS3_PKT0_S9_ifPKiSB_iPKfiiiSD_SD_iiiii.has_indirect_call, 0
	.section	.AMDGPU.csdata,"",@progbits
; Kernel info:
; codeLenInByte = 4460
; TotalNumSgprs: 54
; NumVgprs: 32
; NumAgprs: 0
; TotalNumVgprs: 32
; ScratchSize: 0
; MemoryBound: 0
; FloatMode: 240
; IeeeMode: 1
; LDSByteSize: 80 bytes/workgroup (compile time only)
; SGPRBlocks: 6
; VGPRBlocks: 3
; NumSGPRsForWavesPerEU: 54
; NumVGPRsForWavesPerEU: 32
; AccumOffset: 32
; Occupancy: 8
; WaveLimiterHint : 1
; COMPUTE_PGM_RSRC2:SCRATCH_EN: 0
; COMPUTE_PGM_RSRC2:USER_SGPR: 2
; COMPUTE_PGM_RSRC2:TRAP_HANDLER: 0
; COMPUTE_PGM_RSRC2:TGID_X_EN: 1
; COMPUTE_PGM_RSRC2:TGID_Y_EN: 1
; COMPUTE_PGM_RSRC2:TGID_Z_EN: 1
; COMPUTE_PGM_RSRC2:TIDIG_COMP_CNT: 0
; COMPUTE_PGM_RSRC3_GFX90A:ACCUM_OFFSET: 7
; COMPUTE_PGM_RSRC3_GFX90A:TG_SPLIT: 0
	.section	.text._ZN4vllm25paged_attention_v1_kernelI14__hip_bfloat16hLi64ELi8ELi128ELNS_18Fp8KVCacheDataTypeE1ELb1EEEvPT_PKS3_PKT0_S9_ifPKiSB_iPKfiiiSD_SD_iiiii,"axG",@progbits,_ZN4vllm25paged_attention_v1_kernelI14__hip_bfloat16hLi64ELi8ELi128ELNS_18Fp8KVCacheDataTypeE1ELb1EEEvPT_PKS3_PKT0_S9_ifPKiSB_iPKfiiiSD_SD_iiiii,comdat
	.protected	_ZN4vllm25paged_attention_v1_kernelI14__hip_bfloat16hLi64ELi8ELi128ELNS_18Fp8KVCacheDataTypeE1ELb1EEEvPT_PKS3_PKT0_S9_ifPKiSB_iPKfiiiSD_SD_iiiii ; -- Begin function _ZN4vllm25paged_attention_v1_kernelI14__hip_bfloat16hLi64ELi8ELi128ELNS_18Fp8KVCacheDataTypeE1ELb1EEEvPT_PKS3_PKT0_S9_ifPKiSB_iPKfiiiSD_SD_iiiii
	.globl	_ZN4vllm25paged_attention_v1_kernelI14__hip_bfloat16hLi64ELi8ELi128ELNS_18Fp8KVCacheDataTypeE1ELb1EEEvPT_PKS3_PKT0_S9_ifPKiSB_iPKfiiiSD_SD_iiiii
	.p2align	8
	.type	_ZN4vllm25paged_attention_v1_kernelI14__hip_bfloat16hLi64ELi8ELi128ELNS_18Fp8KVCacheDataTypeE1ELb1EEEvPT_PKS3_PKT0_S9_ifPKiSB_iPKfiiiSD_SD_iiiii,@function
_ZN4vllm25paged_attention_v1_kernelI14__hip_bfloat16hLi64ELi8ELi128ELNS_18Fp8KVCacheDataTypeE1ELb1EEEvPT_PKS3_PKT0_S9_ifPKiSB_iPKfiiiSD_SD_iiiii: ; @_ZN4vllm25paged_attention_v1_kernelI14__hip_bfloat16hLi64ELi8ELi128ELNS_18Fp8KVCacheDataTypeE1ELb1EEEvPT_PKS3_PKT0_S9_ifPKiSB_iPKfiiiSD_SD_iiiii
; %bb.0:
	s_load_dword s5, s[0:1], 0x80
	s_load_dwordx2 s[6:7], s[0:1], 0x30
	s_load_dwordx2 s[38:39], s[0:1], 0x20
	s_mov_b32 s24, s3
	s_ashr_i32 s25, s3, 31
	s_lshl_b64 s[8:9], s[24:25], 2
	s_waitcnt lgkmcnt(0)
	s_add_u32 s6, s6, s8
	s_addc_u32 s7, s7, s9
	s_abs_i32 s3, s38
	v_cvt_f32_u32_e32 v1, s3
	s_sub_i32 s10, 0, s3
	s_abs_i32 s9, s5
	s_xor_b32 s8, s5, s38
	v_rcp_iflag_f32_e32 v1, v1
	s_ashr_i32 s8, s8, 31
	s_mov_b32 s46, 0
	v_mul_f32_e32 v1, 0x4f7ffffe, v1
	v_cvt_u32_f32_e32 v1, v1
	s_nop 0
	v_readfirstlane_b32 s11, v1
	s_mul_i32 s10, s10, s11
	s_mul_hi_u32 s10, s11, s10
	s_add_i32 s11, s11, s10
	s_mul_hi_u32 s10, s9, s11
	s_mul_i32 s11, s10, s3
	s_sub_i32 s9, s9, s11
	s_add_i32 s11, s10, 1
	s_sub_i32 s12, s9, s3
	s_cmp_ge_u32 s9, s3
	s_cselect_b32 s10, s11, s10
	s_cselect_b32 s9, s12, s9
	s_add_i32 s11, s10, 1
	s_cmp_ge_u32 s9, s3
	s_cselect_b32 s3, s11, s10
	s_xor_b32 s3, s3, s8
	s_sub_i32 s14, s3, s8
	s_abs_i32 s10, s14
	v_cvt_f32_u32_e32 v1, s10
	s_load_dwordx2 s[8:9], s[0:1], 0x40
	s_sub_i32 s3, 0, s10
	s_abs_i32 s11, s2
	v_rcp_iflag_f32_e32 v1, v1
	s_nop 0
	v_mul_f32_e32 v1, 0x4f7ffffe, v1
	v_cvt_u32_f32_e32 v1, v1
	s_nop 0
	v_readfirstlane_b32 s12, v1
	s_mul_i32 s3, s3, s12
	s_mul_hi_u32 s3, s12, s3
	s_add_i32 s12, s12, s3
	s_waitcnt lgkmcnt(0)
	s_cmp_eq_u64 s[8:9], 0
	s_mul_hi_u32 s12, s11, s12
	s_cbranch_scc1 .LBB273_2
; %bb.1:
	s_ashr_i32 s3, s2, 31
	s_lshl_b64 s[16:17], s[2:3], 2
	s_add_u32 s8, s8, s16
	s_addc_u32 s9, s9, s17
	s_load_dword s46, s[8:9], 0x0
.LBB273_2:
	s_load_dword s25, s[6:7], 0x0
	s_load_dwordx4 s[16:19], s[0:1], 0x48
	s_ashr_i32 s13, s2, 31
	s_ashr_i32 s14, s14, 31
	v_and_b32_e32 v2, 7, v0
	s_lshl_b32 s26, s2, 6
	v_cmp_gt_u32_e64 s[6:7], 64, v0
	s_and_saveexec_b64 s[8:9], s[6:7]
	s_cbranch_execz .LBB273_4
; %bb.3:
	s_load_dwordx2 s[20:21], s[0:1], 0x8
	s_waitcnt lgkmcnt(0)
	s_mul_i32 s22, s16, s24
	s_ashr_i32 s23, s22, 31
	s_lshl_b64 s[22:23], s[22:23], 1
	v_lshlrev_b32_e32 v1, 1, v0
	s_add_u32 s3, s20, s22
	s_addc_u32 s15, s21, s23
	s_ashr_i32 s27, s26, 31
	s_lshl_b64 s[20:21], s[26:27], 1
	s_add_u32 s20, s3, s20
	s_addc_u32 s21, s15, s21
	global_load_ushort v1, v1, s[20:21]
	v_lshrrev_b32_e32 v3, 2, v0
	v_and_b32_e32 v3, 0xfe, v3
	v_lshl_add_u32 v3, v2, 4, v3
	s_waitcnt vmcnt(0)
	ds_write_b16 v3, v1
.LBB273_4:
	s_or_b64 exec, exec, s[8:9]
	s_mul_i32 s9, s12, s10
	s_sub_i32 s9, s11, s9
	s_xor_b32 s8, s13, s14
	s_add_i32 s11, s12, 1
	s_sub_i32 s13, s9, s10
	s_load_dwordx4 s[20:23], s[0:1], 0x68
	s_load_dword s3, s[0:1], 0x78
	s_cmp_ge_u32 s9, s10
	s_cselect_b32 s11, s11, s12
	s_cselect_b32 s9, s13, s9
	s_add_i32 s12, s11, 1
	s_cmp_ge_u32 s9, s10
	s_cselect_b32 s9, s12, s11
	s_waitcnt lgkmcnt(0)
	s_abs_i32 s16, s23
	v_cvt_f32_u32_e32 v1, s16
	s_xor_b32 s9, s9, s8
	s_sub_i32 s45, s9, s8
	s_sub_i32 s8, 0, s16
	v_rcp_iflag_f32_e32 v1, v1
	s_add_i32 s12, s25, -1
	s_abs_i32 s10, s12
	v_mul_f32_e32 v1, 0x4f7ffffe, v1
	v_cvt_u32_f32_e32 v1, v1
	s_barrier
	v_readfirstlane_b32 s27, v1
	s_mul_i32 s8, s8, s27
	s_mul_hi_u32 s8, s27, s8
	s_add_i32 s27, s27, s8
	s_cmp_lt_i32 s3, 0
	s_mul_hi_u32 s11, s10, s27
	s_cbranch_scc0 .LBB273_6
; %bb.5:
	s_mul_i32 s8, s20, s38
	s_add_i32 s8, s45, s8
	s_mul_i32 s8, s8, s3
	s_sub_i32 s33, 1, s8
	s_mov_b64 s[8:9], 0
	s_branch .LBB273_7
.LBB273_6:
	s_mov_b64 s[8:9], -1
                                        ; implicit-def: $sgpr33
.LBB273_7:
	s_load_dwordx2 s[30:31], s[0:1], 0x28
	s_ashr_i32 s19, s12, 31
	s_andn2_b64 vcc, exec, s[8:9]
	s_ashr_i32 s23, s23, 31
	s_cbranch_vccnz .LBB273_9
; %bb.8:
	s_mul_i32 s8, s5, s20
	s_add_i32 s2, s8, s2
	s_mul_i32 s2, s2, s3
	s_add_i32 s33, s2, 1
.LBB273_9:
	s_load_dword s2, s[0:1], 0x38
	s_load_dwordx2 s[28:29], s[0:1], 0x0
	s_load_dwordx2 s[36:37], s[0:1], 0x18
	s_load_dword s20, s[0:1], 0x88
	s_load_dwordx4 s[12:15], s[0:1], 0x58
	s_mul_i32 s3, s11, s16
	s_waitcnt lgkmcnt(0)
	s_mul_i32 s34, s2, s24
	s_sub_i32 s3, s10, s3
	s_ashr_i32 s35, s34, 31
	s_xor_b32 s2, s19, s23
	s_add_i32 s8, s11, 1
	s_sub_i32 s9, s3, s16
	s_cmp_ge_u32 s3, s16
	s_cselect_b32 s8, s8, s11
	s_cselect_b32 s3, s9, s3
	s_add_i32 s9, s8, 1
	s_cmp_ge_u32 s3, s16
	s_cselect_b32 s3, s9, s8
	s_xor_b32 s3, s3, s2
	s_sub_i32 s44, s3, s2
	s_add_i32 s2, s25, 7
	s_ashr_i32 s3, s2, 31
	s_lshr_b32 s3, s3, 29
	s_add_i32 s2, s2, s3
	s_ashr_i32 s38, s2, 3
	v_lshrrev_b32_e32 v1, 6, v0
	v_cmp_gt_i32_e64 s[2:3], s38, v1
	v_mov_b32_e32 v10, 0xff7fffff
	s_mul_i32 s45, s45, s18
	v_lshrrev_b32_e32 v6, 4, v0
	v_lshlrev_b32_e32 v16, 3, v1
	v_mbcnt_lo_u32_b32 v7, -1, 0
	s_and_saveexec_b64 s[18:19], s[2:3]
	s_cbranch_execz .LBB273_21
; %bb.10:
	s_load_dwordx2 s[0:1], s[0:1], 0x10
	s_sub_i32 s47, s44, s21
	s_ashr_i32 s9, s45, 31
	v_bfe_u32 v8, v0, 3, 3
	v_mov_b32_e32 v5, 0
	s_waitcnt lgkmcnt(0)
	s_add_u32 s8, s0, s45
	s_addc_u32 s9, s1, s9
	s_abs_i32 s48, s22
	v_cvt_f32_u32_e32 v3, s48
	v_lshlrev_b32_e32 v4, 4, v8
	v_lshl_add_u64 v[12:13], s[8:9], 0, v[4:5]
	s_sub_i32 s8, 0, s48
	v_rcp_iflag_f32_e32 v3, v3
	v_cmp_eq_u32_e32 vcc, 0, v2
	v_lshlrev_b32_e32 v9, 4, v2
	v_mbcnt_hi_u32_b32 v17, -1, v7
	v_mul_f32_e32 v3, 0x4f7ffffe, v3
	v_cvt_u32_f32_e32 v10, v3
	v_mov_b32_e32 v3, v5
	v_lshl_add_u64 v[2:3], v[12:13], 0, v[2:3]
	s_mov_b32 s49, s17
	v_mul_lo_u32 v4, s8, v10
	v_mul_hi_u32 v4, v10, v4
	v_add_u32_e32 v11, v10, v4
	v_subrev_u32_e32 v10, s25, v8
	s_lshl_b64 s[8:9], s[34:35], 2
	v_add_u32_e32 v13, 1, v10
	v_lshlrev_b32_e32 v10, 2, v8
	s_add_u32 s8, s30, s8
	v_lshl_or_b32 v10, v1, 5, v10
	v_and_b32_e32 v4, 60, v6
	s_addc_u32 s9, s31, s9
	v_add_u32_e32 v14, 0x90, v10
	v_and_b32_e32 v10, 64, v17
	v_cmp_neq_f32_e64 s[0:1], s46, 0
	v_lshl_add_u64 v[4:5], s[8:9], 0, v[4:5]
	v_lshlrev_b32_e32 v12, 3, v1
	v_mov_b32_e32 v15, 0xff7fffff
	s_mov_b64 s[40:41], 0
	v_add_u32_e32 v18, 64, v10
	v_xor_b32_e32 v19, 4, v17
	v_xor_b32_e32 v20, 2, v17
	;; [unrolled: 1-line block ×3, first 2 shown]
	v_mov_b32_e32 v10, 0xff7fffff
	v_mov_b32_e32 v22, v1
	s_branch .LBB273_13
.LBB273_11:                             ;   in Loop: Header=BB273_13 Depth=1
	s_or_b64 exec, exec, s[42:43]
.LBB273_12:                             ;   in Loop: Header=BB273_13 Depth=1
	s_or_b64 exec, exec, s[10:11]
	v_add_u32_e32 v22, 2, v22
	v_cmp_le_i32_e64 s[8:9], s38, v22
	v_lshl_add_u64 v[4:5], v[4:5], 0, 8
	v_add_u32_e32 v12, 16, v12
	s_or_b64 s[40:41], s[8:9], s[40:41]
	v_add_u32_e32 v14, 64, v14
	s_andn2_b64 exec, exec, s[40:41]
	s_cbranch_execz .LBB273_20
.LBB273_13:                             ; =>This Inner Loop Header: Depth=1
	v_mul_hi_u32 v23, v12, s27
	s_waitcnt lgkmcnt(0)
	v_mul_lo_u32 v24, v23, s16
	v_sub_u32_e32 v24, v12, v24
	v_add_u32_e32 v25, 1, v23
	v_cmp_le_u32_e64 s[8:9], s16, v24
	s_nop 1
	v_cndmask_b32_e64 v23, v23, v25, s[8:9]
	v_subrev_u32_e32 v25, s16, v24
	v_cndmask_b32_e64 v24, v24, v25, s[8:9]
	v_add_u32_e32 v25, 1, v23
	v_cmp_le_u32_e64 s[8:9], s16, v24
	s_nop 1
	v_cndmask_b32_e64 v23, v23, v25, s[8:9]
	v_xor_b32_e32 v23, s23, v23
	v_subrev_u32_e32 v23, s23, v23
	v_add_u32_e32 v24, s33, v23
	v_sub_u32_e32 v26, 0, v24
	v_ashrrev_i32_e32 v25, 31, v24
	v_max_i32_e32 v24, v24, v26
	v_mul_hi_u32 v26, v24, v11
	v_mul_lo_u32 v26, v26, s48
	v_sub_u32_e32 v24, v24, v26
	v_subrev_u32_e32 v26, s48, v24
	v_cmp_le_u32_e64 s[8:9], s48, v24
	v_cmp_ge_i32_e64 s[10:11], s47, v23
	s_nop 0
	v_cndmask_b32_e64 v24, v24, v26, s[8:9]
	v_subrev_u32_e32 v26, s48, v24
	v_cmp_le_u32_e64 s[8:9], s48, v24
	s_nop 1
	v_cndmask_b32_e64 v24, v24, v26, s[8:9]
	v_xor_b32_e32 v24, v24, v25
	v_sub_u32_e32 v24, v24, v25
	v_cmp_ne_u32_e64 s[8:9], 0, v24
	s_and_b64 s[8:9], s[8:9], s[10:11]
	s_and_saveexec_b64 s[10:11], s[8:9]
	s_xor_b64 s[8:9], exec, s[10:11]
	s_cbranch_execz .LBB273_17
; %bb.14:                               ;   in Loop: Header=BB273_13 Depth=1
	s_and_saveexec_b64 s[10:11], vcc
; %bb.15:                               ;   in Loop: Header=BB273_13 Depth=1
	ds_write_b32 v14, v15
; %bb.16:                               ;   in Loop: Header=BB273_13 Depth=1
	s_or_b64 exec, exec, s[10:11]
.LBB273_17:                             ;   in Loop: Header=BB273_13 Depth=1
	s_andn2_saveexec_b64 s[10:11], s[8:9]
	s_cbranch_execz .LBB273_12
; %bb.18:                               ;   in Loop: Header=BB273_13 Depth=1
	global_load_dword v23, v[4:5], off
	s_waitcnt vmcnt(0)
	v_mad_i64_i32 v[24:25], s[8:9], v23, s49, v[2:3]
	global_load_ubyte v23, v[24:25], off
	global_load_ubyte v28, v[24:25], off offset:8
	global_load_ubyte v29, v[24:25], off offset:128
	;; [unrolled: 1-line block ×7, first 2 shown]
	v_cmp_lt_i32_e64 s[8:9], v19, v18
	ds_read_b128 v[24:27], v9
	s_waitcnt lgkmcnt(0)
	v_lshlrev_b32_e32 v36, 16, v24
	v_cndmask_b32_e64 v35, v17, v19, s[8:9]
	s_load_dword s8, s[12:13], 0x0
	v_and_b32_e32 v24, 0xffff0000, v24
	v_lshlrev_b32_e32 v37, 16, v25
	v_and_b32_e32 v25, 0xffff0000, v25
	v_lshlrev_b32_e32 v38, 16, v26
	;; [unrolled: 2-line block ×4, first 2 shown]
	s_waitcnt vmcnt(7)
	v_cvt_f32_fp8_e32 v23, v23
	s_waitcnt vmcnt(6)
	v_cvt_f32_fp8_e32 v28, v28
	;; [unrolled: 2-line block ×5, first 2 shown]
	s_waitcnt lgkmcnt(0)
	v_mul_f32_e32 v28, s8, v28
	s_waitcnt vmcnt(2)
	v_cvt_f32_fp8_e32 v32, v32
	v_mul_f32_e32 v23, s8, v23
	v_cvt_pk_bf16_f32 v28, v28, s0
	s_waitcnt vmcnt(1)
	v_cvt_f32_fp8_e32 v33, v33
	v_mul_f32_e32 v29, s8, v29
	v_cvt_pk_bf16_f32 v23, v23, s0
	v_lshlrev_b32_e32 v28, 16, v28
	s_waitcnt vmcnt(0)
	v_cvt_f32_fp8_e32 v34, v34
	v_mul_f32_e32 v30, s8, v30
	v_cvt_pk_bf16_f32 v29, v29, s0
	v_lshlrev_b32_e32 v23, 16, v23
	v_mul_f32_e32 v24, v24, v28
	v_mul_f32_e32 v31, s8, v31
	v_cvt_pk_bf16_f32 v30, v30, s0
	v_lshlrev_b32_e32 v29, 16, v29
	v_fmac_f32_e32 v24, v36, v23
	v_mul_f32_e32 v32, s8, v32
	v_cvt_pk_bf16_f32 v31, v31, s0
	v_lshlrev_b32_e32 v30, 16, v30
	v_fmac_f32_e32 v24, v37, v29
	v_mul_f32_e32 v33, s8, v33
	v_cvt_pk_bf16_f32 v32, v32, s0
	v_lshlrev_b32_e32 v31, 16, v31
	v_fmac_f32_e32 v24, v25, v30
	v_mul_f32_e32 v34, s8, v34
	v_cvt_pk_bf16_f32 v33, v33, s0
	v_lshlrev_b32_e32 v32, 16, v32
	v_fmac_f32_e32 v24, v38, v31
	v_cvt_pk_bf16_f32 v34, v34, s0
	v_lshlrev_b32_e32 v33, 16, v33
	v_fmac_f32_e32 v24, v26, v32
	v_fmac_f32_e32 v24, v39, v33
	v_lshlrev_b32_e32 v23, 16, v34
	v_fmac_f32_e32 v24, v27, v23
	ds_bpermute_b32 v23, v35, v24
	v_cmp_lt_i32_e64 s[8:9], v20, v18
	s_waitcnt lgkmcnt(0)
	v_add_f32_e32 v23, v24, v23
	v_cndmask_b32_e64 v25, v17, v20, s[8:9]
	v_lshlrev_b32_e32 v25, 2, v25
	ds_bpermute_b32 v24, v25, v23
	v_cmp_lt_i32_e64 s[8:9], v21, v18
	s_waitcnt lgkmcnt(0)
	v_add_f32_e32 v23, v23, v24
	v_cndmask_b32_e64 v25, v17, v21, s[8:9]
	v_lshlrev_b32_e32 v25, 2, v25
	ds_bpermute_b32 v24, v25, v23
	s_and_saveexec_b64 s[42:43], vcc
	s_cbranch_execz .LBB273_11
; %bb.19:                               ;   in Loop: Header=BB273_13 Depth=1
	v_add_u32_e32 v25, v13, v12
	v_cvt_f32_i32_e32 v25, v25
	s_waitcnt lgkmcnt(0)
	v_add_f32_e32 v23, v23, v24
	v_add_u32_e32 v26, v8, v12
	v_cmp_gt_i32_e64 s[8:9], s25, v26
	v_mul_f32_e32 v24, s46, v25
	v_cndmask_b32_e64 v24, 0, v24, s[0:1]
	v_fmac_f32_e32 v24, s39, v23
	v_cndmask_b32_e64 v23, 0, v24, s[8:9]
	ds_write_b32 v14, v23
	v_max_f32_e32 v23, v10, v10
	v_max_f32_e32 v23, v23, v24
	v_cndmask_b32_e64 v10, v10, v23, s[8:9]
	s_branch .LBB273_11
.LBB273_20:
	s_or_b64 exec, exec, s[40:41]
.LBB273_21:
	s_or_b64 exec, exec, s[18:19]
	v_mbcnt_hi_u32_b32 v2, -1, v7
	v_and_b32_e32 v11, 64, v2
	v_add_u32_e32 v3, 64, v11
	v_xor_b32_e32 v4, 32, v2
	v_cmp_lt_i32_e32 vcc, v4, v3
	v_xor_b32_e32 v8, 16, v2
	v_max_f32_e32 v7, v10, v10
	v_cndmask_b32_e32 v4, v2, v4, vcc
	v_lshlrev_b32_e32 v5, 2, v4
	ds_bpermute_b32 v4, v5, v10
	v_cmp_lt_i32_e32 vcc, v8, v3
	v_xor_b32_e32 v9, 8, v2
	v_and_b32_e32 v17, 63, v0
	s_waitcnt lgkmcnt(0)
	v_max_f32_e32 v4, v4, v4
	v_max_f32_e32 v4, v7, v4
	v_cndmask_b32_e32 v7, v2, v8, vcc
	v_lshlrev_b32_e32 v8, 2, v7
	ds_bpermute_b32 v7, v8, v4
	v_cmp_lt_i32_e32 vcc, v9, v3
	s_waitcnt lgkmcnt(0)
	v_max_f32_e32 v7, v7, v7
	v_max_f32_e32 v7, v4, v7
	v_cndmask_b32_e32 v4, v2, v9, vcc
	v_lshlrev_b32_e32 v10, 2, v4
	ds_bpermute_b32 v9, v10, v7
	v_cmp_eq_u32_e32 vcc, 0, v17
	v_lshlrev_b32_e32 v4, 2, v1
	s_and_saveexec_b64 s[0:1], vcc
	s_cbranch_execz .LBB273_23
; %bb.22:
	s_waitcnt lgkmcnt(0)
	v_max_f32_e32 v9, v9, v9
	v_max_f32_e32 v7, v7, v7
	;; [unrolled: 1-line block ×3, first 2 shown]
	ds_write_b32 v4, v7 offset:128
.LBB273_23:
	s_or_b64 exec, exec, s[0:1]
	v_cmp_gt_u32_e64 s[0:1], 2, v17
	v_mov_b32_e32 v12, 0xff7fffff
	v_lshlrev_b32_e32 v7, 2, v17
	s_waitcnt lgkmcnt(0)
	s_barrier
	s_and_saveexec_b64 s[8:9], s[0:1]
; %bb.24:
	ds_read_b32 v12, v7 offset:128
; %bb.25:
	s_or_b64 exec, exec, s[8:9]
	v_xor_b32_e32 v9, 1, v2
	v_cmp_lt_i32_e64 s[8:9], v9, v3
	v_lshlrev_b32_e32 v11, 2, v11
	s_nop 0
	v_cndmask_b32_e64 v9, v2, v9, s[8:9]
	v_lshlrev_b32_e32 v9, 2, v9
	s_waitcnt lgkmcnt(0)
	ds_bpermute_b32 v13, v9, v12
	v_max_f32_e32 v12, v12, v12
	s_lshl_b32 s8, s38, 3
	s_min_i32 s39, s8, s25
	v_cmp_gt_i32_e64 s[8:9], s39, v0
	s_waitcnt lgkmcnt(0)
	v_max_f32_e32 v13, v13, v13
	v_max_f32_e32 v12, v12, v13
	ds_bpermute_b32 v12, v11, v12
	v_mov_b32_e32 v11, 0
	s_and_saveexec_b64 s[12:13], s[8:9]
	s_cbranch_execz .LBB273_29
; %bb.26:
	v_mov_b32_e32 v11, 0x90
	v_lshl_add_u32 v13, v0, 2, v11
	v_mov_b32_e32 v11, 0
	s_mov_b64 s[18:19], 0
	v_mov_b32_e32 v14, v0
.LBB273_27:                             ; =>This Inner Loop Header: Depth=1
	ds_read_b32 v15, v13
	v_add_u32_e32 v14, 0x80, v14
	v_cmp_le_i32_e64 s[10:11], s39, v14
	s_or_b64 s[18:19], s[10:11], s[18:19]
	s_waitcnt lgkmcnt(0)
	v_sub_f32_e32 v15, v15, v12
	v_mul_f32_e32 v15, 0x3fb8aa3b, v15
	v_exp_f32_e32 v15, v15
	ds_write_b32 v13, v15
	v_add_f32_e32 v11, v11, v15
	v_add_u32_e32 v13, 0x200, v13
	s_andn2_b64 exec, exec, s[18:19]
	s_cbranch_execnz .LBB273_27
; %bb.28:
	s_or_b64 exec, exec, s[18:19]
.LBB273_29:
	s_or_b64 exec, exec, s[12:13]
	ds_bpermute_b32 v5, v5, v11
	s_waitcnt lgkmcnt(0)
	v_add_f32_e32 v5, v11, v5
	ds_bpermute_b32 v8, v8, v5
	s_waitcnt lgkmcnt(0)
	v_add_f32_e32 v5, v5, v8
	ds_bpermute_b32 v8, v10, v5
	v_xor_b32_e32 v10, 4, v2
	v_cmp_lt_i32_e64 s[10:11], v10, v3
	s_waitcnt lgkmcnt(0)
	v_add_f32_e32 v5, v5, v8
	v_cndmask_b32_e64 v10, v2, v10, s[10:11]
	v_lshlrev_b32_e32 v10, 2, v10
	ds_bpermute_b32 v8, v10, v5
	v_xor_b32_e32 v10, 2, v2
	v_cmp_lt_i32_e64 s[10:11], v10, v3
	s_waitcnt lgkmcnt(0)
	v_add_f32_e32 v5, v5, v8
	v_cndmask_b32_e64 v3, v2, v10, s[10:11]
	v_lshlrev_b32_e32 v3, 2, v3
	ds_bpermute_b32 v3, v3, v5
	s_waitcnt lgkmcnt(0)
	v_add_f32_e32 v3, v5, v3
	ds_bpermute_b32 v5, v9, v3
	s_waitcnt lgkmcnt(0)
	v_add_f32_e32 v3, v3, v5
	s_and_saveexec_b64 s[10:11], vcc
; %bb.30:
	ds_write_b32 v4, v3 offset:136
; %bb.31:
	s_or_b64 exec, exec, s[10:11]
	s_waitcnt lgkmcnt(0)
	s_barrier
	s_and_saveexec_b64 s[10:11], s[0:1]
; %bb.32:
	ds_read_b32 v3, v7 offset:136
; %bb.33:
	s_or_b64 exec, exec, s[10:11]
	s_waitcnt lgkmcnt(0)
	ds_bpermute_b32 v4, v9, v3
	v_lshlrev_b32_e32 v2, 2, v2
	v_and_b32_e32 v2, 0x100, v2
	s_waitcnt lgkmcnt(0)
	v_add_f32_e32 v3, v3, v4
	ds_bpermute_b32 v2, v2, v3
	s_and_saveexec_b64 s[0:1], s[8:9]
	s_cbranch_execz .LBB273_46
; %bb.34:
	s_waitcnt lgkmcnt(0)
	v_add_f32_e32 v2, 0x358637bd, v2
	v_div_scale_f32 v3, s[8:9], v2, v2, 1.0
	v_rcp_f32_e32 v4, v3
	v_div_scale_f32 v5, vcc, 1.0, v2, 1.0
	s_movk_i32 s8, 0x7f
	v_fma_f32 v7, -v3, v4, 1.0
	v_fmac_f32_e32 v4, v7, v4
	v_mul_f32_e32 v7, v5, v4
	v_fma_f32 v8, -v3, v7, v5
	v_fmac_f32_e32 v7, v8, v4
	v_fma_f32 v3, -v3, v7, v5
	v_div_fmas_f32 v3, v3, v4, v7
	v_xad_u32 v4, v0, -1, s39
	v_div_fixup_f32 v2, v3, v2, 1.0
	v_cmp_lt_u32_e32 vcc, s8, v4
	s_mov_b64 s[10:11], -1
	v_mov_b32_e32 v3, v0
	s_and_saveexec_b64 s[8:9], vcc
	s_cbranch_execz .LBB273_43
; %bb.35:
	v_lshrrev_b32_e32 v4, 7, v4
	v_add_u32_e32 v7, -1, v4
	v_lshrrev_b32_e32 v5, 1, v7
	v_mov_b32_e32 v3, v2
	v_add_u32_e32 v5, 1, v5
	v_cmp_lt_u32_e32 vcc, 13, v7
	v_mov_b32_e32 v9, 0
	s_and_saveexec_b64 s[10:11], vcc
	s_cbranch_execz .LBB273_39
; %bb.36:
	v_mov_b32_e32 v8, 0x90
	v_and_b32_e32 v7, -8, v5
	v_lshl_add_u32 v8, v0, 2, v8
	s_mov_b32 s18, 0
	s_mov_b64 s[12:13], 0
.LBB273_37:                             ; =>This Inner Loop Header: Depth=1
	ds_read2st64_b32 v[10:11], v8 offset1:2
	ds_read2st64_b32 v[12:13], v8 offset0:4 offset1:6
	ds_read2st64_b32 v[14:15], v8 offset0:8 offset1:10
	;; [unrolled: 1-line block ×3, first 2 shown]
	v_add_u32_e32 v7, -8, v7
	s_waitcnt lgkmcnt(3)
	v_pk_mul_f32 v[10:11], v[2:3], v[10:11]
	s_waitcnt lgkmcnt(2)
	v_pk_mul_f32 v[12:13], v[2:3], v[12:13]
	ds_write2st64_b32 v8, v10, v11 offset1:2
	ds_write2st64_b32 v8, v12, v13 offset0:4 offset1:6
	ds_read2st64_b32 v[12:13], v8 offset0:16 offset1:18
	s_waitcnt lgkmcnt(4)
	v_pk_mul_f32 v[10:11], v[2:3], v[14:15]
	ds_write2st64_b32 v8, v10, v11 offset0:8 offset1:10
	s_waitcnt lgkmcnt(4)
	v_pk_mul_f32 v[10:11], v[2:3], v[18:19]
	ds_write2st64_b32 v8, v10, v11 offset0:12 offset1:14
	ds_read2st64_b32 v[10:11], v8 offset0:20 offset1:22
	s_waitcnt lgkmcnt(3)
	v_pk_mul_f32 v[12:13], v[2:3], v[12:13]
	ds_read2st64_b32 v[14:15], v8 offset0:24 offset1:26
	ds_write2st64_b32 v8, v12, v13 offset0:16 offset1:18
	ds_read2st64_b32 v[12:13], v8 offset0:28 offset1:30
	s_waitcnt lgkmcnt(3)
	v_pk_mul_f32 v[10:11], v[2:3], v[10:11]
	ds_write2st64_b32 v8, v10, v11 offset0:20 offset1:22
	s_waitcnt lgkmcnt(3)
	v_pk_mul_f32 v[10:11], v[2:3], v[14:15]
	ds_write2st64_b32 v8, v10, v11 offset0:24 offset1:26
	s_waitcnt lgkmcnt(2)
	v_pk_mul_f32 v[10:11], v[2:3], v[12:13]
	s_add_i32 s18, s18, 16
	v_cmp_eq_u32_e32 vcc, 0, v7
	ds_write2st64_b32 v8, v10, v11 offset0:28 offset1:30
	v_add_u32_e32 v8, 0x2000, v8
	s_or_b64 s[12:13], vcc, s[12:13]
	v_mov_b32_e32 v9, s18
	s_andn2_b64 exec, exec, s[12:13]
	s_cbranch_execnz .LBB273_37
; %bb.38:
	s_or_b64 exec, exec, s[12:13]
.LBB273_39:
	s_or_b64 exec, exec, s[10:11]
	v_and_b32_e32 v5, 7, v5
	v_cmp_ne_u32_e32 vcc, 0, v5
	s_and_saveexec_b64 s[10:11], vcc
	s_cbranch_execz .LBB273_42
; %bb.40:
	v_lshlrev_b32_e32 v7, 9, v9
	v_lshlrev_b32_e32 v8, 2, v0
	s_movk_i32 s12, 0x90
	v_add3_u32 v7, v7, v8, s12
	s_mov_b64 s[12:13], 0
.LBB273_41:                             ; =>This Inner Loop Header: Depth=1
	ds_read2st64_b32 v[8:9], v7 offset1:2
	v_add_u32_e32 v5, -1, v5
	v_cmp_eq_u32_e32 vcc, 0, v5
	s_or_b64 s[12:13], vcc, s[12:13]
	s_waitcnt lgkmcnt(0)
	v_pk_mul_f32 v[8:9], v[2:3], v[8:9]
	ds_write2st64_b32 v7, v8, v9 offset1:2
	v_add_u32_e32 v7, 0x400, v7
	s_andn2_b64 exec, exec, s[12:13]
	s_cbranch_execnz .LBB273_41
.LBB273_42:
	s_or_b64 exec, exec, s[10:11]
	v_add_u32_e32 v4, 1, v4
	v_and_b32_e32 v5, 0x3fffffe, v4
	v_cmp_ne_u32_e32 vcc, v4, v5
	v_lshl_add_u32 v3, v5, 7, v0
	s_orn2_b64 s[10:11], vcc, exec
.LBB273_43:
	s_or_b64 exec, exec, s[8:9]
	s_and_b64 exec, exec, s[10:11]
	s_cbranch_execz .LBB273_46
; %bb.44:
	v_mov_b32_e32 v4, 0x90
	v_lshl_add_u32 v4, v3, 2, v4
	s_mov_b64 s[8:9], 0
.LBB273_45:                             ; =>This Inner Loop Header: Depth=1
	ds_read_b32 v5, v4
	v_add_u32_e32 v3, 0x80, v3
	v_cmp_le_i32_e32 vcc, s39, v3
	s_or_b64 s[8:9], vcc, s[8:9]
	s_waitcnt lgkmcnt(0)
	v_mul_f32_e32 v5, v2, v5
	ds_write_b32 v4, v5
	v_add_u32_e32 v4, 0x200, v4
	s_andn2_b64 exec, exec, s[8:9]
	s_cbranch_execnz .LBB273_45
.LBB273_46:
	s_or_b64 exec, exec, s[0:1]
	v_mov_b32_e32 v11, 0
	s_waitcnt lgkmcnt(0)
	s_barrier
	s_and_saveexec_b64 s[8:9], s[2:3]
	s_cbranch_execz .LBB273_54
; %bb.47:
	s_sub_i32 s12, s44, s21
	s_ashr_i32 s1, s45, 31
	s_add_u32 s0, s36, s45
	s_addc_u32 s1, s37, s1
	s_abs_i32 s13, s22
	v_cvt_f32_u32_e32 v2, s13
	v_lshlrev_b32_e32 v10, 3, v17
	v_mov_b32_e32 v11, 0
	v_lshl_add_u64 v[12:13], s[0:1], 0, v[10:11]
	v_rcp_iflag_f32_e32 v2, v2
	s_sub_i32 s0, 0, s13
	s_add_i32 s18, s38, -1
	v_and_b32_e32 v10, 60, v6
	v_mul_f32_e32 v2, 0x4f7ffffe, v2
	v_cvt_u32_f32_e32 v2, v2
	s_mov_b64 s[2:3], 0
	v_mul_lo_u32 v3, s0, v2
	s_lshl_b64 s[0:1], s[34:35], 2
	v_mul_hi_u32 v3, v2, v3
	s_add_u32 s0, s30, s0
	v_add_u32_e32 v18, v2, v3
	s_addc_u32 s1, s31, s1
	v_mov_b32_e32 v2, 0x90
	v_lshl_add_u64 v[14:15], s[0:1], 0, v[10:11]
	v_lshl_add_u32 v10, v1, 5, v2
	s_branch .LBB273_50
.LBB273_48:                             ;   in Loop: Header=BB273_50 Depth=1
	s_or_b64 exec, exec, s[10:11]
	v_cvt_pk_bf16_f32 v6, v6, s0
	v_cvt_pk_bf16_f32 v7, v7, s0
	;; [unrolled: 1-line block ×6, first 2 shown]
	v_lshlrev_b32_e32 v7, 16, v7
	v_lshlrev_b32_e32 v26, 16, v26
	;; [unrolled: 1-line block ×8, first 2 shown]
	v_cvt_pk_bf16_f32 v4, v4, s0
	v_cvt_pk_bf16_f32 v5, v5, s0
	v_mul_f32_e32 v7, v7, v26
	v_mul_f32_e32 v6, v6, v25
	;; [unrolled: 1-line block ×4, first 2 shown]
	v_lshlrev_b32_e32 v3, 16, v3
	v_lshlrev_b32_e32 v22, 16, v22
	;; [unrolled: 1-line block ×4, first 2 shown]
	v_cvt_pk_bf16_f32 v7, v7, s0
	v_cvt_pk_bf16_f32 v6, v6, s0
	;; [unrolled: 1-line block ×4, first 2 shown]
	v_mul_f32_e32 v3, v3, v22
	v_mul_f32_e32 v2, v2, v21
	v_lshlrev_b32_e32 v5, 16, v5
	v_lshlrev_b32_e32 v20, 16, v20
	;; [unrolled: 1-line block ×4, first 2 shown]
	v_cvt_pk_bf16_f32 v3, v3, s0
	v_cvt_pk_bf16_f32 v2, v2, s0
	v_mul_f32_e32 v5, v5, v20
	v_mul_f32_e32 v4, v4, v19
	v_lshlrev_b32_e32 v6, 16, v6
	v_lshlrev_b32_e32 v7, 16, v7
	;; [unrolled: 1-line block ×4, first 2 shown]
	v_cvt_pk_bf16_f32 v5, v5, s0
	v_cvt_pk_bf16_f32 v4, v4, s0
	v_lshlrev_b32_e32 v2, 16, v2
	v_lshlrev_b32_e32 v3, 16, v3
	v_add_f32_e32 v6, v7, v6
	v_add_f32_e32 v7, v9, v8
	v_lshlrev_b32_e32 v4, 16, v4
	v_lshlrev_b32_e32 v5, 16, v5
	v_add_f32_e32 v6, v7, v6
	v_add_f32_e32 v2, v3, v2
	v_add_f32_e32 v2, v2, v6
	v_add_f32_e32 v3, v5, v4
	v_add_f32_e32 v2, v3, v2
	v_add_f32_e32 v11, v11, v2
.LBB273_49:                             ;   in Loop: Header=BB273_50 Depth=1
	s_or_b64 exec, exec, s[0:1]
	v_add_u32_e32 v1, 2, v1
	v_cmp_le_i32_e32 vcc, s38, v1
	v_lshl_add_u64 v[14:15], v[14:15], 0, 8
	v_add_u32_e32 v16, 16, v16
	s_or_b64 s[2:3], vcc, s[2:3]
	v_add_u32_e32 v10, 64, v10
	s_andn2_b64 exec, exec, s[2:3]
	s_cbranch_execz .LBB273_53
.LBB273_50:                             ; =>This Inner Loop Header: Depth=1
	v_mul_hi_u32 v2, v16, s27
	v_mul_lo_u32 v3, v2, s16
	v_sub_u32_e32 v3, v16, v3
	v_add_u32_e32 v4, 1, v2
	v_cmp_le_u32_e32 vcc, s16, v3
	s_nop 1
	v_cndmask_b32_e32 v2, v2, v4, vcc
	v_subrev_u32_e32 v4, s16, v3
	v_cndmask_b32_e32 v3, v3, v4, vcc
	v_add_u32_e32 v4, 1, v2
	v_cmp_le_u32_e32 vcc, s16, v3
	s_nop 1
	v_cndmask_b32_e32 v2, v2, v4, vcc
	v_xor_b32_e32 v2, s23, v2
	v_subrev_u32_e32 v2, s23, v2
	v_add_u32_e32 v3, s33, v2
	v_sub_u32_e32 v5, 0, v3
	v_ashrrev_i32_e32 v4, 31, v3
	v_max_i32_e32 v3, v3, v5
	v_mul_hi_u32 v5, v3, v18
	v_mul_lo_u32 v5, v5, s13
	v_sub_u32_e32 v3, v3, v5
	v_subrev_u32_e32 v5, s13, v3
	v_cmp_le_u32_e32 vcc, s13, v3
	v_cmp_lt_i32_e64 s[0:1], s12, v2
	s_nop 0
	v_cndmask_b32_e32 v3, v3, v5, vcc
	v_subrev_u32_e32 v5, s13, v3
	v_cmp_le_u32_e32 vcc, s13, v3
	s_nop 1
	v_cndmask_b32_e32 v3, v3, v5, vcc
	v_xor_b32_e32 v3, v3, v4
	v_sub_u32_e32 v3, v3, v4
	v_cmp_eq_u32_e32 vcc, 0, v3
	s_or_b64 s[10:11], vcc, s[0:1]
	s_and_saveexec_b64 s[0:1], s[10:11]
	s_cbranch_execz .LBB273_49
; %bb.51:                               ;   in Loop: Header=BB273_50 Depth=1
	global_load_dword v2, v[14:15], off
	v_cmp_eq_u32_e32 vcc, s18, v1
	s_waitcnt vmcnt(0)
	v_mad_i64_i32 v[2:3], s[10:11], v2, s17, v[12:13]
	global_load_dwordx2 v[20:21], v[2:3], off
	ds_read2_b64 v[6:9], v10 offset1:1
	ds_read2_b64 v[2:5], v10 offset0:2 offset1:3
	s_load_dword s10, s[14:15], 0x0
	s_waitcnt vmcnt(0)
	v_and_b32_e32 v19, 0xff, v20
	v_bfe_u32 v22, v20, 8, 8
	v_bfe_u32 v23, v20, 16, 8
	v_lshrrev_b32_e32 v20, 24, v20
	v_and_b32_e32 v24, 0xff, v21
	v_bfe_u32 v25, v21, 8, 8
	v_bfe_u32 v26, v21, 16, 8
	v_lshrrev_b32_e32 v21, 24, v21
	v_cvt_f32_fp8_e32 v19, v19
	v_cvt_f32_fp8_e32 v22, v22
	;; [unrolled: 1-line block ×8, first 2 shown]
	s_waitcnt lgkmcnt(0)
	v_mul_f32_e32 v19, s10, v19
	v_mul_f32_e32 v22, s10, v22
	;; [unrolled: 1-line block ×8, first 2 shown]
	v_cvt_pk_bf16_f32 v25, v19, s0
	v_cvt_pk_bf16_f32 v26, v22, s0
	;; [unrolled: 1-line block ×8, first 2 shown]
	s_and_saveexec_b64 s[10:11], vcc
	s_cbranch_execz .LBB273_48
; %bb.52:                               ;   in Loop: Header=BB273_50 Depth=1
	v_cmp_gt_i32_e32 vcc, s25, v16
	v_add_u32_e32 v27, 1, v16
	s_nop 0
	v_cndmask_b32_e32 v25, 0, v25, vcc
	v_cmp_gt_i32_e32 vcc, s25, v27
	v_add_u32_e32 v27, 2, v16
	s_nop 0
	v_cndmask_b32_e32 v26, 0, v26, vcc
	v_cmp_gt_i32_e32 vcc, s25, v27
	v_add_u32_e32 v27, 3, v16
	s_nop 0
	v_cndmask_b32_e32 v23, 0, v23, vcc
	v_cmp_gt_i32_e32 vcc, s25, v27
	v_add_u32_e32 v27, 4, v16
	s_nop 0
	v_cndmask_b32_e32 v24, 0, v24, vcc
	v_cmp_gt_i32_e32 vcc, s25, v27
	v_add_u32_e32 v27, 5, v16
	s_nop 0
	v_cndmask_b32_e32 v21, 0, v21, vcc
	v_cmp_gt_i32_e32 vcc, s25, v27
	v_add_u32_e32 v27, 6, v16
	s_nop 0
	v_cndmask_b32_e32 v22, 0, v22, vcc
	v_cmp_gt_i32_e32 vcc, s25, v27
	v_add_u32_e32 v27, 7, v16
	s_nop 0
	v_cndmask_b32_e32 v19, 0, v19, vcc
	v_cmp_gt_i32_e32 vcc, s25, v27
	s_nop 1
	v_cndmask_b32_e32 v20, 0, v20, vcc
	s_branch .LBB273_48
.LBB273_53:
	s_or_b64 exec, exec, s[2:3]
.LBB273_54:
	s_or_b64 exec, exec, s[8:9]
	v_and_b32_e32 v0, 0x3c0, v0
	v_cmp_eq_u32_e32 vcc, 64, v0
	v_mov_b32_e32 v0, 0x90
	v_lshl_add_u32 v0, v17, 2, v0
	s_barrier
	s_and_saveexec_b64 s[0:1], vcc
; %bb.55:
	ds_write_b32 v0, v11
; %bb.56:
	s_or_b64 exec, exec, s[0:1]
	s_waitcnt lgkmcnt(0)
	s_barrier
	s_and_saveexec_b64 s[0:1], s[6:7]
	s_cbranch_execz .LBB273_58
; %bb.57:
	ds_read_b32 v0, v0
	s_waitcnt lgkmcnt(0)
	v_add_f32_e32 v11, v11, v0
.LBB273_58:
	s_or_b64 exec, exec, s[0:1]
	s_barrier
	s_and_saveexec_b64 s[0:1], s[6:7]
	s_cbranch_execz .LBB273_60
; %bb.59:
	s_mul_i32 s0, s24, s20
	s_mul_i32 s0, s0, s5
	s_lshl_b32 s0, s0, 6
	s_ashr_i32 s1, s0, 31
	s_lshl_b64 s[0:1], s[0:1], 1
	s_add_u32 s2, s28, s0
	s_mul_i32 s0, s20, s26
	s_addc_u32 s3, s29, s1
	s_ashr_i32 s1, s0, 31
	s_lshl_b64 s[0:1], s[0:1], 1
	s_add_u32 s2, s2, s0
	s_addc_u32 s3, s3, s1
	s_lshl_b32 s0, s4, 6
	s_ashr_i32 s1, s0, 31
	s_lshl_b64 s[0:1], s[0:1], 1
	s_add_u32 s0, s2, s0
	s_addc_u32 s1, s3, s1
	v_lshlrev_b32_e32 v0, 1, v17
	v_cvt_pk_bf16_f32 v1, v11, s0
	global_store_short v0, v1, s[0:1]
.LBB273_60:
	s_endpgm
	.section	.rodata,"a",@progbits
	.p2align	6, 0x0
	.amdhsa_kernel _ZN4vllm25paged_attention_v1_kernelI14__hip_bfloat16hLi64ELi8ELi128ELNS_18Fp8KVCacheDataTypeE1ELb1EEEvPT_PKS3_PKT0_S9_ifPKiSB_iPKfiiiSD_SD_iiiii
		.amdhsa_group_segment_fixed_size 144
		.amdhsa_private_segment_fixed_size 0
		.amdhsa_kernarg_size 384
		.amdhsa_user_sgpr_count 2
		.amdhsa_user_sgpr_dispatch_ptr 0
		.amdhsa_user_sgpr_queue_ptr 0
		.amdhsa_user_sgpr_kernarg_segment_ptr 1
		.amdhsa_user_sgpr_dispatch_id 0
		.amdhsa_user_sgpr_kernarg_preload_length 0
		.amdhsa_user_sgpr_kernarg_preload_offset 0
		.amdhsa_user_sgpr_private_segment_size 0
		.amdhsa_uses_dynamic_stack 0
		.amdhsa_enable_private_segment 0
		.amdhsa_system_sgpr_workgroup_id_x 1
		.amdhsa_system_sgpr_workgroup_id_y 1
		.amdhsa_system_sgpr_workgroup_id_z 1
		.amdhsa_system_sgpr_workgroup_info 0
		.amdhsa_system_vgpr_workitem_id 0
		.amdhsa_next_free_vgpr 40
		.amdhsa_next_free_sgpr 50
		.amdhsa_accum_offset 40
		.amdhsa_reserve_vcc 1
		.amdhsa_float_round_mode_32 0
		.amdhsa_float_round_mode_16_64 0
		.amdhsa_float_denorm_mode_32 3
		.amdhsa_float_denorm_mode_16_64 3
		.amdhsa_dx10_clamp 1
		.amdhsa_ieee_mode 1
		.amdhsa_fp16_overflow 0
		.amdhsa_tg_split 0
		.amdhsa_exception_fp_ieee_invalid_op 0
		.amdhsa_exception_fp_denorm_src 0
		.amdhsa_exception_fp_ieee_div_zero 0
		.amdhsa_exception_fp_ieee_overflow 0
		.amdhsa_exception_fp_ieee_underflow 0
		.amdhsa_exception_fp_ieee_inexact 0
		.amdhsa_exception_int_div_zero 0
	.end_amdhsa_kernel
	.section	.text._ZN4vllm25paged_attention_v1_kernelI14__hip_bfloat16hLi64ELi8ELi128ELNS_18Fp8KVCacheDataTypeE1ELb1EEEvPT_PKS3_PKT0_S9_ifPKiSB_iPKfiiiSD_SD_iiiii,"axG",@progbits,_ZN4vllm25paged_attention_v1_kernelI14__hip_bfloat16hLi64ELi8ELi128ELNS_18Fp8KVCacheDataTypeE1ELb1EEEvPT_PKS3_PKT0_S9_ifPKiSB_iPKfiiiSD_SD_iiiii,comdat
.Lfunc_end273:
	.size	_ZN4vllm25paged_attention_v1_kernelI14__hip_bfloat16hLi64ELi8ELi128ELNS_18Fp8KVCacheDataTypeE1ELb1EEEvPT_PKS3_PKT0_S9_ifPKiSB_iPKfiiiSD_SD_iiiii, .Lfunc_end273-_ZN4vllm25paged_attention_v1_kernelI14__hip_bfloat16hLi64ELi8ELi128ELNS_18Fp8KVCacheDataTypeE1ELb1EEEvPT_PKS3_PKT0_S9_ifPKiSB_iPKfiiiSD_SD_iiiii
                                        ; -- End function
	.set _ZN4vllm25paged_attention_v1_kernelI14__hip_bfloat16hLi64ELi8ELi128ELNS_18Fp8KVCacheDataTypeE1ELb1EEEvPT_PKS3_PKT0_S9_ifPKiSB_iPKfiiiSD_SD_iiiii.num_vgpr, 40
	.set _ZN4vllm25paged_attention_v1_kernelI14__hip_bfloat16hLi64ELi8ELi128ELNS_18Fp8KVCacheDataTypeE1ELb1EEEvPT_PKS3_PKT0_S9_ifPKiSB_iPKfiiiSD_SD_iiiii.num_agpr, 0
	.set _ZN4vllm25paged_attention_v1_kernelI14__hip_bfloat16hLi64ELi8ELi128ELNS_18Fp8KVCacheDataTypeE1ELb1EEEvPT_PKS3_PKT0_S9_ifPKiSB_iPKfiiiSD_SD_iiiii.numbered_sgpr, 50
	.set _ZN4vllm25paged_attention_v1_kernelI14__hip_bfloat16hLi64ELi8ELi128ELNS_18Fp8KVCacheDataTypeE1ELb1EEEvPT_PKS3_PKT0_S9_ifPKiSB_iPKfiiiSD_SD_iiiii.num_named_barrier, 0
	.set _ZN4vllm25paged_attention_v1_kernelI14__hip_bfloat16hLi64ELi8ELi128ELNS_18Fp8KVCacheDataTypeE1ELb1EEEvPT_PKS3_PKT0_S9_ifPKiSB_iPKfiiiSD_SD_iiiii.private_seg_size, 0
	.set _ZN4vllm25paged_attention_v1_kernelI14__hip_bfloat16hLi64ELi8ELi128ELNS_18Fp8KVCacheDataTypeE1ELb1EEEvPT_PKS3_PKT0_S9_ifPKiSB_iPKfiiiSD_SD_iiiii.uses_vcc, 1
	.set _ZN4vllm25paged_attention_v1_kernelI14__hip_bfloat16hLi64ELi8ELi128ELNS_18Fp8KVCacheDataTypeE1ELb1EEEvPT_PKS3_PKT0_S9_ifPKiSB_iPKfiiiSD_SD_iiiii.uses_flat_scratch, 0
	.set _ZN4vllm25paged_attention_v1_kernelI14__hip_bfloat16hLi64ELi8ELi128ELNS_18Fp8KVCacheDataTypeE1ELb1EEEvPT_PKS3_PKT0_S9_ifPKiSB_iPKfiiiSD_SD_iiiii.has_dyn_sized_stack, 0
	.set _ZN4vllm25paged_attention_v1_kernelI14__hip_bfloat16hLi64ELi8ELi128ELNS_18Fp8KVCacheDataTypeE1ELb1EEEvPT_PKS3_PKT0_S9_ifPKiSB_iPKfiiiSD_SD_iiiii.has_recursion, 0
	.set _ZN4vllm25paged_attention_v1_kernelI14__hip_bfloat16hLi64ELi8ELi128ELNS_18Fp8KVCacheDataTypeE1ELb1EEEvPT_PKS3_PKT0_S9_ifPKiSB_iPKfiiiSD_SD_iiiii.has_indirect_call, 0
	.section	.AMDGPU.csdata,"",@progbits
; Kernel info:
; codeLenInByte = 4448
; TotalNumSgprs: 56
; NumVgprs: 40
; NumAgprs: 0
; TotalNumVgprs: 40
; ScratchSize: 0
; MemoryBound: 0
; FloatMode: 240
; IeeeMode: 1
; LDSByteSize: 144 bytes/workgroup (compile time only)
; SGPRBlocks: 6
; VGPRBlocks: 4
; NumSGPRsForWavesPerEU: 56
; NumVGPRsForWavesPerEU: 40
; AccumOffset: 40
; Occupancy: 8
; WaveLimiterHint : 1
; COMPUTE_PGM_RSRC2:SCRATCH_EN: 0
; COMPUTE_PGM_RSRC2:USER_SGPR: 2
; COMPUTE_PGM_RSRC2:TRAP_HANDLER: 0
; COMPUTE_PGM_RSRC2:TGID_X_EN: 1
; COMPUTE_PGM_RSRC2:TGID_Y_EN: 1
; COMPUTE_PGM_RSRC2:TGID_Z_EN: 1
; COMPUTE_PGM_RSRC2:TIDIG_COMP_CNT: 0
; COMPUTE_PGM_RSRC3_GFX90A:ACCUM_OFFSET: 9
; COMPUTE_PGM_RSRC3_GFX90A:TG_SPLIT: 0
	.section	.text._ZN4vllm25paged_attention_v1_kernelI14__hip_bfloat16hLi80ELi8ELi128ELNS_18Fp8KVCacheDataTypeE1ELb1EEEvPT_PKS3_PKT0_S9_ifPKiSB_iPKfiiiSD_SD_iiiii,"axG",@progbits,_ZN4vllm25paged_attention_v1_kernelI14__hip_bfloat16hLi80ELi8ELi128ELNS_18Fp8KVCacheDataTypeE1ELb1EEEvPT_PKS3_PKT0_S9_ifPKiSB_iPKfiiiSD_SD_iiiii,comdat
	.protected	_ZN4vllm25paged_attention_v1_kernelI14__hip_bfloat16hLi80ELi8ELi128ELNS_18Fp8KVCacheDataTypeE1ELb1EEEvPT_PKS3_PKT0_S9_ifPKiSB_iPKfiiiSD_SD_iiiii ; -- Begin function _ZN4vllm25paged_attention_v1_kernelI14__hip_bfloat16hLi80ELi8ELi128ELNS_18Fp8KVCacheDataTypeE1ELb1EEEvPT_PKS3_PKT0_S9_ifPKiSB_iPKfiiiSD_SD_iiiii
	.globl	_ZN4vllm25paged_attention_v1_kernelI14__hip_bfloat16hLi80ELi8ELi128ELNS_18Fp8KVCacheDataTypeE1ELb1EEEvPT_PKS3_PKT0_S9_ifPKiSB_iPKfiiiSD_SD_iiiii
	.p2align	8
	.type	_ZN4vllm25paged_attention_v1_kernelI14__hip_bfloat16hLi80ELi8ELi128ELNS_18Fp8KVCacheDataTypeE1ELb1EEEvPT_PKS3_PKT0_S9_ifPKiSB_iPKfiiiSD_SD_iiiii,@function
_ZN4vllm25paged_attention_v1_kernelI14__hip_bfloat16hLi80ELi8ELi128ELNS_18Fp8KVCacheDataTypeE1ELb1EEEvPT_PKS3_PKT0_S9_ifPKiSB_iPKfiiiSD_SD_iiiii: ; @_ZN4vllm25paged_attention_v1_kernelI14__hip_bfloat16hLi80ELi8ELi128ELNS_18Fp8KVCacheDataTypeE1ELb1EEEvPT_PKS3_PKT0_S9_ifPKiSB_iPKfiiiSD_SD_iiiii
; %bb.0:
	s_load_dword s5, s[0:1], 0x80
	s_load_dwordx2 s[6:7], s[0:1], 0x30
	s_load_dwordx2 s[38:39], s[0:1], 0x20
	s_mov_b32 s24, s3
	s_ashr_i32 s25, s3, 31
	s_lshl_b64 s[8:9], s[24:25], 2
	s_waitcnt lgkmcnt(0)
	s_add_u32 s6, s6, s8
	s_addc_u32 s7, s7, s9
	s_abs_i32 s3, s38
	v_cvt_f32_u32_e32 v1, s3
	s_sub_i32 s10, 0, s3
	s_abs_i32 s9, s5
	s_xor_b32 s8, s5, s38
	v_rcp_iflag_f32_e32 v1, v1
	s_ashr_i32 s8, s8, 31
	s_mov_b32 s46, 0
	v_mul_f32_e32 v1, 0x4f7ffffe, v1
	v_cvt_u32_f32_e32 v1, v1
	s_nop 0
	v_readfirstlane_b32 s11, v1
	s_mul_i32 s10, s10, s11
	s_mul_hi_u32 s10, s11, s10
	s_add_i32 s11, s11, s10
	s_mul_hi_u32 s10, s9, s11
	s_mul_i32 s11, s10, s3
	s_sub_i32 s9, s9, s11
	s_add_i32 s11, s10, 1
	s_sub_i32 s12, s9, s3
	s_cmp_ge_u32 s9, s3
	s_cselect_b32 s10, s11, s10
	s_cselect_b32 s9, s12, s9
	s_add_i32 s11, s10, 1
	s_cmp_ge_u32 s9, s3
	s_cselect_b32 s3, s11, s10
	s_xor_b32 s3, s3, s8
	s_sub_i32 s14, s3, s8
	s_abs_i32 s10, s14
	v_cvt_f32_u32_e32 v1, s10
	s_load_dwordx2 s[8:9], s[0:1], 0x40
	s_sub_i32 s3, 0, s10
	s_abs_i32 s11, s2
	v_rcp_iflag_f32_e32 v1, v1
	s_nop 0
	v_mul_f32_e32 v1, 0x4f7ffffe, v1
	v_cvt_u32_f32_e32 v1, v1
	s_nop 0
	v_readfirstlane_b32 s12, v1
	s_mul_i32 s3, s3, s12
	s_mul_hi_u32 s3, s12, s3
	s_add_i32 s12, s12, s3
	s_waitcnt lgkmcnt(0)
	s_cmp_eq_u64 s[8:9], 0
	s_mul_hi_u32 s12, s11, s12
	s_cbranch_scc1 .LBB274_2
; %bb.1:
	s_ashr_i32 s3, s2, 31
	s_lshl_b64 s[16:17], s[2:3], 2
	s_add_u32 s8, s8, s16
	s_addc_u32 s9, s9, s17
	s_load_dword s46, s[8:9], 0x0
.LBB274_2:
	s_load_dword s25, s[6:7], 0x0
	s_load_dwordx4 s[16:19], s[0:1], 0x48
	s_movk_i32 s3, 0x50
	s_ashr_i32 s13, s2, 31
	s_ashr_i32 s14, s14, 31
	v_and_b32_e32 v2, 7, v0
	s_mul_i32 s26, s2, 0x50
	v_cmp_gt_u32_e64 s[6:7], s3, v0
	v_lshlrev_b32_e32 v10, 1, v0
	s_and_saveexec_b64 s[8:9], s[6:7]
	s_cbranch_execz .LBB274_4
; %bb.3:
	s_load_dwordx2 s[20:21], s[0:1], 0x8
	s_waitcnt lgkmcnt(0)
	s_mul_i32 s22, s16, s24
	s_ashr_i32 s23, s22, 31
	s_lshl_b64 s[22:23], s[22:23], 1
	v_lshrrev_b32_e32 v3, 2, v0
	s_add_u32 s3, s20, s22
	s_addc_u32 s15, s21, s23
	s_ashr_i32 s27, s26, 31
	s_lshl_b64 s[20:21], s[26:27], 1
	s_add_u32 s20, s3, s20
	s_addc_u32 s21, s15, s21
	global_load_ushort v1, v10, s[20:21]
	v_and_b32_e32 v3, 0xfe, v3
	v_mad_u32_u24 v3, v2, 20, v3
	s_waitcnt vmcnt(0)
	ds_write_b16 v3, v1
.LBB274_4:
	s_or_b64 exec, exec, s[8:9]
	s_mul_i32 s9, s12, s10
	s_sub_i32 s9, s11, s9
	s_xor_b32 s8, s13, s14
	s_add_i32 s11, s12, 1
	s_sub_i32 s13, s9, s10
	s_load_dwordx4 s[20:23], s[0:1], 0x68
	s_load_dword s3, s[0:1], 0x78
	s_cmp_ge_u32 s9, s10
	s_cselect_b32 s11, s11, s12
	s_cselect_b32 s9, s13, s9
	s_add_i32 s12, s11, 1
	s_cmp_ge_u32 s9, s10
	s_cselect_b32 s9, s12, s11
	s_waitcnt lgkmcnt(0)
	s_abs_i32 s27, s23
	v_cvt_f32_u32_e32 v1, s27
	s_xor_b32 s9, s9, s8
	s_sub_i32 s45, s9, s8
	s_sub_i32 s8, 0, s27
	v_rcp_iflag_f32_e32 v1, v1
	s_add_i32 s12, s25, -1
	s_abs_i32 s10, s12
	v_mul_f32_e32 v1, 0x4f7ffffe, v1
	v_cvt_u32_f32_e32 v1, v1
	s_barrier
	v_readfirstlane_b32 s33, v1
	s_mul_i32 s8, s8, s33
	s_mul_hi_u32 s8, s33, s8
	s_add_i32 s33, s33, s8
	s_cmp_lt_i32 s3, 0
	s_mul_hi_u32 s11, s10, s33
	s_cbranch_scc0 .LBB274_6
; %bb.5:
	s_mul_i32 s8, s20, s38
	s_add_i32 s8, s45, s8
	s_mul_i32 s8, s8, s3
	s_sub_i32 s38, 1, s8
	s_mov_b64 s[8:9], 0
	s_branch .LBB274_7
.LBB274_6:
	s_mov_b64 s[8:9], -1
                                        ; implicit-def: $sgpr38
.LBB274_7:
	s_load_dwordx2 s[30:31], s[0:1], 0x28
	s_ashr_i32 s16, s12, 31
	s_andn2_b64 vcc, exec, s[8:9]
	s_ashr_i32 s23, s23, 31
	s_cbranch_vccnz .LBB274_9
; %bb.8:
	s_mul_i32 s8, s5, s20
	s_add_i32 s2, s8, s2
	s_mul_i32 s2, s2, s3
	s_add_i32 s38, s2, 1
.LBB274_9:
	s_load_dword s2, s[0:1], 0x38
	s_load_dwordx2 s[28:29], s[0:1], 0x0
	s_load_dwordx2 s[36:37], s[0:1], 0x18
	s_load_dword s20, s[0:1], 0x88
	s_load_dwordx4 s[12:15], s[0:1], 0x58
	s_mul_i32 s3, s11, s27
	s_waitcnt lgkmcnt(0)
	s_mul_i32 s34, s2, s24
	s_sub_i32 s3, s10, s3
	s_ashr_i32 s35, s34, 31
	s_xor_b32 s2, s16, s23
	s_add_i32 s8, s11, 1
	s_sub_i32 s9, s3, s27
	s_cmp_ge_u32 s3, s27
	s_cselect_b32 s8, s8, s11
	s_cselect_b32 s3, s9, s3
	s_add_i32 s9, s8, 1
	s_cmp_ge_u32 s3, s27
	s_cselect_b32 s3, s9, s8
	s_xor_b32 s3, s3, s2
	s_sub_i32 s16, s3, s2
	s_add_i32 s2, s25, 7
	s_ashr_i32 s3, s2, 31
	s_lshr_b32 s3, s3, 29
	s_add_i32 s2, s2, s3
	s_ashr_i32 s44, s2, 3
	v_lshrrev_b32_e32 v1, 6, v0
	v_cmp_gt_i32_e64 s[2:3], s44, v1
	v_mov_b32_e32 v12, 0xff7fffff
	s_mul_i32 s45, s45, s18
	v_lshrrev_b32_e32 v6, 4, v0
	v_lshlrev_b32_e32 v11, 3, v1
	v_mbcnt_lo_u32_b32 v7, -1, 0
	s_and_saveexec_b64 s[18:19], s[2:3]
	s_cbranch_execz .LBB274_21
; %bb.10:
	s_load_dwordx2 s[0:1], s[0:1], 0x10
	s_sub_i32 s47, s16, s21
	s_ashr_i32 s9, s45, 31
	v_bfe_u32 v8, v0, 3, 3
	v_mov_b32_e32 v5, 0
	s_waitcnt lgkmcnt(0)
	s_add_u32 s8, s0, s45
	s_addc_u32 s9, s1, s9
	s_abs_i32 s48, s22
	v_cvt_f32_u32_e32 v3, s48
	v_lshlrev_b32_e32 v4, 4, v8
	v_lshl_add_u64 v[14:15], s[8:9], 0, v[4:5]
	s_sub_i32 s8, 0, s48
	v_rcp_iflag_f32_e32 v3, v3
	v_cmp_eq_u32_e32 vcc, 0, v2
	v_mul_u32_u24_e32 v9, 20, v2
	v_mbcnt_hi_u32_b32 v18, -1, v7
	v_mul_f32_e32 v3, 0x4f7ffffe, v3
	v_cvt_u32_f32_e32 v12, v3
	v_mov_b32_e32 v3, v5
	v_lshl_add_u64 v[2:3], v[14:15], 0, v[2:3]
	s_mov_b32 s49, s17
	v_mul_lo_u32 v4, s8, v12
	v_mul_hi_u32 v4, v12, v4
	v_add_u32_e32 v13, v12, v4
	v_subrev_u32_e32 v12, s25, v8
	s_lshl_b64 s[8:9], s[34:35], 2
	v_add_u32_e32 v15, 1, v12
	v_lshlrev_b32_e32 v12, 2, v8
	s_add_u32 s8, s30, s8
	v_lshl_or_b32 v12, v1, 5, v12
	v_and_b32_e32 v4, 60, v6
	s_addc_u32 s9, s31, s9
	v_add_u32_e32 v16, 0xb0, v12
	v_and_b32_e32 v12, 64, v18
	v_cmp_neq_f32_e64 s[0:1], s46, 0
	v_lshl_add_u64 v[4:5], s[8:9], 0, v[4:5]
	v_lshlrev_b32_e32 v14, 3, v1
	v_mov_b32_e32 v17, 0xff7fffff
	s_mov_b64 s[40:41], 0
	v_add_u32_e32 v19, 64, v12
	v_xor_b32_e32 v20, 4, v18
	v_xor_b32_e32 v21, 2, v18
	;; [unrolled: 1-line block ×3, first 2 shown]
	v_mov_b32_e32 v12, 0xff7fffff
	v_mov_b32_e32 v23, v1
	s_branch .LBB274_13
.LBB274_11:                             ;   in Loop: Header=BB274_13 Depth=1
	s_or_b64 exec, exec, s[42:43]
.LBB274_12:                             ;   in Loop: Header=BB274_13 Depth=1
	s_or_b64 exec, exec, s[10:11]
	v_add_u32_e32 v23, 2, v23
	v_cmp_le_i32_e64 s[8:9], s44, v23
	v_lshl_add_u64 v[4:5], v[4:5], 0, 8
	v_add_u32_e32 v14, 16, v14
	s_or_b64 s[40:41], s[8:9], s[40:41]
	v_add_u32_e32 v16, 64, v16
	s_andn2_b64 exec, exec, s[40:41]
	s_cbranch_execz .LBB274_20
.LBB274_13:                             ; =>This Inner Loop Header: Depth=1
	v_mul_hi_u32 v24, v14, s33
	s_waitcnt lgkmcnt(0)
	v_mul_lo_u32 v25, v24, s27
	v_sub_u32_e32 v25, v14, v25
	v_add_u32_e32 v26, 1, v24
	v_cmp_le_u32_e64 s[8:9], s27, v25
	s_nop 1
	v_cndmask_b32_e64 v24, v24, v26, s[8:9]
	v_subrev_u32_e32 v26, s27, v25
	v_cndmask_b32_e64 v25, v25, v26, s[8:9]
	v_add_u32_e32 v26, 1, v24
	v_cmp_le_u32_e64 s[8:9], s27, v25
	s_nop 1
	v_cndmask_b32_e64 v24, v24, v26, s[8:9]
	v_xor_b32_e32 v24, s23, v24
	v_subrev_u32_e32 v24, s23, v24
	v_add_u32_e32 v25, s38, v24
	v_sub_u32_e32 v27, 0, v25
	v_ashrrev_i32_e32 v26, 31, v25
	v_max_i32_e32 v25, v25, v27
	v_mul_hi_u32 v27, v25, v13
	v_mul_lo_u32 v27, v27, s48
	v_sub_u32_e32 v25, v25, v27
	v_subrev_u32_e32 v27, s48, v25
	v_cmp_le_u32_e64 s[8:9], s48, v25
	v_cmp_ge_i32_e64 s[10:11], s47, v24
	s_nop 0
	v_cndmask_b32_e64 v25, v25, v27, s[8:9]
	v_subrev_u32_e32 v27, s48, v25
	v_cmp_le_u32_e64 s[8:9], s48, v25
	s_nop 1
	v_cndmask_b32_e64 v25, v25, v27, s[8:9]
	v_xor_b32_e32 v25, v25, v26
	v_sub_u32_e32 v25, v25, v26
	v_cmp_ne_u32_e64 s[8:9], 0, v25
	s_and_b64 s[8:9], s[8:9], s[10:11]
	s_and_saveexec_b64 s[10:11], s[8:9]
	s_xor_b64 s[8:9], exec, s[10:11]
	s_cbranch_execz .LBB274_17
; %bb.14:                               ;   in Loop: Header=BB274_13 Depth=1
	s_and_saveexec_b64 s[10:11], vcc
; %bb.15:                               ;   in Loop: Header=BB274_13 Depth=1
	ds_write_b32 v16, v17
; %bb.16:                               ;   in Loop: Header=BB274_13 Depth=1
	s_or_b64 exec, exec, s[10:11]
.LBB274_17:                             ;   in Loop: Header=BB274_13 Depth=1
	s_andn2_saveexec_b64 s[10:11], s[8:9]
	s_cbranch_execz .LBB274_12
; %bb.18:                               ;   in Loop: Header=BB274_13 Depth=1
	global_load_dword v24, v[4:5], off
	s_waitcnt vmcnt(0)
	v_mad_i64_i32 v[24:25], s[8:9], v24, s49, v[2:3]
	global_load_ubyte v28, v[24:25], off
	global_load_ubyte v29, v[24:25], off offset:8
	global_load_ubyte v30, v[24:25], off offset:128
	;; [unrolled: 1-line block ×9, first 2 shown]
	v_cmp_lt_i32_e64 s[8:9], v20, v19
	ds_read2_b32 v[24:25], v9 offset1:1
	ds_read2_b32 v[26:27], v9 offset0:2 offset1:3
	ds_read_b32 v38, v9 offset:16
	v_cndmask_b32_e64 v39, v18, v20, s[8:9]
	s_load_dword s8, s[12:13], 0x0
	s_waitcnt lgkmcnt(0)
	v_lshlrev_b32_e32 v40, 16, v24
	v_and_b32_e32 v24, 0xffff0000, v24
	v_lshlrev_b32_e32 v41, 16, v25
	v_and_b32_e32 v25, 0xffff0000, v25
	;; [unrolled: 2-line block ×5, first 2 shown]
	v_lshlrev_b32_e32 v39, 2, v39
	s_waitcnt vmcnt(9)
	v_cvt_f32_fp8_e32 v28, v28
	s_waitcnt vmcnt(8)
	v_cvt_f32_fp8_e32 v29, v29
	;; [unrolled: 2-line block ×5, first 2 shown]
	v_mul_f32_e32 v29, s8, v29
	s_waitcnt vmcnt(4)
	v_cvt_f32_fp8_e32 v33, v33
	v_mul_f32_e32 v28, s8, v28
	v_cvt_pk_bf16_f32 v29, v29, s0
	s_waitcnt vmcnt(3)
	v_cvt_f32_fp8_e32 v34, v34
	v_mul_f32_e32 v30, s8, v30
	v_cvt_pk_bf16_f32 v28, v28, s0
	v_lshlrev_b32_e32 v29, 16, v29
	s_waitcnt vmcnt(2)
	v_cvt_f32_fp8_e32 v35, v35
	v_mul_f32_e32 v31, s8, v31
	v_cvt_pk_bf16_f32 v30, v30, s0
	v_lshlrev_b32_e32 v28, 16, v28
	v_mul_f32_e32 v24, v24, v29
	s_waitcnt vmcnt(1)
	v_cvt_f32_fp8_e32 v36, v36
	v_mul_f32_e32 v32, s8, v32
	v_cvt_pk_bf16_f32 v31, v31, s0
	v_lshlrev_b32_e32 v30, 16, v30
	v_fmac_f32_e32 v24, v40, v28
	s_waitcnt vmcnt(0)
	v_cvt_f32_fp8_e32 v37, v37
	v_mul_f32_e32 v33, s8, v33
	v_cvt_pk_bf16_f32 v32, v32, s0
	v_lshlrev_b32_e32 v31, 16, v31
	v_fmac_f32_e32 v24, v41, v30
	v_mul_f32_e32 v34, s8, v34
	v_cvt_pk_bf16_f32 v33, v33, s0
	v_lshlrev_b32_e32 v32, 16, v32
	v_fmac_f32_e32 v24, v25, v31
	;; [unrolled: 4-line block ×5, first 2 shown]
	v_cvt_pk_bf16_f32 v37, v37, s0
	v_lshlrev_b32_e32 v36, 16, v36
	v_fmac_f32_e32 v24, v27, v35
	v_fmac_f32_e32 v24, v44, v36
	v_lshlrev_b32_e32 v25, 16, v37
	v_fmac_f32_e32 v24, v38, v25
	ds_bpermute_b32 v25, v39, v24
	v_cmp_lt_i32_e64 s[8:9], v21, v19
	s_waitcnt lgkmcnt(0)
	v_add_f32_e32 v24, v24, v25
	v_cndmask_b32_e64 v26, v18, v21, s[8:9]
	v_lshlrev_b32_e32 v26, 2, v26
	ds_bpermute_b32 v25, v26, v24
	v_cmp_lt_i32_e64 s[8:9], v22, v19
	s_waitcnt lgkmcnt(0)
	v_add_f32_e32 v24, v24, v25
	v_cndmask_b32_e64 v26, v18, v22, s[8:9]
	v_lshlrev_b32_e32 v26, 2, v26
	ds_bpermute_b32 v25, v26, v24
	s_and_saveexec_b64 s[42:43], vcc
	s_cbranch_execz .LBB274_11
; %bb.19:                               ;   in Loop: Header=BB274_13 Depth=1
	v_add_u32_e32 v26, v15, v14
	v_cvt_f32_i32_e32 v26, v26
	s_waitcnt lgkmcnt(0)
	v_add_f32_e32 v24, v24, v25
	v_add_u32_e32 v27, v8, v14
	v_cmp_gt_i32_e64 s[8:9], s25, v27
	v_mul_f32_e32 v25, s46, v26
	v_cndmask_b32_e64 v25, 0, v25, s[0:1]
	v_fmac_f32_e32 v25, s39, v24
	v_cndmask_b32_e64 v24, 0, v25, s[8:9]
	ds_write_b32 v16, v24
	v_max_f32_e32 v24, v12, v12
	v_max_f32_e32 v24, v24, v25
	v_cndmask_b32_e64 v12, v12, v24, s[8:9]
	s_branch .LBB274_11
.LBB274_20:
	s_or_b64 exec, exec, s[40:41]
.LBB274_21:
	s_or_b64 exec, exec, s[18:19]
	v_mbcnt_hi_u32_b32 v2, -1, v7
	v_and_b32_e32 v13, 64, v2
	v_add_u32_e32 v3, 64, v13
	v_xor_b32_e32 v4, 32, v2
	v_cmp_lt_i32_e32 vcc, v4, v3
	v_xor_b32_e32 v8, 16, v2
	v_max_f32_e32 v7, v12, v12
	v_cndmask_b32_e32 v4, v2, v4, vcc
	v_lshlrev_b32_e32 v5, 2, v4
	ds_bpermute_b32 v4, v5, v12
	v_cmp_lt_i32_e32 vcc, v8, v3
	v_xor_b32_e32 v9, 8, v2
	v_and_b32_e32 v24, 63, v0
	s_waitcnt lgkmcnt(0)
	v_max_f32_e32 v4, v4, v4
	v_max_f32_e32 v4, v7, v4
	v_cndmask_b32_e32 v7, v2, v8, vcc
	v_lshlrev_b32_e32 v8, 2, v7
	ds_bpermute_b32 v7, v8, v4
	v_cmp_lt_i32_e32 vcc, v9, v3
	s_waitcnt lgkmcnt(0)
	v_max_f32_e32 v7, v7, v7
	v_max_f32_e32 v7, v4, v7
	v_cndmask_b32_e32 v4, v2, v9, vcc
	v_lshlrev_b32_e32 v12, 2, v4
	ds_bpermute_b32 v9, v12, v7
	v_cmp_eq_u32_e32 vcc, 0, v24
	v_lshlrev_b32_e32 v4, 2, v1
	s_and_saveexec_b64 s[0:1], vcc
	s_cbranch_execz .LBB274_23
; %bb.22:
	s_waitcnt lgkmcnt(0)
	v_max_f32_e32 v9, v9, v9
	v_max_f32_e32 v7, v7, v7
	;; [unrolled: 1-line block ×3, first 2 shown]
	ds_write_b32 v4, v7 offset:160
.LBB274_23:
	s_or_b64 exec, exec, s[0:1]
	v_cmp_gt_u32_e64 s[0:1], 2, v24
	v_mov_b32_e32 v14, 0xff7fffff
	v_lshlrev_b32_e32 v7, 2, v24
	s_waitcnt lgkmcnt(0)
	s_barrier
	s_and_saveexec_b64 s[8:9], s[0:1]
; %bb.24:
	ds_read_b32 v14, v7 offset:160
; %bb.25:
	s_or_b64 exec, exec, s[8:9]
	v_xor_b32_e32 v9, 1, v2
	v_cmp_lt_i32_e64 s[8:9], v9, v3
	v_lshlrev_b32_e32 v13, 2, v13
	s_nop 0
	v_cndmask_b32_e64 v9, v2, v9, s[8:9]
	v_lshlrev_b32_e32 v9, 2, v9
	s_waitcnt lgkmcnt(0)
	ds_bpermute_b32 v15, v9, v14
	v_max_f32_e32 v14, v14, v14
	s_lshl_b32 s8, s44, 3
	s_min_i32 s39, s8, s25
	v_cmp_gt_i32_e64 s[8:9], s39, v0
	s_waitcnt lgkmcnt(0)
	v_max_f32_e32 v15, v15, v15
	v_max_f32_e32 v14, v14, v15
	ds_bpermute_b32 v14, v13, v14
	v_mov_b32_e32 v13, 0
	s_and_saveexec_b64 s[12:13], s[8:9]
	s_cbranch_execz .LBB274_29
; %bb.26:
	v_mov_b32_e32 v13, 0xb0
	v_lshl_add_u32 v15, v0, 2, v13
	v_mov_b32_e32 v13, 0
	s_mov_b64 s[18:19], 0
	v_mov_b32_e32 v16, v0
.LBB274_27:                             ; =>This Inner Loop Header: Depth=1
	ds_read_b32 v17, v15
	v_add_u32_e32 v16, 0x80, v16
	v_cmp_le_i32_e64 s[10:11], s39, v16
	s_or_b64 s[18:19], s[10:11], s[18:19]
	s_waitcnt lgkmcnt(0)
	v_sub_f32_e32 v17, v17, v14
	v_mul_f32_e32 v17, 0x3fb8aa3b, v17
	v_exp_f32_e32 v17, v17
	ds_write_b32 v15, v17
	v_add_f32_e32 v13, v13, v17
	v_add_u32_e32 v15, 0x200, v15
	s_andn2_b64 exec, exec, s[18:19]
	s_cbranch_execnz .LBB274_27
; %bb.28:
	s_or_b64 exec, exec, s[18:19]
.LBB274_29:
	s_or_b64 exec, exec, s[12:13]
	ds_bpermute_b32 v5, v5, v13
	s_waitcnt lgkmcnt(0)
	v_add_f32_e32 v5, v13, v5
	ds_bpermute_b32 v8, v8, v5
	s_waitcnt lgkmcnt(0)
	v_add_f32_e32 v5, v5, v8
	ds_bpermute_b32 v8, v12, v5
	v_xor_b32_e32 v12, 4, v2
	v_cmp_lt_i32_e64 s[10:11], v12, v3
	s_waitcnt lgkmcnt(0)
	v_add_f32_e32 v5, v5, v8
	v_cndmask_b32_e64 v12, v2, v12, s[10:11]
	v_lshlrev_b32_e32 v12, 2, v12
	ds_bpermute_b32 v8, v12, v5
	v_xor_b32_e32 v12, 2, v2
	v_cmp_lt_i32_e64 s[10:11], v12, v3
	s_waitcnt lgkmcnt(0)
	v_add_f32_e32 v5, v5, v8
	v_cndmask_b32_e64 v3, v2, v12, s[10:11]
	v_lshlrev_b32_e32 v3, 2, v3
	ds_bpermute_b32 v3, v3, v5
	s_waitcnt lgkmcnt(0)
	v_add_f32_e32 v3, v5, v3
	ds_bpermute_b32 v5, v9, v3
	s_waitcnt lgkmcnt(0)
	v_add_f32_e32 v3, v3, v5
	s_and_saveexec_b64 s[10:11], vcc
; %bb.30:
	ds_write_b32 v4, v3 offset:168
; %bb.31:
	s_or_b64 exec, exec, s[10:11]
	s_waitcnt lgkmcnt(0)
	s_barrier
	s_and_saveexec_b64 s[10:11], s[0:1]
; %bb.32:
	ds_read_b32 v3, v7 offset:168
; %bb.33:
	s_or_b64 exec, exec, s[10:11]
	s_waitcnt lgkmcnt(0)
	ds_bpermute_b32 v4, v9, v3
	v_lshlrev_b32_e32 v2, 2, v2
	v_and_b32_e32 v2, 0x100, v2
	s_waitcnt lgkmcnt(0)
	v_add_f32_e32 v3, v3, v4
	ds_bpermute_b32 v2, v2, v3
	s_and_saveexec_b64 s[0:1], s[8:9]
	s_cbranch_execz .LBB274_46
; %bb.34:
	s_waitcnt lgkmcnt(0)
	v_add_f32_e32 v2, 0x358637bd, v2
	v_div_scale_f32 v3, s[8:9], v2, v2, 1.0
	v_rcp_f32_e32 v4, v3
	v_div_scale_f32 v5, vcc, 1.0, v2, 1.0
	s_movk_i32 s8, 0x7f
	v_fma_f32 v7, -v3, v4, 1.0
	v_fmac_f32_e32 v4, v7, v4
	v_mul_f32_e32 v7, v5, v4
	v_fma_f32 v8, -v3, v7, v5
	v_fmac_f32_e32 v7, v8, v4
	v_fma_f32 v3, -v3, v7, v5
	v_div_fmas_f32 v3, v3, v4, v7
	v_xad_u32 v4, v0, -1, s39
	v_div_fixup_f32 v2, v3, v2, 1.0
	v_cmp_lt_u32_e32 vcc, s8, v4
	s_mov_b64 s[10:11], -1
	v_mov_b32_e32 v3, v0
	s_and_saveexec_b64 s[8:9], vcc
	s_cbranch_execz .LBB274_43
; %bb.35:
	v_lshrrev_b32_e32 v4, 7, v4
	v_add_u32_e32 v7, -1, v4
	v_lshrrev_b32_e32 v5, 1, v7
	v_mov_b32_e32 v3, v2
	v_add_u32_e32 v5, 1, v5
	v_cmp_lt_u32_e32 vcc, 13, v7
	v_mov_b32_e32 v9, 0
	s_and_saveexec_b64 s[10:11], vcc
	s_cbranch_execz .LBB274_39
; %bb.36:
	v_mov_b32_e32 v8, 0xb0
	v_and_b32_e32 v7, -8, v5
	v_lshl_add_u32 v8, v0, 2, v8
	s_mov_b32 s18, 0
	s_mov_b64 s[12:13], 0
.LBB274_37:                             ; =>This Inner Loop Header: Depth=1
	ds_read2st64_b32 v[12:13], v8 offset1:2
	ds_read2st64_b32 v[14:15], v8 offset0:4 offset1:6
	ds_read2st64_b32 v[16:17], v8 offset0:8 offset1:10
	;; [unrolled: 1-line block ×3, first 2 shown]
	v_add_u32_e32 v7, -8, v7
	s_waitcnt lgkmcnt(3)
	v_pk_mul_f32 v[12:13], v[2:3], v[12:13]
	s_waitcnt lgkmcnt(2)
	v_pk_mul_f32 v[14:15], v[2:3], v[14:15]
	ds_write2st64_b32 v8, v12, v13 offset1:2
	ds_write2st64_b32 v8, v14, v15 offset0:4 offset1:6
	ds_read2st64_b32 v[14:15], v8 offset0:16 offset1:18
	s_waitcnt lgkmcnt(4)
	v_pk_mul_f32 v[12:13], v[2:3], v[16:17]
	ds_write2st64_b32 v8, v12, v13 offset0:8 offset1:10
	s_waitcnt lgkmcnt(4)
	v_pk_mul_f32 v[12:13], v[2:3], v[18:19]
	ds_write2st64_b32 v8, v12, v13 offset0:12 offset1:14
	ds_read2st64_b32 v[12:13], v8 offset0:20 offset1:22
	s_waitcnt lgkmcnt(3)
	v_pk_mul_f32 v[14:15], v[2:3], v[14:15]
	ds_read2st64_b32 v[16:17], v8 offset0:24 offset1:26
	ds_write2st64_b32 v8, v14, v15 offset0:16 offset1:18
	ds_read2st64_b32 v[14:15], v8 offset0:28 offset1:30
	s_waitcnt lgkmcnt(3)
	v_pk_mul_f32 v[12:13], v[2:3], v[12:13]
	ds_write2st64_b32 v8, v12, v13 offset0:20 offset1:22
	s_waitcnt lgkmcnt(3)
	v_pk_mul_f32 v[12:13], v[2:3], v[16:17]
	ds_write2st64_b32 v8, v12, v13 offset0:24 offset1:26
	s_waitcnt lgkmcnt(2)
	v_pk_mul_f32 v[12:13], v[2:3], v[14:15]
	s_add_i32 s18, s18, 16
	v_cmp_eq_u32_e32 vcc, 0, v7
	ds_write2st64_b32 v8, v12, v13 offset0:28 offset1:30
	v_add_u32_e32 v8, 0x2000, v8
	s_or_b64 s[12:13], vcc, s[12:13]
	v_mov_b32_e32 v9, s18
	s_andn2_b64 exec, exec, s[12:13]
	s_cbranch_execnz .LBB274_37
; %bb.38:
	s_or_b64 exec, exec, s[12:13]
.LBB274_39:
	s_or_b64 exec, exec, s[10:11]
	v_and_b32_e32 v5, 7, v5
	v_cmp_ne_u32_e32 vcc, 0, v5
	s_and_saveexec_b64 s[10:11], vcc
	s_cbranch_execz .LBB274_42
; %bb.40:
	v_lshlrev_b32_e32 v7, 9, v9
	v_lshlrev_b32_e32 v8, 2, v0
	s_movk_i32 s12, 0xb0
	v_add3_u32 v7, v7, v8, s12
	s_mov_b64 s[12:13], 0
.LBB274_41:                             ; =>This Inner Loop Header: Depth=1
	ds_read2st64_b32 v[8:9], v7 offset1:2
	v_add_u32_e32 v5, -1, v5
	v_cmp_eq_u32_e32 vcc, 0, v5
	s_or_b64 s[12:13], vcc, s[12:13]
	s_waitcnt lgkmcnt(0)
	v_pk_mul_f32 v[8:9], v[2:3], v[8:9]
	ds_write2st64_b32 v7, v8, v9 offset1:2
	v_add_u32_e32 v7, 0x400, v7
	s_andn2_b64 exec, exec, s[12:13]
	s_cbranch_execnz .LBB274_41
.LBB274_42:
	s_or_b64 exec, exec, s[10:11]
	v_add_u32_e32 v4, 1, v4
	v_and_b32_e32 v5, 0x3fffffe, v4
	v_cmp_ne_u32_e32 vcc, v4, v5
	v_lshl_add_u32 v3, v5, 7, v0
	s_orn2_b64 s[10:11], vcc, exec
.LBB274_43:
	s_or_b64 exec, exec, s[8:9]
	s_and_b64 exec, exec, s[10:11]
	s_cbranch_execz .LBB274_46
; %bb.44:
	v_mov_b32_e32 v4, 0xb0
	v_lshl_add_u32 v4, v3, 2, v4
	s_mov_b64 s[8:9], 0
.LBB274_45:                             ; =>This Inner Loop Header: Depth=1
	ds_read_b32 v5, v4
	v_add_u32_e32 v3, 0x80, v3
	v_cmp_le_i32_e32 vcc, s39, v3
	s_or_b64 s[8:9], vcc, s[8:9]
	s_waitcnt lgkmcnt(0)
	v_mul_f32_e32 v5, v2, v5
	ds_write_b32 v4, v5
	v_add_u32_e32 v4, 0x200, v4
	s_andn2_b64 exec, exec, s[8:9]
	s_cbranch_execnz .LBB274_45
.LBB274_46:
	s_or_b64 exec, exec, s[0:1]
	v_mov_b32_e32 v13, 0
	v_mov_b32_e32 v12, v13
	s_waitcnt lgkmcnt(0)
	s_barrier
	s_and_saveexec_b64 s[8:9], s[2:3]
	s_cbranch_execz .LBB274_58
; %bb.47:
	s_sub_i32 s21, s16, s21
	s_ashr_i32 s0, s45, 31
	s_add_u32 s10, s36, s45
	s_addc_u32 s11, s37, s0
	s_abs_i32 s22, s22
	v_cvt_f32_u32_e32 v2, s22
	v_or_b32_e32 v3, 64, v24
	s_movk_i32 s0, 0x50
	v_cmp_gt_u32_e32 vcc, s0, v3
	v_rcp_iflag_f32_e32 v2, v2
	s_sub_i32 s0, 0, s22
	s_add_i32 s36, s44, -1
	v_lshlrev_b32_e32 v16, 3, v3
	v_mul_f32_e32 v2, 0x4f7ffffe, v2
	v_cvt_u32_f32_e32 v2, v2
	v_mov_b32_e32 v15, 0
	s_mov_b32 s39, s17
	v_lshlrev_b32_e32 v14, 3, v24
	v_mul_lo_u32 v3, s0, v2
	s_lshl_b64 s[0:1], s[34:35], 2
	v_mul_hi_u32 v3, v2, v3
	s_add_u32 s0, s30, s0
	v_add_u32_e32 v25, v2, v3
	v_and_b32_e32 v2, 60, v6
	v_mov_b32_e32 v3, v15
	s_addc_u32 s1, s31, s1
	v_lshl_add_u64 v[18:19], s[0:1], 0, v[2:3]
	v_mov_b32_e32 v2, 0xb0
	v_mov_b32_e32 v17, v15
	v_lshl_add_u32 v26, v1, 5, v2
	s_mov_b64 s[12:13], 0
	v_mov_b32_e32 v12, v15
	v_mov_b32_e32 v13, v15
	s_branch .LBB274_51
.LBB274_48:                             ;   in Loop: Header=BB274_51 Depth=1
	s_or_b64 exec, exec, s[18:19]
	v_cvt_pk_bf16_f32 v6, v6, v7
	v_cvt_pk_bf16_f32 v2, v2, v3
	v_cvt_pk_bf16_f32 v3, v4, v5
	v_lshlrev_b32_e32 v4, 16, v6
	v_lshlrev_b32_e32 v5, 16, v31
	v_cvt_pk_bf16_f32 v7, v8, v9
	v_mul_f32_e32 v4, v4, v5
	v_and_b32_e32 v5, 0xffff0000, v6
	v_lshlrev_b32_e32 v6, 16, v30
	v_mul_f32_e32 v5, v5, v6
	v_lshlrev_b32_e32 v6, 16, v7
	v_lshlrev_b32_e32 v8, 16, v29
	v_mul_f32_e32 v6, v6, v8
	v_and_b32_e32 v7, 0xffff0000, v7
	v_lshlrev_b32_e32 v8, 16, v28
	v_mul_f32_e32 v7, v7, v8
	v_lshlrev_b32_e32 v8, 16, v2
	v_lshlrev_b32_e32 v9, 16, v27
	v_mul_f32_e32 v8, v8, v9
	v_and_b32_e32 v2, 0xffff0000, v2
	v_lshlrev_b32_e32 v9, 16, v23
	v_mul_f32_e32 v2, v2, v9
	v_cvt_pk_bf16_f32 v9, v2, s0
	v_lshlrev_b32_e32 v2, 16, v3
	v_lshlrev_b32_e32 v21, 16, v21
	v_mul_f32_e32 v2, v2, v21
	v_cvt_pk_bf16_f32 v21, v2, s0
	v_and_b32_e32 v2, 0xffff0000, v3
	v_lshlrev_b32_e32 v3, 16, v20
	v_cvt_pk_bf16_f32 v4, v4, s0
	v_cvt_pk_bf16_f32 v5, v5, s0
	;; [unrolled: 1-line block ×4, first 2 shown]
	v_mul_f32_e32 v2, v2, v3
	v_cvt_pk_bf16_f32 v8, v8, s0
	v_cvt_pk_bf16_f32 v20, v2, s0
	v_lshlrev_b32_e32 v3, 16, v5
	v_lshlrev_b32_e32 v5, 16, v4
	;; [unrolled: 1-line block ×4, first 2 shown]
	v_pk_add_f32 v[2:3], v[4:5], v[2:3]
	v_lshlrev_b32_e32 v5, 16, v9
	v_lshlrev_b32_e32 v7, 16, v8
	;; [unrolled: 1-line block ×4, first 2 shown]
	v_pk_add_f32 v[4:5], v[6:7], v[4:5]
	v_add_f32_e32 v2, v2, v3
	v_add_f32_e32 v2, v5, v2
	;; [unrolled: 1-line block ×3, first 2 shown]
	v_pk_add_f32 v[12:13], v[12:13], v[2:3] op_sel_hi:[1,0]
.LBB274_49:                             ;   in Loop: Header=BB274_51 Depth=1
	s_or_b64 exec, exec, s[2:3]
	v_mov_b32_e32 v12, v22
.LBB274_50:                             ;   in Loop: Header=BB274_51 Depth=1
	s_or_b64 exec, exec, s[16:17]
	v_add_u32_e32 v1, 2, v1
	v_cmp_le_i32_e64 s[0:1], s44, v1
	v_lshl_add_u64 v[18:19], v[18:19], 0, 8
	v_add_u32_e32 v11, 16, v11
	s_or_b64 s[12:13], s[0:1], s[12:13]
	v_add_u32_e32 v26, 64, v26
	s_andn2_b64 exec, exec, s[12:13]
	s_cbranch_execz .LBB274_57
.LBB274_51:                             ; =>This Inner Loop Header: Depth=1
	v_mul_hi_u32 v2, v11, s33
	v_mul_lo_u32 v3, v2, s27
	v_sub_u32_e32 v3, v11, v3
	v_add_u32_e32 v4, 1, v2
	v_cmp_le_u32_e64 s[0:1], s27, v3
	s_nop 1
	v_cndmask_b32_e64 v2, v2, v4, s[0:1]
	v_subrev_u32_e32 v4, s27, v3
	v_cndmask_b32_e64 v3, v3, v4, s[0:1]
	v_add_u32_e32 v4, 1, v2
	v_cmp_le_u32_e64 s[0:1], s27, v3
	s_nop 1
	v_cndmask_b32_e64 v2, v2, v4, s[0:1]
	v_xor_b32_e32 v2, s23, v2
	v_subrev_u32_e32 v2, s23, v2
	v_add_u32_e32 v3, s38, v2
	v_sub_u32_e32 v5, 0, v3
	v_ashrrev_i32_e32 v4, 31, v3
	v_max_i32_e32 v3, v3, v5
	v_mul_hi_u32 v5, v3, v25
	v_mul_lo_u32 v5, v5, s22
	v_sub_u32_e32 v3, v3, v5
	v_subrev_u32_e32 v5, s22, v3
	v_cmp_le_u32_e64 s[0:1], s22, v3
	v_cmp_lt_i32_e64 s[2:3], s21, v2
	s_nop 0
	v_cndmask_b32_e64 v3, v3, v5, s[0:1]
	v_subrev_u32_e32 v5, s22, v3
	v_cmp_le_u32_e64 s[0:1], s22, v3
	s_nop 1
	v_cndmask_b32_e64 v3, v3, v5, s[0:1]
	v_xor_b32_e32 v3, v3, v4
	v_sub_u32_e32 v3, v3, v4
	v_cmp_eq_u32_e64 s[0:1], 0, v3
	s_or_b64 s[0:1], s[0:1], s[2:3]
	s_and_saveexec_b64 s[16:17], s[0:1]
	s_cbranch_execz .LBB274_50
; %bb.52:                               ;   in Loop: Header=BB274_51 Depth=1
	global_load_dword v4, v[18:19], off
	v_mov_b64_e32 v[2:3], s[10:11]
	s_waitcnt vmcnt(0)
	v_mad_i64_i32 v[20:21], s[0:1], v4, s39, v[2:3]
	v_lshl_add_u64 v[2:3], v[20:21], 0, v[14:15]
	global_load_dwordx2 v[22:23], v[2:3], off
	ds_read2_b64 v[6:9], v26 offset1:1
	ds_read2_b64 v[2:5], v26 offset0:2 offset1:3
	s_load_dword s30, s[14:15], 0x0
	v_cmp_eq_u32_e64 s[0:1], s36, v1
	s_waitcnt vmcnt(0)
	v_and_b32_e32 v27, 0xff, v22
	v_bfe_u32 v28, v22, 8, 8
	v_bfe_u32 v29, v22, 16, 8
	v_lshrrev_b32_e32 v22, 24, v22
	v_and_b32_e32 v30, 0xff, v23
	v_bfe_u32 v31, v23, 8, 8
	v_bfe_u32 v32, v23, 16, 8
	v_lshrrev_b32_e32 v23, 24, v23
	v_cvt_f32_fp8_e32 v27, v27
	v_cvt_f32_fp8_e32 v28, v28
	;; [unrolled: 1-line block ×8, first 2 shown]
	s_waitcnt lgkmcnt(0)
	v_mul_f32_e32 v27, s30, v27
	v_mul_f32_e32 v28, s30, v28
	;; [unrolled: 1-line block ×8, first 2 shown]
	v_cvt_pk_bf16_f32 v32, v27, s0
	v_cvt_pk_bf16_f32 v31, v28, s0
	;; [unrolled: 1-line block ×8, first 2 shown]
	s_and_saveexec_b64 s[18:19], s[0:1]
	s_cbranch_execz .LBB274_54
; %bb.53:                               ;   in Loop: Header=BB274_51 Depth=1
	v_cmp_gt_i32_e64 s[2:3], s25, v11
	v_add_u32_e32 v33, 1, v11
	s_nop 0
	v_cndmask_b32_e64 v32, 0, v32, s[2:3]
	v_cmp_gt_i32_e64 s[2:3], s25, v33
	v_add_u32_e32 v33, 2, v11
	s_nop 0
	v_cndmask_b32_e64 v31, 0, v31, s[2:3]
	;; [unrolled: 4-line block ×7, first 2 shown]
	v_cmp_gt_i32_e64 s[2:3], s25, v33
	s_nop 1
	v_cndmask_b32_e64 v22, 0, v22, s[2:3]
.LBB274_54:                             ;   in Loop: Header=BB274_51 Depth=1
	s_or_b64 exec, exec, s[18:19]
	v_cvt_pk_bf16_f32 v33, v6, s0
	v_cvt_pk_bf16_f32 v34, v7, s0
	v_lshlrev_b32_e32 v33, 16, v33
	v_lshlrev_b32_e32 v32, 16, v32
	v_cvt_pk_bf16_f32 v35, v8, s0
	v_mul_f32_e32 v32, v33, v32
	v_lshlrev_b32_e32 v33, 16, v34
	v_lshlrev_b32_e32 v31, 16, v31
	v_cvt_pk_bf16_f32 v36, v9, s0
	v_mul_f32_e32 v31, v33, v31
	v_lshlrev_b32_e32 v33, 16, v35
	v_lshlrev_b32_e32 v30, 16, v30
	v_mul_f32_e32 v30, v33, v30
	v_lshlrev_b32_e32 v33, 16, v36
	v_lshlrev_b32_e32 v29, 16, v29
	v_cvt_pk_bf16_f32 v37, v2, s0
	v_mul_f32_e32 v29, v33, v29
	v_cvt_pk_bf16_f32 v33, v29, s0
	v_lshlrev_b32_e32 v29, 16, v37
	v_lshlrev_b32_e32 v28, 16, v28
	v_cvt_pk_bf16_f32 v38, v3, s0
	v_mul_f32_e32 v28, v29, v28
	v_cvt_pk_bf16_f32 v39, v4, s0
	v_cvt_pk_bf16_f32 v34, v28, s0
	v_lshlrev_b32_e32 v28, 16, v38
	v_lshlrev_b32_e32 v27, 16, v27
	v_mul_f32_e32 v27, v28, v27
	v_lshlrev_b32_e32 v28, 16, v39
	v_lshlrev_b32_e32 v23, 16, v23
	v_cvt_pk_bf16_f32 v40, v5, s0
	v_mul_f32_e32 v23, v28, v23
	v_cvt_pk_bf16_f32 v35, v23, s0
	v_lshlrev_b32_e32 v23, 16, v40
	v_lshlrev_b32_e32 v22, 16, v22
	v_cvt_pk_bf16_f32 v32, v32, s0
	v_cvt_pk_bf16_f32 v31, v31, s0
	;; [unrolled: 1-line block ×3, first 2 shown]
	v_mul_f32_e32 v22, v23, v22
	v_cvt_pk_bf16_f32 v27, v27, s0
	v_cvt_pk_bf16_f32 v36, v22, s0
	v_lshlrev_b32_e32 v23, 16, v31
	v_lshlrev_b32_e32 v29, 16, v32
	;; [unrolled: 1-line block ×4, first 2 shown]
	v_pk_add_f32 v[22:23], v[28:29], v[22:23]
	v_lshlrev_b32_e32 v29, 16, v27
	v_lshlrev_b32_e32 v31, 16, v34
	;; [unrolled: 1-line block ×4, first 2 shown]
	v_pk_add_f32 v[22:23], v[22:23], v[22:23] op_sel:[0,1] op_sel_hi:[1,0]
	v_pk_add_f32 v[28:29], v[30:31], v[28:29]
	s_nop 0
	v_pk_add_f32 v[22:23], v[28:29], v[22:23] op_sel:[1,0] op_sel_hi:[0,1]
	v_pk_add_f32 v[22:23], v[28:29], v[22:23]
	s_nop 0
	v_pk_add_f32 v[22:23], v[12:13], v[22:23]
	s_and_saveexec_b64 s[2:3], vcc
	s_cbranch_execz .LBB274_49
; %bb.55:                               ;   in Loop: Header=BB274_51 Depth=1
	v_lshl_add_u64 v[20:21], v[20:21], 0, v[16:17]
	global_load_dwordx2 v[20:21], v[20:21], off
	s_waitcnt vmcnt(0)
	v_and_b32_e32 v23, 0xff, v20
	v_bfe_u32 v27, v20, 8, 8
	v_bfe_u32 v28, v20, 16, 8
	v_lshrrev_b32_e32 v20, 24, v20
	v_and_b32_e32 v29, 0xff, v21
	v_bfe_u32 v30, v21, 8, 8
	v_bfe_u32 v31, v21, 16, 8
	v_lshrrev_b32_e32 v21, 24, v21
	v_cvt_f32_fp8_e32 v23, v23
	v_cvt_f32_fp8_e32 v27, v27
	;; [unrolled: 1-line block ×8, first 2 shown]
	v_mul_f32_e32 v23, s30, v23
	v_mul_f32_e32 v27, s30, v27
	v_mul_f32_e32 v28, s30, v28
	v_mul_f32_e32 v20, s30, v20
	v_mul_f32_e32 v32, s30, v29
	v_mul_f32_e32 v33, s30, v30
	v_mul_f32_e32 v34, s30, v31
	v_mul_f32_e32 v35, s30, v21
	v_cvt_pk_bf16_f32 v31, v23, s0
	v_cvt_pk_bf16_f32 v30, v27, s0
	;; [unrolled: 1-line block ×8, first 2 shown]
	s_and_saveexec_b64 s[18:19], s[0:1]
	s_cbranch_execz .LBB274_48
; %bb.56:                               ;   in Loop: Header=BB274_51 Depth=1
	v_cmp_gt_i32_e64 s[0:1], s25, v11
	v_add_u32_e32 v32, 1, v11
	s_nop 0
	v_cndmask_b32_e64 v31, 0, v31, s[0:1]
	v_cmp_gt_i32_e64 s[0:1], s25, v32
	v_add_u32_e32 v32, 2, v11
	s_nop 0
	v_cndmask_b32_e64 v30, 0, v30, s[0:1]
	;; [unrolled: 4-line block ×7, first 2 shown]
	v_cmp_gt_i32_e64 s[0:1], s25, v32
	s_nop 1
	v_cndmask_b32_e64 v20, 0, v20, s[0:1]
	s_branch .LBB274_48
.LBB274_57:
	s_or_b64 exec, exec, s[12:13]
.LBB274_58:
	s_or_b64 exec, exec, s[8:9]
	v_and_b32_e32 v1, 0x3c0, v0
	v_cmp_eq_u32_e32 vcc, 64, v1
	s_barrier
	s_and_saveexec_b64 s[0:1], vcc
	s_cbranch_execz .LBB274_61
; %bb.59:
	v_mov_b32_e32 v1, 0xb0
	v_lshl_add_u32 v2, v24, 2, v1
	ds_write_b32 v2, v12
	s_and_b64 exec, exec, s[6:7]
; %bb.60:
	v_lshl_add_u32 v1, v0, 2, v1
	ds_write_b32 v1, v13
.LBB274_61:
	s_or_b64 exec, exec, s[0:1]
	v_cmp_gt_u32_e32 vcc, 64, v0
	v_or_b32_e32 v1, 64, v0
	s_waitcnt lgkmcnt(0)
	s_barrier
	s_and_saveexec_b64 s[2:3], vcc
	s_cbranch_execz .LBB274_65
; %bb.62:
	v_mov_b32_e32 v2, 0xb0
	v_lshl_add_u32 v2, v0, 2, v2
	ds_read_b32 v0, v2
	s_movk_i32 s0, 0x50
	v_cmp_gt_u32_e64 s[0:1], s0, v1
	s_and_saveexec_b64 s[6:7], s[0:1]
	s_cbranch_execz .LBB274_64
; %bb.63:
	ds_read_b32 v2, v2 offset:256
	s_waitcnt lgkmcnt(0)
	v_add_f32_e32 v13, v13, v2
.LBB274_64:
	s_or_b64 exec, exec, s[6:7]
	s_waitcnt lgkmcnt(0)
	v_add_f32_e32 v12, v12, v0
.LBB274_65:
	s_or_b64 exec, exec, s[2:3]
	s_barrier
	s_and_saveexec_b64 s[0:1], vcc
	s_cbranch_execz .LBB274_68
; %bb.66:
	s_mul_i32 s0, s24, s20
	s_mul_i32 s0, s0, s5
	s_mulk_i32 s0, 0x50
	s_ashr_i32 s1, s0, 31
	s_lshl_b64 s[0:1], s[0:1], 1
	s_add_u32 s3, s28, s0
	s_mul_i32 s0, s20, s26
	s_addc_u32 s5, s29, s1
	s_ashr_i32 s1, s0, 31
	s_lshl_b64 s[0:1], s[0:1], 1
	s_add_u32 s3, s3, s0
	s_mul_i32 s0, s4, 0x50
	s_addc_u32 s5, s5, s1
	s_ashr_i32 s1, s0, 31
	s_lshl_b64 s[0:1], s[0:1], 1
	s_movk_i32 s2, 0x50
	s_add_u32 s0, s3, s0
	s_addc_u32 s1, s5, s1
	v_cvt_pk_bf16_f32 v0, v12, s0
	v_cmp_gt_u32_e32 vcc, s2, v1
	global_store_short v10, v0, s[0:1]
	s_and_b64 exec, exec, vcc
	s_cbranch_execz .LBB274_68
; %bb.67:
	v_mov_b32_e32 v11, 0
	v_lshl_add_u64 v[0:1], s[0:1], 0, v[10:11]
	v_cvt_pk_bf16_f32 v2, v13, s0
	global_store_short v[0:1], v2, off offset:128
.LBB274_68:
	s_endpgm
	.section	.rodata,"a",@progbits
	.p2align	6, 0x0
	.amdhsa_kernel _ZN4vllm25paged_attention_v1_kernelI14__hip_bfloat16hLi80ELi8ELi128ELNS_18Fp8KVCacheDataTypeE1ELb1EEEvPT_PKS3_PKT0_S9_ifPKiSB_iPKfiiiSD_SD_iiiii
		.amdhsa_group_segment_fixed_size 176
		.amdhsa_private_segment_fixed_size 0
		.amdhsa_kernarg_size 384
		.amdhsa_user_sgpr_count 2
		.amdhsa_user_sgpr_dispatch_ptr 0
		.amdhsa_user_sgpr_queue_ptr 0
		.amdhsa_user_sgpr_kernarg_segment_ptr 1
		.amdhsa_user_sgpr_dispatch_id 0
		.amdhsa_user_sgpr_kernarg_preload_length 0
		.amdhsa_user_sgpr_kernarg_preload_offset 0
		.amdhsa_user_sgpr_private_segment_size 0
		.amdhsa_uses_dynamic_stack 0
		.amdhsa_enable_private_segment 0
		.amdhsa_system_sgpr_workgroup_id_x 1
		.amdhsa_system_sgpr_workgroup_id_y 1
		.amdhsa_system_sgpr_workgroup_id_z 1
		.amdhsa_system_sgpr_workgroup_info 0
		.amdhsa_system_vgpr_workitem_id 0
		.amdhsa_next_free_vgpr 45
		.amdhsa_next_free_sgpr 50
		.amdhsa_accum_offset 48
		.amdhsa_reserve_vcc 1
		.amdhsa_float_round_mode_32 0
		.amdhsa_float_round_mode_16_64 0
		.amdhsa_float_denorm_mode_32 3
		.amdhsa_float_denorm_mode_16_64 3
		.amdhsa_dx10_clamp 1
		.amdhsa_ieee_mode 1
		.amdhsa_fp16_overflow 0
		.amdhsa_tg_split 0
		.amdhsa_exception_fp_ieee_invalid_op 0
		.amdhsa_exception_fp_denorm_src 0
		.amdhsa_exception_fp_ieee_div_zero 0
		.amdhsa_exception_fp_ieee_overflow 0
		.amdhsa_exception_fp_ieee_underflow 0
		.amdhsa_exception_fp_ieee_inexact 0
		.amdhsa_exception_int_div_zero 0
	.end_amdhsa_kernel
	.section	.text._ZN4vllm25paged_attention_v1_kernelI14__hip_bfloat16hLi80ELi8ELi128ELNS_18Fp8KVCacheDataTypeE1ELb1EEEvPT_PKS3_PKT0_S9_ifPKiSB_iPKfiiiSD_SD_iiiii,"axG",@progbits,_ZN4vllm25paged_attention_v1_kernelI14__hip_bfloat16hLi80ELi8ELi128ELNS_18Fp8KVCacheDataTypeE1ELb1EEEvPT_PKS3_PKT0_S9_ifPKiSB_iPKfiiiSD_SD_iiiii,comdat
.Lfunc_end274:
	.size	_ZN4vllm25paged_attention_v1_kernelI14__hip_bfloat16hLi80ELi8ELi128ELNS_18Fp8KVCacheDataTypeE1ELb1EEEvPT_PKS3_PKT0_S9_ifPKiSB_iPKfiiiSD_SD_iiiii, .Lfunc_end274-_ZN4vllm25paged_attention_v1_kernelI14__hip_bfloat16hLi80ELi8ELi128ELNS_18Fp8KVCacheDataTypeE1ELb1EEEvPT_PKS3_PKT0_S9_ifPKiSB_iPKfiiiSD_SD_iiiii
                                        ; -- End function
	.set _ZN4vllm25paged_attention_v1_kernelI14__hip_bfloat16hLi80ELi8ELi128ELNS_18Fp8KVCacheDataTypeE1ELb1EEEvPT_PKS3_PKT0_S9_ifPKiSB_iPKfiiiSD_SD_iiiii.num_vgpr, 45
	.set _ZN4vllm25paged_attention_v1_kernelI14__hip_bfloat16hLi80ELi8ELi128ELNS_18Fp8KVCacheDataTypeE1ELb1EEEvPT_PKS3_PKT0_S9_ifPKiSB_iPKfiiiSD_SD_iiiii.num_agpr, 0
	.set _ZN4vllm25paged_attention_v1_kernelI14__hip_bfloat16hLi80ELi8ELi128ELNS_18Fp8KVCacheDataTypeE1ELb1EEEvPT_PKS3_PKT0_S9_ifPKiSB_iPKfiiiSD_SD_iiiii.numbered_sgpr, 50
	.set _ZN4vllm25paged_attention_v1_kernelI14__hip_bfloat16hLi80ELi8ELi128ELNS_18Fp8KVCacheDataTypeE1ELb1EEEvPT_PKS3_PKT0_S9_ifPKiSB_iPKfiiiSD_SD_iiiii.num_named_barrier, 0
	.set _ZN4vllm25paged_attention_v1_kernelI14__hip_bfloat16hLi80ELi8ELi128ELNS_18Fp8KVCacheDataTypeE1ELb1EEEvPT_PKS3_PKT0_S9_ifPKiSB_iPKfiiiSD_SD_iiiii.private_seg_size, 0
	.set _ZN4vllm25paged_attention_v1_kernelI14__hip_bfloat16hLi80ELi8ELi128ELNS_18Fp8KVCacheDataTypeE1ELb1EEEvPT_PKS3_PKT0_S9_ifPKiSB_iPKfiiiSD_SD_iiiii.uses_vcc, 1
	.set _ZN4vllm25paged_attention_v1_kernelI14__hip_bfloat16hLi80ELi8ELi128ELNS_18Fp8KVCacheDataTypeE1ELb1EEEvPT_PKS3_PKT0_S9_ifPKiSB_iPKfiiiSD_SD_iiiii.uses_flat_scratch, 0
	.set _ZN4vllm25paged_attention_v1_kernelI14__hip_bfloat16hLi80ELi8ELi128ELNS_18Fp8KVCacheDataTypeE1ELb1EEEvPT_PKS3_PKT0_S9_ifPKiSB_iPKfiiiSD_SD_iiiii.has_dyn_sized_stack, 0
	.set _ZN4vllm25paged_attention_v1_kernelI14__hip_bfloat16hLi80ELi8ELi128ELNS_18Fp8KVCacheDataTypeE1ELb1EEEvPT_PKS3_PKT0_S9_ifPKiSB_iPKfiiiSD_SD_iiiii.has_recursion, 0
	.set _ZN4vllm25paged_attention_v1_kernelI14__hip_bfloat16hLi80ELi8ELi128ELNS_18Fp8KVCacheDataTypeE1ELb1EEEvPT_PKS3_PKT0_S9_ifPKiSB_iPKfiiiSD_SD_iiiii.has_indirect_call, 0
	.section	.AMDGPU.csdata,"",@progbits
; Kernel info:
; codeLenInByte = 5560
; TotalNumSgprs: 56
; NumVgprs: 45
; NumAgprs: 0
; TotalNumVgprs: 45
; ScratchSize: 0
; MemoryBound: 0
; FloatMode: 240
; IeeeMode: 1
; LDSByteSize: 176 bytes/workgroup (compile time only)
; SGPRBlocks: 6
; VGPRBlocks: 5
; NumSGPRsForWavesPerEU: 56
; NumVGPRsForWavesPerEU: 45
; AccumOffset: 48
; Occupancy: 8
; WaveLimiterHint : 1
; COMPUTE_PGM_RSRC2:SCRATCH_EN: 0
; COMPUTE_PGM_RSRC2:USER_SGPR: 2
; COMPUTE_PGM_RSRC2:TRAP_HANDLER: 0
; COMPUTE_PGM_RSRC2:TGID_X_EN: 1
; COMPUTE_PGM_RSRC2:TGID_Y_EN: 1
; COMPUTE_PGM_RSRC2:TGID_Z_EN: 1
; COMPUTE_PGM_RSRC2:TIDIG_COMP_CNT: 0
; COMPUTE_PGM_RSRC3_GFX90A:ACCUM_OFFSET: 11
; COMPUTE_PGM_RSRC3_GFX90A:TG_SPLIT: 0
	.section	.text._ZN4vllm25paged_attention_v1_kernelI14__hip_bfloat16hLi96ELi8ELi128ELNS_18Fp8KVCacheDataTypeE1ELb1EEEvPT_PKS3_PKT0_S9_ifPKiSB_iPKfiiiSD_SD_iiiii,"axG",@progbits,_ZN4vllm25paged_attention_v1_kernelI14__hip_bfloat16hLi96ELi8ELi128ELNS_18Fp8KVCacheDataTypeE1ELb1EEEvPT_PKS3_PKT0_S9_ifPKiSB_iPKfiiiSD_SD_iiiii,comdat
	.protected	_ZN4vllm25paged_attention_v1_kernelI14__hip_bfloat16hLi96ELi8ELi128ELNS_18Fp8KVCacheDataTypeE1ELb1EEEvPT_PKS3_PKT0_S9_ifPKiSB_iPKfiiiSD_SD_iiiii ; -- Begin function _ZN4vllm25paged_attention_v1_kernelI14__hip_bfloat16hLi96ELi8ELi128ELNS_18Fp8KVCacheDataTypeE1ELb1EEEvPT_PKS3_PKT0_S9_ifPKiSB_iPKfiiiSD_SD_iiiii
	.globl	_ZN4vllm25paged_attention_v1_kernelI14__hip_bfloat16hLi96ELi8ELi128ELNS_18Fp8KVCacheDataTypeE1ELb1EEEvPT_PKS3_PKT0_S9_ifPKiSB_iPKfiiiSD_SD_iiiii
	.p2align	8
	.type	_ZN4vllm25paged_attention_v1_kernelI14__hip_bfloat16hLi96ELi8ELi128ELNS_18Fp8KVCacheDataTypeE1ELb1EEEvPT_PKS3_PKT0_S9_ifPKiSB_iPKfiiiSD_SD_iiiii,@function
_ZN4vllm25paged_attention_v1_kernelI14__hip_bfloat16hLi96ELi8ELi128ELNS_18Fp8KVCacheDataTypeE1ELb1EEEvPT_PKS3_PKT0_S9_ifPKiSB_iPKfiiiSD_SD_iiiii: ; @_ZN4vllm25paged_attention_v1_kernelI14__hip_bfloat16hLi96ELi8ELi128ELNS_18Fp8KVCacheDataTypeE1ELb1EEEvPT_PKS3_PKT0_S9_ifPKiSB_iPKfiiiSD_SD_iiiii
; %bb.0:
	s_load_dword s5, s[0:1], 0x80
	s_load_dwordx2 s[6:7], s[0:1], 0x30
	s_load_dwordx2 s[38:39], s[0:1], 0x20
	s_mov_b32 s24, s3
	s_ashr_i32 s25, s3, 31
	s_lshl_b64 s[8:9], s[24:25], 2
	s_waitcnt lgkmcnt(0)
	s_add_u32 s6, s6, s8
	s_addc_u32 s7, s7, s9
	s_abs_i32 s3, s38
	v_cvt_f32_u32_e32 v1, s3
	s_sub_i32 s10, 0, s3
	s_abs_i32 s9, s5
	s_xor_b32 s8, s5, s38
	v_rcp_iflag_f32_e32 v1, v1
	s_ashr_i32 s8, s8, 31
	s_mov_b32 s46, 0
	v_mul_f32_e32 v1, 0x4f7ffffe, v1
	v_cvt_u32_f32_e32 v1, v1
	s_nop 0
	v_readfirstlane_b32 s11, v1
	s_mul_i32 s10, s10, s11
	s_mul_hi_u32 s10, s11, s10
	s_add_i32 s11, s11, s10
	s_mul_hi_u32 s10, s9, s11
	s_mul_i32 s11, s10, s3
	s_sub_i32 s9, s9, s11
	s_add_i32 s11, s10, 1
	s_sub_i32 s12, s9, s3
	s_cmp_ge_u32 s9, s3
	s_cselect_b32 s10, s11, s10
	s_cselect_b32 s9, s12, s9
	s_add_i32 s11, s10, 1
	s_cmp_ge_u32 s9, s3
	s_cselect_b32 s3, s11, s10
	s_xor_b32 s3, s3, s8
	s_sub_i32 s14, s3, s8
	s_abs_i32 s10, s14
	v_cvt_f32_u32_e32 v1, s10
	s_load_dwordx2 s[8:9], s[0:1], 0x40
	s_sub_i32 s3, 0, s10
	s_abs_i32 s11, s2
	v_rcp_iflag_f32_e32 v1, v1
	s_nop 0
	v_mul_f32_e32 v1, 0x4f7ffffe, v1
	v_cvt_u32_f32_e32 v1, v1
	s_nop 0
	v_readfirstlane_b32 s12, v1
	s_mul_i32 s3, s3, s12
	s_mul_hi_u32 s3, s12, s3
	s_add_i32 s12, s12, s3
	s_waitcnt lgkmcnt(0)
	s_cmp_eq_u64 s[8:9], 0
	s_mul_hi_u32 s12, s11, s12
	s_cbranch_scc1 .LBB275_2
; %bb.1:
	s_ashr_i32 s3, s2, 31
	s_lshl_b64 s[16:17], s[2:3], 2
	s_add_u32 s8, s8, s16
	s_addc_u32 s9, s9, s17
	s_load_dword s46, s[8:9], 0x0
.LBB275_2:
	s_load_dword s25, s[6:7], 0x0
	s_load_dwordx4 s[16:19], s[0:1], 0x48
	s_movk_i32 s3, 0x60
	s_ashr_i32 s13, s2, 31
	s_ashr_i32 s14, s14, 31
	v_and_b32_e32 v2, 7, v0
	s_mul_i32 s26, s2, 0x60
	v_cmp_gt_u32_e64 s[6:7], s3, v0
	v_lshlrev_b32_e32 v10, 1, v0
	s_and_saveexec_b64 s[8:9], s[6:7]
	s_cbranch_execz .LBB275_4
; %bb.3:
	s_load_dwordx2 s[20:21], s[0:1], 0x8
	s_waitcnt lgkmcnt(0)
	s_mul_i32 s22, s16, s24
	s_ashr_i32 s23, s22, 31
	s_lshl_b64 s[22:23], s[22:23], 1
	v_lshrrev_b32_e32 v3, 2, v0
	s_add_u32 s3, s20, s22
	s_addc_u32 s15, s21, s23
	s_ashr_i32 s27, s26, 31
	s_lshl_b64 s[20:21], s[26:27], 1
	s_add_u32 s20, s3, s20
	s_addc_u32 s21, s15, s21
	global_load_ushort v1, v10, s[20:21]
	v_and_b32_e32 v3, 0xfe, v3
	v_mad_u32_u24 v3, v2, 24, v3
	s_waitcnt vmcnt(0)
	ds_write_b16 v3, v1
.LBB275_4:
	s_or_b64 exec, exec, s[8:9]
	s_mul_i32 s9, s12, s10
	s_sub_i32 s9, s11, s9
	s_xor_b32 s8, s13, s14
	s_add_i32 s11, s12, 1
	s_sub_i32 s13, s9, s10
	s_load_dwordx4 s[20:23], s[0:1], 0x68
	s_load_dword s3, s[0:1], 0x78
	s_cmp_ge_u32 s9, s10
	s_cselect_b32 s11, s11, s12
	s_cselect_b32 s9, s13, s9
	s_add_i32 s12, s11, 1
	s_cmp_ge_u32 s9, s10
	s_cselect_b32 s9, s12, s11
	s_waitcnt lgkmcnt(0)
	s_abs_i32 s27, s23
	v_cvt_f32_u32_e32 v1, s27
	s_xor_b32 s9, s9, s8
	s_sub_i32 s45, s9, s8
	s_sub_i32 s8, 0, s27
	v_rcp_iflag_f32_e32 v1, v1
	s_add_i32 s12, s25, -1
	s_abs_i32 s10, s12
	v_mul_f32_e32 v1, 0x4f7ffffe, v1
	v_cvt_u32_f32_e32 v1, v1
	s_barrier
	v_readfirstlane_b32 s33, v1
	s_mul_i32 s8, s8, s33
	s_mul_hi_u32 s8, s33, s8
	s_add_i32 s33, s33, s8
	s_cmp_lt_i32 s3, 0
	s_mul_hi_u32 s11, s10, s33
	s_cbranch_scc0 .LBB275_6
; %bb.5:
	s_mul_i32 s8, s20, s38
	s_add_i32 s8, s45, s8
	s_mul_i32 s8, s8, s3
	s_sub_i32 s38, 1, s8
	s_mov_b64 s[8:9], 0
	s_branch .LBB275_7
.LBB275_6:
	s_mov_b64 s[8:9], -1
                                        ; implicit-def: $sgpr38
.LBB275_7:
	s_load_dwordx2 s[30:31], s[0:1], 0x28
	s_ashr_i32 s16, s12, 31
	s_andn2_b64 vcc, exec, s[8:9]
	s_ashr_i32 s23, s23, 31
	s_cbranch_vccnz .LBB275_9
; %bb.8:
	s_mul_i32 s8, s5, s20
	s_add_i32 s2, s8, s2
	s_mul_i32 s2, s2, s3
	s_add_i32 s38, s2, 1
.LBB275_9:
	s_load_dword s2, s[0:1], 0x38
	s_load_dwordx2 s[28:29], s[0:1], 0x0
	s_load_dwordx2 s[36:37], s[0:1], 0x18
	s_load_dword s20, s[0:1], 0x88
	s_load_dwordx4 s[12:15], s[0:1], 0x58
	s_mul_i32 s3, s11, s27
	s_waitcnt lgkmcnt(0)
	s_mul_i32 s34, s2, s24
	s_sub_i32 s3, s10, s3
	s_ashr_i32 s35, s34, 31
	s_xor_b32 s2, s16, s23
	s_add_i32 s8, s11, 1
	s_sub_i32 s9, s3, s27
	s_cmp_ge_u32 s3, s27
	s_cselect_b32 s8, s8, s11
	s_cselect_b32 s3, s9, s3
	s_add_i32 s9, s8, 1
	s_cmp_ge_u32 s3, s27
	s_cselect_b32 s3, s9, s8
	s_xor_b32 s3, s3, s2
	s_sub_i32 s16, s3, s2
	s_add_i32 s2, s25, 7
	s_ashr_i32 s3, s2, 31
	s_lshr_b32 s3, s3, 29
	s_add_i32 s2, s2, s3
	s_ashr_i32 s44, s2, 3
	v_lshrrev_b32_e32 v1, 6, v0
	v_cmp_gt_i32_e64 s[2:3], s44, v1
	v_mov_b32_e32 v12, 0xff7fffff
	s_mul_i32 s45, s45, s18
	v_lshrrev_b32_e32 v6, 4, v0
	v_lshlrev_b32_e32 v11, 3, v1
	v_mbcnt_lo_u32_b32 v7, -1, 0
	s_and_saveexec_b64 s[18:19], s[2:3]
	s_cbranch_execz .LBB275_21
; %bb.10:
	s_load_dwordx2 s[0:1], s[0:1], 0x10
	s_sub_i32 s47, s16, s21
	s_ashr_i32 s9, s45, 31
	v_bfe_u32 v8, v0, 3, 3
	v_mov_b32_e32 v5, 0
	s_waitcnt lgkmcnt(0)
	s_add_u32 s8, s0, s45
	s_addc_u32 s9, s1, s9
	s_abs_i32 s48, s22
	v_cvt_f32_u32_e32 v3, s48
	v_lshlrev_b32_e32 v4, 4, v8
	v_lshl_add_u64 v[14:15], s[8:9], 0, v[4:5]
	s_sub_i32 s8, 0, s48
	v_rcp_iflag_f32_e32 v3, v3
	v_cmp_eq_u32_e32 vcc, 0, v2
	v_mul_u32_u24_e32 v9, 24, v2
	v_mbcnt_hi_u32_b32 v18, -1, v7
	v_mul_f32_e32 v3, 0x4f7ffffe, v3
	v_cvt_u32_f32_e32 v12, v3
	v_mov_b32_e32 v3, v5
	v_lshl_add_u64 v[2:3], v[14:15], 0, v[2:3]
	s_mov_b32 s49, s17
	v_mul_lo_u32 v4, s8, v12
	v_mul_hi_u32 v4, v12, v4
	v_add_u32_e32 v13, v12, v4
	v_subrev_u32_e32 v12, s25, v8
	s_lshl_b64 s[8:9], s[34:35], 2
	v_add_u32_e32 v15, 1, v12
	v_lshlrev_b32_e32 v12, 2, v8
	s_add_u32 s8, s30, s8
	v_lshl_or_b32 v12, v1, 5, v12
	v_and_b32_e32 v4, 60, v6
	s_addc_u32 s9, s31, s9
	v_add_u32_e32 v16, 0xd0, v12
	v_and_b32_e32 v12, 64, v18
	v_cmp_neq_f32_e64 s[0:1], s46, 0
	v_lshl_add_u64 v[4:5], s[8:9], 0, v[4:5]
	v_lshlrev_b32_e32 v14, 3, v1
	v_mov_b32_e32 v17, 0xff7fffff
	s_mov_b64 s[40:41], 0
	v_add_u32_e32 v19, 64, v12
	v_xor_b32_e32 v20, 4, v18
	v_xor_b32_e32 v21, 2, v18
	;; [unrolled: 1-line block ×3, first 2 shown]
	v_mov_b32_e32 v12, 0xff7fffff
	v_mov_b32_e32 v23, v1
	s_branch .LBB275_13
.LBB275_11:                             ;   in Loop: Header=BB275_13 Depth=1
	s_or_b64 exec, exec, s[42:43]
.LBB275_12:                             ;   in Loop: Header=BB275_13 Depth=1
	s_or_b64 exec, exec, s[10:11]
	v_add_u32_e32 v23, 2, v23
	v_cmp_le_i32_e64 s[8:9], s44, v23
	v_lshl_add_u64 v[4:5], v[4:5], 0, 8
	v_add_u32_e32 v14, 16, v14
	s_or_b64 s[40:41], s[8:9], s[40:41]
	v_add_u32_e32 v16, 64, v16
	s_andn2_b64 exec, exec, s[40:41]
	s_cbranch_execz .LBB275_20
.LBB275_13:                             ; =>This Inner Loop Header: Depth=1
	v_mul_hi_u32 v24, v14, s33
	s_waitcnt lgkmcnt(0)
	v_mul_lo_u32 v25, v24, s27
	v_sub_u32_e32 v25, v14, v25
	v_add_u32_e32 v26, 1, v24
	v_cmp_le_u32_e64 s[8:9], s27, v25
	s_nop 1
	v_cndmask_b32_e64 v24, v24, v26, s[8:9]
	v_subrev_u32_e32 v26, s27, v25
	v_cndmask_b32_e64 v25, v25, v26, s[8:9]
	v_add_u32_e32 v26, 1, v24
	v_cmp_le_u32_e64 s[8:9], s27, v25
	s_nop 1
	v_cndmask_b32_e64 v24, v24, v26, s[8:9]
	v_xor_b32_e32 v24, s23, v24
	v_subrev_u32_e32 v24, s23, v24
	v_add_u32_e32 v25, s38, v24
	v_sub_u32_e32 v27, 0, v25
	v_ashrrev_i32_e32 v26, 31, v25
	v_max_i32_e32 v25, v25, v27
	v_mul_hi_u32 v27, v25, v13
	v_mul_lo_u32 v27, v27, s48
	v_sub_u32_e32 v25, v25, v27
	v_subrev_u32_e32 v27, s48, v25
	v_cmp_le_u32_e64 s[8:9], s48, v25
	v_cmp_ge_i32_e64 s[10:11], s47, v24
	s_nop 0
	v_cndmask_b32_e64 v25, v25, v27, s[8:9]
	v_subrev_u32_e32 v27, s48, v25
	v_cmp_le_u32_e64 s[8:9], s48, v25
	s_nop 1
	v_cndmask_b32_e64 v25, v25, v27, s[8:9]
	v_xor_b32_e32 v25, v25, v26
	v_sub_u32_e32 v25, v25, v26
	v_cmp_ne_u32_e64 s[8:9], 0, v25
	s_and_b64 s[8:9], s[8:9], s[10:11]
	s_and_saveexec_b64 s[10:11], s[8:9]
	s_xor_b64 s[8:9], exec, s[10:11]
	s_cbranch_execz .LBB275_17
; %bb.14:                               ;   in Loop: Header=BB275_13 Depth=1
	s_and_saveexec_b64 s[10:11], vcc
; %bb.15:                               ;   in Loop: Header=BB275_13 Depth=1
	ds_write_b32 v16, v17
; %bb.16:                               ;   in Loop: Header=BB275_13 Depth=1
	s_or_b64 exec, exec, s[10:11]
.LBB275_17:                             ;   in Loop: Header=BB275_13 Depth=1
	s_andn2_saveexec_b64 s[10:11], s[8:9]
	s_cbranch_execz .LBB275_12
; %bb.18:                               ;   in Loop: Header=BB275_13 Depth=1
	global_load_dword v24, v[4:5], off
	s_waitcnt vmcnt(0)
	v_mad_i64_i32 v[24:25], s[8:9], v24, s49, v[2:3]
	global_load_ubyte v30, v[24:25], off
	global_load_ubyte v31, v[24:25], off offset:8
	global_load_ubyte v32, v[24:25], off offset:128
	;; [unrolled: 1-line block ×11, first 2 shown]
	v_cmp_lt_i32_e64 s[8:9], v20, v19
	ds_read2_b64 v[24:27], v9 offset1:1
	ds_read_b64 v[28:29], v9 offset:16
	v_cndmask_b32_e64 v42, v18, v20, s[8:9]
	s_load_dword s8, s[12:13], 0x0
	v_lshlrev_b32_e32 v42, 2, v42
	s_waitcnt lgkmcnt(0)
	v_lshlrev_b32_e32 v43, 16, v24
	v_and_b32_e32 v24, 0xffff0000, v24
	v_lshlrev_b32_e32 v44, 16, v25
	v_and_b32_e32 v25, 0xffff0000, v25
	;; [unrolled: 2-line block ×6, first 2 shown]
	s_waitcnt vmcnt(11)
	v_cvt_f32_fp8_e32 v30, v30
	s_waitcnt vmcnt(10)
	v_cvt_f32_fp8_e32 v31, v31
	;; [unrolled: 2-line block ×5, first 2 shown]
	v_mul_f32_e32 v31, s8, v31
	s_waitcnt vmcnt(6)
	v_cvt_f32_fp8_e32 v35, v35
	v_mul_f32_e32 v30, s8, v30
	v_cvt_pk_bf16_f32 v31, v31, s0
	s_waitcnt vmcnt(5)
	v_cvt_f32_fp8_e32 v36, v36
	v_mul_f32_e32 v32, s8, v32
	v_cvt_pk_bf16_f32 v30, v30, s0
	v_lshlrev_b32_e32 v31, 16, v31
	s_waitcnt vmcnt(4)
	v_cvt_f32_fp8_e32 v37, v37
	v_mul_f32_e32 v33, s8, v33
	v_cvt_pk_bf16_f32 v32, v32, s0
	v_lshlrev_b32_e32 v30, 16, v30
	v_mul_f32_e32 v24, v24, v31
	s_waitcnt vmcnt(3)
	v_cvt_f32_fp8_e32 v38, v38
	v_mul_f32_e32 v34, s8, v34
	v_cvt_pk_bf16_f32 v33, v33, s0
	v_lshlrev_b32_e32 v32, 16, v32
	v_fmac_f32_e32 v24, v43, v30
	s_waitcnt vmcnt(2)
	v_cvt_f32_fp8_e32 v39, v39
	v_mul_f32_e32 v35, s8, v35
	v_cvt_pk_bf16_f32 v34, v34, s0
	v_lshlrev_b32_e32 v33, 16, v33
	v_fmac_f32_e32 v24, v44, v32
	;; [unrolled: 6-line block ×4, first 2 shown]
	v_mul_f32_e32 v38, s8, v38
	v_cvt_pk_bf16_f32 v37, v37, s0
	v_lshlrev_b32_e32 v36, 16, v36
	v_fmac_f32_e32 v24, v26, v35
	v_mul_f32_e32 v39, s8, v39
	v_cvt_pk_bf16_f32 v38, v38, s0
	v_lshlrev_b32_e32 v37, 16, v37
	v_fmac_f32_e32 v24, v46, v36
	;; [unrolled: 4-line block ×4, first 2 shown]
	v_cvt_pk_bf16_f32 v41, v41, s0
	v_lshlrev_b32_e32 v40, 16, v40
	v_fmac_f32_e32 v24, v28, v39
	v_fmac_f32_e32 v24, v48, v40
	v_lshlrev_b32_e32 v25, 16, v41
	v_fmac_f32_e32 v24, v29, v25
	ds_bpermute_b32 v25, v42, v24
	v_cmp_lt_i32_e64 s[8:9], v21, v19
	s_waitcnt lgkmcnt(0)
	v_add_f32_e32 v24, v24, v25
	v_cndmask_b32_e64 v26, v18, v21, s[8:9]
	v_lshlrev_b32_e32 v26, 2, v26
	ds_bpermute_b32 v25, v26, v24
	v_cmp_lt_i32_e64 s[8:9], v22, v19
	s_waitcnt lgkmcnt(0)
	v_add_f32_e32 v24, v24, v25
	v_cndmask_b32_e64 v26, v18, v22, s[8:9]
	v_lshlrev_b32_e32 v26, 2, v26
	ds_bpermute_b32 v25, v26, v24
	s_and_saveexec_b64 s[42:43], vcc
	s_cbranch_execz .LBB275_11
; %bb.19:                               ;   in Loop: Header=BB275_13 Depth=1
	v_add_u32_e32 v26, v15, v14
	v_cvt_f32_i32_e32 v26, v26
	s_waitcnt lgkmcnt(0)
	v_add_f32_e32 v24, v24, v25
	v_add_u32_e32 v27, v8, v14
	v_cmp_gt_i32_e64 s[8:9], s25, v27
	v_mul_f32_e32 v25, s46, v26
	v_cndmask_b32_e64 v25, 0, v25, s[0:1]
	v_fmac_f32_e32 v25, s39, v24
	v_cndmask_b32_e64 v24, 0, v25, s[8:9]
	ds_write_b32 v16, v24
	v_max_f32_e32 v24, v12, v12
	v_max_f32_e32 v24, v24, v25
	v_cndmask_b32_e64 v12, v12, v24, s[8:9]
	s_branch .LBB275_11
.LBB275_20:
	s_or_b64 exec, exec, s[40:41]
.LBB275_21:
	s_or_b64 exec, exec, s[18:19]
	v_mbcnt_hi_u32_b32 v2, -1, v7
	v_and_b32_e32 v13, 64, v2
	v_add_u32_e32 v3, 64, v13
	v_xor_b32_e32 v4, 32, v2
	v_cmp_lt_i32_e32 vcc, v4, v3
	v_xor_b32_e32 v8, 16, v2
	v_max_f32_e32 v7, v12, v12
	v_cndmask_b32_e32 v4, v2, v4, vcc
	v_lshlrev_b32_e32 v5, 2, v4
	ds_bpermute_b32 v4, v5, v12
	v_cmp_lt_i32_e32 vcc, v8, v3
	v_xor_b32_e32 v9, 8, v2
	v_and_b32_e32 v24, 63, v0
	s_waitcnt lgkmcnt(0)
	v_max_f32_e32 v4, v4, v4
	v_max_f32_e32 v4, v7, v4
	v_cndmask_b32_e32 v7, v2, v8, vcc
	v_lshlrev_b32_e32 v8, 2, v7
	ds_bpermute_b32 v7, v8, v4
	v_cmp_lt_i32_e32 vcc, v9, v3
	s_waitcnt lgkmcnt(0)
	v_max_f32_e32 v7, v7, v7
	v_max_f32_e32 v7, v4, v7
	v_cndmask_b32_e32 v4, v2, v9, vcc
	v_lshlrev_b32_e32 v12, 2, v4
	ds_bpermute_b32 v9, v12, v7
	v_cmp_eq_u32_e32 vcc, 0, v24
	v_lshlrev_b32_e32 v4, 2, v1
	s_and_saveexec_b64 s[0:1], vcc
	s_cbranch_execz .LBB275_23
; %bb.22:
	s_waitcnt lgkmcnt(0)
	v_max_f32_e32 v9, v9, v9
	v_max_f32_e32 v7, v7, v7
	;; [unrolled: 1-line block ×3, first 2 shown]
	ds_write_b32 v4, v7 offset:192
.LBB275_23:
	s_or_b64 exec, exec, s[0:1]
	v_cmp_gt_u32_e64 s[0:1], 2, v24
	v_mov_b32_e32 v14, 0xff7fffff
	v_lshlrev_b32_e32 v7, 2, v24
	s_waitcnt lgkmcnt(0)
	s_barrier
	s_and_saveexec_b64 s[8:9], s[0:1]
; %bb.24:
	ds_read_b32 v14, v7 offset:192
; %bb.25:
	s_or_b64 exec, exec, s[8:9]
	v_xor_b32_e32 v9, 1, v2
	v_cmp_lt_i32_e64 s[8:9], v9, v3
	v_lshlrev_b32_e32 v13, 2, v13
	s_nop 0
	v_cndmask_b32_e64 v9, v2, v9, s[8:9]
	v_lshlrev_b32_e32 v9, 2, v9
	s_waitcnt lgkmcnt(0)
	ds_bpermute_b32 v15, v9, v14
	v_max_f32_e32 v14, v14, v14
	s_lshl_b32 s8, s44, 3
	s_min_i32 s39, s8, s25
	v_cmp_gt_i32_e64 s[8:9], s39, v0
	s_waitcnt lgkmcnt(0)
	v_max_f32_e32 v15, v15, v15
	v_max_f32_e32 v14, v14, v15
	ds_bpermute_b32 v14, v13, v14
	v_mov_b32_e32 v13, 0
	s_and_saveexec_b64 s[12:13], s[8:9]
	s_cbranch_execz .LBB275_29
; %bb.26:
	v_mov_b32_e32 v13, 0xd0
	v_lshl_add_u32 v15, v0, 2, v13
	v_mov_b32_e32 v13, 0
	s_mov_b64 s[18:19], 0
	v_mov_b32_e32 v16, v0
.LBB275_27:                             ; =>This Inner Loop Header: Depth=1
	ds_read_b32 v17, v15
	v_add_u32_e32 v16, 0x80, v16
	v_cmp_le_i32_e64 s[10:11], s39, v16
	s_or_b64 s[18:19], s[10:11], s[18:19]
	s_waitcnt lgkmcnt(0)
	v_sub_f32_e32 v17, v17, v14
	v_mul_f32_e32 v17, 0x3fb8aa3b, v17
	v_exp_f32_e32 v17, v17
	ds_write_b32 v15, v17
	v_add_f32_e32 v13, v13, v17
	v_add_u32_e32 v15, 0x200, v15
	s_andn2_b64 exec, exec, s[18:19]
	s_cbranch_execnz .LBB275_27
; %bb.28:
	s_or_b64 exec, exec, s[18:19]
.LBB275_29:
	s_or_b64 exec, exec, s[12:13]
	ds_bpermute_b32 v5, v5, v13
	s_waitcnt lgkmcnt(0)
	v_add_f32_e32 v5, v13, v5
	ds_bpermute_b32 v8, v8, v5
	s_waitcnt lgkmcnt(0)
	v_add_f32_e32 v5, v5, v8
	ds_bpermute_b32 v8, v12, v5
	v_xor_b32_e32 v12, 4, v2
	v_cmp_lt_i32_e64 s[10:11], v12, v3
	s_waitcnt lgkmcnt(0)
	v_add_f32_e32 v5, v5, v8
	v_cndmask_b32_e64 v12, v2, v12, s[10:11]
	v_lshlrev_b32_e32 v12, 2, v12
	ds_bpermute_b32 v8, v12, v5
	v_xor_b32_e32 v12, 2, v2
	v_cmp_lt_i32_e64 s[10:11], v12, v3
	s_waitcnt lgkmcnt(0)
	v_add_f32_e32 v5, v5, v8
	v_cndmask_b32_e64 v3, v2, v12, s[10:11]
	v_lshlrev_b32_e32 v3, 2, v3
	ds_bpermute_b32 v3, v3, v5
	s_waitcnt lgkmcnt(0)
	v_add_f32_e32 v3, v5, v3
	ds_bpermute_b32 v5, v9, v3
	s_waitcnt lgkmcnt(0)
	v_add_f32_e32 v3, v3, v5
	s_and_saveexec_b64 s[10:11], vcc
; %bb.30:
	ds_write_b32 v4, v3 offset:200
; %bb.31:
	s_or_b64 exec, exec, s[10:11]
	s_waitcnt lgkmcnt(0)
	s_barrier
	s_and_saveexec_b64 s[10:11], s[0:1]
; %bb.32:
	ds_read_b32 v3, v7 offset:200
; %bb.33:
	s_or_b64 exec, exec, s[10:11]
	s_waitcnt lgkmcnt(0)
	ds_bpermute_b32 v4, v9, v3
	v_lshlrev_b32_e32 v2, 2, v2
	v_and_b32_e32 v2, 0x100, v2
	s_waitcnt lgkmcnt(0)
	v_add_f32_e32 v3, v3, v4
	ds_bpermute_b32 v2, v2, v3
	s_and_saveexec_b64 s[0:1], s[8:9]
	s_cbranch_execz .LBB275_46
; %bb.34:
	s_waitcnt lgkmcnt(0)
	v_add_f32_e32 v2, 0x358637bd, v2
	v_div_scale_f32 v3, s[8:9], v2, v2, 1.0
	v_rcp_f32_e32 v4, v3
	v_div_scale_f32 v5, vcc, 1.0, v2, 1.0
	s_movk_i32 s8, 0x7f
	v_fma_f32 v7, -v3, v4, 1.0
	v_fmac_f32_e32 v4, v7, v4
	v_mul_f32_e32 v7, v5, v4
	v_fma_f32 v8, -v3, v7, v5
	v_fmac_f32_e32 v7, v8, v4
	v_fma_f32 v3, -v3, v7, v5
	v_div_fmas_f32 v3, v3, v4, v7
	v_xad_u32 v4, v0, -1, s39
	v_div_fixup_f32 v2, v3, v2, 1.0
	v_cmp_lt_u32_e32 vcc, s8, v4
	s_mov_b64 s[10:11], -1
	v_mov_b32_e32 v3, v0
	s_and_saveexec_b64 s[8:9], vcc
	s_cbranch_execz .LBB275_43
; %bb.35:
	v_lshrrev_b32_e32 v4, 7, v4
	v_add_u32_e32 v7, -1, v4
	v_lshrrev_b32_e32 v5, 1, v7
	v_mov_b32_e32 v3, v2
	v_add_u32_e32 v5, 1, v5
	v_cmp_lt_u32_e32 vcc, 13, v7
	v_mov_b32_e32 v9, 0
	s_and_saveexec_b64 s[10:11], vcc
	s_cbranch_execz .LBB275_39
; %bb.36:
	v_mov_b32_e32 v8, 0xd0
	v_and_b32_e32 v7, -8, v5
	v_lshl_add_u32 v8, v0, 2, v8
	s_mov_b32 s18, 0
	s_mov_b64 s[12:13], 0
.LBB275_37:                             ; =>This Inner Loop Header: Depth=1
	ds_read2st64_b32 v[12:13], v8 offset1:2
	ds_read2st64_b32 v[14:15], v8 offset0:4 offset1:6
	ds_read2st64_b32 v[16:17], v8 offset0:8 offset1:10
	;; [unrolled: 1-line block ×3, first 2 shown]
	v_add_u32_e32 v7, -8, v7
	s_waitcnt lgkmcnt(3)
	v_pk_mul_f32 v[12:13], v[2:3], v[12:13]
	s_waitcnt lgkmcnt(2)
	v_pk_mul_f32 v[14:15], v[2:3], v[14:15]
	ds_write2st64_b32 v8, v12, v13 offset1:2
	ds_write2st64_b32 v8, v14, v15 offset0:4 offset1:6
	ds_read2st64_b32 v[14:15], v8 offset0:16 offset1:18
	s_waitcnt lgkmcnt(4)
	v_pk_mul_f32 v[12:13], v[2:3], v[16:17]
	ds_write2st64_b32 v8, v12, v13 offset0:8 offset1:10
	s_waitcnt lgkmcnt(4)
	v_pk_mul_f32 v[12:13], v[2:3], v[18:19]
	ds_write2st64_b32 v8, v12, v13 offset0:12 offset1:14
	ds_read2st64_b32 v[12:13], v8 offset0:20 offset1:22
	s_waitcnt lgkmcnt(3)
	v_pk_mul_f32 v[14:15], v[2:3], v[14:15]
	ds_read2st64_b32 v[16:17], v8 offset0:24 offset1:26
	ds_write2st64_b32 v8, v14, v15 offset0:16 offset1:18
	ds_read2st64_b32 v[14:15], v8 offset0:28 offset1:30
	s_waitcnt lgkmcnt(3)
	v_pk_mul_f32 v[12:13], v[2:3], v[12:13]
	ds_write2st64_b32 v8, v12, v13 offset0:20 offset1:22
	s_waitcnt lgkmcnt(3)
	v_pk_mul_f32 v[12:13], v[2:3], v[16:17]
	ds_write2st64_b32 v8, v12, v13 offset0:24 offset1:26
	s_waitcnt lgkmcnt(2)
	v_pk_mul_f32 v[12:13], v[2:3], v[14:15]
	s_add_i32 s18, s18, 16
	v_cmp_eq_u32_e32 vcc, 0, v7
	ds_write2st64_b32 v8, v12, v13 offset0:28 offset1:30
	v_add_u32_e32 v8, 0x2000, v8
	s_or_b64 s[12:13], vcc, s[12:13]
	v_mov_b32_e32 v9, s18
	s_andn2_b64 exec, exec, s[12:13]
	s_cbranch_execnz .LBB275_37
; %bb.38:
	s_or_b64 exec, exec, s[12:13]
.LBB275_39:
	s_or_b64 exec, exec, s[10:11]
	v_and_b32_e32 v5, 7, v5
	v_cmp_ne_u32_e32 vcc, 0, v5
	s_and_saveexec_b64 s[10:11], vcc
	s_cbranch_execz .LBB275_42
; %bb.40:
	v_lshlrev_b32_e32 v7, 9, v9
	v_lshlrev_b32_e32 v8, 2, v0
	s_movk_i32 s12, 0xd0
	v_add3_u32 v7, v7, v8, s12
	s_mov_b64 s[12:13], 0
.LBB275_41:                             ; =>This Inner Loop Header: Depth=1
	ds_read2st64_b32 v[8:9], v7 offset1:2
	v_add_u32_e32 v5, -1, v5
	v_cmp_eq_u32_e32 vcc, 0, v5
	s_or_b64 s[12:13], vcc, s[12:13]
	s_waitcnt lgkmcnt(0)
	v_pk_mul_f32 v[8:9], v[2:3], v[8:9]
	ds_write2st64_b32 v7, v8, v9 offset1:2
	v_add_u32_e32 v7, 0x400, v7
	s_andn2_b64 exec, exec, s[12:13]
	s_cbranch_execnz .LBB275_41
.LBB275_42:
	s_or_b64 exec, exec, s[10:11]
	v_add_u32_e32 v4, 1, v4
	v_and_b32_e32 v5, 0x3fffffe, v4
	v_cmp_ne_u32_e32 vcc, v4, v5
	v_lshl_add_u32 v3, v5, 7, v0
	s_orn2_b64 s[10:11], vcc, exec
.LBB275_43:
	s_or_b64 exec, exec, s[8:9]
	s_and_b64 exec, exec, s[10:11]
	s_cbranch_execz .LBB275_46
; %bb.44:
	v_mov_b32_e32 v4, 0xd0
	v_lshl_add_u32 v4, v3, 2, v4
	s_mov_b64 s[8:9], 0
.LBB275_45:                             ; =>This Inner Loop Header: Depth=1
	ds_read_b32 v5, v4
	v_add_u32_e32 v3, 0x80, v3
	v_cmp_le_i32_e32 vcc, s39, v3
	s_or_b64 s[8:9], vcc, s[8:9]
	s_waitcnt lgkmcnt(0)
	v_mul_f32_e32 v5, v2, v5
	ds_write_b32 v4, v5
	v_add_u32_e32 v4, 0x200, v4
	s_andn2_b64 exec, exec, s[8:9]
	s_cbranch_execnz .LBB275_45
.LBB275_46:
	s_or_b64 exec, exec, s[0:1]
	v_mov_b32_e32 v13, 0
	v_mov_b32_e32 v12, v13
	s_waitcnt lgkmcnt(0)
	s_barrier
	s_and_saveexec_b64 s[8:9], s[2:3]
	s_cbranch_execz .LBB275_58
; %bb.47:
	s_sub_i32 s21, s16, s21
	s_ashr_i32 s0, s45, 31
	s_add_u32 s10, s36, s45
	s_addc_u32 s11, s37, s0
	s_abs_i32 s22, s22
	v_cvt_f32_u32_e32 v2, s22
	v_or_b32_e32 v3, 64, v24
	s_movk_i32 s0, 0x60
	v_cmp_gt_u32_e32 vcc, s0, v3
	v_rcp_iflag_f32_e32 v2, v2
	s_sub_i32 s0, 0, s22
	s_add_i32 s36, s44, -1
	v_lshlrev_b32_e32 v16, 3, v3
	v_mul_f32_e32 v2, 0x4f7ffffe, v2
	v_cvt_u32_f32_e32 v2, v2
	v_mov_b32_e32 v15, 0
	s_mov_b32 s39, s17
	v_lshlrev_b32_e32 v14, 3, v24
	v_mul_lo_u32 v3, s0, v2
	s_lshl_b64 s[0:1], s[34:35], 2
	v_mul_hi_u32 v3, v2, v3
	s_add_u32 s0, s30, s0
	v_add_u32_e32 v25, v2, v3
	v_and_b32_e32 v2, 60, v6
	v_mov_b32_e32 v3, v15
	s_addc_u32 s1, s31, s1
	v_lshl_add_u64 v[18:19], s[0:1], 0, v[2:3]
	v_mov_b32_e32 v2, 0xd0
	v_mov_b32_e32 v17, v15
	v_lshl_add_u32 v26, v1, 5, v2
	s_mov_b64 s[12:13], 0
	v_mov_b32_e32 v12, v15
	v_mov_b32_e32 v13, v15
	s_branch .LBB275_51
.LBB275_48:                             ;   in Loop: Header=BB275_51 Depth=1
	s_or_b64 exec, exec, s[18:19]
	v_cvt_pk_bf16_f32 v6, v6, v7
	v_cvt_pk_bf16_f32 v2, v2, v3
	;; [unrolled: 1-line block ×3, first 2 shown]
	v_lshlrev_b32_e32 v4, 16, v6
	v_lshlrev_b32_e32 v5, 16, v31
	v_cvt_pk_bf16_f32 v7, v8, v9
	v_mul_f32_e32 v4, v4, v5
	v_and_b32_e32 v5, 0xffff0000, v6
	v_lshlrev_b32_e32 v6, 16, v30
	v_mul_f32_e32 v5, v5, v6
	v_lshlrev_b32_e32 v6, 16, v7
	v_lshlrev_b32_e32 v8, 16, v29
	v_mul_f32_e32 v6, v6, v8
	v_and_b32_e32 v7, 0xffff0000, v7
	v_lshlrev_b32_e32 v8, 16, v28
	v_mul_f32_e32 v7, v7, v8
	v_lshlrev_b32_e32 v8, 16, v2
	v_lshlrev_b32_e32 v9, 16, v27
	v_mul_f32_e32 v8, v8, v9
	v_and_b32_e32 v2, 0xffff0000, v2
	v_lshlrev_b32_e32 v9, 16, v23
	v_mul_f32_e32 v2, v2, v9
	v_cvt_pk_bf16_f32 v9, v2, s0
	v_lshlrev_b32_e32 v2, 16, v3
	v_lshlrev_b32_e32 v21, 16, v21
	v_mul_f32_e32 v2, v2, v21
	v_cvt_pk_bf16_f32 v21, v2, s0
	v_and_b32_e32 v2, 0xffff0000, v3
	v_lshlrev_b32_e32 v3, 16, v20
	v_cvt_pk_bf16_f32 v4, v4, s0
	v_cvt_pk_bf16_f32 v5, v5, s0
	;; [unrolled: 1-line block ×4, first 2 shown]
	v_mul_f32_e32 v2, v2, v3
	v_cvt_pk_bf16_f32 v8, v8, s0
	v_cvt_pk_bf16_f32 v20, v2, s0
	v_lshlrev_b32_e32 v3, 16, v5
	v_lshlrev_b32_e32 v5, 16, v4
	;; [unrolled: 1-line block ×4, first 2 shown]
	v_pk_add_f32 v[2:3], v[4:5], v[2:3]
	v_lshlrev_b32_e32 v5, 16, v9
	v_lshlrev_b32_e32 v7, 16, v8
	;; [unrolled: 1-line block ×4, first 2 shown]
	v_pk_add_f32 v[4:5], v[6:7], v[4:5]
	v_add_f32_e32 v2, v2, v3
	v_add_f32_e32 v2, v5, v2
	;; [unrolled: 1-line block ×3, first 2 shown]
	v_pk_add_f32 v[12:13], v[12:13], v[2:3] op_sel_hi:[1,0]
.LBB275_49:                             ;   in Loop: Header=BB275_51 Depth=1
	s_or_b64 exec, exec, s[2:3]
	v_mov_b32_e32 v12, v22
.LBB275_50:                             ;   in Loop: Header=BB275_51 Depth=1
	s_or_b64 exec, exec, s[16:17]
	v_add_u32_e32 v1, 2, v1
	v_cmp_le_i32_e64 s[0:1], s44, v1
	v_lshl_add_u64 v[18:19], v[18:19], 0, 8
	v_add_u32_e32 v11, 16, v11
	s_or_b64 s[12:13], s[0:1], s[12:13]
	v_add_u32_e32 v26, 64, v26
	s_andn2_b64 exec, exec, s[12:13]
	s_cbranch_execz .LBB275_57
.LBB275_51:                             ; =>This Inner Loop Header: Depth=1
	v_mul_hi_u32 v2, v11, s33
	v_mul_lo_u32 v3, v2, s27
	v_sub_u32_e32 v3, v11, v3
	v_add_u32_e32 v4, 1, v2
	v_cmp_le_u32_e64 s[0:1], s27, v3
	s_nop 1
	v_cndmask_b32_e64 v2, v2, v4, s[0:1]
	v_subrev_u32_e32 v4, s27, v3
	v_cndmask_b32_e64 v3, v3, v4, s[0:1]
	v_add_u32_e32 v4, 1, v2
	v_cmp_le_u32_e64 s[0:1], s27, v3
	s_nop 1
	v_cndmask_b32_e64 v2, v2, v4, s[0:1]
	v_xor_b32_e32 v2, s23, v2
	v_subrev_u32_e32 v2, s23, v2
	v_add_u32_e32 v3, s38, v2
	v_sub_u32_e32 v5, 0, v3
	v_ashrrev_i32_e32 v4, 31, v3
	v_max_i32_e32 v3, v3, v5
	v_mul_hi_u32 v5, v3, v25
	v_mul_lo_u32 v5, v5, s22
	v_sub_u32_e32 v3, v3, v5
	v_subrev_u32_e32 v5, s22, v3
	v_cmp_le_u32_e64 s[0:1], s22, v3
	v_cmp_lt_i32_e64 s[2:3], s21, v2
	s_nop 0
	v_cndmask_b32_e64 v3, v3, v5, s[0:1]
	v_subrev_u32_e32 v5, s22, v3
	v_cmp_le_u32_e64 s[0:1], s22, v3
	s_nop 1
	v_cndmask_b32_e64 v3, v3, v5, s[0:1]
	v_xor_b32_e32 v3, v3, v4
	v_sub_u32_e32 v3, v3, v4
	v_cmp_eq_u32_e64 s[0:1], 0, v3
	s_or_b64 s[0:1], s[0:1], s[2:3]
	s_and_saveexec_b64 s[16:17], s[0:1]
	s_cbranch_execz .LBB275_50
; %bb.52:                               ;   in Loop: Header=BB275_51 Depth=1
	global_load_dword v4, v[18:19], off
	v_mov_b64_e32 v[2:3], s[10:11]
	s_waitcnt vmcnt(0)
	v_mad_i64_i32 v[20:21], s[0:1], v4, s39, v[2:3]
	v_lshl_add_u64 v[2:3], v[20:21], 0, v[14:15]
	global_load_dwordx2 v[22:23], v[2:3], off
	ds_read2_b64 v[6:9], v26 offset1:1
	ds_read2_b64 v[2:5], v26 offset0:2 offset1:3
	s_load_dword s30, s[14:15], 0x0
	v_cmp_eq_u32_e64 s[0:1], s36, v1
	s_waitcnt vmcnt(0)
	v_and_b32_e32 v27, 0xff, v22
	v_bfe_u32 v28, v22, 8, 8
	v_bfe_u32 v29, v22, 16, 8
	v_lshrrev_b32_e32 v22, 24, v22
	v_and_b32_e32 v30, 0xff, v23
	v_bfe_u32 v31, v23, 8, 8
	v_bfe_u32 v32, v23, 16, 8
	v_lshrrev_b32_e32 v23, 24, v23
	v_cvt_f32_fp8_e32 v27, v27
	v_cvt_f32_fp8_e32 v28, v28
	;; [unrolled: 1-line block ×8, first 2 shown]
	s_waitcnt lgkmcnt(0)
	v_mul_f32_e32 v27, s30, v27
	v_mul_f32_e32 v28, s30, v28
	;; [unrolled: 1-line block ×8, first 2 shown]
	v_cvt_pk_bf16_f32 v32, v27, s0
	v_cvt_pk_bf16_f32 v31, v28, s0
	;; [unrolled: 1-line block ×8, first 2 shown]
	s_and_saveexec_b64 s[18:19], s[0:1]
	s_cbranch_execz .LBB275_54
; %bb.53:                               ;   in Loop: Header=BB275_51 Depth=1
	v_cmp_gt_i32_e64 s[2:3], s25, v11
	v_add_u32_e32 v33, 1, v11
	s_nop 0
	v_cndmask_b32_e64 v32, 0, v32, s[2:3]
	v_cmp_gt_i32_e64 s[2:3], s25, v33
	v_add_u32_e32 v33, 2, v11
	s_nop 0
	v_cndmask_b32_e64 v31, 0, v31, s[2:3]
	;; [unrolled: 4-line block ×7, first 2 shown]
	v_cmp_gt_i32_e64 s[2:3], s25, v33
	s_nop 1
	v_cndmask_b32_e64 v22, 0, v22, s[2:3]
.LBB275_54:                             ;   in Loop: Header=BB275_51 Depth=1
	s_or_b64 exec, exec, s[18:19]
	v_cvt_pk_bf16_f32 v33, v6, s0
	v_cvt_pk_bf16_f32 v34, v7, s0
	v_lshlrev_b32_e32 v33, 16, v33
	v_lshlrev_b32_e32 v32, 16, v32
	v_cvt_pk_bf16_f32 v35, v8, s0
	v_mul_f32_e32 v32, v33, v32
	v_lshlrev_b32_e32 v33, 16, v34
	v_lshlrev_b32_e32 v31, 16, v31
	v_cvt_pk_bf16_f32 v36, v9, s0
	v_mul_f32_e32 v31, v33, v31
	v_lshlrev_b32_e32 v33, 16, v35
	v_lshlrev_b32_e32 v30, 16, v30
	v_mul_f32_e32 v30, v33, v30
	v_lshlrev_b32_e32 v33, 16, v36
	v_lshlrev_b32_e32 v29, 16, v29
	v_cvt_pk_bf16_f32 v37, v2, s0
	v_mul_f32_e32 v29, v33, v29
	v_cvt_pk_bf16_f32 v33, v29, s0
	v_lshlrev_b32_e32 v29, 16, v37
	v_lshlrev_b32_e32 v28, 16, v28
	v_cvt_pk_bf16_f32 v38, v3, s0
	v_mul_f32_e32 v28, v29, v28
	v_cvt_pk_bf16_f32 v39, v4, s0
	v_cvt_pk_bf16_f32 v34, v28, s0
	v_lshlrev_b32_e32 v28, 16, v38
	v_lshlrev_b32_e32 v27, 16, v27
	v_mul_f32_e32 v27, v28, v27
	v_lshlrev_b32_e32 v28, 16, v39
	v_lshlrev_b32_e32 v23, 16, v23
	v_cvt_pk_bf16_f32 v40, v5, s0
	v_mul_f32_e32 v23, v28, v23
	v_cvt_pk_bf16_f32 v35, v23, s0
	v_lshlrev_b32_e32 v23, 16, v40
	v_lshlrev_b32_e32 v22, 16, v22
	v_cvt_pk_bf16_f32 v32, v32, s0
	v_cvt_pk_bf16_f32 v31, v31, s0
	;; [unrolled: 1-line block ×3, first 2 shown]
	v_mul_f32_e32 v22, v23, v22
	v_cvt_pk_bf16_f32 v27, v27, s0
	v_cvt_pk_bf16_f32 v36, v22, s0
	v_lshlrev_b32_e32 v23, 16, v31
	v_lshlrev_b32_e32 v29, 16, v32
	;; [unrolled: 1-line block ×4, first 2 shown]
	v_pk_add_f32 v[22:23], v[28:29], v[22:23]
	v_lshlrev_b32_e32 v29, 16, v27
	v_lshlrev_b32_e32 v31, 16, v34
	;; [unrolled: 1-line block ×4, first 2 shown]
	v_pk_add_f32 v[22:23], v[22:23], v[22:23] op_sel:[0,1] op_sel_hi:[1,0]
	v_pk_add_f32 v[28:29], v[30:31], v[28:29]
	s_nop 0
	v_pk_add_f32 v[22:23], v[28:29], v[22:23] op_sel:[1,0] op_sel_hi:[0,1]
	v_pk_add_f32 v[22:23], v[28:29], v[22:23]
	s_nop 0
	v_pk_add_f32 v[22:23], v[12:13], v[22:23]
	s_and_saveexec_b64 s[2:3], vcc
	s_cbranch_execz .LBB275_49
; %bb.55:                               ;   in Loop: Header=BB275_51 Depth=1
	v_lshl_add_u64 v[20:21], v[20:21], 0, v[16:17]
	global_load_dwordx2 v[20:21], v[20:21], off
	s_waitcnt vmcnt(0)
	v_and_b32_e32 v23, 0xff, v20
	v_bfe_u32 v27, v20, 8, 8
	v_bfe_u32 v28, v20, 16, 8
	v_lshrrev_b32_e32 v20, 24, v20
	v_and_b32_e32 v29, 0xff, v21
	v_bfe_u32 v30, v21, 8, 8
	v_bfe_u32 v31, v21, 16, 8
	v_lshrrev_b32_e32 v21, 24, v21
	v_cvt_f32_fp8_e32 v23, v23
	v_cvt_f32_fp8_e32 v27, v27
	;; [unrolled: 1-line block ×8, first 2 shown]
	v_mul_f32_e32 v23, s30, v23
	v_mul_f32_e32 v27, s30, v27
	;; [unrolled: 1-line block ×8, first 2 shown]
	v_cvt_pk_bf16_f32 v31, v23, s0
	v_cvt_pk_bf16_f32 v30, v27, s0
	;; [unrolled: 1-line block ×8, first 2 shown]
	s_and_saveexec_b64 s[18:19], s[0:1]
	s_cbranch_execz .LBB275_48
; %bb.56:                               ;   in Loop: Header=BB275_51 Depth=1
	v_cmp_gt_i32_e64 s[0:1], s25, v11
	v_add_u32_e32 v32, 1, v11
	s_nop 0
	v_cndmask_b32_e64 v31, 0, v31, s[0:1]
	v_cmp_gt_i32_e64 s[0:1], s25, v32
	v_add_u32_e32 v32, 2, v11
	s_nop 0
	v_cndmask_b32_e64 v30, 0, v30, s[0:1]
	;; [unrolled: 4-line block ×7, first 2 shown]
	v_cmp_gt_i32_e64 s[0:1], s25, v32
	s_nop 1
	v_cndmask_b32_e64 v20, 0, v20, s[0:1]
	s_branch .LBB275_48
.LBB275_57:
	s_or_b64 exec, exec, s[12:13]
.LBB275_58:
	s_or_b64 exec, exec, s[8:9]
	v_and_b32_e32 v1, 0x3c0, v0
	v_cmp_eq_u32_e32 vcc, 64, v1
	s_barrier
	s_and_saveexec_b64 s[0:1], vcc
	s_cbranch_execz .LBB275_61
; %bb.59:
	v_mov_b32_e32 v1, 0xd0
	v_lshl_add_u32 v2, v24, 2, v1
	ds_write_b32 v2, v12
	s_and_b64 exec, exec, s[6:7]
; %bb.60:
	v_lshl_add_u32 v1, v0, 2, v1
	ds_write_b32 v1, v13
.LBB275_61:
	s_or_b64 exec, exec, s[0:1]
	v_cmp_gt_u32_e32 vcc, 64, v0
	v_or_b32_e32 v1, 64, v0
	s_waitcnt lgkmcnt(0)
	s_barrier
	s_and_saveexec_b64 s[2:3], vcc
	s_cbranch_execz .LBB275_65
; %bb.62:
	v_mov_b32_e32 v2, 0xd0
	v_lshl_add_u32 v2, v0, 2, v2
	ds_read_b32 v0, v2
	s_movk_i32 s0, 0x60
	v_cmp_gt_u32_e64 s[0:1], s0, v1
	s_and_saveexec_b64 s[6:7], s[0:1]
	s_cbranch_execz .LBB275_64
; %bb.63:
	ds_read_b32 v2, v2 offset:256
	s_waitcnt lgkmcnt(0)
	v_add_f32_e32 v13, v13, v2
.LBB275_64:
	s_or_b64 exec, exec, s[6:7]
	s_waitcnt lgkmcnt(0)
	v_add_f32_e32 v12, v12, v0
.LBB275_65:
	s_or_b64 exec, exec, s[2:3]
	s_barrier
	s_and_saveexec_b64 s[0:1], vcc
	s_cbranch_execz .LBB275_68
; %bb.66:
	s_mul_i32 s0, s24, s20
	s_mul_i32 s0, s0, s5
	s_mulk_i32 s0, 0x60
	s_ashr_i32 s1, s0, 31
	s_lshl_b64 s[0:1], s[0:1], 1
	s_add_u32 s3, s28, s0
	s_mul_i32 s0, s20, s26
	s_addc_u32 s5, s29, s1
	s_ashr_i32 s1, s0, 31
	s_lshl_b64 s[0:1], s[0:1], 1
	s_add_u32 s3, s3, s0
	s_mul_i32 s0, s4, 0x60
	s_addc_u32 s5, s5, s1
	s_ashr_i32 s1, s0, 31
	s_lshl_b64 s[0:1], s[0:1], 1
	s_movk_i32 s2, 0x60
	s_add_u32 s0, s3, s0
	s_addc_u32 s1, s5, s1
	v_cvt_pk_bf16_f32 v0, v12, s0
	v_cmp_gt_u32_e32 vcc, s2, v1
	global_store_short v10, v0, s[0:1]
	s_and_b64 exec, exec, vcc
	s_cbranch_execz .LBB275_68
; %bb.67:
	v_mov_b32_e32 v11, 0
	v_lshl_add_u64 v[0:1], s[0:1], 0, v[10:11]
	v_cvt_pk_bf16_f32 v2, v13, s0
	global_store_short v[0:1], v2, off offset:128
.LBB275_68:
	s_endpgm
	.section	.rodata,"a",@progbits
	.p2align	6, 0x0
	.amdhsa_kernel _ZN4vllm25paged_attention_v1_kernelI14__hip_bfloat16hLi96ELi8ELi128ELNS_18Fp8KVCacheDataTypeE1ELb1EEEvPT_PKS3_PKT0_S9_ifPKiSB_iPKfiiiSD_SD_iiiii
		.amdhsa_group_segment_fixed_size 208
		.amdhsa_private_segment_fixed_size 0
		.amdhsa_kernarg_size 384
		.amdhsa_user_sgpr_count 2
		.amdhsa_user_sgpr_dispatch_ptr 0
		.amdhsa_user_sgpr_queue_ptr 0
		.amdhsa_user_sgpr_kernarg_segment_ptr 1
		.amdhsa_user_sgpr_dispatch_id 0
		.amdhsa_user_sgpr_kernarg_preload_length 0
		.amdhsa_user_sgpr_kernarg_preload_offset 0
		.amdhsa_user_sgpr_private_segment_size 0
		.amdhsa_uses_dynamic_stack 0
		.amdhsa_enable_private_segment 0
		.amdhsa_system_sgpr_workgroup_id_x 1
		.amdhsa_system_sgpr_workgroup_id_y 1
		.amdhsa_system_sgpr_workgroup_id_z 1
		.amdhsa_system_sgpr_workgroup_info 0
		.amdhsa_system_vgpr_workitem_id 0
		.amdhsa_next_free_vgpr 49
		.amdhsa_next_free_sgpr 50
		.amdhsa_accum_offset 52
		.amdhsa_reserve_vcc 1
		.amdhsa_float_round_mode_32 0
		.amdhsa_float_round_mode_16_64 0
		.amdhsa_float_denorm_mode_32 3
		.amdhsa_float_denorm_mode_16_64 3
		.amdhsa_dx10_clamp 1
		.amdhsa_ieee_mode 1
		.amdhsa_fp16_overflow 0
		.amdhsa_tg_split 0
		.amdhsa_exception_fp_ieee_invalid_op 0
		.amdhsa_exception_fp_denorm_src 0
		.amdhsa_exception_fp_ieee_div_zero 0
		.amdhsa_exception_fp_ieee_overflow 0
		.amdhsa_exception_fp_ieee_underflow 0
		.amdhsa_exception_fp_ieee_inexact 0
		.amdhsa_exception_int_div_zero 0
	.end_amdhsa_kernel
	.section	.text._ZN4vllm25paged_attention_v1_kernelI14__hip_bfloat16hLi96ELi8ELi128ELNS_18Fp8KVCacheDataTypeE1ELb1EEEvPT_PKS3_PKT0_S9_ifPKiSB_iPKfiiiSD_SD_iiiii,"axG",@progbits,_ZN4vllm25paged_attention_v1_kernelI14__hip_bfloat16hLi96ELi8ELi128ELNS_18Fp8KVCacheDataTypeE1ELb1EEEvPT_PKS3_PKT0_S9_ifPKiSB_iPKfiiiSD_SD_iiiii,comdat
.Lfunc_end275:
	.size	_ZN4vllm25paged_attention_v1_kernelI14__hip_bfloat16hLi96ELi8ELi128ELNS_18Fp8KVCacheDataTypeE1ELb1EEEvPT_PKS3_PKT0_S9_ifPKiSB_iPKfiiiSD_SD_iiiii, .Lfunc_end275-_ZN4vllm25paged_attention_v1_kernelI14__hip_bfloat16hLi96ELi8ELi128ELNS_18Fp8KVCacheDataTypeE1ELb1EEEvPT_PKS3_PKT0_S9_ifPKiSB_iPKfiiiSD_SD_iiiii
                                        ; -- End function
	.set _ZN4vllm25paged_attention_v1_kernelI14__hip_bfloat16hLi96ELi8ELi128ELNS_18Fp8KVCacheDataTypeE1ELb1EEEvPT_PKS3_PKT0_S9_ifPKiSB_iPKfiiiSD_SD_iiiii.num_vgpr, 49
	.set _ZN4vllm25paged_attention_v1_kernelI14__hip_bfloat16hLi96ELi8ELi128ELNS_18Fp8KVCacheDataTypeE1ELb1EEEvPT_PKS3_PKT0_S9_ifPKiSB_iPKfiiiSD_SD_iiiii.num_agpr, 0
	.set _ZN4vllm25paged_attention_v1_kernelI14__hip_bfloat16hLi96ELi8ELi128ELNS_18Fp8KVCacheDataTypeE1ELb1EEEvPT_PKS3_PKT0_S9_ifPKiSB_iPKfiiiSD_SD_iiiii.numbered_sgpr, 50
	.set _ZN4vllm25paged_attention_v1_kernelI14__hip_bfloat16hLi96ELi8ELi128ELNS_18Fp8KVCacheDataTypeE1ELb1EEEvPT_PKS3_PKT0_S9_ifPKiSB_iPKfiiiSD_SD_iiiii.num_named_barrier, 0
	.set _ZN4vllm25paged_attention_v1_kernelI14__hip_bfloat16hLi96ELi8ELi128ELNS_18Fp8KVCacheDataTypeE1ELb1EEEvPT_PKS3_PKT0_S9_ifPKiSB_iPKfiiiSD_SD_iiiii.private_seg_size, 0
	.set _ZN4vllm25paged_attention_v1_kernelI14__hip_bfloat16hLi96ELi8ELi128ELNS_18Fp8KVCacheDataTypeE1ELb1EEEvPT_PKS3_PKT0_S9_ifPKiSB_iPKfiiiSD_SD_iiiii.uses_vcc, 1
	.set _ZN4vllm25paged_attention_v1_kernelI14__hip_bfloat16hLi96ELi8ELi128ELNS_18Fp8KVCacheDataTypeE1ELb1EEEvPT_PKS3_PKT0_S9_ifPKiSB_iPKfiiiSD_SD_iiiii.uses_flat_scratch, 0
	.set _ZN4vllm25paged_attention_v1_kernelI14__hip_bfloat16hLi96ELi8ELi128ELNS_18Fp8KVCacheDataTypeE1ELb1EEEvPT_PKS3_PKT0_S9_ifPKiSB_iPKfiiiSD_SD_iiiii.has_dyn_sized_stack, 0
	.set _ZN4vllm25paged_attention_v1_kernelI14__hip_bfloat16hLi96ELi8ELi128ELNS_18Fp8KVCacheDataTypeE1ELb1EEEvPT_PKS3_PKT0_S9_ifPKiSB_iPKfiiiSD_SD_iiiii.has_recursion, 0
	.set _ZN4vllm25paged_attention_v1_kernelI14__hip_bfloat16hLi96ELi8ELi128ELNS_18Fp8KVCacheDataTypeE1ELb1EEEvPT_PKS3_PKT0_S9_ifPKiSB_iPKfiiiSD_SD_iiiii.has_indirect_call, 0
	.section	.AMDGPU.csdata,"",@progbits
; Kernel info:
; codeLenInByte = 5636
; TotalNumSgprs: 56
; NumVgprs: 49
; NumAgprs: 0
; TotalNumVgprs: 49
; ScratchSize: 0
; MemoryBound: 0
; FloatMode: 240
; IeeeMode: 1
; LDSByteSize: 208 bytes/workgroup (compile time only)
; SGPRBlocks: 6
; VGPRBlocks: 6
; NumSGPRsForWavesPerEU: 56
; NumVGPRsForWavesPerEU: 49
; AccumOffset: 52
; Occupancy: 8
; WaveLimiterHint : 1
; COMPUTE_PGM_RSRC2:SCRATCH_EN: 0
; COMPUTE_PGM_RSRC2:USER_SGPR: 2
; COMPUTE_PGM_RSRC2:TRAP_HANDLER: 0
; COMPUTE_PGM_RSRC2:TGID_X_EN: 1
; COMPUTE_PGM_RSRC2:TGID_Y_EN: 1
; COMPUTE_PGM_RSRC2:TGID_Z_EN: 1
; COMPUTE_PGM_RSRC2:TIDIG_COMP_CNT: 0
; COMPUTE_PGM_RSRC3_GFX90A:ACCUM_OFFSET: 12
; COMPUTE_PGM_RSRC3_GFX90A:TG_SPLIT: 0
	.section	.text._ZN4vllm25paged_attention_v1_kernelI14__hip_bfloat16hLi112ELi8ELi128ELNS_18Fp8KVCacheDataTypeE1ELb1EEEvPT_PKS3_PKT0_S9_ifPKiSB_iPKfiiiSD_SD_iiiii,"axG",@progbits,_ZN4vllm25paged_attention_v1_kernelI14__hip_bfloat16hLi112ELi8ELi128ELNS_18Fp8KVCacheDataTypeE1ELb1EEEvPT_PKS3_PKT0_S9_ifPKiSB_iPKfiiiSD_SD_iiiii,comdat
	.protected	_ZN4vllm25paged_attention_v1_kernelI14__hip_bfloat16hLi112ELi8ELi128ELNS_18Fp8KVCacheDataTypeE1ELb1EEEvPT_PKS3_PKT0_S9_ifPKiSB_iPKfiiiSD_SD_iiiii ; -- Begin function _ZN4vllm25paged_attention_v1_kernelI14__hip_bfloat16hLi112ELi8ELi128ELNS_18Fp8KVCacheDataTypeE1ELb1EEEvPT_PKS3_PKT0_S9_ifPKiSB_iPKfiiiSD_SD_iiiii
	.globl	_ZN4vllm25paged_attention_v1_kernelI14__hip_bfloat16hLi112ELi8ELi128ELNS_18Fp8KVCacheDataTypeE1ELb1EEEvPT_PKS3_PKT0_S9_ifPKiSB_iPKfiiiSD_SD_iiiii
	.p2align	8
	.type	_ZN4vllm25paged_attention_v1_kernelI14__hip_bfloat16hLi112ELi8ELi128ELNS_18Fp8KVCacheDataTypeE1ELb1EEEvPT_PKS3_PKT0_S9_ifPKiSB_iPKfiiiSD_SD_iiiii,@function
_ZN4vllm25paged_attention_v1_kernelI14__hip_bfloat16hLi112ELi8ELi128ELNS_18Fp8KVCacheDataTypeE1ELb1EEEvPT_PKS3_PKT0_S9_ifPKiSB_iPKfiiiSD_SD_iiiii: ; @_ZN4vllm25paged_attention_v1_kernelI14__hip_bfloat16hLi112ELi8ELi128ELNS_18Fp8KVCacheDataTypeE1ELb1EEEvPT_PKS3_PKT0_S9_ifPKiSB_iPKfiiiSD_SD_iiiii
; %bb.0:
	s_load_dword s5, s[0:1], 0x80
	s_load_dwordx2 s[6:7], s[0:1], 0x30
	s_load_dwordx2 s[38:39], s[0:1], 0x20
	s_mov_b32 s24, s3
	s_ashr_i32 s25, s3, 31
	s_lshl_b64 s[8:9], s[24:25], 2
	s_waitcnt lgkmcnt(0)
	s_add_u32 s6, s6, s8
	s_addc_u32 s7, s7, s9
	s_abs_i32 s3, s38
	v_cvt_f32_u32_e32 v1, s3
	s_sub_i32 s10, 0, s3
	s_abs_i32 s9, s5
	s_xor_b32 s8, s5, s38
	v_rcp_iflag_f32_e32 v1, v1
	s_ashr_i32 s8, s8, 31
	s_mov_b32 s46, 0
	v_mul_f32_e32 v1, 0x4f7ffffe, v1
	v_cvt_u32_f32_e32 v1, v1
	s_nop 0
	v_readfirstlane_b32 s11, v1
	s_mul_i32 s10, s10, s11
	s_mul_hi_u32 s10, s11, s10
	s_add_i32 s11, s11, s10
	s_mul_hi_u32 s10, s9, s11
	s_mul_i32 s11, s10, s3
	s_sub_i32 s9, s9, s11
	s_add_i32 s11, s10, 1
	s_sub_i32 s12, s9, s3
	s_cmp_ge_u32 s9, s3
	s_cselect_b32 s10, s11, s10
	s_cselect_b32 s9, s12, s9
	s_add_i32 s11, s10, 1
	s_cmp_ge_u32 s9, s3
	s_cselect_b32 s3, s11, s10
	s_xor_b32 s3, s3, s8
	s_sub_i32 s14, s3, s8
	s_abs_i32 s10, s14
	v_cvt_f32_u32_e32 v1, s10
	s_load_dwordx2 s[8:9], s[0:1], 0x40
	s_sub_i32 s3, 0, s10
	s_abs_i32 s11, s2
	v_rcp_iflag_f32_e32 v1, v1
	s_nop 0
	v_mul_f32_e32 v1, 0x4f7ffffe, v1
	v_cvt_u32_f32_e32 v1, v1
	s_nop 0
	v_readfirstlane_b32 s12, v1
	s_mul_i32 s3, s3, s12
	s_mul_hi_u32 s3, s12, s3
	s_add_i32 s12, s12, s3
	s_waitcnt lgkmcnt(0)
	s_cmp_eq_u64 s[8:9], 0
	s_mul_hi_u32 s12, s11, s12
	s_cbranch_scc1 .LBB276_2
; %bb.1:
	s_ashr_i32 s3, s2, 31
	s_lshl_b64 s[16:17], s[2:3], 2
	s_add_u32 s8, s8, s16
	s_addc_u32 s9, s9, s17
	s_load_dword s46, s[8:9], 0x0
.LBB276_2:
	s_load_dword s25, s[6:7], 0x0
	s_load_dwordx4 s[16:19], s[0:1], 0x48
	s_movk_i32 s3, 0x70
	s_ashr_i32 s13, s2, 31
	s_ashr_i32 s14, s14, 31
	v_and_b32_e32 v2, 7, v0
	s_mul_i32 s26, s2, 0x70
	v_cmp_gt_u32_e64 s[6:7], s3, v0
	v_lshlrev_b32_e32 v10, 1, v0
	s_and_saveexec_b64 s[8:9], s[6:7]
	s_cbranch_execz .LBB276_4
; %bb.3:
	s_load_dwordx2 s[20:21], s[0:1], 0x8
	s_waitcnt lgkmcnt(0)
	s_mul_i32 s22, s16, s24
	s_ashr_i32 s23, s22, 31
	s_lshl_b64 s[22:23], s[22:23], 1
	v_lshrrev_b32_e32 v3, 2, v0
	s_add_u32 s3, s20, s22
	s_addc_u32 s15, s21, s23
	s_ashr_i32 s27, s26, 31
	s_lshl_b64 s[20:21], s[26:27], 1
	s_add_u32 s20, s3, s20
	s_addc_u32 s21, s15, s21
	global_load_ushort v1, v10, s[20:21]
	v_and_b32_e32 v3, 0xfe, v3
	v_mad_u32_u24 v3, v2, 28, v3
	s_waitcnt vmcnt(0)
	ds_write_b16 v3, v1
.LBB276_4:
	s_or_b64 exec, exec, s[8:9]
	s_mul_i32 s9, s12, s10
	s_sub_i32 s9, s11, s9
	s_xor_b32 s8, s13, s14
	s_add_i32 s11, s12, 1
	s_sub_i32 s13, s9, s10
	s_load_dwordx4 s[20:23], s[0:1], 0x68
	s_load_dword s3, s[0:1], 0x78
	s_cmp_ge_u32 s9, s10
	s_cselect_b32 s11, s11, s12
	s_cselect_b32 s9, s13, s9
	s_add_i32 s12, s11, 1
	s_cmp_ge_u32 s9, s10
	s_cselect_b32 s9, s12, s11
	s_waitcnt lgkmcnt(0)
	s_abs_i32 s27, s23
	v_cvt_f32_u32_e32 v1, s27
	s_xor_b32 s9, s9, s8
	s_sub_i32 s45, s9, s8
	s_sub_i32 s8, 0, s27
	v_rcp_iflag_f32_e32 v1, v1
	s_add_i32 s12, s25, -1
	s_abs_i32 s10, s12
	v_mul_f32_e32 v1, 0x4f7ffffe, v1
	v_cvt_u32_f32_e32 v1, v1
	s_barrier
	v_readfirstlane_b32 s33, v1
	s_mul_i32 s8, s8, s33
	s_mul_hi_u32 s8, s33, s8
	s_add_i32 s33, s33, s8
	s_cmp_lt_i32 s3, 0
	s_mul_hi_u32 s11, s10, s33
	s_cbranch_scc0 .LBB276_6
; %bb.5:
	s_mul_i32 s8, s20, s38
	s_add_i32 s8, s45, s8
	s_mul_i32 s8, s8, s3
	s_sub_i32 s38, 1, s8
	s_mov_b64 s[8:9], 0
	s_branch .LBB276_7
.LBB276_6:
	s_mov_b64 s[8:9], -1
                                        ; implicit-def: $sgpr38
.LBB276_7:
	s_load_dwordx2 s[30:31], s[0:1], 0x28
	s_ashr_i32 s16, s12, 31
	s_andn2_b64 vcc, exec, s[8:9]
	s_ashr_i32 s23, s23, 31
	s_cbranch_vccnz .LBB276_9
; %bb.8:
	s_mul_i32 s8, s5, s20
	s_add_i32 s2, s8, s2
	s_mul_i32 s2, s2, s3
	s_add_i32 s38, s2, 1
.LBB276_9:
	s_load_dword s2, s[0:1], 0x38
	s_load_dwordx2 s[28:29], s[0:1], 0x0
	s_load_dwordx2 s[36:37], s[0:1], 0x18
	s_load_dword s20, s[0:1], 0x88
	s_load_dwordx4 s[12:15], s[0:1], 0x58
	s_mul_i32 s3, s11, s27
	s_waitcnt lgkmcnt(0)
	s_mul_i32 s34, s2, s24
	s_sub_i32 s3, s10, s3
	s_ashr_i32 s35, s34, 31
	s_xor_b32 s2, s16, s23
	s_add_i32 s8, s11, 1
	s_sub_i32 s9, s3, s27
	s_cmp_ge_u32 s3, s27
	s_cselect_b32 s8, s8, s11
	s_cselect_b32 s3, s9, s3
	s_add_i32 s9, s8, 1
	s_cmp_ge_u32 s3, s27
	s_cselect_b32 s3, s9, s8
	s_xor_b32 s3, s3, s2
	s_sub_i32 s16, s3, s2
	s_add_i32 s2, s25, 7
	s_ashr_i32 s3, s2, 31
	s_lshr_b32 s3, s3, 29
	s_add_i32 s2, s2, s3
	s_ashr_i32 s44, s2, 3
	v_lshrrev_b32_e32 v1, 6, v0
	v_cmp_gt_i32_e64 s[2:3], s44, v1
	v_mov_b32_e32 v12, 0xff7fffff
	s_mul_i32 s45, s45, s18
	v_lshrrev_b32_e32 v6, 4, v0
	v_lshlrev_b32_e32 v11, 3, v1
	v_mbcnt_lo_u32_b32 v7, -1, 0
	s_and_saveexec_b64 s[18:19], s[2:3]
	s_cbranch_execz .LBB276_21
; %bb.10:
	s_load_dwordx2 s[0:1], s[0:1], 0x10
	s_sub_i32 s47, s16, s21
	s_ashr_i32 s9, s45, 31
	v_bfe_u32 v8, v0, 3, 3
	v_mov_b32_e32 v5, 0
	s_waitcnt lgkmcnt(0)
	s_add_u32 s8, s0, s45
	s_addc_u32 s9, s1, s9
	s_abs_i32 s48, s22
	v_cvt_f32_u32_e32 v3, s48
	v_lshlrev_b32_e32 v4, 4, v8
	v_lshl_add_u64 v[14:15], s[8:9], 0, v[4:5]
	s_sub_i32 s8, 0, s48
	v_rcp_iflag_f32_e32 v3, v3
	v_cmp_eq_u32_e32 vcc, 0, v2
	v_mul_u32_u24_e32 v9, 28, v2
	v_mbcnt_hi_u32_b32 v18, -1, v7
	v_mul_f32_e32 v3, 0x4f7ffffe, v3
	v_cvt_u32_f32_e32 v12, v3
	v_mov_b32_e32 v3, v5
	v_lshl_add_u64 v[2:3], v[14:15], 0, v[2:3]
	s_mov_b32 s49, s17
	v_mul_lo_u32 v4, s8, v12
	v_mul_hi_u32 v4, v12, v4
	v_add_u32_e32 v13, v12, v4
	v_subrev_u32_e32 v12, s25, v8
	s_lshl_b64 s[8:9], s[34:35], 2
	v_add_u32_e32 v15, 1, v12
	v_lshlrev_b32_e32 v12, 2, v8
	s_add_u32 s8, s30, s8
	v_lshl_or_b32 v12, v1, 5, v12
	v_and_b32_e32 v4, 60, v6
	s_addc_u32 s9, s31, s9
	v_add_u32_e32 v16, 0xf0, v12
	v_and_b32_e32 v12, 64, v18
	v_cmp_neq_f32_e64 s[0:1], s46, 0
	v_lshl_add_u64 v[4:5], s[8:9], 0, v[4:5]
	v_lshlrev_b32_e32 v14, 3, v1
	v_mov_b32_e32 v17, 0xff7fffff
	s_mov_b64 s[40:41], 0
	v_add_u32_e32 v19, 64, v12
	v_xor_b32_e32 v20, 4, v18
	v_xor_b32_e32 v21, 2, v18
	;; [unrolled: 1-line block ×3, first 2 shown]
	v_mov_b32_e32 v12, 0xff7fffff
	v_mov_b32_e32 v23, v1
	s_branch .LBB276_13
.LBB276_11:                             ;   in Loop: Header=BB276_13 Depth=1
	s_or_b64 exec, exec, s[42:43]
.LBB276_12:                             ;   in Loop: Header=BB276_13 Depth=1
	s_or_b64 exec, exec, s[10:11]
	v_add_u32_e32 v23, 2, v23
	v_cmp_le_i32_e64 s[8:9], s44, v23
	v_lshl_add_u64 v[4:5], v[4:5], 0, 8
	v_add_u32_e32 v14, 16, v14
	s_or_b64 s[40:41], s[8:9], s[40:41]
	v_add_u32_e32 v16, 64, v16
	s_andn2_b64 exec, exec, s[40:41]
	s_cbranch_execz .LBB276_20
.LBB276_13:                             ; =>This Inner Loop Header: Depth=1
	v_mul_hi_u32 v24, v14, s33
	s_waitcnt lgkmcnt(0)
	v_mul_lo_u32 v25, v24, s27
	v_sub_u32_e32 v25, v14, v25
	v_add_u32_e32 v26, 1, v24
	v_cmp_le_u32_e64 s[8:9], s27, v25
	s_nop 1
	v_cndmask_b32_e64 v24, v24, v26, s[8:9]
	v_subrev_u32_e32 v26, s27, v25
	v_cndmask_b32_e64 v25, v25, v26, s[8:9]
	v_add_u32_e32 v26, 1, v24
	v_cmp_le_u32_e64 s[8:9], s27, v25
	s_nop 1
	v_cndmask_b32_e64 v24, v24, v26, s[8:9]
	v_xor_b32_e32 v24, s23, v24
	v_subrev_u32_e32 v24, s23, v24
	v_add_u32_e32 v25, s38, v24
	v_sub_u32_e32 v27, 0, v25
	v_ashrrev_i32_e32 v26, 31, v25
	v_max_i32_e32 v25, v25, v27
	v_mul_hi_u32 v27, v25, v13
	v_mul_lo_u32 v27, v27, s48
	v_sub_u32_e32 v25, v25, v27
	v_subrev_u32_e32 v27, s48, v25
	v_cmp_le_u32_e64 s[8:9], s48, v25
	v_cmp_ge_i32_e64 s[10:11], s47, v24
	s_nop 0
	v_cndmask_b32_e64 v25, v25, v27, s[8:9]
	v_subrev_u32_e32 v27, s48, v25
	v_cmp_le_u32_e64 s[8:9], s48, v25
	s_nop 1
	v_cndmask_b32_e64 v25, v25, v27, s[8:9]
	v_xor_b32_e32 v25, v25, v26
	v_sub_u32_e32 v25, v25, v26
	v_cmp_ne_u32_e64 s[8:9], 0, v25
	s_and_b64 s[8:9], s[8:9], s[10:11]
	s_and_saveexec_b64 s[10:11], s[8:9]
	s_xor_b64 s[8:9], exec, s[10:11]
	s_cbranch_execz .LBB276_17
; %bb.14:                               ;   in Loop: Header=BB276_13 Depth=1
	s_and_saveexec_b64 s[10:11], vcc
; %bb.15:                               ;   in Loop: Header=BB276_13 Depth=1
	ds_write_b32 v16, v17
; %bb.16:                               ;   in Loop: Header=BB276_13 Depth=1
	s_or_b64 exec, exec, s[10:11]
.LBB276_17:                             ;   in Loop: Header=BB276_13 Depth=1
	s_andn2_saveexec_b64 s[10:11], s[8:9]
	s_cbranch_execz .LBB276_12
; %bb.18:                               ;   in Loop: Header=BB276_13 Depth=1
	global_load_dword v24, v[4:5], off
	s_waitcnt vmcnt(0)
	v_mad_i64_i32 v[24:25], s[8:9], v24, s49, v[2:3]
	global_load_ubyte v30, v[24:25], off
	global_load_ubyte v31, v[24:25], off offset:8
	global_load_ubyte v32, v[24:25], off offset:128
	global_load_ubyte v33, v[24:25], off offset:136
	global_load_ubyte v34, v[24:25], off offset:256
	global_load_ubyte v35, v[24:25], off offset:264
	global_load_ubyte v36, v[24:25], off offset:384
	global_load_ubyte v37, v[24:25], off offset:392
	global_load_ubyte v38, v[24:25], off offset:512
	global_load_ubyte v39, v[24:25], off offset:520
	global_load_ubyte v40, v[24:25], off offset:640
	global_load_ubyte v41, v[24:25], off offset:648
	global_load_ubyte v42, v[24:25], off offset:768
	global_load_ubyte v43, v[24:25], off offset:776
	v_cmp_lt_i32_e64 s[8:9], v20, v19
	ds_read2_b32 v[24:25], v9 offset1:1
	ds_read2_b32 v[26:27], v9 offset0:2 offset1:3
	ds_read2_b32 v[28:29], v9 offset0:4 offset1:5
	ds_read_b32 v44, v9 offset:24
	v_cndmask_b32_e64 v45, v18, v20, s[8:9]
	s_load_dword s8, s[12:13], 0x0
	s_waitcnt lgkmcnt(0)
	v_lshlrev_b32_e32 v46, 16, v24
	v_and_b32_e32 v24, 0xffff0000, v24
	v_lshlrev_b32_e32 v47, 16, v25
	v_and_b32_e32 v25, 0xffff0000, v25
	;; [unrolled: 2-line block ×7, first 2 shown]
	v_lshlrev_b32_e32 v45, 2, v45
	s_waitcnt vmcnt(13)
	v_cvt_f32_fp8_e32 v30, v30
	s_waitcnt vmcnt(12)
	v_cvt_f32_fp8_e32 v31, v31
	;; [unrolled: 2-line block ×5, first 2 shown]
	v_mul_f32_e32 v31, s8, v31
	s_waitcnt vmcnt(8)
	v_cvt_f32_fp8_e32 v35, v35
	v_mul_f32_e32 v30, s8, v30
	v_cvt_pk_bf16_f32 v31, v31, s0
	s_waitcnt vmcnt(7)
	v_cvt_f32_fp8_e32 v36, v36
	v_mul_f32_e32 v32, s8, v32
	v_cvt_pk_bf16_f32 v30, v30, s0
	v_lshlrev_b32_e32 v31, 16, v31
	s_waitcnt vmcnt(6)
	v_cvt_f32_fp8_e32 v37, v37
	v_mul_f32_e32 v33, s8, v33
	v_cvt_pk_bf16_f32 v32, v32, s0
	v_lshlrev_b32_e32 v30, 16, v30
	v_mul_f32_e32 v24, v24, v31
	s_waitcnt vmcnt(5)
	v_cvt_f32_fp8_e32 v38, v38
	v_mul_f32_e32 v34, s8, v34
	v_cvt_pk_bf16_f32 v33, v33, s0
	v_lshlrev_b32_e32 v32, 16, v32
	v_fmac_f32_e32 v24, v46, v30
	s_waitcnt vmcnt(4)
	v_cvt_f32_fp8_e32 v39, v39
	v_mul_f32_e32 v35, s8, v35
	v_cvt_pk_bf16_f32 v34, v34, s0
	v_lshlrev_b32_e32 v33, 16, v33
	v_fmac_f32_e32 v24, v47, v32
	;; [unrolled: 6-line block ×6, first 2 shown]
	v_mul_f32_e32 v40, s8, v40
	v_cvt_pk_bf16_f32 v39, v39, s0
	v_lshlrev_b32_e32 v38, 16, v38
	v_fmac_f32_e32 v24, v27, v37
	v_mul_f32_e32 v41, s8, v41
	v_cvt_pk_bf16_f32 v40, v40, s0
	v_lshlrev_b32_e32 v39, 16, v39
	v_fmac_f32_e32 v24, v50, v38
	;; [unrolled: 4-line block ×4, first 2 shown]
	v_cvt_pk_bf16_f32 v43, v43, s0
	v_lshlrev_b32_e32 v42, 16, v42
	v_fmac_f32_e32 v24, v29, v41
	v_fmac_f32_e32 v24, v52, v42
	v_lshlrev_b32_e32 v25, 16, v43
	v_fmac_f32_e32 v24, v44, v25
	ds_bpermute_b32 v25, v45, v24
	v_cmp_lt_i32_e64 s[8:9], v21, v19
	s_waitcnt lgkmcnt(0)
	v_add_f32_e32 v24, v24, v25
	v_cndmask_b32_e64 v26, v18, v21, s[8:9]
	v_lshlrev_b32_e32 v26, 2, v26
	ds_bpermute_b32 v25, v26, v24
	v_cmp_lt_i32_e64 s[8:9], v22, v19
	s_waitcnt lgkmcnt(0)
	v_add_f32_e32 v24, v24, v25
	v_cndmask_b32_e64 v26, v18, v22, s[8:9]
	v_lshlrev_b32_e32 v26, 2, v26
	ds_bpermute_b32 v25, v26, v24
	s_and_saveexec_b64 s[42:43], vcc
	s_cbranch_execz .LBB276_11
; %bb.19:                               ;   in Loop: Header=BB276_13 Depth=1
	v_add_u32_e32 v26, v15, v14
	v_cvt_f32_i32_e32 v26, v26
	s_waitcnt lgkmcnt(0)
	v_add_f32_e32 v24, v24, v25
	v_add_u32_e32 v27, v8, v14
	v_cmp_gt_i32_e64 s[8:9], s25, v27
	v_mul_f32_e32 v25, s46, v26
	v_cndmask_b32_e64 v25, 0, v25, s[0:1]
	v_fmac_f32_e32 v25, s39, v24
	v_cndmask_b32_e64 v24, 0, v25, s[8:9]
	ds_write_b32 v16, v24
	v_max_f32_e32 v24, v12, v12
	v_max_f32_e32 v24, v24, v25
	v_cndmask_b32_e64 v12, v12, v24, s[8:9]
	s_branch .LBB276_11
.LBB276_20:
	s_or_b64 exec, exec, s[40:41]
.LBB276_21:
	s_or_b64 exec, exec, s[18:19]
	v_mbcnt_hi_u32_b32 v2, -1, v7
	v_and_b32_e32 v13, 64, v2
	v_add_u32_e32 v3, 64, v13
	v_xor_b32_e32 v4, 32, v2
	v_cmp_lt_i32_e32 vcc, v4, v3
	v_xor_b32_e32 v8, 16, v2
	v_max_f32_e32 v7, v12, v12
	v_cndmask_b32_e32 v4, v2, v4, vcc
	v_lshlrev_b32_e32 v5, 2, v4
	ds_bpermute_b32 v4, v5, v12
	v_cmp_lt_i32_e32 vcc, v8, v3
	v_xor_b32_e32 v9, 8, v2
	v_and_b32_e32 v24, 63, v0
	s_waitcnt lgkmcnt(0)
	v_max_f32_e32 v4, v4, v4
	v_max_f32_e32 v4, v7, v4
	v_cndmask_b32_e32 v7, v2, v8, vcc
	v_lshlrev_b32_e32 v8, 2, v7
	ds_bpermute_b32 v7, v8, v4
	v_cmp_lt_i32_e32 vcc, v9, v3
	s_waitcnt lgkmcnt(0)
	v_max_f32_e32 v7, v7, v7
	v_max_f32_e32 v7, v4, v7
	v_cndmask_b32_e32 v4, v2, v9, vcc
	v_lshlrev_b32_e32 v12, 2, v4
	ds_bpermute_b32 v9, v12, v7
	v_cmp_eq_u32_e32 vcc, 0, v24
	v_lshlrev_b32_e32 v4, 2, v1
	s_and_saveexec_b64 s[0:1], vcc
	s_cbranch_execz .LBB276_23
; %bb.22:
	s_waitcnt lgkmcnt(0)
	v_max_f32_e32 v9, v9, v9
	v_max_f32_e32 v7, v7, v7
	;; [unrolled: 1-line block ×3, first 2 shown]
	ds_write_b32 v4, v7 offset:224
.LBB276_23:
	s_or_b64 exec, exec, s[0:1]
	v_cmp_gt_u32_e64 s[0:1], 2, v24
	v_mov_b32_e32 v14, 0xff7fffff
	v_lshlrev_b32_e32 v7, 2, v24
	s_waitcnt lgkmcnt(0)
	s_barrier
	s_and_saveexec_b64 s[8:9], s[0:1]
; %bb.24:
	ds_read_b32 v14, v7 offset:224
; %bb.25:
	s_or_b64 exec, exec, s[8:9]
	v_xor_b32_e32 v9, 1, v2
	v_cmp_lt_i32_e64 s[8:9], v9, v3
	v_lshlrev_b32_e32 v13, 2, v13
	s_nop 0
	v_cndmask_b32_e64 v9, v2, v9, s[8:9]
	v_lshlrev_b32_e32 v9, 2, v9
	s_waitcnt lgkmcnt(0)
	ds_bpermute_b32 v15, v9, v14
	v_max_f32_e32 v14, v14, v14
	s_lshl_b32 s8, s44, 3
	s_min_i32 s39, s8, s25
	v_cmp_gt_i32_e64 s[8:9], s39, v0
	s_waitcnt lgkmcnt(0)
	v_max_f32_e32 v15, v15, v15
	v_max_f32_e32 v14, v14, v15
	ds_bpermute_b32 v14, v13, v14
	v_mov_b32_e32 v13, 0
	s_and_saveexec_b64 s[12:13], s[8:9]
	s_cbranch_execz .LBB276_29
; %bb.26:
	v_mov_b32_e32 v13, 0xf0
	v_lshl_add_u32 v15, v0, 2, v13
	v_mov_b32_e32 v13, 0
	s_mov_b64 s[18:19], 0
	v_mov_b32_e32 v16, v0
.LBB276_27:                             ; =>This Inner Loop Header: Depth=1
	ds_read_b32 v17, v15
	v_add_u32_e32 v16, 0x80, v16
	v_cmp_le_i32_e64 s[10:11], s39, v16
	s_or_b64 s[18:19], s[10:11], s[18:19]
	s_waitcnt lgkmcnt(0)
	v_sub_f32_e32 v17, v17, v14
	v_mul_f32_e32 v17, 0x3fb8aa3b, v17
	v_exp_f32_e32 v17, v17
	ds_write_b32 v15, v17
	v_add_f32_e32 v13, v13, v17
	v_add_u32_e32 v15, 0x200, v15
	s_andn2_b64 exec, exec, s[18:19]
	s_cbranch_execnz .LBB276_27
; %bb.28:
	s_or_b64 exec, exec, s[18:19]
.LBB276_29:
	s_or_b64 exec, exec, s[12:13]
	ds_bpermute_b32 v5, v5, v13
	s_waitcnt lgkmcnt(0)
	v_add_f32_e32 v5, v13, v5
	ds_bpermute_b32 v8, v8, v5
	s_waitcnt lgkmcnt(0)
	v_add_f32_e32 v5, v5, v8
	ds_bpermute_b32 v8, v12, v5
	v_xor_b32_e32 v12, 4, v2
	v_cmp_lt_i32_e64 s[10:11], v12, v3
	s_waitcnt lgkmcnt(0)
	v_add_f32_e32 v5, v5, v8
	v_cndmask_b32_e64 v12, v2, v12, s[10:11]
	v_lshlrev_b32_e32 v12, 2, v12
	ds_bpermute_b32 v8, v12, v5
	v_xor_b32_e32 v12, 2, v2
	v_cmp_lt_i32_e64 s[10:11], v12, v3
	s_waitcnt lgkmcnt(0)
	v_add_f32_e32 v5, v5, v8
	v_cndmask_b32_e64 v3, v2, v12, s[10:11]
	v_lshlrev_b32_e32 v3, 2, v3
	ds_bpermute_b32 v3, v3, v5
	s_waitcnt lgkmcnt(0)
	v_add_f32_e32 v3, v5, v3
	ds_bpermute_b32 v5, v9, v3
	s_waitcnt lgkmcnt(0)
	v_add_f32_e32 v3, v3, v5
	s_and_saveexec_b64 s[10:11], vcc
; %bb.30:
	ds_write_b32 v4, v3 offset:232
; %bb.31:
	s_or_b64 exec, exec, s[10:11]
	s_waitcnt lgkmcnt(0)
	s_barrier
	s_and_saveexec_b64 s[10:11], s[0:1]
; %bb.32:
	ds_read_b32 v3, v7 offset:232
; %bb.33:
	s_or_b64 exec, exec, s[10:11]
	s_waitcnt lgkmcnt(0)
	ds_bpermute_b32 v4, v9, v3
	v_lshlrev_b32_e32 v2, 2, v2
	v_and_b32_e32 v2, 0x100, v2
	s_waitcnt lgkmcnt(0)
	v_add_f32_e32 v3, v3, v4
	ds_bpermute_b32 v2, v2, v3
	s_and_saveexec_b64 s[0:1], s[8:9]
	s_cbranch_execz .LBB276_46
; %bb.34:
	s_waitcnt lgkmcnt(0)
	v_add_f32_e32 v2, 0x358637bd, v2
	v_div_scale_f32 v3, s[8:9], v2, v2, 1.0
	v_rcp_f32_e32 v4, v3
	v_div_scale_f32 v5, vcc, 1.0, v2, 1.0
	s_movk_i32 s8, 0x7f
	v_fma_f32 v7, -v3, v4, 1.0
	v_fmac_f32_e32 v4, v7, v4
	v_mul_f32_e32 v7, v5, v4
	v_fma_f32 v8, -v3, v7, v5
	v_fmac_f32_e32 v7, v8, v4
	v_fma_f32 v3, -v3, v7, v5
	v_div_fmas_f32 v3, v3, v4, v7
	v_xad_u32 v4, v0, -1, s39
	v_div_fixup_f32 v2, v3, v2, 1.0
	v_cmp_lt_u32_e32 vcc, s8, v4
	s_mov_b64 s[10:11], -1
	v_mov_b32_e32 v3, v0
	s_and_saveexec_b64 s[8:9], vcc
	s_cbranch_execz .LBB276_43
; %bb.35:
	v_lshrrev_b32_e32 v4, 7, v4
	v_add_u32_e32 v7, -1, v4
	v_lshrrev_b32_e32 v5, 1, v7
	v_mov_b32_e32 v3, v2
	v_add_u32_e32 v5, 1, v5
	v_cmp_lt_u32_e32 vcc, 13, v7
	v_mov_b32_e32 v9, 0
	s_and_saveexec_b64 s[10:11], vcc
	s_cbranch_execz .LBB276_39
; %bb.36:
	v_mov_b32_e32 v8, 0xf0
	v_and_b32_e32 v7, -8, v5
	v_lshl_add_u32 v8, v0, 2, v8
	s_mov_b32 s18, 0
	s_mov_b64 s[12:13], 0
.LBB276_37:                             ; =>This Inner Loop Header: Depth=1
	ds_read2st64_b32 v[12:13], v8 offset1:2
	ds_read2st64_b32 v[14:15], v8 offset0:4 offset1:6
	ds_read2st64_b32 v[16:17], v8 offset0:8 offset1:10
	;; [unrolled: 1-line block ×3, first 2 shown]
	v_add_u32_e32 v7, -8, v7
	s_waitcnt lgkmcnt(3)
	v_pk_mul_f32 v[12:13], v[2:3], v[12:13]
	s_waitcnt lgkmcnt(2)
	v_pk_mul_f32 v[14:15], v[2:3], v[14:15]
	ds_write2st64_b32 v8, v12, v13 offset1:2
	ds_write2st64_b32 v8, v14, v15 offset0:4 offset1:6
	ds_read2st64_b32 v[14:15], v8 offset0:16 offset1:18
	s_waitcnt lgkmcnt(4)
	v_pk_mul_f32 v[12:13], v[2:3], v[16:17]
	ds_write2st64_b32 v8, v12, v13 offset0:8 offset1:10
	s_waitcnt lgkmcnt(4)
	v_pk_mul_f32 v[12:13], v[2:3], v[18:19]
	ds_write2st64_b32 v8, v12, v13 offset0:12 offset1:14
	ds_read2st64_b32 v[12:13], v8 offset0:20 offset1:22
	s_waitcnt lgkmcnt(3)
	v_pk_mul_f32 v[14:15], v[2:3], v[14:15]
	ds_read2st64_b32 v[16:17], v8 offset0:24 offset1:26
	ds_write2st64_b32 v8, v14, v15 offset0:16 offset1:18
	ds_read2st64_b32 v[14:15], v8 offset0:28 offset1:30
	s_waitcnt lgkmcnt(3)
	v_pk_mul_f32 v[12:13], v[2:3], v[12:13]
	ds_write2st64_b32 v8, v12, v13 offset0:20 offset1:22
	s_waitcnt lgkmcnt(3)
	v_pk_mul_f32 v[12:13], v[2:3], v[16:17]
	ds_write2st64_b32 v8, v12, v13 offset0:24 offset1:26
	s_waitcnt lgkmcnt(2)
	v_pk_mul_f32 v[12:13], v[2:3], v[14:15]
	s_add_i32 s18, s18, 16
	v_cmp_eq_u32_e32 vcc, 0, v7
	ds_write2st64_b32 v8, v12, v13 offset0:28 offset1:30
	v_add_u32_e32 v8, 0x2000, v8
	s_or_b64 s[12:13], vcc, s[12:13]
	v_mov_b32_e32 v9, s18
	s_andn2_b64 exec, exec, s[12:13]
	s_cbranch_execnz .LBB276_37
; %bb.38:
	s_or_b64 exec, exec, s[12:13]
.LBB276_39:
	s_or_b64 exec, exec, s[10:11]
	v_and_b32_e32 v5, 7, v5
	v_cmp_ne_u32_e32 vcc, 0, v5
	s_and_saveexec_b64 s[10:11], vcc
	s_cbranch_execz .LBB276_42
; %bb.40:
	v_lshlrev_b32_e32 v7, 9, v9
	v_lshlrev_b32_e32 v8, 2, v0
	s_movk_i32 s12, 0xf0
	v_add3_u32 v7, v7, v8, s12
	s_mov_b64 s[12:13], 0
.LBB276_41:                             ; =>This Inner Loop Header: Depth=1
	ds_read2st64_b32 v[8:9], v7 offset1:2
	v_add_u32_e32 v5, -1, v5
	v_cmp_eq_u32_e32 vcc, 0, v5
	s_or_b64 s[12:13], vcc, s[12:13]
	s_waitcnt lgkmcnt(0)
	v_pk_mul_f32 v[8:9], v[2:3], v[8:9]
	ds_write2st64_b32 v7, v8, v9 offset1:2
	v_add_u32_e32 v7, 0x400, v7
	s_andn2_b64 exec, exec, s[12:13]
	s_cbranch_execnz .LBB276_41
.LBB276_42:
	s_or_b64 exec, exec, s[10:11]
	v_add_u32_e32 v4, 1, v4
	v_and_b32_e32 v5, 0x3fffffe, v4
	v_cmp_ne_u32_e32 vcc, v4, v5
	v_lshl_add_u32 v3, v5, 7, v0
	s_orn2_b64 s[10:11], vcc, exec
.LBB276_43:
	s_or_b64 exec, exec, s[8:9]
	s_and_b64 exec, exec, s[10:11]
	s_cbranch_execz .LBB276_46
; %bb.44:
	v_mov_b32_e32 v4, 0xf0
	v_lshl_add_u32 v4, v3, 2, v4
	s_mov_b64 s[8:9], 0
.LBB276_45:                             ; =>This Inner Loop Header: Depth=1
	ds_read_b32 v5, v4
	v_add_u32_e32 v3, 0x80, v3
	v_cmp_le_i32_e32 vcc, s39, v3
	s_or_b64 s[8:9], vcc, s[8:9]
	s_waitcnt lgkmcnt(0)
	v_mul_f32_e32 v5, v2, v5
	ds_write_b32 v4, v5
	v_add_u32_e32 v4, 0x200, v4
	s_andn2_b64 exec, exec, s[8:9]
	s_cbranch_execnz .LBB276_45
.LBB276_46:
	s_or_b64 exec, exec, s[0:1]
	v_mov_b32_e32 v13, 0
	v_mov_b32_e32 v12, v13
	s_waitcnt lgkmcnt(0)
	s_barrier
	s_and_saveexec_b64 s[8:9], s[2:3]
	s_cbranch_execz .LBB276_58
; %bb.47:
	s_sub_i32 s21, s16, s21
	s_ashr_i32 s0, s45, 31
	s_add_u32 s10, s36, s45
	s_addc_u32 s11, s37, s0
	s_abs_i32 s22, s22
	v_cvt_f32_u32_e32 v2, s22
	v_or_b32_e32 v3, 64, v24
	s_movk_i32 s0, 0x70
	v_cmp_gt_u32_e32 vcc, s0, v3
	v_rcp_iflag_f32_e32 v2, v2
	s_sub_i32 s0, 0, s22
	s_add_i32 s36, s44, -1
	v_lshlrev_b32_e32 v16, 3, v3
	v_mul_f32_e32 v2, 0x4f7ffffe, v2
	v_cvt_u32_f32_e32 v2, v2
	v_mov_b32_e32 v15, 0
	s_mov_b32 s39, s17
	v_lshlrev_b32_e32 v14, 3, v24
	v_mul_lo_u32 v3, s0, v2
	s_lshl_b64 s[0:1], s[34:35], 2
	v_mul_hi_u32 v3, v2, v3
	s_add_u32 s0, s30, s0
	v_add_u32_e32 v25, v2, v3
	v_and_b32_e32 v2, 60, v6
	v_mov_b32_e32 v3, v15
	s_addc_u32 s1, s31, s1
	v_lshl_add_u64 v[18:19], s[0:1], 0, v[2:3]
	v_mov_b32_e32 v2, 0xf0
	v_mov_b32_e32 v17, v15
	v_lshl_add_u32 v26, v1, 5, v2
	s_mov_b64 s[12:13], 0
	v_mov_b32_e32 v12, v15
	v_mov_b32_e32 v13, v15
	s_branch .LBB276_51
.LBB276_48:                             ;   in Loop: Header=BB276_51 Depth=1
	s_or_b64 exec, exec, s[18:19]
	v_cvt_pk_bf16_f32 v6, v6, v7
	v_cvt_pk_bf16_f32 v2, v2, v3
	v_cvt_pk_bf16_f32 v3, v4, v5
	v_lshlrev_b32_e32 v4, 16, v6
	v_lshlrev_b32_e32 v5, 16, v31
	v_cvt_pk_bf16_f32 v7, v8, v9
	v_mul_f32_e32 v4, v4, v5
	v_and_b32_e32 v5, 0xffff0000, v6
	v_lshlrev_b32_e32 v6, 16, v30
	v_mul_f32_e32 v5, v5, v6
	v_lshlrev_b32_e32 v6, 16, v7
	v_lshlrev_b32_e32 v8, 16, v29
	v_mul_f32_e32 v6, v6, v8
	v_and_b32_e32 v7, 0xffff0000, v7
	v_lshlrev_b32_e32 v8, 16, v28
	v_mul_f32_e32 v7, v7, v8
	v_lshlrev_b32_e32 v8, 16, v2
	v_lshlrev_b32_e32 v9, 16, v27
	v_mul_f32_e32 v8, v8, v9
	v_and_b32_e32 v2, 0xffff0000, v2
	v_lshlrev_b32_e32 v9, 16, v23
	v_mul_f32_e32 v2, v2, v9
	v_cvt_pk_bf16_f32 v9, v2, s0
	v_lshlrev_b32_e32 v2, 16, v3
	v_lshlrev_b32_e32 v21, 16, v21
	v_mul_f32_e32 v2, v2, v21
	v_cvt_pk_bf16_f32 v21, v2, s0
	v_and_b32_e32 v2, 0xffff0000, v3
	v_lshlrev_b32_e32 v3, 16, v20
	v_cvt_pk_bf16_f32 v4, v4, s0
	v_cvt_pk_bf16_f32 v5, v5, s0
	;; [unrolled: 1-line block ×4, first 2 shown]
	v_mul_f32_e32 v2, v2, v3
	v_cvt_pk_bf16_f32 v8, v8, s0
	v_cvt_pk_bf16_f32 v20, v2, s0
	v_lshlrev_b32_e32 v3, 16, v5
	v_lshlrev_b32_e32 v5, 16, v4
	;; [unrolled: 1-line block ×4, first 2 shown]
	v_pk_add_f32 v[2:3], v[4:5], v[2:3]
	v_lshlrev_b32_e32 v5, 16, v9
	v_lshlrev_b32_e32 v7, 16, v8
	;; [unrolled: 1-line block ×4, first 2 shown]
	v_pk_add_f32 v[4:5], v[6:7], v[4:5]
	v_add_f32_e32 v2, v2, v3
	v_add_f32_e32 v2, v5, v2
	;; [unrolled: 1-line block ×3, first 2 shown]
	v_pk_add_f32 v[12:13], v[12:13], v[2:3] op_sel_hi:[1,0]
.LBB276_49:                             ;   in Loop: Header=BB276_51 Depth=1
	s_or_b64 exec, exec, s[2:3]
	v_mov_b32_e32 v12, v22
.LBB276_50:                             ;   in Loop: Header=BB276_51 Depth=1
	s_or_b64 exec, exec, s[16:17]
	v_add_u32_e32 v1, 2, v1
	v_cmp_le_i32_e64 s[0:1], s44, v1
	v_lshl_add_u64 v[18:19], v[18:19], 0, 8
	v_add_u32_e32 v11, 16, v11
	s_or_b64 s[12:13], s[0:1], s[12:13]
	v_add_u32_e32 v26, 64, v26
	s_andn2_b64 exec, exec, s[12:13]
	s_cbranch_execz .LBB276_57
.LBB276_51:                             ; =>This Inner Loop Header: Depth=1
	v_mul_hi_u32 v2, v11, s33
	v_mul_lo_u32 v3, v2, s27
	v_sub_u32_e32 v3, v11, v3
	v_add_u32_e32 v4, 1, v2
	v_cmp_le_u32_e64 s[0:1], s27, v3
	s_nop 1
	v_cndmask_b32_e64 v2, v2, v4, s[0:1]
	v_subrev_u32_e32 v4, s27, v3
	v_cndmask_b32_e64 v3, v3, v4, s[0:1]
	v_add_u32_e32 v4, 1, v2
	v_cmp_le_u32_e64 s[0:1], s27, v3
	s_nop 1
	v_cndmask_b32_e64 v2, v2, v4, s[0:1]
	v_xor_b32_e32 v2, s23, v2
	v_subrev_u32_e32 v2, s23, v2
	v_add_u32_e32 v3, s38, v2
	v_sub_u32_e32 v5, 0, v3
	v_ashrrev_i32_e32 v4, 31, v3
	v_max_i32_e32 v3, v3, v5
	v_mul_hi_u32 v5, v3, v25
	v_mul_lo_u32 v5, v5, s22
	v_sub_u32_e32 v3, v3, v5
	v_subrev_u32_e32 v5, s22, v3
	v_cmp_le_u32_e64 s[0:1], s22, v3
	v_cmp_lt_i32_e64 s[2:3], s21, v2
	s_nop 0
	v_cndmask_b32_e64 v3, v3, v5, s[0:1]
	v_subrev_u32_e32 v5, s22, v3
	v_cmp_le_u32_e64 s[0:1], s22, v3
	s_nop 1
	v_cndmask_b32_e64 v3, v3, v5, s[0:1]
	v_xor_b32_e32 v3, v3, v4
	v_sub_u32_e32 v3, v3, v4
	v_cmp_eq_u32_e64 s[0:1], 0, v3
	s_or_b64 s[0:1], s[0:1], s[2:3]
	s_and_saveexec_b64 s[16:17], s[0:1]
	s_cbranch_execz .LBB276_50
; %bb.52:                               ;   in Loop: Header=BB276_51 Depth=1
	global_load_dword v4, v[18:19], off
	v_mov_b64_e32 v[2:3], s[10:11]
	s_waitcnt vmcnt(0)
	v_mad_i64_i32 v[20:21], s[0:1], v4, s39, v[2:3]
	v_lshl_add_u64 v[2:3], v[20:21], 0, v[14:15]
	global_load_dwordx2 v[22:23], v[2:3], off
	ds_read2_b64 v[6:9], v26 offset1:1
	ds_read2_b64 v[2:5], v26 offset0:2 offset1:3
	s_load_dword s30, s[14:15], 0x0
	v_cmp_eq_u32_e64 s[0:1], s36, v1
	s_waitcnt vmcnt(0)
	v_and_b32_e32 v27, 0xff, v22
	v_bfe_u32 v28, v22, 8, 8
	v_bfe_u32 v29, v22, 16, 8
	v_lshrrev_b32_e32 v22, 24, v22
	v_and_b32_e32 v30, 0xff, v23
	v_bfe_u32 v31, v23, 8, 8
	v_bfe_u32 v32, v23, 16, 8
	v_lshrrev_b32_e32 v23, 24, v23
	v_cvt_f32_fp8_e32 v27, v27
	v_cvt_f32_fp8_e32 v28, v28
	;; [unrolled: 1-line block ×8, first 2 shown]
	s_waitcnt lgkmcnt(0)
	v_mul_f32_e32 v27, s30, v27
	v_mul_f32_e32 v28, s30, v28
	;; [unrolled: 1-line block ×8, first 2 shown]
	v_cvt_pk_bf16_f32 v32, v27, s0
	v_cvt_pk_bf16_f32 v31, v28, s0
	;; [unrolled: 1-line block ×8, first 2 shown]
	s_and_saveexec_b64 s[18:19], s[0:1]
	s_cbranch_execz .LBB276_54
; %bb.53:                               ;   in Loop: Header=BB276_51 Depth=1
	v_cmp_gt_i32_e64 s[2:3], s25, v11
	v_add_u32_e32 v33, 1, v11
	s_nop 0
	v_cndmask_b32_e64 v32, 0, v32, s[2:3]
	v_cmp_gt_i32_e64 s[2:3], s25, v33
	v_add_u32_e32 v33, 2, v11
	s_nop 0
	v_cndmask_b32_e64 v31, 0, v31, s[2:3]
	;; [unrolled: 4-line block ×7, first 2 shown]
	v_cmp_gt_i32_e64 s[2:3], s25, v33
	s_nop 1
	v_cndmask_b32_e64 v22, 0, v22, s[2:3]
.LBB276_54:                             ;   in Loop: Header=BB276_51 Depth=1
	s_or_b64 exec, exec, s[18:19]
	v_cvt_pk_bf16_f32 v33, v6, s0
	v_cvt_pk_bf16_f32 v34, v7, s0
	v_lshlrev_b32_e32 v33, 16, v33
	v_lshlrev_b32_e32 v32, 16, v32
	v_cvt_pk_bf16_f32 v35, v8, s0
	v_mul_f32_e32 v32, v33, v32
	v_lshlrev_b32_e32 v33, 16, v34
	v_lshlrev_b32_e32 v31, 16, v31
	v_cvt_pk_bf16_f32 v36, v9, s0
	v_mul_f32_e32 v31, v33, v31
	v_lshlrev_b32_e32 v33, 16, v35
	v_lshlrev_b32_e32 v30, 16, v30
	v_mul_f32_e32 v30, v33, v30
	v_lshlrev_b32_e32 v33, 16, v36
	v_lshlrev_b32_e32 v29, 16, v29
	v_cvt_pk_bf16_f32 v37, v2, s0
	v_mul_f32_e32 v29, v33, v29
	v_cvt_pk_bf16_f32 v33, v29, s0
	v_lshlrev_b32_e32 v29, 16, v37
	v_lshlrev_b32_e32 v28, 16, v28
	v_cvt_pk_bf16_f32 v38, v3, s0
	v_mul_f32_e32 v28, v29, v28
	v_cvt_pk_bf16_f32 v39, v4, s0
	v_cvt_pk_bf16_f32 v34, v28, s0
	v_lshlrev_b32_e32 v28, 16, v38
	v_lshlrev_b32_e32 v27, 16, v27
	v_mul_f32_e32 v27, v28, v27
	v_lshlrev_b32_e32 v28, 16, v39
	v_lshlrev_b32_e32 v23, 16, v23
	v_cvt_pk_bf16_f32 v40, v5, s0
	v_mul_f32_e32 v23, v28, v23
	v_cvt_pk_bf16_f32 v35, v23, s0
	v_lshlrev_b32_e32 v23, 16, v40
	v_lshlrev_b32_e32 v22, 16, v22
	v_cvt_pk_bf16_f32 v32, v32, s0
	v_cvt_pk_bf16_f32 v31, v31, s0
	;; [unrolled: 1-line block ×3, first 2 shown]
	v_mul_f32_e32 v22, v23, v22
	v_cvt_pk_bf16_f32 v27, v27, s0
	v_cvt_pk_bf16_f32 v36, v22, s0
	v_lshlrev_b32_e32 v23, 16, v31
	v_lshlrev_b32_e32 v29, 16, v32
	v_lshlrev_b32_e32 v22, 16, v33
	v_lshlrev_b32_e32 v28, 16, v30
	v_pk_add_f32 v[22:23], v[28:29], v[22:23]
	v_lshlrev_b32_e32 v29, 16, v27
	v_lshlrev_b32_e32 v31, 16, v34
	;; [unrolled: 1-line block ×4, first 2 shown]
	v_pk_add_f32 v[22:23], v[22:23], v[22:23] op_sel:[0,1] op_sel_hi:[1,0]
	v_pk_add_f32 v[28:29], v[30:31], v[28:29]
	s_nop 0
	v_pk_add_f32 v[22:23], v[28:29], v[22:23] op_sel:[1,0] op_sel_hi:[0,1]
	v_pk_add_f32 v[22:23], v[28:29], v[22:23]
	s_nop 0
	v_pk_add_f32 v[22:23], v[12:13], v[22:23]
	s_and_saveexec_b64 s[2:3], vcc
	s_cbranch_execz .LBB276_49
; %bb.55:                               ;   in Loop: Header=BB276_51 Depth=1
	v_lshl_add_u64 v[20:21], v[20:21], 0, v[16:17]
	global_load_dwordx2 v[20:21], v[20:21], off
	s_waitcnt vmcnt(0)
	v_and_b32_e32 v23, 0xff, v20
	v_bfe_u32 v27, v20, 8, 8
	v_bfe_u32 v28, v20, 16, 8
	v_lshrrev_b32_e32 v20, 24, v20
	v_and_b32_e32 v29, 0xff, v21
	v_bfe_u32 v30, v21, 8, 8
	v_bfe_u32 v31, v21, 16, 8
	v_lshrrev_b32_e32 v21, 24, v21
	v_cvt_f32_fp8_e32 v23, v23
	v_cvt_f32_fp8_e32 v27, v27
	;; [unrolled: 1-line block ×8, first 2 shown]
	v_mul_f32_e32 v23, s30, v23
	v_mul_f32_e32 v27, s30, v27
	;; [unrolled: 1-line block ×8, first 2 shown]
	v_cvt_pk_bf16_f32 v31, v23, s0
	v_cvt_pk_bf16_f32 v30, v27, s0
	;; [unrolled: 1-line block ×8, first 2 shown]
	s_and_saveexec_b64 s[18:19], s[0:1]
	s_cbranch_execz .LBB276_48
; %bb.56:                               ;   in Loop: Header=BB276_51 Depth=1
	v_cmp_gt_i32_e64 s[0:1], s25, v11
	v_add_u32_e32 v32, 1, v11
	s_nop 0
	v_cndmask_b32_e64 v31, 0, v31, s[0:1]
	v_cmp_gt_i32_e64 s[0:1], s25, v32
	v_add_u32_e32 v32, 2, v11
	s_nop 0
	v_cndmask_b32_e64 v30, 0, v30, s[0:1]
	;; [unrolled: 4-line block ×7, first 2 shown]
	v_cmp_gt_i32_e64 s[0:1], s25, v32
	s_nop 1
	v_cndmask_b32_e64 v20, 0, v20, s[0:1]
	s_branch .LBB276_48
.LBB276_57:
	s_or_b64 exec, exec, s[12:13]
.LBB276_58:
	s_or_b64 exec, exec, s[8:9]
	v_and_b32_e32 v1, 0x3c0, v0
	v_cmp_eq_u32_e32 vcc, 64, v1
	s_barrier
	s_and_saveexec_b64 s[0:1], vcc
	s_cbranch_execz .LBB276_61
; %bb.59:
	v_mov_b32_e32 v1, 0xf0
	v_lshl_add_u32 v2, v24, 2, v1
	ds_write_b32 v2, v12
	s_and_b64 exec, exec, s[6:7]
; %bb.60:
	v_lshl_add_u32 v1, v0, 2, v1
	ds_write_b32 v1, v13
.LBB276_61:
	s_or_b64 exec, exec, s[0:1]
	v_cmp_gt_u32_e32 vcc, 64, v0
	v_or_b32_e32 v1, 64, v0
	s_waitcnt lgkmcnt(0)
	s_barrier
	s_and_saveexec_b64 s[2:3], vcc
	s_cbranch_execz .LBB276_65
; %bb.62:
	v_mov_b32_e32 v2, 0xf0
	v_lshl_add_u32 v2, v0, 2, v2
	ds_read_b32 v0, v2
	s_movk_i32 s0, 0x70
	v_cmp_gt_u32_e64 s[0:1], s0, v1
	s_and_saveexec_b64 s[6:7], s[0:1]
	s_cbranch_execz .LBB276_64
; %bb.63:
	ds_read_b32 v2, v2 offset:256
	s_waitcnt lgkmcnt(0)
	v_add_f32_e32 v13, v13, v2
.LBB276_64:
	s_or_b64 exec, exec, s[6:7]
	s_waitcnt lgkmcnt(0)
	v_add_f32_e32 v12, v12, v0
.LBB276_65:
	s_or_b64 exec, exec, s[2:3]
	s_barrier
	s_and_saveexec_b64 s[0:1], vcc
	s_cbranch_execz .LBB276_68
; %bb.66:
	s_mul_i32 s0, s24, s20
	s_mul_i32 s0, s0, s5
	s_mulk_i32 s0, 0x70
	s_ashr_i32 s1, s0, 31
	s_lshl_b64 s[0:1], s[0:1], 1
	s_add_u32 s3, s28, s0
	s_mul_i32 s0, s20, s26
	s_addc_u32 s5, s29, s1
	s_ashr_i32 s1, s0, 31
	s_lshl_b64 s[0:1], s[0:1], 1
	s_add_u32 s3, s3, s0
	s_mul_i32 s0, s4, 0x70
	s_addc_u32 s5, s5, s1
	s_ashr_i32 s1, s0, 31
	s_lshl_b64 s[0:1], s[0:1], 1
	s_movk_i32 s2, 0x70
	s_add_u32 s0, s3, s0
	s_addc_u32 s1, s5, s1
	v_cvt_pk_bf16_f32 v0, v12, s0
	v_cmp_gt_u32_e32 vcc, s2, v1
	global_store_short v10, v0, s[0:1]
	s_and_b64 exec, exec, vcc
	s_cbranch_execz .LBB276_68
; %bb.67:
	v_mov_b32_e32 v11, 0
	v_lshl_add_u64 v[0:1], s[0:1], 0, v[10:11]
	v_cvt_pk_bf16_f32 v2, v13, s0
	global_store_short v[0:1], v2, off offset:128
.LBB276_68:
	s_endpgm
	.section	.rodata,"a",@progbits
	.p2align	6, 0x0
	.amdhsa_kernel _ZN4vllm25paged_attention_v1_kernelI14__hip_bfloat16hLi112ELi8ELi128ELNS_18Fp8KVCacheDataTypeE1ELb1EEEvPT_PKS3_PKT0_S9_ifPKiSB_iPKfiiiSD_SD_iiiii
		.amdhsa_group_segment_fixed_size 240
		.amdhsa_private_segment_fixed_size 0
		.amdhsa_kernarg_size 384
		.amdhsa_user_sgpr_count 2
		.amdhsa_user_sgpr_dispatch_ptr 0
		.amdhsa_user_sgpr_queue_ptr 0
		.amdhsa_user_sgpr_kernarg_segment_ptr 1
		.amdhsa_user_sgpr_dispatch_id 0
		.amdhsa_user_sgpr_kernarg_preload_length 0
		.amdhsa_user_sgpr_kernarg_preload_offset 0
		.amdhsa_user_sgpr_private_segment_size 0
		.amdhsa_uses_dynamic_stack 0
		.amdhsa_enable_private_segment 0
		.amdhsa_system_sgpr_workgroup_id_x 1
		.amdhsa_system_sgpr_workgroup_id_y 1
		.amdhsa_system_sgpr_workgroup_id_z 1
		.amdhsa_system_sgpr_workgroup_info 0
		.amdhsa_system_vgpr_workitem_id 0
		.amdhsa_next_free_vgpr 53
		.amdhsa_next_free_sgpr 50
		.amdhsa_accum_offset 56
		.amdhsa_reserve_vcc 1
		.amdhsa_float_round_mode_32 0
		.amdhsa_float_round_mode_16_64 0
		.amdhsa_float_denorm_mode_32 3
		.amdhsa_float_denorm_mode_16_64 3
		.amdhsa_dx10_clamp 1
		.amdhsa_ieee_mode 1
		.amdhsa_fp16_overflow 0
		.amdhsa_tg_split 0
		.amdhsa_exception_fp_ieee_invalid_op 0
		.amdhsa_exception_fp_denorm_src 0
		.amdhsa_exception_fp_ieee_div_zero 0
		.amdhsa_exception_fp_ieee_overflow 0
		.amdhsa_exception_fp_ieee_underflow 0
		.amdhsa_exception_fp_ieee_inexact 0
		.amdhsa_exception_int_div_zero 0
	.end_amdhsa_kernel
	.section	.text._ZN4vllm25paged_attention_v1_kernelI14__hip_bfloat16hLi112ELi8ELi128ELNS_18Fp8KVCacheDataTypeE1ELb1EEEvPT_PKS3_PKT0_S9_ifPKiSB_iPKfiiiSD_SD_iiiii,"axG",@progbits,_ZN4vllm25paged_attention_v1_kernelI14__hip_bfloat16hLi112ELi8ELi128ELNS_18Fp8KVCacheDataTypeE1ELb1EEEvPT_PKS3_PKT0_S9_ifPKiSB_iPKfiiiSD_SD_iiiii,comdat
.Lfunc_end276:
	.size	_ZN4vllm25paged_attention_v1_kernelI14__hip_bfloat16hLi112ELi8ELi128ELNS_18Fp8KVCacheDataTypeE1ELb1EEEvPT_PKS3_PKT0_S9_ifPKiSB_iPKfiiiSD_SD_iiiii, .Lfunc_end276-_ZN4vllm25paged_attention_v1_kernelI14__hip_bfloat16hLi112ELi8ELi128ELNS_18Fp8KVCacheDataTypeE1ELb1EEEvPT_PKS3_PKT0_S9_ifPKiSB_iPKfiiiSD_SD_iiiii
                                        ; -- End function
	.set _ZN4vllm25paged_attention_v1_kernelI14__hip_bfloat16hLi112ELi8ELi128ELNS_18Fp8KVCacheDataTypeE1ELb1EEEvPT_PKS3_PKT0_S9_ifPKiSB_iPKfiiiSD_SD_iiiii.num_vgpr, 53
	.set _ZN4vllm25paged_attention_v1_kernelI14__hip_bfloat16hLi112ELi8ELi128ELNS_18Fp8KVCacheDataTypeE1ELb1EEEvPT_PKS3_PKT0_S9_ifPKiSB_iPKfiiiSD_SD_iiiii.num_agpr, 0
	.set _ZN4vllm25paged_attention_v1_kernelI14__hip_bfloat16hLi112ELi8ELi128ELNS_18Fp8KVCacheDataTypeE1ELb1EEEvPT_PKS3_PKT0_S9_ifPKiSB_iPKfiiiSD_SD_iiiii.numbered_sgpr, 50
	.set _ZN4vllm25paged_attention_v1_kernelI14__hip_bfloat16hLi112ELi8ELi128ELNS_18Fp8KVCacheDataTypeE1ELb1EEEvPT_PKS3_PKT0_S9_ifPKiSB_iPKfiiiSD_SD_iiiii.num_named_barrier, 0
	.set _ZN4vllm25paged_attention_v1_kernelI14__hip_bfloat16hLi112ELi8ELi128ELNS_18Fp8KVCacheDataTypeE1ELb1EEEvPT_PKS3_PKT0_S9_ifPKiSB_iPKfiiiSD_SD_iiiii.private_seg_size, 0
	.set _ZN4vllm25paged_attention_v1_kernelI14__hip_bfloat16hLi112ELi8ELi128ELNS_18Fp8KVCacheDataTypeE1ELb1EEEvPT_PKS3_PKT0_S9_ifPKiSB_iPKfiiiSD_SD_iiiii.uses_vcc, 1
	.set _ZN4vllm25paged_attention_v1_kernelI14__hip_bfloat16hLi112ELi8ELi128ELNS_18Fp8KVCacheDataTypeE1ELb1EEEvPT_PKS3_PKT0_S9_ifPKiSB_iPKfiiiSD_SD_iiiii.uses_flat_scratch, 0
	.set _ZN4vllm25paged_attention_v1_kernelI14__hip_bfloat16hLi112ELi8ELi128ELNS_18Fp8KVCacheDataTypeE1ELb1EEEvPT_PKS3_PKT0_S9_ifPKiSB_iPKfiiiSD_SD_iiiii.has_dyn_sized_stack, 0
	.set _ZN4vllm25paged_attention_v1_kernelI14__hip_bfloat16hLi112ELi8ELi128ELNS_18Fp8KVCacheDataTypeE1ELb1EEEvPT_PKS3_PKT0_S9_ifPKiSB_iPKfiiiSD_SD_iiiii.has_recursion, 0
	.set _ZN4vllm25paged_attention_v1_kernelI14__hip_bfloat16hLi112ELi8ELi128ELNS_18Fp8KVCacheDataTypeE1ELb1EEEvPT_PKS3_PKT0_S9_ifPKiSB_iPKfiiiSD_SD_iiiii.has_indirect_call, 0
	.section	.AMDGPU.csdata,"",@progbits
; Kernel info:
; codeLenInByte = 5736
; TotalNumSgprs: 56
; NumVgprs: 53
; NumAgprs: 0
; TotalNumVgprs: 53
; ScratchSize: 0
; MemoryBound: 0
; FloatMode: 240
; IeeeMode: 1
; LDSByteSize: 240 bytes/workgroup (compile time only)
; SGPRBlocks: 6
; VGPRBlocks: 6
; NumSGPRsForWavesPerEU: 56
; NumVGPRsForWavesPerEU: 53
; AccumOffset: 56
; Occupancy: 8
; WaveLimiterHint : 1
; COMPUTE_PGM_RSRC2:SCRATCH_EN: 0
; COMPUTE_PGM_RSRC2:USER_SGPR: 2
; COMPUTE_PGM_RSRC2:TRAP_HANDLER: 0
; COMPUTE_PGM_RSRC2:TGID_X_EN: 1
; COMPUTE_PGM_RSRC2:TGID_Y_EN: 1
; COMPUTE_PGM_RSRC2:TGID_Z_EN: 1
; COMPUTE_PGM_RSRC2:TIDIG_COMP_CNT: 0
; COMPUTE_PGM_RSRC3_GFX90A:ACCUM_OFFSET: 13
; COMPUTE_PGM_RSRC3_GFX90A:TG_SPLIT: 0
	.section	.text._ZN4vllm25paged_attention_v1_kernelI14__hip_bfloat16hLi120ELi8ELi128ELNS_18Fp8KVCacheDataTypeE1ELb1EEEvPT_PKS3_PKT0_S9_ifPKiSB_iPKfiiiSD_SD_iiiii,"axG",@progbits,_ZN4vllm25paged_attention_v1_kernelI14__hip_bfloat16hLi120ELi8ELi128ELNS_18Fp8KVCacheDataTypeE1ELb1EEEvPT_PKS3_PKT0_S9_ifPKiSB_iPKfiiiSD_SD_iiiii,comdat
	.protected	_ZN4vllm25paged_attention_v1_kernelI14__hip_bfloat16hLi120ELi8ELi128ELNS_18Fp8KVCacheDataTypeE1ELb1EEEvPT_PKS3_PKT0_S9_ifPKiSB_iPKfiiiSD_SD_iiiii ; -- Begin function _ZN4vllm25paged_attention_v1_kernelI14__hip_bfloat16hLi120ELi8ELi128ELNS_18Fp8KVCacheDataTypeE1ELb1EEEvPT_PKS3_PKT0_S9_ifPKiSB_iPKfiiiSD_SD_iiiii
	.globl	_ZN4vllm25paged_attention_v1_kernelI14__hip_bfloat16hLi120ELi8ELi128ELNS_18Fp8KVCacheDataTypeE1ELb1EEEvPT_PKS3_PKT0_S9_ifPKiSB_iPKfiiiSD_SD_iiiii
	.p2align	8
	.type	_ZN4vllm25paged_attention_v1_kernelI14__hip_bfloat16hLi120ELi8ELi128ELNS_18Fp8KVCacheDataTypeE1ELb1EEEvPT_PKS3_PKT0_S9_ifPKiSB_iPKfiiiSD_SD_iiiii,@function
_ZN4vllm25paged_attention_v1_kernelI14__hip_bfloat16hLi120ELi8ELi128ELNS_18Fp8KVCacheDataTypeE1ELb1EEEvPT_PKS3_PKT0_S9_ifPKiSB_iPKfiiiSD_SD_iiiii: ; @_ZN4vllm25paged_attention_v1_kernelI14__hip_bfloat16hLi120ELi8ELi128ELNS_18Fp8KVCacheDataTypeE1ELb1EEEvPT_PKS3_PKT0_S9_ifPKiSB_iPKfiiiSD_SD_iiiii
; %bb.0:
	s_load_dword s5, s[0:1], 0x80
	s_load_dwordx2 s[6:7], s[0:1], 0x30
	s_load_dwordx2 s[38:39], s[0:1], 0x20
	s_mov_b32 s24, s3
	s_ashr_i32 s25, s3, 31
	s_lshl_b64 s[8:9], s[24:25], 2
	s_waitcnt lgkmcnt(0)
	s_add_u32 s6, s6, s8
	s_addc_u32 s7, s7, s9
	s_abs_i32 s3, s38
	v_cvt_f32_u32_e32 v1, s3
	s_sub_i32 s10, 0, s3
	s_abs_i32 s9, s5
	s_xor_b32 s8, s5, s38
	v_rcp_iflag_f32_e32 v1, v1
	s_ashr_i32 s8, s8, 31
	s_mov_b32 s46, 0
	v_mul_f32_e32 v1, 0x4f7ffffe, v1
	v_cvt_u32_f32_e32 v1, v1
	s_nop 0
	v_readfirstlane_b32 s11, v1
	s_mul_i32 s10, s10, s11
	s_mul_hi_u32 s10, s11, s10
	s_add_i32 s11, s11, s10
	s_mul_hi_u32 s10, s9, s11
	s_mul_i32 s11, s10, s3
	s_sub_i32 s9, s9, s11
	s_add_i32 s11, s10, 1
	s_sub_i32 s12, s9, s3
	s_cmp_ge_u32 s9, s3
	s_cselect_b32 s10, s11, s10
	s_cselect_b32 s9, s12, s9
	s_add_i32 s11, s10, 1
	s_cmp_ge_u32 s9, s3
	s_cselect_b32 s3, s11, s10
	s_xor_b32 s3, s3, s8
	s_sub_i32 s14, s3, s8
	s_abs_i32 s10, s14
	v_cvt_f32_u32_e32 v1, s10
	s_load_dwordx2 s[8:9], s[0:1], 0x40
	s_sub_i32 s3, 0, s10
	s_abs_i32 s11, s2
	v_rcp_iflag_f32_e32 v1, v1
	s_nop 0
	v_mul_f32_e32 v1, 0x4f7ffffe, v1
	v_cvt_u32_f32_e32 v1, v1
	s_nop 0
	v_readfirstlane_b32 s12, v1
	s_mul_i32 s3, s3, s12
	s_mul_hi_u32 s3, s12, s3
	s_add_i32 s12, s12, s3
	s_waitcnt lgkmcnt(0)
	s_cmp_eq_u64 s[8:9], 0
	s_mul_hi_u32 s12, s11, s12
	s_cbranch_scc1 .LBB277_2
; %bb.1:
	s_ashr_i32 s3, s2, 31
	s_lshl_b64 s[16:17], s[2:3], 2
	s_add_u32 s8, s8, s16
	s_addc_u32 s9, s9, s17
	s_load_dword s46, s[8:9], 0x0
.LBB277_2:
	s_load_dword s25, s[6:7], 0x0
	s_load_dwordx4 s[16:19], s[0:1], 0x48
	s_movk_i32 s3, 0x78
	s_ashr_i32 s13, s2, 31
	s_ashr_i32 s14, s14, 31
	v_and_b32_e32 v2, 7, v0
	s_mul_i32 s26, s2, 0x78
	v_cmp_gt_u32_e64 s[6:7], s3, v0
	v_lshlrev_b32_e32 v10, 1, v0
	s_and_saveexec_b64 s[8:9], s[6:7]
	s_cbranch_execz .LBB277_4
; %bb.3:
	s_load_dwordx2 s[20:21], s[0:1], 0x8
	s_waitcnt lgkmcnt(0)
	s_mul_i32 s22, s16, s24
	s_ashr_i32 s23, s22, 31
	s_lshl_b64 s[22:23], s[22:23], 1
	v_lshrrev_b32_e32 v3, 2, v0
	s_add_u32 s3, s20, s22
	s_addc_u32 s15, s21, s23
	s_ashr_i32 s27, s26, 31
	s_lshl_b64 s[20:21], s[26:27], 1
	s_add_u32 s20, s3, s20
	s_addc_u32 s21, s15, s21
	global_load_ushort v1, v10, s[20:21]
	v_and_b32_e32 v3, 0xfe, v3
	v_mad_u32_u24 v3, v2, 30, v3
	s_waitcnt vmcnt(0)
	ds_write_b16 v3, v1
.LBB277_4:
	s_or_b64 exec, exec, s[8:9]
	s_mul_i32 s9, s12, s10
	s_sub_i32 s9, s11, s9
	s_xor_b32 s8, s13, s14
	s_add_i32 s11, s12, 1
	s_sub_i32 s13, s9, s10
	s_load_dwordx4 s[20:23], s[0:1], 0x68
	s_load_dword s3, s[0:1], 0x78
	s_cmp_ge_u32 s9, s10
	s_cselect_b32 s11, s11, s12
	s_cselect_b32 s9, s13, s9
	s_add_i32 s12, s11, 1
	s_cmp_ge_u32 s9, s10
	s_cselect_b32 s9, s12, s11
	s_waitcnt lgkmcnt(0)
	s_abs_i32 s27, s23
	v_cvt_f32_u32_e32 v1, s27
	s_xor_b32 s9, s9, s8
	s_sub_i32 s45, s9, s8
	s_sub_i32 s8, 0, s27
	v_rcp_iflag_f32_e32 v1, v1
	s_add_i32 s12, s25, -1
	s_abs_i32 s10, s12
	v_mul_f32_e32 v1, 0x4f7ffffe, v1
	v_cvt_u32_f32_e32 v1, v1
	s_barrier
	v_readfirstlane_b32 s33, v1
	s_mul_i32 s8, s8, s33
	s_mul_hi_u32 s8, s33, s8
	s_add_i32 s33, s33, s8
	s_cmp_lt_i32 s3, 0
	s_mul_hi_u32 s11, s10, s33
	s_cbranch_scc0 .LBB277_6
; %bb.5:
	s_mul_i32 s8, s20, s38
	s_add_i32 s8, s45, s8
	s_mul_i32 s8, s8, s3
	s_sub_i32 s38, 1, s8
	s_mov_b64 s[8:9], 0
	s_branch .LBB277_7
.LBB277_6:
	s_mov_b64 s[8:9], -1
                                        ; implicit-def: $sgpr38
.LBB277_7:
	s_load_dwordx2 s[30:31], s[0:1], 0x28
	s_ashr_i32 s16, s12, 31
	s_andn2_b64 vcc, exec, s[8:9]
	s_ashr_i32 s23, s23, 31
	s_cbranch_vccnz .LBB277_9
; %bb.8:
	s_mul_i32 s8, s5, s20
	s_add_i32 s2, s8, s2
	s_mul_i32 s2, s2, s3
	s_add_i32 s38, s2, 1
.LBB277_9:
	s_load_dword s2, s[0:1], 0x38
	s_load_dwordx2 s[28:29], s[0:1], 0x0
	s_load_dwordx2 s[36:37], s[0:1], 0x18
	s_load_dword s20, s[0:1], 0x88
	s_load_dwordx4 s[12:15], s[0:1], 0x58
	s_mul_i32 s3, s11, s27
	s_waitcnt lgkmcnt(0)
	s_mul_i32 s34, s2, s24
	s_sub_i32 s3, s10, s3
	s_ashr_i32 s35, s34, 31
	s_xor_b32 s2, s16, s23
	s_add_i32 s8, s11, 1
	s_sub_i32 s9, s3, s27
	s_cmp_ge_u32 s3, s27
	s_cselect_b32 s8, s8, s11
	s_cselect_b32 s3, s9, s3
	s_add_i32 s9, s8, 1
	s_cmp_ge_u32 s3, s27
	s_cselect_b32 s3, s9, s8
	s_xor_b32 s3, s3, s2
	s_sub_i32 s16, s3, s2
	s_add_i32 s2, s25, 7
	s_ashr_i32 s3, s2, 31
	s_lshr_b32 s3, s3, 29
	s_add_i32 s2, s2, s3
	s_ashr_i32 s44, s2, 3
	v_lshrrev_b32_e32 v1, 6, v0
	v_cmp_gt_i32_e64 s[2:3], s44, v1
	v_mov_b32_e32 v12, 0xff7fffff
	s_mul_i32 s45, s45, s18
	v_lshrrev_b32_e32 v6, 4, v0
	v_lshlrev_b32_e32 v11, 3, v1
	v_mbcnt_lo_u32_b32 v7, -1, 0
	s_and_saveexec_b64 s[18:19], s[2:3]
	s_cbranch_execz .LBB277_21
; %bb.10:
	s_load_dwordx2 s[0:1], s[0:1], 0x10
	s_sub_i32 s47, s16, s21
	s_ashr_i32 s9, s45, 31
	v_bfe_u32 v8, v0, 3, 3
	v_mov_b32_e32 v5, 0
	s_waitcnt lgkmcnt(0)
	s_add_u32 s8, s0, s45
	s_addc_u32 s9, s1, s9
	s_abs_i32 s48, s22
	v_cvt_f32_u32_e32 v3, s48
	v_lshlrev_b32_e32 v4, 4, v8
	v_lshl_add_u64 v[14:15], s[8:9], 0, v[4:5]
	s_sub_i32 s8, 0, s48
	v_rcp_iflag_f32_e32 v3, v3
	v_cmp_eq_u32_e32 vcc, 0, v2
	v_mul_u32_u24_e32 v9, 30, v2
	v_mbcnt_hi_u32_b32 v18, -1, v7
	v_mul_f32_e32 v3, 0x4f7ffffe, v3
	v_cvt_u32_f32_e32 v12, v3
	v_mov_b32_e32 v3, v5
	v_lshl_add_u64 v[2:3], v[14:15], 0, v[2:3]
	s_mov_b32 s49, s17
	v_mul_lo_u32 v4, s8, v12
	v_mul_hi_u32 v4, v12, v4
	v_add_u32_e32 v13, v12, v4
	v_subrev_u32_e32 v12, s25, v8
	s_lshl_b64 s[8:9], s[34:35], 2
	v_add_u32_e32 v15, 1, v12
	v_lshlrev_b32_e32 v12, 2, v8
	s_add_u32 s8, s30, s8
	v_lshl_or_b32 v12, v1, 5, v12
	v_and_b32_e32 v4, 60, v6
	s_addc_u32 s9, s31, s9
	v_add_u32_e32 v16, 0x100, v12
	v_and_b32_e32 v12, 64, v18
	v_cmp_neq_f32_e64 s[0:1], s46, 0
	v_lshl_add_u64 v[4:5], s[8:9], 0, v[4:5]
	v_lshlrev_b32_e32 v14, 3, v1
	v_mov_b32_e32 v17, 0xff7fffff
	s_mov_b64 s[40:41], 0
	v_add_u32_e32 v19, 64, v12
	v_xor_b32_e32 v20, 4, v18
	v_xor_b32_e32 v21, 2, v18
	;; [unrolled: 1-line block ×3, first 2 shown]
	v_mov_b32_e32 v12, 0xff7fffff
	v_mov_b32_e32 v23, v1
	s_branch .LBB277_13
.LBB277_11:                             ;   in Loop: Header=BB277_13 Depth=1
	s_or_b64 exec, exec, s[42:43]
.LBB277_12:                             ;   in Loop: Header=BB277_13 Depth=1
	s_or_b64 exec, exec, s[10:11]
	v_add_u32_e32 v23, 2, v23
	v_cmp_le_i32_e64 s[8:9], s44, v23
	v_lshl_add_u64 v[4:5], v[4:5], 0, 8
	v_add_u32_e32 v14, 16, v14
	s_or_b64 s[40:41], s[8:9], s[40:41]
	v_add_u32_e32 v16, 64, v16
	s_andn2_b64 exec, exec, s[40:41]
	s_cbranch_execz .LBB277_20
.LBB277_13:                             ; =>This Inner Loop Header: Depth=1
	v_mul_hi_u32 v24, v14, s33
	s_waitcnt lgkmcnt(0)
	v_mul_lo_u32 v25, v24, s27
	v_sub_u32_e32 v25, v14, v25
	v_add_u32_e32 v26, 1, v24
	v_cmp_le_u32_e64 s[8:9], s27, v25
	s_nop 1
	v_cndmask_b32_e64 v24, v24, v26, s[8:9]
	v_subrev_u32_e32 v26, s27, v25
	v_cndmask_b32_e64 v25, v25, v26, s[8:9]
	v_add_u32_e32 v26, 1, v24
	v_cmp_le_u32_e64 s[8:9], s27, v25
	s_nop 1
	v_cndmask_b32_e64 v24, v24, v26, s[8:9]
	v_xor_b32_e32 v24, s23, v24
	v_subrev_u32_e32 v24, s23, v24
	v_add_u32_e32 v25, s38, v24
	v_sub_u32_e32 v27, 0, v25
	v_ashrrev_i32_e32 v26, 31, v25
	v_max_i32_e32 v25, v25, v27
	v_mul_hi_u32 v27, v25, v13
	v_mul_lo_u32 v27, v27, s48
	v_sub_u32_e32 v25, v25, v27
	v_subrev_u32_e32 v27, s48, v25
	v_cmp_le_u32_e64 s[8:9], s48, v25
	v_cmp_ge_i32_e64 s[10:11], s47, v24
	s_nop 0
	v_cndmask_b32_e64 v25, v25, v27, s[8:9]
	v_subrev_u32_e32 v27, s48, v25
	v_cmp_le_u32_e64 s[8:9], s48, v25
	s_nop 1
	v_cndmask_b32_e64 v25, v25, v27, s[8:9]
	v_xor_b32_e32 v25, v25, v26
	v_sub_u32_e32 v25, v25, v26
	v_cmp_ne_u32_e64 s[8:9], 0, v25
	s_and_b64 s[8:9], s[8:9], s[10:11]
	s_and_saveexec_b64 s[10:11], s[8:9]
	s_xor_b64 s[8:9], exec, s[10:11]
	s_cbranch_execz .LBB277_17
; %bb.14:                               ;   in Loop: Header=BB277_13 Depth=1
	s_and_saveexec_b64 s[10:11], vcc
; %bb.15:                               ;   in Loop: Header=BB277_13 Depth=1
	ds_write_b32 v16, v17
; %bb.16:                               ;   in Loop: Header=BB277_13 Depth=1
	s_or_b64 exec, exec, s[10:11]
.LBB277_17:                             ;   in Loop: Header=BB277_13 Depth=1
	s_andn2_saveexec_b64 s[10:11], s[8:9]
	s_cbranch_execz .LBB277_12
; %bb.18:                               ;   in Loop: Header=BB277_13 Depth=1
	global_load_dword v24, v[4:5], off
	s_waitcnt vmcnt(0)
	v_mad_i64_i32 v[24:25], s[8:9], v24, s49, v[2:3]
	global_load_ubyte v31, v[24:25], off
	global_load_ubyte v32, v[24:25], off offset:8
	global_load_ubyte v33, v[24:25], off offset:128
	global_load_ubyte v34, v[24:25], off offset:136
	global_load_ubyte v35, v[24:25], off offset:256
	global_load_ubyte v36, v[24:25], off offset:264
	global_load_ubyte v37, v[24:25], off offset:384
	global_load_ubyte v38, v[24:25], off offset:392
	global_load_ubyte v39, v[24:25], off offset:512
	global_load_ubyte v40, v[24:25], off offset:520
	global_load_ubyte v41, v[24:25], off offset:640
	global_load_ubyte v42, v[24:25], off offset:648
	global_load_ubyte v43, v[24:25], off offset:768
	global_load_ubyte v44, v[24:25], off offset:776
	global_load_ubyte v45, v[24:25], off offset:896
	v_cmp_lt_i32_e64 s[8:9], v20, v19
	ds_read_b128 v[24:27], v9
	ds_read_b96 v[28:30], v9 offset:16
	ds_read_u16 v46, v9 offset:28
	v_cndmask_b32_e64 v47, v18, v20, s[8:9]
	s_load_dword s8, s[12:13], 0x0
	s_waitcnt lgkmcnt(0)
	v_lshlrev_b32_e32 v48, 16, v24
	v_and_b32_e32 v24, 0xffff0000, v24
	v_lshlrev_b32_e32 v49, 16, v25
	v_and_b32_e32 v25, 0xffff0000, v25
	;; [unrolled: 2-line block ×7, first 2 shown]
	v_lshlrev_b32_e32 v46, 16, v46
	v_lshlrev_b32_e32 v47, 2, v47
	s_waitcnt vmcnt(14)
	v_cvt_f32_fp8_e32 v31, v31
	s_waitcnt vmcnt(13)
	v_cvt_f32_fp8_e32 v32, v32
	;; [unrolled: 2-line block ×5, first 2 shown]
	v_mul_f32_e32 v32, s8, v32
	s_waitcnt vmcnt(9)
	v_cvt_f32_fp8_e32 v36, v36
	v_mul_f32_e32 v31, s8, v31
	v_cvt_pk_bf16_f32 v32, v32, s0
	s_waitcnt vmcnt(8)
	v_cvt_f32_fp8_e32 v37, v37
	v_mul_f32_e32 v33, s8, v33
	v_cvt_pk_bf16_f32 v31, v31, s0
	v_lshlrev_b32_e32 v32, 16, v32
	s_waitcnt vmcnt(7)
	v_cvt_f32_fp8_e32 v38, v38
	v_mul_f32_e32 v34, s8, v34
	v_cvt_pk_bf16_f32 v33, v33, s0
	v_lshlrev_b32_e32 v31, 16, v31
	v_mul_f32_e32 v24, v24, v32
	s_waitcnt vmcnt(6)
	v_cvt_f32_fp8_e32 v39, v39
	v_mul_f32_e32 v35, s8, v35
	v_cvt_pk_bf16_f32 v34, v34, s0
	v_lshlrev_b32_e32 v33, 16, v33
	v_fmac_f32_e32 v24, v48, v31
	s_waitcnt vmcnt(5)
	v_cvt_f32_fp8_e32 v40, v40
	v_mul_f32_e32 v36, s8, v36
	v_cvt_pk_bf16_f32 v35, v35, s0
	v_lshlrev_b32_e32 v34, 16, v34
	v_fmac_f32_e32 v24, v49, v33
	s_waitcnt vmcnt(4)
	v_cvt_f32_fp8_e32 v41, v41
	v_mul_f32_e32 v37, s8, v37
	v_cvt_pk_bf16_f32 v36, v36, s0
	v_lshlrev_b32_e32 v35, 16, v35
	v_fmac_f32_e32 v24, v25, v34
	s_waitcnt vmcnt(3)
	v_cvt_f32_fp8_e32 v42, v42
	v_mul_f32_e32 v38, s8, v38
	v_cvt_pk_bf16_f32 v37, v37, s0
	v_lshlrev_b32_e32 v36, 16, v36
	v_fmac_f32_e32 v24, v50, v35
	s_waitcnt vmcnt(2)
	v_cvt_f32_fp8_e32 v43, v43
	v_mul_f32_e32 v39, s8, v39
	v_cvt_pk_bf16_f32 v38, v38, s0
	v_lshlrev_b32_e32 v37, 16, v37
	v_fmac_f32_e32 v24, v26, v36
	s_waitcnt vmcnt(1)
	v_cvt_f32_fp8_e32 v44, v44
	v_mul_f32_e32 v40, s8, v40
	v_cvt_pk_bf16_f32 v39, v39, s0
	v_lshlrev_b32_e32 v38, 16, v38
	v_fmac_f32_e32 v24, v51, v37
	s_waitcnt vmcnt(0)
	v_cvt_f32_fp8_e32 v45, v45
	v_mul_f32_e32 v41, s8, v41
	v_cvt_pk_bf16_f32 v40, v40, s0
	v_lshlrev_b32_e32 v39, 16, v39
	v_fmac_f32_e32 v24, v27, v38
	v_mul_f32_e32 v42, s8, v42
	v_cvt_pk_bf16_f32 v41, v41, s0
	v_lshlrev_b32_e32 v40, 16, v40
	v_fmac_f32_e32 v24, v52, v39
	v_mul_f32_e32 v43, s8, v43
	v_cvt_pk_bf16_f32 v42, v42, s0
	v_lshlrev_b32_e32 v41, 16, v41
	v_fmac_f32_e32 v24, v28, v40
	v_mul_f32_e32 v44, s8, v44
	v_cvt_pk_bf16_f32 v43, v43, s0
	v_lshlrev_b32_e32 v42, 16, v42
	v_fmac_f32_e32 v24, v53, v41
	v_mul_f32_e32 v45, s8, v45
	v_cvt_pk_bf16_f32 v44, v44, s0
	v_lshlrev_b32_e32 v43, 16, v43
	v_fmac_f32_e32 v24, v29, v42
	v_cvt_pk_bf16_f32 v45, v45, s0
	v_lshlrev_b32_e32 v44, 16, v44
	v_fmac_f32_e32 v24, v54, v43
	v_fmac_f32_e32 v24, v30, v44
	v_lshlrev_b32_e32 v25, 16, v45
	v_fmac_f32_e32 v24, v46, v25
	ds_bpermute_b32 v25, v47, v24
	v_cmp_lt_i32_e64 s[8:9], v21, v19
	s_waitcnt lgkmcnt(0)
	v_add_f32_e32 v24, v24, v25
	v_cndmask_b32_e64 v26, v18, v21, s[8:9]
	v_lshlrev_b32_e32 v26, 2, v26
	ds_bpermute_b32 v25, v26, v24
	v_cmp_lt_i32_e64 s[8:9], v22, v19
	s_waitcnt lgkmcnt(0)
	v_add_f32_e32 v24, v24, v25
	v_cndmask_b32_e64 v26, v18, v22, s[8:9]
	v_lshlrev_b32_e32 v26, 2, v26
	ds_bpermute_b32 v25, v26, v24
	s_and_saveexec_b64 s[42:43], vcc
	s_cbranch_execz .LBB277_11
; %bb.19:                               ;   in Loop: Header=BB277_13 Depth=1
	v_add_u32_e32 v26, v15, v14
	v_cvt_f32_i32_e32 v26, v26
	s_waitcnt lgkmcnt(0)
	v_add_f32_e32 v24, v24, v25
	v_add_u32_e32 v27, v8, v14
	v_cmp_gt_i32_e64 s[8:9], s25, v27
	v_mul_f32_e32 v25, s46, v26
	v_cndmask_b32_e64 v25, 0, v25, s[0:1]
	v_fmac_f32_e32 v25, s39, v24
	v_cndmask_b32_e64 v24, 0, v25, s[8:9]
	ds_write_b32 v16, v24
	v_max_f32_e32 v24, v12, v12
	v_max_f32_e32 v24, v24, v25
	v_cndmask_b32_e64 v12, v12, v24, s[8:9]
	s_branch .LBB277_11
.LBB277_20:
	s_or_b64 exec, exec, s[40:41]
.LBB277_21:
	s_or_b64 exec, exec, s[18:19]
	v_mbcnt_hi_u32_b32 v2, -1, v7
	v_and_b32_e32 v13, 64, v2
	v_add_u32_e32 v3, 64, v13
	v_xor_b32_e32 v4, 32, v2
	v_cmp_lt_i32_e32 vcc, v4, v3
	v_xor_b32_e32 v8, 16, v2
	v_max_f32_e32 v7, v12, v12
	v_cndmask_b32_e32 v4, v2, v4, vcc
	v_lshlrev_b32_e32 v5, 2, v4
	ds_bpermute_b32 v4, v5, v12
	v_cmp_lt_i32_e32 vcc, v8, v3
	v_xor_b32_e32 v9, 8, v2
	v_and_b32_e32 v24, 63, v0
	s_waitcnt lgkmcnt(0)
	v_max_f32_e32 v4, v4, v4
	v_max_f32_e32 v4, v7, v4
	v_cndmask_b32_e32 v7, v2, v8, vcc
	v_lshlrev_b32_e32 v8, 2, v7
	ds_bpermute_b32 v7, v8, v4
	v_cmp_lt_i32_e32 vcc, v9, v3
	s_waitcnt lgkmcnt(0)
	v_max_f32_e32 v7, v7, v7
	v_max_f32_e32 v7, v4, v7
	v_cndmask_b32_e32 v4, v2, v9, vcc
	v_lshlrev_b32_e32 v12, 2, v4
	ds_bpermute_b32 v9, v12, v7
	v_cmp_eq_u32_e32 vcc, 0, v24
	v_lshlrev_b32_e32 v4, 2, v1
	s_and_saveexec_b64 s[0:1], vcc
	s_cbranch_execz .LBB277_23
; %bb.22:
	s_waitcnt lgkmcnt(0)
	v_max_f32_e32 v9, v9, v9
	v_max_f32_e32 v7, v7, v7
	v_max_f32_e32 v7, v7, v9
	ds_write_b32 v4, v7 offset:240
.LBB277_23:
	s_or_b64 exec, exec, s[0:1]
	v_cmp_gt_u32_e64 s[0:1], 2, v24
	v_mov_b32_e32 v14, 0xff7fffff
	v_lshlrev_b32_e32 v7, 2, v24
	s_waitcnt lgkmcnt(0)
	s_barrier
	s_and_saveexec_b64 s[8:9], s[0:1]
; %bb.24:
	ds_read_b32 v14, v7 offset:240
; %bb.25:
	s_or_b64 exec, exec, s[8:9]
	v_xor_b32_e32 v9, 1, v2
	v_cmp_lt_i32_e64 s[8:9], v9, v3
	v_lshlrev_b32_e32 v13, 2, v13
	s_nop 0
	v_cndmask_b32_e64 v9, v2, v9, s[8:9]
	v_lshlrev_b32_e32 v9, 2, v9
	s_waitcnt lgkmcnt(0)
	ds_bpermute_b32 v15, v9, v14
	v_max_f32_e32 v14, v14, v14
	s_lshl_b32 s8, s44, 3
	s_min_i32 s39, s8, s25
	v_cmp_gt_i32_e64 s[8:9], s39, v0
	s_waitcnt lgkmcnt(0)
	v_max_f32_e32 v15, v15, v15
	v_max_f32_e32 v14, v14, v15
	ds_bpermute_b32 v14, v13, v14
	v_mov_b32_e32 v13, 0
	s_and_saveexec_b64 s[12:13], s[8:9]
	s_cbranch_execz .LBB277_29
; %bb.26:
	v_mov_b32_e32 v13, 0x100
	v_lshl_add_u32 v15, v0, 2, v13
	v_mov_b32_e32 v13, 0
	s_mov_b64 s[18:19], 0
	v_mov_b32_e32 v16, v0
.LBB277_27:                             ; =>This Inner Loop Header: Depth=1
	ds_read_b32 v17, v15
	v_add_u32_e32 v16, 0x80, v16
	v_cmp_le_i32_e64 s[10:11], s39, v16
	s_or_b64 s[18:19], s[10:11], s[18:19]
	s_waitcnt lgkmcnt(0)
	v_sub_f32_e32 v17, v17, v14
	v_mul_f32_e32 v17, 0x3fb8aa3b, v17
	v_exp_f32_e32 v17, v17
	ds_write_b32 v15, v17
	v_add_f32_e32 v13, v13, v17
	v_add_u32_e32 v15, 0x200, v15
	s_andn2_b64 exec, exec, s[18:19]
	s_cbranch_execnz .LBB277_27
; %bb.28:
	s_or_b64 exec, exec, s[18:19]
.LBB277_29:
	s_or_b64 exec, exec, s[12:13]
	ds_bpermute_b32 v5, v5, v13
	s_waitcnt lgkmcnt(0)
	v_add_f32_e32 v5, v13, v5
	ds_bpermute_b32 v8, v8, v5
	s_waitcnt lgkmcnt(0)
	v_add_f32_e32 v5, v5, v8
	ds_bpermute_b32 v8, v12, v5
	v_xor_b32_e32 v12, 4, v2
	v_cmp_lt_i32_e64 s[10:11], v12, v3
	s_waitcnt lgkmcnt(0)
	v_add_f32_e32 v5, v5, v8
	v_cndmask_b32_e64 v12, v2, v12, s[10:11]
	v_lshlrev_b32_e32 v12, 2, v12
	ds_bpermute_b32 v8, v12, v5
	v_xor_b32_e32 v12, 2, v2
	v_cmp_lt_i32_e64 s[10:11], v12, v3
	s_waitcnt lgkmcnt(0)
	v_add_f32_e32 v5, v5, v8
	v_cndmask_b32_e64 v3, v2, v12, s[10:11]
	v_lshlrev_b32_e32 v3, 2, v3
	ds_bpermute_b32 v3, v3, v5
	s_waitcnt lgkmcnt(0)
	v_add_f32_e32 v3, v5, v3
	ds_bpermute_b32 v5, v9, v3
	s_waitcnt lgkmcnt(0)
	v_add_f32_e32 v3, v3, v5
	s_and_saveexec_b64 s[10:11], vcc
; %bb.30:
	ds_write_b32 v4, v3 offset:248
; %bb.31:
	s_or_b64 exec, exec, s[10:11]
	s_waitcnt lgkmcnt(0)
	s_barrier
	s_and_saveexec_b64 s[10:11], s[0:1]
; %bb.32:
	ds_read_b32 v3, v7 offset:248
; %bb.33:
	s_or_b64 exec, exec, s[10:11]
	s_waitcnt lgkmcnt(0)
	ds_bpermute_b32 v4, v9, v3
	v_lshlrev_b32_e32 v2, 2, v2
	v_and_b32_e32 v2, 0x100, v2
	s_waitcnt lgkmcnt(0)
	v_add_f32_e32 v3, v3, v4
	ds_bpermute_b32 v2, v2, v3
	s_and_saveexec_b64 s[0:1], s[8:9]
	s_cbranch_execz .LBB277_46
; %bb.34:
	s_waitcnt lgkmcnt(0)
	v_add_f32_e32 v2, 0x358637bd, v2
	v_div_scale_f32 v3, s[8:9], v2, v2, 1.0
	v_rcp_f32_e32 v4, v3
	v_div_scale_f32 v5, vcc, 1.0, v2, 1.0
	s_movk_i32 s8, 0x7f
	v_fma_f32 v7, -v3, v4, 1.0
	v_fmac_f32_e32 v4, v7, v4
	v_mul_f32_e32 v7, v5, v4
	v_fma_f32 v8, -v3, v7, v5
	v_fmac_f32_e32 v7, v8, v4
	v_fma_f32 v3, -v3, v7, v5
	v_div_fmas_f32 v3, v3, v4, v7
	v_xad_u32 v4, v0, -1, s39
	v_div_fixup_f32 v2, v3, v2, 1.0
	v_cmp_lt_u32_e32 vcc, s8, v4
	s_mov_b64 s[10:11], -1
	v_mov_b32_e32 v3, v0
	s_and_saveexec_b64 s[8:9], vcc
	s_cbranch_execz .LBB277_43
; %bb.35:
	v_lshrrev_b32_e32 v4, 7, v4
	v_add_u32_e32 v7, -1, v4
	v_lshrrev_b32_e32 v5, 1, v7
	v_mov_b32_e32 v3, v2
	v_add_u32_e32 v5, 1, v5
	v_cmp_lt_u32_e32 vcc, 13, v7
	v_mov_b32_e32 v9, 0
	s_and_saveexec_b64 s[10:11], vcc
	s_cbranch_execz .LBB277_39
; %bb.36:
	v_mov_b32_e32 v8, 0x100
	v_and_b32_e32 v7, -8, v5
	v_lshl_add_u32 v8, v0, 2, v8
	s_mov_b32 s18, 0
	s_mov_b64 s[12:13], 0
.LBB277_37:                             ; =>This Inner Loop Header: Depth=1
	ds_read2st64_b32 v[12:13], v8 offset1:2
	ds_read2st64_b32 v[14:15], v8 offset0:4 offset1:6
	ds_read2st64_b32 v[16:17], v8 offset0:8 offset1:10
	;; [unrolled: 1-line block ×3, first 2 shown]
	v_add_u32_e32 v7, -8, v7
	s_waitcnt lgkmcnt(3)
	v_pk_mul_f32 v[12:13], v[2:3], v[12:13]
	s_waitcnt lgkmcnt(2)
	v_pk_mul_f32 v[14:15], v[2:3], v[14:15]
	ds_write2st64_b32 v8, v12, v13 offset1:2
	ds_write2st64_b32 v8, v14, v15 offset0:4 offset1:6
	ds_read2st64_b32 v[14:15], v8 offset0:16 offset1:18
	s_waitcnt lgkmcnt(4)
	v_pk_mul_f32 v[12:13], v[2:3], v[16:17]
	ds_write2st64_b32 v8, v12, v13 offset0:8 offset1:10
	s_waitcnt lgkmcnt(4)
	v_pk_mul_f32 v[12:13], v[2:3], v[18:19]
	ds_write2st64_b32 v8, v12, v13 offset0:12 offset1:14
	ds_read2st64_b32 v[12:13], v8 offset0:20 offset1:22
	s_waitcnt lgkmcnt(3)
	v_pk_mul_f32 v[14:15], v[2:3], v[14:15]
	ds_read2st64_b32 v[16:17], v8 offset0:24 offset1:26
	ds_write2st64_b32 v8, v14, v15 offset0:16 offset1:18
	ds_read2st64_b32 v[14:15], v8 offset0:28 offset1:30
	s_waitcnt lgkmcnt(3)
	v_pk_mul_f32 v[12:13], v[2:3], v[12:13]
	ds_write2st64_b32 v8, v12, v13 offset0:20 offset1:22
	s_waitcnt lgkmcnt(3)
	v_pk_mul_f32 v[12:13], v[2:3], v[16:17]
	ds_write2st64_b32 v8, v12, v13 offset0:24 offset1:26
	s_waitcnt lgkmcnt(2)
	v_pk_mul_f32 v[12:13], v[2:3], v[14:15]
	s_add_i32 s18, s18, 16
	v_cmp_eq_u32_e32 vcc, 0, v7
	ds_write2st64_b32 v8, v12, v13 offset0:28 offset1:30
	v_add_u32_e32 v8, 0x2000, v8
	s_or_b64 s[12:13], vcc, s[12:13]
	v_mov_b32_e32 v9, s18
	s_andn2_b64 exec, exec, s[12:13]
	s_cbranch_execnz .LBB277_37
; %bb.38:
	s_or_b64 exec, exec, s[12:13]
.LBB277_39:
	s_or_b64 exec, exec, s[10:11]
	v_and_b32_e32 v5, 7, v5
	v_cmp_ne_u32_e32 vcc, 0, v5
	s_and_saveexec_b64 s[10:11], vcc
	s_cbranch_execz .LBB277_42
; %bb.40:
	v_lshlrev_b32_e32 v7, 9, v9
	v_lshlrev_b32_e32 v8, 2, v0
	s_movk_i32 s12, 0x100
	v_add3_u32 v7, v7, v8, s12
	s_mov_b64 s[12:13], 0
.LBB277_41:                             ; =>This Inner Loop Header: Depth=1
	ds_read2st64_b32 v[8:9], v7 offset1:2
	v_add_u32_e32 v5, -1, v5
	v_cmp_eq_u32_e32 vcc, 0, v5
	s_or_b64 s[12:13], vcc, s[12:13]
	s_waitcnt lgkmcnt(0)
	v_pk_mul_f32 v[8:9], v[2:3], v[8:9]
	ds_write2st64_b32 v7, v8, v9 offset1:2
	v_add_u32_e32 v7, 0x400, v7
	s_andn2_b64 exec, exec, s[12:13]
	s_cbranch_execnz .LBB277_41
.LBB277_42:
	s_or_b64 exec, exec, s[10:11]
	v_add_u32_e32 v4, 1, v4
	v_and_b32_e32 v5, 0x3fffffe, v4
	v_cmp_ne_u32_e32 vcc, v4, v5
	v_lshl_add_u32 v3, v5, 7, v0
	s_orn2_b64 s[10:11], vcc, exec
.LBB277_43:
	s_or_b64 exec, exec, s[8:9]
	s_and_b64 exec, exec, s[10:11]
	s_cbranch_execz .LBB277_46
; %bb.44:
	v_mov_b32_e32 v4, 0x100
	v_lshl_add_u32 v4, v3, 2, v4
	s_mov_b64 s[8:9], 0
.LBB277_45:                             ; =>This Inner Loop Header: Depth=1
	ds_read_b32 v5, v4
	v_add_u32_e32 v3, 0x80, v3
	v_cmp_le_i32_e32 vcc, s39, v3
	s_or_b64 s[8:9], vcc, s[8:9]
	s_waitcnt lgkmcnt(0)
	v_mul_f32_e32 v5, v2, v5
	ds_write_b32 v4, v5
	v_add_u32_e32 v4, 0x200, v4
	s_andn2_b64 exec, exec, s[8:9]
	s_cbranch_execnz .LBB277_45
.LBB277_46:
	s_or_b64 exec, exec, s[0:1]
	v_mov_b32_e32 v13, 0
	v_mov_b32_e32 v12, v13
	s_waitcnt lgkmcnt(0)
	s_barrier
	s_and_saveexec_b64 s[8:9], s[2:3]
	s_cbranch_execz .LBB277_58
; %bb.47:
	s_sub_i32 s21, s16, s21
	s_ashr_i32 s0, s45, 31
	s_add_u32 s10, s36, s45
	s_addc_u32 s11, s37, s0
	s_abs_i32 s22, s22
	v_cvt_f32_u32_e32 v2, s22
	v_or_b32_e32 v3, 64, v24
	s_movk_i32 s0, 0x78
	v_cmp_gt_u32_e32 vcc, s0, v3
	v_rcp_iflag_f32_e32 v2, v2
	s_sub_i32 s0, 0, s22
	s_add_i32 s36, s44, -1
	v_lshlrev_b32_e32 v16, 3, v3
	v_mul_f32_e32 v2, 0x4f7ffffe, v2
	v_cvt_u32_f32_e32 v2, v2
	v_mov_b32_e32 v15, 0
	s_mov_b32 s39, s17
	v_lshlrev_b32_e32 v14, 3, v24
	v_mul_lo_u32 v3, s0, v2
	s_lshl_b64 s[0:1], s[34:35], 2
	v_mul_hi_u32 v3, v2, v3
	s_add_u32 s0, s30, s0
	v_add_u32_e32 v25, v2, v3
	v_and_b32_e32 v2, 60, v6
	v_mov_b32_e32 v3, v15
	s_addc_u32 s1, s31, s1
	v_lshl_add_u64 v[18:19], s[0:1], 0, v[2:3]
	v_mov_b32_e32 v2, 0x100
	v_mov_b32_e32 v17, v15
	v_lshl_add_u32 v26, v1, 5, v2
	s_mov_b64 s[12:13], 0
	v_mov_b32_e32 v12, v15
	v_mov_b32_e32 v13, v15
	s_branch .LBB277_51
.LBB277_48:                             ;   in Loop: Header=BB277_51 Depth=1
	s_or_b64 exec, exec, s[18:19]
	v_cvt_pk_bf16_f32 v6, v6, v7
	v_cvt_pk_bf16_f32 v2, v2, v3
	v_cvt_pk_bf16_f32 v3, v4, v5
	v_lshlrev_b32_e32 v4, 16, v6
	v_lshlrev_b32_e32 v5, 16, v31
	v_cvt_pk_bf16_f32 v7, v8, v9
	v_mul_f32_e32 v4, v4, v5
	v_and_b32_e32 v5, 0xffff0000, v6
	v_lshlrev_b32_e32 v6, 16, v30
	v_mul_f32_e32 v5, v5, v6
	v_lshlrev_b32_e32 v6, 16, v7
	v_lshlrev_b32_e32 v8, 16, v29
	v_mul_f32_e32 v6, v6, v8
	v_and_b32_e32 v7, 0xffff0000, v7
	v_lshlrev_b32_e32 v8, 16, v28
	v_mul_f32_e32 v7, v7, v8
	v_lshlrev_b32_e32 v8, 16, v2
	v_lshlrev_b32_e32 v9, 16, v27
	v_mul_f32_e32 v8, v8, v9
	v_and_b32_e32 v2, 0xffff0000, v2
	v_lshlrev_b32_e32 v9, 16, v23
	v_mul_f32_e32 v2, v2, v9
	v_cvt_pk_bf16_f32 v9, v2, s0
	v_lshlrev_b32_e32 v2, 16, v3
	v_lshlrev_b32_e32 v21, 16, v21
	v_mul_f32_e32 v2, v2, v21
	v_cvt_pk_bf16_f32 v21, v2, s0
	v_and_b32_e32 v2, 0xffff0000, v3
	v_lshlrev_b32_e32 v3, 16, v20
	v_cvt_pk_bf16_f32 v4, v4, s0
	v_cvt_pk_bf16_f32 v5, v5, s0
	;; [unrolled: 1-line block ×4, first 2 shown]
	v_mul_f32_e32 v2, v2, v3
	v_cvt_pk_bf16_f32 v8, v8, s0
	v_cvt_pk_bf16_f32 v20, v2, s0
	v_lshlrev_b32_e32 v3, 16, v5
	v_lshlrev_b32_e32 v5, 16, v4
	;; [unrolled: 1-line block ×4, first 2 shown]
	v_pk_add_f32 v[2:3], v[4:5], v[2:3]
	v_lshlrev_b32_e32 v5, 16, v9
	v_lshlrev_b32_e32 v7, 16, v8
	;; [unrolled: 1-line block ×4, first 2 shown]
	v_pk_add_f32 v[4:5], v[6:7], v[4:5]
	v_add_f32_e32 v2, v2, v3
	v_add_f32_e32 v2, v5, v2
	;; [unrolled: 1-line block ×3, first 2 shown]
	v_pk_add_f32 v[12:13], v[12:13], v[2:3] op_sel_hi:[1,0]
.LBB277_49:                             ;   in Loop: Header=BB277_51 Depth=1
	s_or_b64 exec, exec, s[2:3]
	v_mov_b32_e32 v12, v22
.LBB277_50:                             ;   in Loop: Header=BB277_51 Depth=1
	s_or_b64 exec, exec, s[16:17]
	v_add_u32_e32 v1, 2, v1
	v_cmp_le_i32_e64 s[0:1], s44, v1
	v_lshl_add_u64 v[18:19], v[18:19], 0, 8
	v_add_u32_e32 v11, 16, v11
	s_or_b64 s[12:13], s[0:1], s[12:13]
	v_add_u32_e32 v26, 64, v26
	s_andn2_b64 exec, exec, s[12:13]
	s_cbranch_execz .LBB277_57
.LBB277_51:                             ; =>This Inner Loop Header: Depth=1
	v_mul_hi_u32 v2, v11, s33
	v_mul_lo_u32 v3, v2, s27
	v_sub_u32_e32 v3, v11, v3
	v_add_u32_e32 v4, 1, v2
	v_cmp_le_u32_e64 s[0:1], s27, v3
	s_nop 1
	v_cndmask_b32_e64 v2, v2, v4, s[0:1]
	v_subrev_u32_e32 v4, s27, v3
	v_cndmask_b32_e64 v3, v3, v4, s[0:1]
	v_add_u32_e32 v4, 1, v2
	v_cmp_le_u32_e64 s[0:1], s27, v3
	s_nop 1
	v_cndmask_b32_e64 v2, v2, v4, s[0:1]
	v_xor_b32_e32 v2, s23, v2
	v_subrev_u32_e32 v2, s23, v2
	v_add_u32_e32 v3, s38, v2
	v_sub_u32_e32 v5, 0, v3
	v_ashrrev_i32_e32 v4, 31, v3
	v_max_i32_e32 v3, v3, v5
	v_mul_hi_u32 v5, v3, v25
	v_mul_lo_u32 v5, v5, s22
	v_sub_u32_e32 v3, v3, v5
	v_subrev_u32_e32 v5, s22, v3
	v_cmp_le_u32_e64 s[0:1], s22, v3
	v_cmp_lt_i32_e64 s[2:3], s21, v2
	s_nop 0
	v_cndmask_b32_e64 v3, v3, v5, s[0:1]
	v_subrev_u32_e32 v5, s22, v3
	v_cmp_le_u32_e64 s[0:1], s22, v3
	s_nop 1
	v_cndmask_b32_e64 v3, v3, v5, s[0:1]
	v_xor_b32_e32 v3, v3, v4
	v_sub_u32_e32 v3, v3, v4
	v_cmp_eq_u32_e64 s[0:1], 0, v3
	s_or_b64 s[0:1], s[0:1], s[2:3]
	s_and_saveexec_b64 s[16:17], s[0:1]
	s_cbranch_execz .LBB277_50
; %bb.52:                               ;   in Loop: Header=BB277_51 Depth=1
	global_load_dword v4, v[18:19], off
	v_mov_b64_e32 v[2:3], s[10:11]
	s_waitcnt vmcnt(0)
	v_mad_i64_i32 v[20:21], s[0:1], v4, s39, v[2:3]
	v_lshl_add_u64 v[2:3], v[20:21], 0, v[14:15]
	global_load_dwordx2 v[22:23], v[2:3], off
	ds_read2_b64 v[6:9], v26 offset1:1
	ds_read2_b64 v[2:5], v26 offset0:2 offset1:3
	s_load_dword s30, s[14:15], 0x0
	v_cmp_eq_u32_e64 s[0:1], s36, v1
	s_waitcnt vmcnt(0)
	v_and_b32_e32 v27, 0xff, v22
	v_bfe_u32 v28, v22, 8, 8
	v_bfe_u32 v29, v22, 16, 8
	v_lshrrev_b32_e32 v22, 24, v22
	v_and_b32_e32 v30, 0xff, v23
	v_bfe_u32 v31, v23, 8, 8
	v_bfe_u32 v32, v23, 16, 8
	v_lshrrev_b32_e32 v23, 24, v23
	v_cvt_f32_fp8_e32 v27, v27
	v_cvt_f32_fp8_e32 v28, v28
	;; [unrolled: 1-line block ×8, first 2 shown]
	s_waitcnt lgkmcnt(0)
	v_mul_f32_e32 v27, s30, v27
	v_mul_f32_e32 v28, s30, v28
	;; [unrolled: 1-line block ×8, first 2 shown]
	v_cvt_pk_bf16_f32 v32, v27, s0
	v_cvt_pk_bf16_f32 v31, v28, s0
	;; [unrolled: 1-line block ×8, first 2 shown]
	s_and_saveexec_b64 s[18:19], s[0:1]
	s_cbranch_execz .LBB277_54
; %bb.53:                               ;   in Loop: Header=BB277_51 Depth=1
	v_cmp_gt_i32_e64 s[2:3], s25, v11
	v_add_u32_e32 v33, 1, v11
	s_nop 0
	v_cndmask_b32_e64 v32, 0, v32, s[2:3]
	v_cmp_gt_i32_e64 s[2:3], s25, v33
	v_add_u32_e32 v33, 2, v11
	s_nop 0
	v_cndmask_b32_e64 v31, 0, v31, s[2:3]
	;; [unrolled: 4-line block ×7, first 2 shown]
	v_cmp_gt_i32_e64 s[2:3], s25, v33
	s_nop 1
	v_cndmask_b32_e64 v22, 0, v22, s[2:3]
.LBB277_54:                             ;   in Loop: Header=BB277_51 Depth=1
	s_or_b64 exec, exec, s[18:19]
	v_cvt_pk_bf16_f32 v33, v6, s0
	v_cvt_pk_bf16_f32 v34, v7, s0
	v_lshlrev_b32_e32 v33, 16, v33
	v_lshlrev_b32_e32 v32, 16, v32
	v_cvt_pk_bf16_f32 v35, v8, s0
	v_mul_f32_e32 v32, v33, v32
	v_lshlrev_b32_e32 v33, 16, v34
	v_lshlrev_b32_e32 v31, 16, v31
	v_cvt_pk_bf16_f32 v36, v9, s0
	v_mul_f32_e32 v31, v33, v31
	v_lshlrev_b32_e32 v33, 16, v35
	v_lshlrev_b32_e32 v30, 16, v30
	v_mul_f32_e32 v30, v33, v30
	v_lshlrev_b32_e32 v33, 16, v36
	v_lshlrev_b32_e32 v29, 16, v29
	v_cvt_pk_bf16_f32 v37, v2, s0
	v_mul_f32_e32 v29, v33, v29
	v_cvt_pk_bf16_f32 v33, v29, s0
	v_lshlrev_b32_e32 v29, 16, v37
	v_lshlrev_b32_e32 v28, 16, v28
	v_cvt_pk_bf16_f32 v38, v3, s0
	v_mul_f32_e32 v28, v29, v28
	v_cvt_pk_bf16_f32 v39, v4, s0
	v_cvt_pk_bf16_f32 v34, v28, s0
	v_lshlrev_b32_e32 v28, 16, v38
	v_lshlrev_b32_e32 v27, 16, v27
	v_mul_f32_e32 v27, v28, v27
	v_lshlrev_b32_e32 v28, 16, v39
	v_lshlrev_b32_e32 v23, 16, v23
	v_cvt_pk_bf16_f32 v40, v5, s0
	v_mul_f32_e32 v23, v28, v23
	v_cvt_pk_bf16_f32 v35, v23, s0
	v_lshlrev_b32_e32 v23, 16, v40
	v_lshlrev_b32_e32 v22, 16, v22
	v_cvt_pk_bf16_f32 v32, v32, s0
	v_cvt_pk_bf16_f32 v31, v31, s0
	;; [unrolled: 1-line block ×3, first 2 shown]
	v_mul_f32_e32 v22, v23, v22
	v_cvt_pk_bf16_f32 v27, v27, s0
	v_cvt_pk_bf16_f32 v36, v22, s0
	v_lshlrev_b32_e32 v23, 16, v31
	v_lshlrev_b32_e32 v29, 16, v32
	;; [unrolled: 1-line block ×4, first 2 shown]
	v_pk_add_f32 v[22:23], v[28:29], v[22:23]
	v_lshlrev_b32_e32 v29, 16, v27
	v_lshlrev_b32_e32 v31, 16, v34
	;; [unrolled: 1-line block ×4, first 2 shown]
	v_pk_add_f32 v[22:23], v[22:23], v[22:23] op_sel:[0,1] op_sel_hi:[1,0]
	v_pk_add_f32 v[28:29], v[30:31], v[28:29]
	s_nop 0
	v_pk_add_f32 v[22:23], v[28:29], v[22:23] op_sel:[1,0] op_sel_hi:[0,1]
	v_pk_add_f32 v[22:23], v[28:29], v[22:23]
	s_nop 0
	v_pk_add_f32 v[22:23], v[12:13], v[22:23]
	s_and_saveexec_b64 s[2:3], vcc
	s_cbranch_execz .LBB277_49
; %bb.55:                               ;   in Loop: Header=BB277_51 Depth=1
	v_lshl_add_u64 v[20:21], v[20:21], 0, v[16:17]
	global_load_dwordx2 v[20:21], v[20:21], off
	s_waitcnt vmcnt(0)
	v_and_b32_e32 v23, 0xff, v20
	v_bfe_u32 v27, v20, 8, 8
	v_bfe_u32 v28, v20, 16, 8
	v_lshrrev_b32_e32 v20, 24, v20
	v_and_b32_e32 v29, 0xff, v21
	v_bfe_u32 v30, v21, 8, 8
	v_bfe_u32 v31, v21, 16, 8
	v_lshrrev_b32_e32 v21, 24, v21
	v_cvt_f32_fp8_e32 v23, v23
	v_cvt_f32_fp8_e32 v27, v27
	v_cvt_f32_fp8_e32 v28, v28
	v_cvt_f32_fp8_e32 v20, v20
	v_cvt_f32_fp8_e32 v29, v29
	v_cvt_f32_fp8_e32 v30, v30
	v_cvt_f32_fp8_e32 v31, v31
	v_cvt_f32_fp8_e32 v21, v21
	v_mul_f32_e32 v23, s30, v23
	v_mul_f32_e32 v27, s30, v27
	;; [unrolled: 1-line block ×8, first 2 shown]
	v_cvt_pk_bf16_f32 v31, v23, s0
	v_cvt_pk_bf16_f32 v30, v27, s0
	;; [unrolled: 1-line block ×8, first 2 shown]
	s_and_saveexec_b64 s[18:19], s[0:1]
	s_cbranch_execz .LBB277_48
; %bb.56:                               ;   in Loop: Header=BB277_51 Depth=1
	v_cmp_gt_i32_e64 s[0:1], s25, v11
	v_add_u32_e32 v32, 1, v11
	s_nop 0
	v_cndmask_b32_e64 v31, 0, v31, s[0:1]
	v_cmp_gt_i32_e64 s[0:1], s25, v32
	v_add_u32_e32 v32, 2, v11
	s_nop 0
	v_cndmask_b32_e64 v30, 0, v30, s[0:1]
	v_cmp_gt_i32_e64 s[0:1], s25, v32
	v_add_u32_e32 v32, 3, v11
	s_nop 0
	v_cndmask_b32_e64 v29, 0, v29, s[0:1]
	v_cmp_gt_i32_e64 s[0:1], s25, v32
	v_add_u32_e32 v32, 4, v11
	s_nop 0
	v_cndmask_b32_e64 v28, 0, v28, s[0:1]
	v_cmp_gt_i32_e64 s[0:1], s25, v32
	v_add_u32_e32 v32, 5, v11
	s_nop 0
	v_cndmask_b32_e64 v27, 0, v27, s[0:1]
	v_cmp_gt_i32_e64 s[0:1], s25, v32
	v_add_u32_e32 v32, 6, v11
	s_nop 0
	v_cndmask_b32_e64 v23, 0, v23, s[0:1]
	v_cmp_gt_i32_e64 s[0:1], s25, v32
	v_add_u32_e32 v32, 7, v11
	s_nop 0
	v_cndmask_b32_e64 v21, 0, v21, s[0:1]
	v_cmp_gt_i32_e64 s[0:1], s25, v32
	s_nop 1
	v_cndmask_b32_e64 v20, 0, v20, s[0:1]
	s_branch .LBB277_48
.LBB277_57:
	s_or_b64 exec, exec, s[12:13]
.LBB277_58:
	s_or_b64 exec, exec, s[8:9]
	v_and_b32_e32 v1, 0x3c0, v0
	v_cmp_eq_u32_e32 vcc, 64, v1
	s_barrier
	s_and_saveexec_b64 s[0:1], vcc
	s_cbranch_execz .LBB277_61
; %bb.59:
	v_mov_b32_e32 v1, 0x100
	v_lshl_add_u32 v2, v24, 2, v1
	ds_write_b32 v2, v12
	s_and_b64 exec, exec, s[6:7]
; %bb.60:
	v_lshl_add_u32 v1, v0, 2, v1
	ds_write_b32 v1, v13
.LBB277_61:
	s_or_b64 exec, exec, s[0:1]
	v_cmp_gt_u32_e32 vcc, 64, v0
	v_or_b32_e32 v1, 64, v0
	s_waitcnt lgkmcnt(0)
	s_barrier
	s_and_saveexec_b64 s[2:3], vcc
	s_cbranch_execz .LBB277_65
; %bb.62:
	v_mov_b32_e32 v2, 0x100
	v_lshl_add_u32 v2, v0, 2, v2
	ds_read_b32 v0, v2
	s_movk_i32 s0, 0x78
	v_cmp_gt_u32_e64 s[0:1], s0, v1
	s_and_saveexec_b64 s[6:7], s[0:1]
	s_cbranch_execz .LBB277_64
; %bb.63:
	ds_read_b32 v2, v2 offset:256
	s_waitcnt lgkmcnt(0)
	v_add_f32_e32 v13, v13, v2
.LBB277_64:
	s_or_b64 exec, exec, s[6:7]
	s_waitcnt lgkmcnt(0)
	v_add_f32_e32 v12, v12, v0
.LBB277_65:
	s_or_b64 exec, exec, s[2:3]
	s_barrier
	s_and_saveexec_b64 s[0:1], vcc
	s_cbranch_execz .LBB277_68
; %bb.66:
	s_mul_i32 s0, s24, s20
	s_mul_i32 s0, s0, s5
	s_mulk_i32 s0, 0x78
	s_ashr_i32 s1, s0, 31
	s_lshl_b64 s[0:1], s[0:1], 1
	s_add_u32 s3, s28, s0
	s_mul_i32 s0, s20, s26
	s_addc_u32 s5, s29, s1
	s_ashr_i32 s1, s0, 31
	s_lshl_b64 s[0:1], s[0:1], 1
	s_add_u32 s3, s3, s0
	s_mul_i32 s0, s4, 0x78
	s_addc_u32 s5, s5, s1
	s_ashr_i32 s1, s0, 31
	s_lshl_b64 s[0:1], s[0:1], 1
	s_movk_i32 s2, 0x78
	s_add_u32 s0, s3, s0
	s_addc_u32 s1, s5, s1
	v_cvt_pk_bf16_f32 v0, v12, s0
	v_cmp_gt_u32_e32 vcc, s2, v1
	global_store_short v10, v0, s[0:1]
	s_and_b64 exec, exec, vcc
	s_cbranch_execz .LBB277_68
; %bb.67:
	v_mov_b32_e32 v11, 0
	v_lshl_add_u64 v[0:1], s[0:1], 0, v[10:11]
	v_cvt_pk_bf16_f32 v2, v13, s0
	global_store_short v[0:1], v2, off offset:128
.LBB277_68:
	s_endpgm
	.section	.rodata,"a",@progbits
	.p2align	6, 0x0
	.amdhsa_kernel _ZN4vllm25paged_attention_v1_kernelI14__hip_bfloat16hLi120ELi8ELi128ELNS_18Fp8KVCacheDataTypeE1ELb1EEEvPT_PKS3_PKT0_S9_ifPKiSB_iPKfiiiSD_SD_iiiii
		.amdhsa_group_segment_fixed_size 256
		.amdhsa_private_segment_fixed_size 0
		.amdhsa_kernarg_size 384
		.amdhsa_user_sgpr_count 2
		.amdhsa_user_sgpr_dispatch_ptr 0
		.amdhsa_user_sgpr_queue_ptr 0
		.amdhsa_user_sgpr_kernarg_segment_ptr 1
		.amdhsa_user_sgpr_dispatch_id 0
		.amdhsa_user_sgpr_kernarg_preload_length 0
		.amdhsa_user_sgpr_kernarg_preload_offset 0
		.amdhsa_user_sgpr_private_segment_size 0
		.amdhsa_uses_dynamic_stack 0
		.amdhsa_enable_private_segment 0
		.amdhsa_system_sgpr_workgroup_id_x 1
		.amdhsa_system_sgpr_workgroup_id_y 1
		.amdhsa_system_sgpr_workgroup_id_z 1
		.amdhsa_system_sgpr_workgroup_info 0
		.amdhsa_system_vgpr_workitem_id 0
		.amdhsa_next_free_vgpr 55
		.amdhsa_next_free_sgpr 50
		.amdhsa_accum_offset 56
		.amdhsa_reserve_vcc 1
		.amdhsa_float_round_mode_32 0
		.amdhsa_float_round_mode_16_64 0
		.amdhsa_float_denorm_mode_32 3
		.amdhsa_float_denorm_mode_16_64 3
		.amdhsa_dx10_clamp 1
		.amdhsa_ieee_mode 1
		.amdhsa_fp16_overflow 0
		.amdhsa_tg_split 0
		.amdhsa_exception_fp_ieee_invalid_op 0
		.amdhsa_exception_fp_denorm_src 0
		.amdhsa_exception_fp_ieee_div_zero 0
		.amdhsa_exception_fp_ieee_overflow 0
		.amdhsa_exception_fp_ieee_underflow 0
		.amdhsa_exception_fp_ieee_inexact 0
		.amdhsa_exception_int_div_zero 0
	.end_amdhsa_kernel
	.section	.text._ZN4vllm25paged_attention_v1_kernelI14__hip_bfloat16hLi120ELi8ELi128ELNS_18Fp8KVCacheDataTypeE1ELb1EEEvPT_PKS3_PKT0_S9_ifPKiSB_iPKfiiiSD_SD_iiiii,"axG",@progbits,_ZN4vllm25paged_attention_v1_kernelI14__hip_bfloat16hLi120ELi8ELi128ELNS_18Fp8KVCacheDataTypeE1ELb1EEEvPT_PKS3_PKT0_S9_ifPKiSB_iPKfiiiSD_SD_iiiii,comdat
.Lfunc_end277:
	.size	_ZN4vllm25paged_attention_v1_kernelI14__hip_bfloat16hLi120ELi8ELi128ELNS_18Fp8KVCacheDataTypeE1ELb1EEEvPT_PKS3_PKT0_S9_ifPKiSB_iPKfiiiSD_SD_iiiii, .Lfunc_end277-_ZN4vllm25paged_attention_v1_kernelI14__hip_bfloat16hLi120ELi8ELi128ELNS_18Fp8KVCacheDataTypeE1ELb1EEEvPT_PKS3_PKT0_S9_ifPKiSB_iPKfiiiSD_SD_iiiii
                                        ; -- End function
	.set _ZN4vllm25paged_attention_v1_kernelI14__hip_bfloat16hLi120ELi8ELi128ELNS_18Fp8KVCacheDataTypeE1ELb1EEEvPT_PKS3_PKT0_S9_ifPKiSB_iPKfiiiSD_SD_iiiii.num_vgpr, 55
	.set _ZN4vllm25paged_attention_v1_kernelI14__hip_bfloat16hLi120ELi8ELi128ELNS_18Fp8KVCacheDataTypeE1ELb1EEEvPT_PKS3_PKT0_S9_ifPKiSB_iPKfiiiSD_SD_iiiii.num_agpr, 0
	.set _ZN4vllm25paged_attention_v1_kernelI14__hip_bfloat16hLi120ELi8ELi128ELNS_18Fp8KVCacheDataTypeE1ELb1EEEvPT_PKS3_PKT0_S9_ifPKiSB_iPKfiiiSD_SD_iiiii.numbered_sgpr, 50
	.set _ZN4vllm25paged_attention_v1_kernelI14__hip_bfloat16hLi120ELi8ELi128ELNS_18Fp8KVCacheDataTypeE1ELb1EEEvPT_PKS3_PKT0_S9_ifPKiSB_iPKfiiiSD_SD_iiiii.num_named_barrier, 0
	.set _ZN4vllm25paged_attention_v1_kernelI14__hip_bfloat16hLi120ELi8ELi128ELNS_18Fp8KVCacheDataTypeE1ELb1EEEvPT_PKS3_PKT0_S9_ifPKiSB_iPKfiiiSD_SD_iiiii.private_seg_size, 0
	.set _ZN4vllm25paged_attention_v1_kernelI14__hip_bfloat16hLi120ELi8ELi128ELNS_18Fp8KVCacheDataTypeE1ELb1EEEvPT_PKS3_PKT0_S9_ifPKiSB_iPKfiiiSD_SD_iiiii.uses_vcc, 1
	.set _ZN4vllm25paged_attention_v1_kernelI14__hip_bfloat16hLi120ELi8ELi128ELNS_18Fp8KVCacheDataTypeE1ELb1EEEvPT_PKS3_PKT0_S9_ifPKiSB_iPKfiiiSD_SD_iiiii.uses_flat_scratch, 0
	.set _ZN4vllm25paged_attention_v1_kernelI14__hip_bfloat16hLi120ELi8ELi128ELNS_18Fp8KVCacheDataTypeE1ELb1EEEvPT_PKS3_PKT0_S9_ifPKiSB_iPKfiiiSD_SD_iiiii.has_dyn_sized_stack, 0
	.set _ZN4vllm25paged_attention_v1_kernelI14__hip_bfloat16hLi120ELi8ELi128ELNS_18Fp8KVCacheDataTypeE1ELb1EEEvPT_PKS3_PKT0_S9_ifPKiSB_iPKfiiiSD_SD_iiiii.has_recursion, 0
	.set _ZN4vllm25paged_attention_v1_kernelI14__hip_bfloat16hLi120ELi8ELi128ELNS_18Fp8KVCacheDataTypeE1ELb1EEEvPT_PKS3_PKT0_S9_ifPKiSB_iPKfiiiSD_SD_iiiii.has_indirect_call, 0
	.section	.AMDGPU.csdata,"",@progbits
; Kernel info:
; codeLenInByte = 5768
; TotalNumSgprs: 56
; NumVgprs: 55
; NumAgprs: 0
; TotalNumVgprs: 55
; ScratchSize: 0
; MemoryBound: 0
; FloatMode: 240
; IeeeMode: 1
; LDSByteSize: 256 bytes/workgroup (compile time only)
; SGPRBlocks: 6
; VGPRBlocks: 6
; NumSGPRsForWavesPerEU: 56
; NumVGPRsForWavesPerEU: 55
; AccumOffset: 56
; Occupancy: 8
; WaveLimiterHint : 1
; COMPUTE_PGM_RSRC2:SCRATCH_EN: 0
; COMPUTE_PGM_RSRC2:USER_SGPR: 2
; COMPUTE_PGM_RSRC2:TRAP_HANDLER: 0
; COMPUTE_PGM_RSRC2:TGID_X_EN: 1
; COMPUTE_PGM_RSRC2:TGID_Y_EN: 1
; COMPUTE_PGM_RSRC2:TGID_Z_EN: 1
; COMPUTE_PGM_RSRC2:TIDIG_COMP_CNT: 0
; COMPUTE_PGM_RSRC3_GFX90A:ACCUM_OFFSET: 13
; COMPUTE_PGM_RSRC3_GFX90A:TG_SPLIT: 0
	.section	.text._ZN4vllm25paged_attention_v1_kernelI14__hip_bfloat16hLi128ELi8ELi128ELNS_18Fp8KVCacheDataTypeE1ELb1EEEvPT_PKS3_PKT0_S9_ifPKiSB_iPKfiiiSD_SD_iiiii,"axG",@progbits,_ZN4vllm25paged_attention_v1_kernelI14__hip_bfloat16hLi128ELi8ELi128ELNS_18Fp8KVCacheDataTypeE1ELb1EEEvPT_PKS3_PKT0_S9_ifPKiSB_iPKfiiiSD_SD_iiiii,comdat
	.protected	_ZN4vllm25paged_attention_v1_kernelI14__hip_bfloat16hLi128ELi8ELi128ELNS_18Fp8KVCacheDataTypeE1ELb1EEEvPT_PKS3_PKT0_S9_ifPKiSB_iPKfiiiSD_SD_iiiii ; -- Begin function _ZN4vllm25paged_attention_v1_kernelI14__hip_bfloat16hLi128ELi8ELi128ELNS_18Fp8KVCacheDataTypeE1ELb1EEEvPT_PKS3_PKT0_S9_ifPKiSB_iPKfiiiSD_SD_iiiii
	.globl	_ZN4vllm25paged_attention_v1_kernelI14__hip_bfloat16hLi128ELi8ELi128ELNS_18Fp8KVCacheDataTypeE1ELb1EEEvPT_PKS3_PKT0_S9_ifPKiSB_iPKfiiiSD_SD_iiiii
	.p2align	8
	.type	_ZN4vllm25paged_attention_v1_kernelI14__hip_bfloat16hLi128ELi8ELi128ELNS_18Fp8KVCacheDataTypeE1ELb1EEEvPT_PKS3_PKT0_S9_ifPKiSB_iPKfiiiSD_SD_iiiii,@function
_ZN4vllm25paged_attention_v1_kernelI14__hip_bfloat16hLi128ELi8ELi128ELNS_18Fp8KVCacheDataTypeE1ELb1EEEvPT_PKS3_PKT0_S9_ifPKiSB_iPKfiiiSD_SD_iiiii: ; @_ZN4vllm25paged_attention_v1_kernelI14__hip_bfloat16hLi128ELi8ELi128ELNS_18Fp8KVCacheDataTypeE1ELb1EEEvPT_PKS3_PKT0_S9_ifPKiSB_iPKfiiiSD_SD_iiiii
; %bb.0:
	s_load_dword s5, s[0:1], 0x80
	s_load_dwordx2 s[6:7], s[0:1], 0x30
	s_load_dwordx2 s[36:37], s[0:1], 0x20
	s_mov_b32 s10, s3
	s_ashr_i32 s11, s3, 31
	s_lshl_b64 s[8:9], s[10:11], 2
	s_waitcnt lgkmcnt(0)
	s_add_u32 s6, s6, s8
	s_addc_u32 s7, s7, s9
	s_abs_i32 s3, s36
	v_cvt_f32_u32_e32 v1, s3
	s_sub_i32 s11, 0, s3
	s_abs_i32 s9, s5
	s_xor_b32 s8, s5, s36
	v_rcp_iflag_f32_e32 v1, v1
	s_ashr_i32 s8, s8, 31
	s_mov_b32 s44, 0
	v_mul_f32_e32 v1, 0x4f7ffffe, v1
	v_cvt_u32_f32_e32 v1, v1
	s_nop 0
	v_readfirstlane_b32 s12, v1
	s_mul_i32 s11, s11, s12
	s_mul_hi_u32 s11, s12, s11
	s_add_i32 s12, s12, s11
	s_mul_hi_u32 s11, s9, s12
	s_mul_i32 s12, s11, s3
	s_sub_i32 s9, s9, s12
	s_add_i32 s12, s11, 1
	s_sub_i32 s13, s9, s3
	s_cmp_ge_u32 s9, s3
	s_cselect_b32 s11, s12, s11
	s_cselect_b32 s9, s13, s9
	s_add_i32 s12, s11, 1
	s_cmp_ge_u32 s9, s3
	s_cselect_b32 s3, s12, s11
	s_xor_b32 s3, s3, s8
	s_sub_i32 s15, s3, s8
	s_abs_i32 s12, s15
	v_cvt_f32_u32_e32 v1, s12
	s_load_dwordx2 s[8:9], s[0:1], 0x40
	s_sub_i32 s3, 0, s12
	s_abs_i32 s13, s2
	v_rcp_iflag_f32_e32 v1, v1
	s_nop 0
	v_mul_f32_e32 v1, 0x4f7ffffe, v1
	v_cvt_u32_f32_e32 v1, v1
	s_nop 0
	v_readfirstlane_b32 s11, v1
	s_mul_i32 s3, s3, s11
	s_mul_hi_u32 s3, s11, s3
	s_add_i32 s11, s11, s3
	s_waitcnt lgkmcnt(0)
	s_cmp_eq_u64 s[8:9], 0
	s_mul_hi_u32 s14, s13, s11
	s_cbranch_scc1 .LBB278_2
; %bb.1:
	s_ashr_i32 s3, s2, 31
	s_lshl_b64 s[16:17], s[2:3], 2
	s_add_u32 s8, s8, s16
	s_addc_u32 s9, s9, s17
	s_load_dword s44, s[8:9], 0x0
.LBB278_2:
	s_load_dword s11, s[6:7], 0x0
	s_load_dwordx4 s[16:19], s[0:1], 0x48
	s_movk_i32 s3, 0x80
	s_ashr_i32 s8, s2, 31
	s_ashr_i32 s9, s15, 31
	v_and_b32_e32 v2, 7, v0
	s_lshl_b32 s24, s2, 7
	v_cmp_gt_u32_e32 vcc, s3, v0
	v_lshlrev_b32_e32 v1, 1, v0
	s_and_saveexec_b64 s[6:7], vcc
	s_cbranch_execz .LBB278_4
; %bb.3:
	s_load_dwordx2 s[20:21], s[0:1], 0x8
	s_waitcnt lgkmcnt(0)
	s_mul_i32 s22, s16, s10
	s_ashr_i32 s23, s22, 31
	s_lshl_b64 s[22:23], s[22:23], 1
	v_lshrrev_b32_e32 v4, 2, v0
	s_add_u32 s3, s20, s22
	s_addc_u32 s15, s21, s23
	s_ashr_i32 s25, s24, 31
	s_lshl_b64 s[20:21], s[24:25], 1
	s_add_u32 s20, s3, s20
	s_addc_u32 s21, s15, s21
	global_load_ushort v3, v1, s[20:21]
	v_and_b32_e32 v4, 0xfe, v4
	v_lshl_add_u32 v4, v2, 5, v4
	s_waitcnt vmcnt(0)
	ds_write_b16 v4, v3
.LBB278_4:
	s_or_b64 exec, exec, s[6:7]
	s_mul_i32 s7, s14, s12
	s_sub_i32 s7, s13, s7
	s_xor_b32 s6, s8, s9
	s_add_i32 s8, s14, 1
	s_sub_i32 s9, s7, s12
	s_load_dwordx4 s[20:23], s[0:1], 0x68
	s_load_dword s3, s[0:1], 0x78
	s_cmp_ge_u32 s7, s12
	s_cselect_b32 s8, s8, s14
	s_cselect_b32 s7, s9, s7
	s_add_i32 s9, s8, 1
	s_cmp_ge_u32 s7, s12
	s_cselect_b32 s7, s9, s8
	s_waitcnt lgkmcnt(0)
	s_abs_i32 s25, s23
	v_cvt_f32_u32_e32 v3, s25
	s_xor_b32 s7, s7, s6
	s_sub_i32 s43, s7, s6
	s_sub_i32 s6, 0, s25
	v_rcp_iflag_f32_e32 v3, v3
	s_add_i32 s12, s11, -1
	s_abs_i32 s8, s12
	v_mul_f32_e32 v3, 0x4f7ffffe, v3
	v_cvt_u32_f32_e32 v3, v3
	s_barrier
	v_readfirstlane_b32 s33, v3
	s_mul_i32 s6, s6, s33
	s_mul_hi_u32 s6, s33, s6
	s_add_i32 s33, s33, s6
	s_cmp_lt_i32 s3, 0
	s_mul_hi_u32 s9, s8, s33
	s_cbranch_scc0 .LBB278_6
; %bb.5:
	s_mul_i32 s6, s20, s36
	s_add_i32 s6, s43, s6
	s_mul_i32 s6, s6, s3
	s_sub_i32 s36, 1, s6
	s_mov_b64 s[6:7], 0
	s_branch .LBB278_7
.LBB278_6:
	s_mov_b64 s[6:7], -1
                                        ; implicit-def: $sgpr36
.LBB278_7:
	s_load_dwordx2 s[28:29], s[0:1], 0x28
	s_ashr_i32 s19, s12, 31
	s_andn2_b64 vcc, exec, s[6:7]
	s_ashr_i32 s23, s23, 31
	s_cbranch_vccnz .LBB278_9
; %bb.8:
	s_mul_i32 s6, s5, s20
	s_add_i32 s2, s6, s2
	s_mul_i32 s2, s2, s3
	s_add_i32 s36, s2, 1
.LBB278_9:
	s_load_dword s2, s[0:1], 0x38
	s_load_dwordx2 s[26:27], s[0:1], 0x0
	s_load_dwordx2 s[34:35], s[0:1], 0x18
	s_load_dword s16, s[0:1], 0x88
	s_load_dwordx4 s[12:15], s[0:1], 0x58
	s_mul_i32 s3, s9, s25
	s_waitcnt lgkmcnt(0)
	s_mul_i32 s30, s2, s10
	s_sub_i32 s3, s8, s3
	s_ashr_i32 s31, s30, 31
	s_xor_b32 s2, s19, s23
	s_add_i32 s6, s9, 1
	s_sub_i32 s7, s3, s25
	s_cmp_ge_u32 s3, s25
	s_cselect_b32 s6, s6, s9
	s_cselect_b32 s3, s7, s3
	s_add_i32 s7, s6, 1
	s_cmp_ge_u32 s3, s25
	s_cselect_b32 s3, s7, s6
	s_xor_b32 s3, s3, s2
	s_sub_i32 s42, s3, s2
	s_add_i32 s2, s11, 7
	s_ashr_i32 s3, s2, 31
	s_lshr_b32 s3, s3, 29
	s_add_i32 s2, s2, s3
	s_ashr_i32 s20, s2, 3
	v_lshrrev_b32_e32 v18, 6, v0
	v_cmp_gt_i32_e64 s[6:7], s20, v18
	v_mov_b32_e32 v10, 0xff7fffff
	s_mul_i32 s43, s43, s18
	v_lshrrev_b32_e32 v6, 4, v0
	v_lshlrev_b32_e32 v19, 3, v18
	v_mbcnt_lo_u32_b32 v7, -1, 0
	s_and_saveexec_b64 s[18:19], s[6:7]
	s_cbranch_execz .LBB278_21
; %bb.10:
	s_load_dwordx2 s[0:1], s[0:1], 0x10
	s_sub_i32 s45, s42, s21
	s_ashr_i32 s2, s43, 31
	v_bfe_u32 v8, v0, 3, 3
	v_mov_b32_e32 v5, 0
	s_waitcnt lgkmcnt(0)
	s_add_u32 s0, s0, s43
	s_addc_u32 s1, s1, s2
	s_abs_i32 s46, s22
	v_cvt_f32_u32_e32 v3, s46
	v_lshlrev_b32_e32 v4, 4, v8
	v_lshl_add_u64 v[12:13], s[0:1], 0, v[4:5]
	s_sub_i32 s0, 0, s46
	v_rcp_iflag_f32_e32 v3, v3
	v_cmp_eq_u32_e32 vcc, 0, v2
	v_lshlrev_b32_e32 v9, 5, v2
	v_mbcnt_hi_u32_b32 v16, -1, v7
	v_mul_f32_e32 v3, 0x4f7ffffe, v3
	v_cvt_u32_f32_e32 v10, v3
	v_mov_b32_e32 v3, v5
	v_lshl_add_u64 v[2:3], v[12:13], 0, v[2:3]
	s_mov_b32 s47, s17
	v_mul_lo_u32 v4, s0, v10
	v_mul_hi_u32 v4, v10, v4
	v_add_u32_e32 v11, v10, v4
	v_subrev_u32_e32 v10, s11, v8
	s_lshl_b64 s[0:1], s[30:31], 2
	v_add_u32_e32 v13, 1, v10
	v_lshlrev_b32_e32 v10, 2, v8
	s_add_u32 s0, s28, s0
	v_lshl_or_b32 v10, v18, 5, v10
	v_and_b32_e32 v4, 60, v6
	s_addc_u32 s1, s29, s1
	v_add_u32_e32 v14, 0x110, v10
	v_and_b32_e32 v10, 64, v16
	v_cmp_neq_f32_e64 s[2:3], s44, 0
	v_lshl_add_u64 v[4:5], s[0:1], 0, v[4:5]
	v_lshlrev_b32_e32 v12, 3, v18
	v_mov_b32_e32 v15, 0xff7fffff
	s_mov_b64 s[38:39], 0
	v_add_u32_e32 v17, 64, v10
	v_xor_b32_e32 v20, 4, v16
	v_xor_b32_e32 v21, 2, v16
	;; [unrolled: 1-line block ×3, first 2 shown]
	v_mov_b32_e32 v10, 0xff7fffff
	v_mov_b32_e32 v23, v18
	s_branch .LBB278_13
.LBB278_11:                             ;   in Loop: Header=BB278_13 Depth=1
	s_or_b64 exec, exec, s[40:41]
.LBB278_12:                             ;   in Loop: Header=BB278_13 Depth=1
	s_or_b64 exec, exec, s[8:9]
	v_add_u32_e32 v23, 2, v23
	v_cmp_le_i32_e64 s[0:1], s20, v23
	v_lshl_add_u64 v[4:5], v[4:5], 0, 8
	v_add_u32_e32 v12, 16, v12
	s_or_b64 s[38:39], s[0:1], s[38:39]
	v_add_u32_e32 v14, 64, v14
	s_andn2_b64 exec, exec, s[38:39]
	s_cbranch_execz .LBB278_20
.LBB278_13:                             ; =>This Inner Loop Header: Depth=1
	v_mul_hi_u32 v24, v12, s33
	s_waitcnt lgkmcnt(0)
	v_mul_lo_u32 v25, v24, s25
	v_sub_u32_e32 v25, v12, v25
	v_add_u32_e32 v26, 1, v24
	v_cmp_le_u32_e64 s[0:1], s25, v25
	s_nop 1
	v_cndmask_b32_e64 v24, v24, v26, s[0:1]
	v_subrev_u32_e32 v26, s25, v25
	v_cndmask_b32_e64 v25, v25, v26, s[0:1]
	v_add_u32_e32 v26, 1, v24
	v_cmp_le_u32_e64 s[0:1], s25, v25
	s_nop 1
	v_cndmask_b32_e64 v24, v24, v26, s[0:1]
	v_xor_b32_e32 v24, s23, v24
	v_subrev_u32_e32 v24, s23, v24
	v_add_u32_e32 v25, s36, v24
	v_sub_u32_e32 v27, 0, v25
	v_ashrrev_i32_e32 v26, 31, v25
	v_max_i32_e32 v25, v25, v27
	v_mul_hi_u32 v27, v25, v11
	v_mul_lo_u32 v27, v27, s46
	v_sub_u32_e32 v25, v25, v27
	v_subrev_u32_e32 v27, s46, v25
	v_cmp_le_u32_e64 s[0:1], s46, v25
	v_cmp_ge_i32_e64 s[8:9], s45, v24
	s_nop 0
	v_cndmask_b32_e64 v25, v25, v27, s[0:1]
	v_subrev_u32_e32 v27, s46, v25
	v_cmp_le_u32_e64 s[0:1], s46, v25
	s_nop 1
	v_cndmask_b32_e64 v25, v25, v27, s[0:1]
	v_xor_b32_e32 v25, v25, v26
	v_sub_u32_e32 v25, v25, v26
	v_cmp_ne_u32_e64 s[0:1], 0, v25
	s_and_b64 s[0:1], s[0:1], s[8:9]
	s_and_saveexec_b64 s[8:9], s[0:1]
	s_xor_b64 s[0:1], exec, s[8:9]
	s_cbranch_execz .LBB278_17
; %bb.14:                               ;   in Loop: Header=BB278_13 Depth=1
	s_and_saveexec_b64 s[8:9], vcc
; %bb.15:                               ;   in Loop: Header=BB278_13 Depth=1
	ds_write_b32 v14, v15
; %bb.16:                               ;   in Loop: Header=BB278_13 Depth=1
	s_or_b64 exec, exec, s[8:9]
.LBB278_17:                             ;   in Loop: Header=BB278_13 Depth=1
	s_andn2_saveexec_b64 s[8:9], s[0:1]
	s_cbranch_execz .LBB278_12
; %bb.18:                               ;   in Loop: Header=BB278_13 Depth=1
	global_load_dword v24, v[4:5], off
	s_waitcnt vmcnt(0)
	v_mad_i64_i32 v[24:25], s[0:1], v24, s47, v[2:3]
	global_load_ubyte v32, v[24:25], off
	global_load_ubyte v33, v[24:25], off offset:8
	global_load_ubyte v34, v[24:25], off offset:128
	;; [unrolled: 1-line block ×15, first 2 shown]
	v_cmp_lt_i32_e64 s[0:1], v20, v17
	ds_read_b128 v[24:27], v9
	ds_read_b128 v[28:31], v9 offset:16
	v_cndmask_b32_e64 v48, v16, v20, s[0:1]
	s_load_dword s0, s[12:13], 0x0
	v_lshlrev_b32_e32 v48, 2, v48
	s_waitcnt lgkmcnt(0)
	v_lshlrev_b32_e32 v49, 16, v24
	v_and_b32_e32 v24, 0xffff0000, v24
	v_lshlrev_b32_e32 v50, 16, v25
	v_and_b32_e32 v25, 0xffff0000, v25
	;; [unrolled: 2-line block ×8, first 2 shown]
	s_waitcnt vmcnt(15)
	v_cvt_f32_fp8_e32 v32, v32
	s_waitcnt vmcnt(14)
	v_cvt_f32_fp8_e32 v33, v33
	;; [unrolled: 2-line block ×5, first 2 shown]
	v_mul_f32_e32 v33, s0, v33
	s_waitcnt vmcnt(10)
	v_cvt_f32_fp8_e32 v37, v37
	v_mul_f32_e32 v32, s0, v32
	v_cvt_pk_bf16_f32 v33, v33, s0
	s_waitcnt vmcnt(9)
	v_cvt_f32_fp8_e32 v38, v38
	v_mul_f32_e32 v34, s0, v34
	v_cvt_pk_bf16_f32 v32, v32, s0
	v_lshlrev_b32_e32 v33, 16, v33
	s_waitcnt vmcnt(8)
	v_cvt_f32_fp8_e32 v39, v39
	v_mul_f32_e32 v35, s0, v35
	v_cvt_pk_bf16_f32 v34, v34, s0
	v_lshlrev_b32_e32 v32, 16, v32
	v_mul_f32_e32 v24, v24, v33
	s_waitcnt vmcnt(7)
	v_cvt_f32_fp8_e32 v40, v40
	v_mul_f32_e32 v36, s0, v36
	v_cvt_pk_bf16_f32 v35, v35, s0
	v_lshlrev_b32_e32 v34, 16, v34
	v_fmac_f32_e32 v24, v49, v32
	s_waitcnt vmcnt(6)
	v_cvt_f32_fp8_e32 v41, v41
	v_mul_f32_e32 v37, s0, v37
	v_cvt_pk_bf16_f32 v36, v36, s0
	v_lshlrev_b32_e32 v35, 16, v35
	v_fmac_f32_e32 v24, v50, v34
	;; [unrolled: 6-line block ×8, first 2 shown]
	v_mul_f32_e32 v44, s0, v44
	v_cvt_pk_bf16_f32 v43, v43, s0
	v_lshlrev_b32_e32 v42, 16, v42
	v_fmac_f32_e32 v24, v28, v41
	v_mul_f32_e32 v45, s0, v45
	v_cvt_pk_bf16_f32 v44, v44, s0
	v_lshlrev_b32_e32 v43, 16, v43
	v_fmac_f32_e32 v24, v54, v42
	;; [unrolled: 4-line block ×4, first 2 shown]
	v_cvt_pk_bf16_f32 v47, v47, s0
	v_lshlrev_b32_e32 v46, 16, v46
	v_fmac_f32_e32 v24, v30, v45
	v_fmac_f32_e32 v24, v56, v46
	v_lshlrev_b32_e32 v25, 16, v47
	v_fmac_f32_e32 v24, v31, v25
	ds_bpermute_b32 v25, v48, v24
	v_cmp_lt_i32_e64 s[0:1], v21, v17
	s_waitcnt lgkmcnt(0)
	v_add_f32_e32 v24, v24, v25
	v_cndmask_b32_e64 v26, v16, v21, s[0:1]
	v_lshlrev_b32_e32 v26, 2, v26
	ds_bpermute_b32 v25, v26, v24
	v_cmp_lt_i32_e64 s[0:1], v22, v17
	s_waitcnt lgkmcnt(0)
	v_add_f32_e32 v24, v24, v25
	v_cndmask_b32_e64 v26, v16, v22, s[0:1]
	v_lshlrev_b32_e32 v26, 2, v26
	ds_bpermute_b32 v25, v26, v24
	s_and_saveexec_b64 s[40:41], vcc
	s_cbranch_execz .LBB278_11
; %bb.19:                               ;   in Loop: Header=BB278_13 Depth=1
	v_add_u32_e32 v26, v13, v12
	v_cvt_f32_i32_e32 v26, v26
	s_waitcnt lgkmcnt(0)
	v_add_f32_e32 v24, v24, v25
	v_add_u32_e32 v27, v8, v12
	v_cmp_gt_i32_e64 s[0:1], s11, v27
	v_mul_f32_e32 v25, s44, v26
	v_cndmask_b32_e64 v25, 0, v25, s[2:3]
	v_fmac_f32_e32 v25, s37, v24
	v_cndmask_b32_e64 v24, 0, v25, s[0:1]
	ds_write_b32 v14, v24
	v_max_f32_e32 v24, v10, v10
	v_max_f32_e32 v24, v24, v25
	v_cndmask_b32_e64 v10, v10, v24, s[0:1]
	s_branch .LBB278_11
.LBB278_20:
	s_or_b64 exec, exec, s[38:39]
.LBB278_21:
	s_or_b64 exec, exec, s[18:19]
	v_mbcnt_hi_u32_b32 v2, -1, v7
	v_and_b32_e32 v11, 64, v2
	v_add_u32_e32 v3, 64, v11
	v_xor_b32_e32 v4, 32, v2
	v_cmp_lt_i32_e32 vcc, v4, v3
	v_xor_b32_e32 v8, 16, v2
	v_max_f32_e32 v7, v10, v10
	v_cndmask_b32_e32 v4, v2, v4, vcc
	v_lshlrev_b32_e32 v5, 2, v4
	ds_bpermute_b32 v4, v5, v10
	v_cmp_lt_i32_e32 vcc, v8, v3
	v_xor_b32_e32 v9, 8, v2
	v_and_b32_e32 v20, 63, v0
	s_waitcnt lgkmcnt(0)
	v_max_f32_e32 v4, v4, v4
	v_max_f32_e32 v4, v7, v4
	v_cndmask_b32_e32 v7, v2, v8, vcc
	v_lshlrev_b32_e32 v8, 2, v7
	ds_bpermute_b32 v7, v8, v4
	v_cmp_lt_i32_e32 vcc, v9, v3
	s_waitcnt lgkmcnt(0)
	v_max_f32_e32 v7, v7, v7
	v_max_f32_e32 v7, v4, v7
	v_cndmask_b32_e32 v4, v2, v9, vcc
	v_lshlrev_b32_e32 v10, 2, v4
	ds_bpermute_b32 v9, v10, v7
	v_cmp_eq_u32_e32 vcc, 0, v20
	v_lshlrev_b32_e32 v4, 2, v18
	s_and_saveexec_b64 s[0:1], vcc
	s_cbranch_execz .LBB278_23
; %bb.22:
	s_waitcnt lgkmcnt(0)
	v_max_f32_e32 v9, v9, v9
	v_max_f32_e32 v7, v7, v7
	;; [unrolled: 1-line block ×3, first 2 shown]
	ds_write_b32 v4, v7 offset:256
.LBB278_23:
	s_or_b64 exec, exec, s[0:1]
	v_cmp_gt_u32_e64 s[0:1], 2, v20
	v_mov_b32_e32 v12, 0xff7fffff
	v_lshlrev_b32_e32 v7, 2, v20
	s_waitcnt lgkmcnt(0)
	s_barrier
	s_and_saveexec_b64 s[2:3], s[0:1]
; %bb.24:
	ds_read_b32 v12, v7 offset:256
; %bb.25:
	s_or_b64 exec, exec, s[2:3]
	v_xor_b32_e32 v9, 1, v2
	v_cmp_lt_i32_e64 s[2:3], v9, v3
	v_lshlrev_b32_e32 v11, 2, v11
	s_nop 0
	v_cndmask_b32_e64 v9, v2, v9, s[2:3]
	v_lshlrev_b32_e32 v9, 2, v9
	s_waitcnt lgkmcnt(0)
	ds_bpermute_b32 v13, v9, v12
	v_max_f32_e32 v12, v12, v12
	s_lshl_b32 s2, s20, 3
	s_min_i32 s37, s2, s11
	v_cmp_gt_i32_e64 s[2:3], s37, v0
	s_waitcnt lgkmcnt(0)
	v_max_f32_e32 v13, v13, v13
	v_max_f32_e32 v12, v12, v13
	ds_bpermute_b32 v12, v11, v12
	v_mov_b32_e32 v11, 0
	s_and_saveexec_b64 s[12:13], s[2:3]
	s_cbranch_execz .LBB278_29
; %bb.26:
	v_mov_b32_e32 v11, 0x110
	v_lshl_add_u32 v13, v0, 2, v11
	v_mov_b32_e32 v11, 0
	s_mov_b64 s[18:19], 0
	v_mov_b32_e32 v14, v0
.LBB278_27:                             ; =>This Inner Loop Header: Depth=1
	ds_read_b32 v15, v13
	v_add_u32_e32 v14, 0x80, v14
	v_cmp_le_i32_e64 s[8:9], s37, v14
	s_or_b64 s[18:19], s[8:9], s[18:19]
	s_waitcnt lgkmcnt(0)
	v_sub_f32_e32 v15, v15, v12
	v_mul_f32_e32 v15, 0x3fb8aa3b, v15
	v_exp_f32_e32 v15, v15
	ds_write_b32 v13, v15
	v_add_f32_e32 v11, v11, v15
	v_add_u32_e32 v13, 0x200, v13
	s_andn2_b64 exec, exec, s[18:19]
	s_cbranch_execnz .LBB278_27
; %bb.28:
	s_or_b64 exec, exec, s[18:19]
.LBB278_29:
	s_or_b64 exec, exec, s[12:13]
	ds_bpermute_b32 v5, v5, v11
	s_waitcnt lgkmcnt(0)
	v_add_f32_e32 v5, v11, v5
	ds_bpermute_b32 v8, v8, v5
	s_waitcnt lgkmcnt(0)
	v_add_f32_e32 v5, v5, v8
	ds_bpermute_b32 v8, v10, v5
	v_xor_b32_e32 v10, 4, v2
	v_cmp_lt_i32_e64 s[8:9], v10, v3
	s_waitcnt lgkmcnt(0)
	v_add_f32_e32 v5, v5, v8
	v_cndmask_b32_e64 v10, v2, v10, s[8:9]
	v_lshlrev_b32_e32 v10, 2, v10
	ds_bpermute_b32 v8, v10, v5
	v_xor_b32_e32 v10, 2, v2
	v_cmp_lt_i32_e64 s[8:9], v10, v3
	s_waitcnt lgkmcnt(0)
	v_add_f32_e32 v5, v5, v8
	v_cndmask_b32_e64 v3, v2, v10, s[8:9]
	v_lshlrev_b32_e32 v3, 2, v3
	ds_bpermute_b32 v3, v3, v5
	s_waitcnt lgkmcnt(0)
	v_add_f32_e32 v3, v5, v3
	ds_bpermute_b32 v5, v9, v3
	s_waitcnt lgkmcnt(0)
	v_add_f32_e32 v3, v3, v5
	s_and_saveexec_b64 s[8:9], vcc
; %bb.30:
	ds_write_b32 v4, v3 offset:264
; %bb.31:
	s_or_b64 exec, exec, s[8:9]
	s_waitcnt lgkmcnt(0)
	s_barrier
	s_and_saveexec_b64 s[8:9], s[0:1]
; %bb.32:
	ds_read_b32 v3, v7 offset:264
; %bb.33:
	s_or_b64 exec, exec, s[8:9]
	s_waitcnt lgkmcnt(0)
	ds_bpermute_b32 v4, v9, v3
	v_lshlrev_b32_e32 v2, 2, v2
	v_and_b32_e32 v2, 0x100, v2
	s_waitcnt lgkmcnt(0)
	v_add_f32_e32 v3, v3, v4
	ds_bpermute_b32 v2, v2, v3
	s_and_saveexec_b64 s[0:1], s[2:3]
	s_cbranch_execz .LBB278_46
; %bb.34:
	s_waitcnt lgkmcnt(0)
	v_add_f32_e32 v2, 0x358637bd, v2
	v_div_scale_f32 v3, s[2:3], v2, v2, 1.0
	v_rcp_f32_e32 v4, v3
	v_div_scale_f32 v5, vcc, 1.0, v2, 1.0
	s_movk_i32 s2, 0x7f
	v_fma_f32 v7, -v3, v4, 1.0
	v_fmac_f32_e32 v4, v7, v4
	v_mul_f32_e32 v7, v5, v4
	v_fma_f32 v8, -v3, v7, v5
	v_fmac_f32_e32 v7, v8, v4
	v_fma_f32 v3, -v3, v7, v5
	v_div_fmas_f32 v3, v3, v4, v7
	v_xad_u32 v4, v0, -1, s37
	v_div_fixup_f32 v2, v3, v2, 1.0
	v_cmp_lt_u32_e32 vcc, s2, v4
	s_mov_b64 s[8:9], -1
	v_mov_b32_e32 v3, v0
	s_and_saveexec_b64 s[2:3], vcc
	s_cbranch_execz .LBB278_43
; %bb.35:
	v_lshrrev_b32_e32 v4, 7, v4
	v_add_u32_e32 v7, -1, v4
	v_lshrrev_b32_e32 v5, 1, v7
	v_mov_b32_e32 v3, v2
	v_add_u32_e32 v5, 1, v5
	v_cmp_lt_u32_e32 vcc, 13, v7
	v_mov_b32_e32 v9, 0
	s_and_saveexec_b64 s[8:9], vcc
	s_cbranch_execz .LBB278_39
; %bb.36:
	v_mov_b32_e32 v8, 0x110
	v_and_b32_e32 v7, -8, v5
	v_lshl_add_u32 v8, v0, 2, v8
	s_mov_b32 s18, 0
	s_mov_b64 s[12:13], 0
.LBB278_37:                             ; =>This Inner Loop Header: Depth=1
	ds_read2st64_b32 v[10:11], v8 offset1:2
	ds_read2st64_b32 v[12:13], v8 offset0:4 offset1:6
	ds_read2st64_b32 v[14:15], v8 offset0:8 offset1:10
	;; [unrolled: 1-line block ×3, first 2 shown]
	v_add_u32_e32 v7, -8, v7
	s_waitcnt lgkmcnt(3)
	v_pk_mul_f32 v[10:11], v[2:3], v[10:11]
	s_waitcnt lgkmcnt(2)
	v_pk_mul_f32 v[12:13], v[2:3], v[12:13]
	ds_write2st64_b32 v8, v10, v11 offset1:2
	ds_write2st64_b32 v8, v12, v13 offset0:4 offset1:6
	ds_read2st64_b32 v[12:13], v8 offset0:16 offset1:18
	s_waitcnt lgkmcnt(4)
	v_pk_mul_f32 v[10:11], v[2:3], v[14:15]
	ds_write2st64_b32 v8, v10, v11 offset0:8 offset1:10
	s_waitcnt lgkmcnt(4)
	v_pk_mul_f32 v[10:11], v[2:3], v[16:17]
	ds_write2st64_b32 v8, v10, v11 offset0:12 offset1:14
	ds_read2st64_b32 v[10:11], v8 offset0:20 offset1:22
	s_waitcnt lgkmcnt(3)
	v_pk_mul_f32 v[12:13], v[2:3], v[12:13]
	ds_read2st64_b32 v[14:15], v8 offset0:24 offset1:26
	ds_write2st64_b32 v8, v12, v13 offset0:16 offset1:18
	ds_read2st64_b32 v[12:13], v8 offset0:28 offset1:30
	s_waitcnt lgkmcnt(3)
	v_pk_mul_f32 v[10:11], v[2:3], v[10:11]
	ds_write2st64_b32 v8, v10, v11 offset0:20 offset1:22
	s_waitcnt lgkmcnt(3)
	v_pk_mul_f32 v[10:11], v[2:3], v[14:15]
	ds_write2st64_b32 v8, v10, v11 offset0:24 offset1:26
	s_waitcnt lgkmcnt(2)
	v_pk_mul_f32 v[10:11], v[2:3], v[12:13]
	s_add_i32 s18, s18, 16
	v_cmp_eq_u32_e32 vcc, 0, v7
	ds_write2st64_b32 v8, v10, v11 offset0:28 offset1:30
	v_add_u32_e32 v8, 0x2000, v8
	s_or_b64 s[12:13], vcc, s[12:13]
	v_mov_b32_e32 v9, s18
	s_andn2_b64 exec, exec, s[12:13]
	s_cbranch_execnz .LBB278_37
; %bb.38:
	s_or_b64 exec, exec, s[12:13]
.LBB278_39:
	s_or_b64 exec, exec, s[8:9]
	v_and_b32_e32 v5, 7, v5
	v_cmp_ne_u32_e32 vcc, 0, v5
	s_and_saveexec_b64 s[8:9], vcc
	s_cbranch_execz .LBB278_42
; %bb.40:
	v_lshlrev_b32_e32 v7, 9, v9
	v_lshlrev_b32_e32 v8, 2, v0
	s_movk_i32 s12, 0x110
	v_add3_u32 v7, v7, v8, s12
	s_mov_b64 s[12:13], 0
.LBB278_41:                             ; =>This Inner Loop Header: Depth=1
	ds_read2st64_b32 v[8:9], v7 offset1:2
	v_add_u32_e32 v5, -1, v5
	v_cmp_eq_u32_e32 vcc, 0, v5
	s_or_b64 s[12:13], vcc, s[12:13]
	s_waitcnt lgkmcnt(0)
	v_pk_mul_f32 v[8:9], v[2:3], v[8:9]
	ds_write2st64_b32 v7, v8, v9 offset1:2
	v_add_u32_e32 v7, 0x400, v7
	s_andn2_b64 exec, exec, s[12:13]
	s_cbranch_execnz .LBB278_41
.LBB278_42:
	s_or_b64 exec, exec, s[8:9]
	v_add_u32_e32 v4, 1, v4
	v_and_b32_e32 v5, 0x3fffffe, v4
	v_cmp_ne_u32_e32 vcc, v4, v5
	v_lshl_add_u32 v3, v5, 7, v0
	s_orn2_b64 s[8:9], vcc, exec
.LBB278_43:
	s_or_b64 exec, exec, s[2:3]
	s_and_b64 exec, exec, s[8:9]
	s_cbranch_execz .LBB278_46
; %bb.44:
	v_mov_b32_e32 v4, 0x110
	v_lshl_add_u32 v4, v3, 2, v4
	s_mov_b64 s[2:3], 0
.LBB278_45:                             ; =>This Inner Loop Header: Depth=1
	ds_read_b32 v5, v4
	v_add_u32_e32 v3, 0x80, v3
	v_cmp_le_i32_e32 vcc, s37, v3
	s_or_b64 s[2:3], vcc, s[2:3]
	s_waitcnt lgkmcnt(0)
	v_mul_f32_e32 v5, v2, v5
	ds_write_b32 v4, v5
	v_add_u32_e32 v4, 0x200, v4
	s_andn2_b64 exec, exec, s[2:3]
	s_cbranch_execnz .LBB278_45
.LBB278_46:
	s_or_b64 exec, exec, s[0:1]
	v_mov_b32_e32 v10, 0
	v_mov_b32_e32 v11, v10
	s_waitcnt lgkmcnt(0)
	s_barrier
	s_and_saveexec_b64 s[2:3], s[6:7]
	s_cbranch_execz .LBB278_56
; %bb.47:
	s_sub_i32 s18, s42, s21
	s_ashr_i32 s1, s43, 31
	s_add_u32 s0, s34, s43
	s_addc_u32 s1, s35, s1
	s_abs_i32 s19, s22
	v_cvt_f32_u32_e32 v2, s19
	v_mov_b32_e32 v3, v10
	s_add_i32 s21, s20, -1
	v_and_b32_e32 v4, 60, v6
	v_rcp_iflag_f32_e32 v5, v2
	v_lshlrev_b32_e32 v2, 3, v20
	v_lshl_add_u64 v[12:13], s[0:1], 0, v[2:3]
	s_sub_i32 s0, 0, s19
	v_mul_f32_e32 v5, 0x4f7ffffe, v5
	v_cvt_u32_f32_e32 v5, v5
	v_mov_b32_e32 v11, v10
	s_mov_b64 s[6:7], 0
	v_mul_lo_u32 v2, s0, v5
	s_lshl_b64 s[0:1], s[30:31], 2
	v_mul_hi_u32 v2, v5, v2
	s_add_u32 s0, s28, s0
	v_add_u32_e32 v21, v5, v2
	v_mov_b32_e32 v5, v10
	s_addc_u32 s1, s29, s1
	v_mov_b32_e32 v2, 0x110
	v_lshl_add_u64 v[14:15], s[0:1], 0, v[4:5]
	v_lshl_add_u32 v22, v18, 5, v2
	s_branch .LBB278_50
.LBB278_48:                             ;   in Loop: Header=BB278_50 Depth=1
	s_or_b64 exec, exec, s[0:1]
	v_cvt_pk_bf16_f32 v6, v6, s0
	v_cvt_pk_bf16_f32 v8, v8, s0
	v_cvt_pk_bf16_f32 v2, v2, s0
	v_lshlrev_b32_e32 v31, 16, v6
	v_lshlrev_b32_e32 v6, 16, v29
	;; [unrolled: 1-line block ×6, first 2 shown]
	v_cvt_pk_bf16_f32 v5, v5, s0
	v_mul_f32_e32 v2, v27, v2
	v_cvt_pk_bf16_f32 v7, v7, s0
	v_cvt_pk_bf16_f32 v25, v2, s0
	v_lshlrev_b32_e32 v5, 16, v5
	v_lshlrev_b32_e32 v2, 16, v24
	v_cvt_pk_bf16_f32 v9, v9, s0
	v_cvt_pk_bf16_f32 v4, v4, s0
	v_lshlrev_b32_e32 v7, 16, v7
	v_lshlrev_b32_e32 v30, 16, v30
	v_mul_f32_e32 v2, v5, v2
	v_cvt_pk_bf16_f32 v3, v3, s0
	v_mul_f32_e32 v30, v7, v30
	v_mul_f32_e32 v6, v31, v6
	v_lshlrev_b32_e32 v9, 16, v9
	v_lshlrev_b32_e32 v28, 16, v28
	v_cvt_pk_bf16_f32 v24, v2, s0
	v_lshlrev_b32_e32 v32, 16, v4
	v_lshlrev_b32_e32 v2, 16, v23
	v_cvt_pk_bf16_f32 v30, v30, s0
	v_cvt_pk_bf16_f32 v6, v6, s0
	v_mul_f32_e32 v28, v9, v28
	v_mul_f32_e32 v8, v29, v8
	v_lshlrev_b32_e32 v3, 16, v3
	v_lshlrev_b32_e32 v26, 16, v26
	v_mul_f32_e32 v2, v32, v2
	v_cvt_pk_bf16_f32 v28, v28, s0
	v_cvt_pk_bf16_f32 v8, v8, s0
	v_mul_f32_e32 v26, v3, v26
	v_cvt_pk_bf16_f32 v23, v2, s0
	v_lshlrev_b32_e32 v2, 16, v6
	v_lshlrev_b32_e32 v4, 16, v30
	v_cvt_pk_bf16_f32 v26, v26, s0
	v_add_f32_e32 v2, v4, v2
	v_lshlrev_b32_e32 v4, 16, v8
	v_lshlrev_b32_e32 v6, 16, v28
	v_add_f32_e32 v4, v6, v4
	v_lshlrev_b32_e32 v6, 16, v25
	v_lshlrev_b32_e32 v8, 16, v26
	v_lshlrev_b32_e32 v25, 16, v40
	v_add_f32_e32 v6, v8, v6
	v_lshlrev_b32_e32 v8, 16, v23
	v_lshlrev_b32_e32 v23, 16, v24
	;; [unrolled: 1-line block ×3, first 2 shown]
	v_mul_f32_e32 v9, v9, v25
	v_lshlrev_b32_e32 v25, 16, v39
	v_add_f32_e32 v8, v23, v8
	v_lshlrev_b32_e32 v23, 16, v43
	v_mul_f32_e32 v7, v7, v24
	v_lshlrev_b32_e32 v24, 16, v41
	v_mul_f32_e32 v25, v27, v25
	v_mul_f32_e32 v23, v31, v23
	;; [unrolled: 1-line block ×3, first 2 shown]
	v_cvt_pk_bf16_f32 v26, v25, s0
	v_lshlrev_b32_e32 v25, 16, v38
	v_lshlrev_b32_e32 v17, 16, v17
	;; [unrolled: 1-line block ×3, first 2 shown]
	v_cvt_pk_bf16_f32 v23, v23, s0
	v_cvt_pk_bf16_f32 v7, v7, s0
	;; [unrolled: 1-line block ×4, first 2 shown]
	v_mul_f32_e32 v3, v3, v25
	v_mul_f32_e32 v17, v32, v17
	v_mul_f32_e32 v5, v5, v16
	v_cvt_pk_bf16_f32 v3, v3, s0
	v_cvt_pk_bf16_f32 v28, v17, s0
	;; [unrolled: 1-line block ×3, first 2 shown]
	v_lshlrev_b32_e32 v17, 16, v7
	v_lshlrev_b32_e32 v25, 16, v23
	;; [unrolled: 1-line block ×4, first 2 shown]
	v_pk_add_f32 v[16:17], v[24:25], v[16:17]
	v_lshlrev_b32_e32 v25, 16, v3
	v_lshlrev_b32_e32 v27, 16, v26
	;; [unrolled: 1-line block ×4, first 2 shown]
	v_pk_add_f32 v[24:25], v[26:27], v[24:25]
	v_mov_b32_e32 v5, v16
	v_mov_b32_e32 v3, v17
	;; [unrolled: 1-line block ×3, first 2 shown]
	v_pk_add_f32 v[2:3], v[4:5], v[2:3]
	v_mov_b32_e32 v9, v24
	v_pk_add_f32 v[2:3], v[6:7], v[2:3]
	s_nop 0
	v_pk_add_f32 v[2:3], v[8:9], v[2:3]
	s_nop 0
	v_pk_add_f32 v[10:11], v[10:11], v[2:3]
.LBB278_49:                             ;   in Loop: Header=BB278_50 Depth=1
	s_or_b64 exec, exec, s[8:9]
	v_add_u32_e32 v18, 2, v18
	v_cmp_le_i32_e32 vcc, s20, v18
	v_lshl_add_u64 v[14:15], v[14:15], 0, 8
	v_add_u32_e32 v19, 16, v19
	s_or_b64 s[6:7], vcc, s[6:7]
	v_add_u32_e32 v22, 64, v22
	s_andn2_b64 exec, exec, s[6:7]
	s_cbranch_execz .LBB278_55
.LBB278_50:                             ; =>This Inner Loop Header: Depth=1
	v_mul_hi_u32 v2, v19, s33
	v_mul_lo_u32 v3, v2, s25
	v_sub_u32_e32 v3, v19, v3
	v_add_u32_e32 v4, 1, v2
	v_cmp_le_u32_e32 vcc, s25, v3
	s_nop 1
	v_cndmask_b32_e32 v2, v2, v4, vcc
	v_subrev_u32_e32 v4, s25, v3
	v_cndmask_b32_e32 v3, v3, v4, vcc
	v_add_u32_e32 v4, 1, v2
	v_cmp_le_u32_e32 vcc, s25, v3
	s_nop 1
	v_cndmask_b32_e32 v2, v2, v4, vcc
	v_xor_b32_e32 v2, s23, v2
	v_subrev_u32_e32 v2, s23, v2
	v_add_u32_e32 v3, s36, v2
	v_sub_u32_e32 v5, 0, v3
	v_ashrrev_i32_e32 v4, 31, v3
	v_max_i32_e32 v3, v3, v5
	v_mul_hi_u32 v5, v3, v21
	v_mul_lo_u32 v5, v5, s19
	v_sub_u32_e32 v3, v3, v5
	v_subrev_u32_e32 v5, s19, v3
	v_cmp_le_u32_e32 vcc, s19, v3
	v_cmp_lt_i32_e64 s[0:1], s18, v2
	s_nop 0
	v_cndmask_b32_e32 v3, v3, v5, vcc
	v_subrev_u32_e32 v5, s19, v3
	v_cmp_le_u32_e32 vcc, s19, v3
	s_nop 1
	v_cndmask_b32_e32 v3, v3, v5, vcc
	v_xor_b32_e32 v3, v3, v4
	v_sub_u32_e32 v3, v3, v4
	v_cmp_eq_u32_e32 vcc, 0, v3
	s_or_b64 s[0:1], vcc, s[0:1]
	s_and_saveexec_b64 s[8:9], s[0:1]
	s_cbranch_execz .LBB278_49
; %bb.51:                               ;   in Loop: Header=BB278_50 Depth=1
	global_load_dword v2, v[14:15], off
	v_cmp_eq_u32_e32 vcc, s21, v18
	v_add_u32_e32 v36, 1, v19
	v_add_u32_e32 v35, 2, v19
	;; [unrolled: 1-line block ×6, first 2 shown]
	s_waitcnt vmcnt(0)
	v_mad_i64_i32 v[16:17], s[0:1], v2, s17, v[12:13]
	global_load_dwordx2 v[24:25], v[16:17], off
	ds_read2_b64 v[6:9], v22 offset1:1
	ds_read2_b64 v[2:5], v22 offset0:2 offset1:3
	s_load_dword s22, s[14:15], 0x0
	s_waitcnt vmcnt(0)
	v_and_b32_e32 v23, 0xff, v24
	v_bfe_u32 v26, v24, 8, 8
	v_bfe_u32 v27, v24, 16, 8
	v_lshrrev_b32_e32 v24, 24, v24
	v_and_b32_e32 v28, 0xff, v25
	v_bfe_u32 v29, v25, 8, 8
	v_bfe_u32 v30, v25, 16, 8
	v_lshrrev_b32_e32 v25, 24, v25
	v_cvt_f32_fp8_e32 v23, v23
	v_cvt_f32_fp8_e32 v26, v26
	;; [unrolled: 1-line block ×8, first 2 shown]
	s_waitcnt lgkmcnt(0)
	v_mul_f32_e32 v23, s22, v23
	v_mul_f32_e32 v26, s22, v26
	;; [unrolled: 1-line block ×8, first 2 shown]
	v_cvt_pk_bf16_f32 v29, v23, s0
	v_cvt_pk_bf16_f32 v30, v26, s0
	v_cvt_pk_bf16_f32 v27, v27, s0
	v_cvt_pk_bf16_f32 v28, v24, s0
	v_cvt_pk_bf16_f32 v25, v37, s0
	v_cvt_pk_bf16_f32 v26, v38, s0
	v_cvt_pk_bf16_f32 v23, v39, s0
	v_cvt_pk_bf16_f32 v24, v40, s0
	v_add_u32_e32 v37, 7, v19
	s_and_saveexec_b64 s[12:13], vcc
	s_cbranch_execz .LBB278_53
; %bb.52:                               ;   in Loop: Header=BB278_50 Depth=1
	v_cmp_gt_i32_e64 s[0:1], s11, v19
	s_nop 1
	v_cndmask_b32_e64 v29, 0, v29, s[0:1]
	v_cmp_gt_i32_e64 s[0:1], s11, v36
	s_nop 1
	v_cndmask_b32_e64 v30, 0, v30, s[0:1]
	;; [unrolled: 3-line block ×8, first 2 shown]
.LBB278_53:                             ;   in Loop: Header=BB278_50 Depth=1
	s_or_b64 exec, exec, s[12:13]
	global_load_dwordx2 v[16:17], v[16:17], off offset:512
	s_waitcnt vmcnt(0)
	v_and_b32_e32 v38, 0xff, v16
	v_bfe_u32 v39, v16, 8, 8
	v_bfe_u32 v40, v16, 16, 8
	v_lshrrev_b32_e32 v16, 24, v16
	v_and_b32_e32 v41, 0xff, v17
	v_bfe_u32 v42, v17, 8, 8
	v_bfe_u32 v43, v17, 16, 8
	v_lshrrev_b32_e32 v17, 24, v17
	v_cvt_f32_fp8_e32 v38, v38
	v_cvt_f32_fp8_e32 v39, v39
	;; [unrolled: 1-line block ×8, first 2 shown]
	v_mul_f32_e32 v38, s22, v38
	v_mul_f32_e32 v39, s22, v39
	;; [unrolled: 1-line block ×8, first 2 shown]
	v_cvt_pk_bf16_f32 v43, v38, s0
	v_cvt_pk_bf16_f32 v42, v39, s0
	;; [unrolled: 1-line block ×8, first 2 shown]
	s_and_saveexec_b64 s[0:1], vcc
	s_cbranch_execz .LBB278_48
; %bb.54:                               ;   in Loop: Header=BB278_50 Depth=1
	v_cmp_gt_i32_e32 vcc, s11, v19
	s_nop 1
	v_cndmask_b32_e32 v43, 0, v43, vcc
	v_cmp_gt_i32_e32 vcc, s11, v36
	s_nop 1
	v_cndmask_b32_e32 v42, 0, v42, vcc
	;; [unrolled: 3-line block ×8, first 2 shown]
	s_branch .LBB278_48
.LBB278_55:
	s_or_b64 exec, exec, s[6:7]
.LBB278_56:
	s_or_b64 exec, exec, s[2:3]
	v_and_b32_e32 v2, 0x3c0, v0
	v_cmp_eq_u32_e32 vcc, 64, v2
	s_barrier
	s_and_saveexec_b64 s[0:1], vcc
; %bb.57:
	v_mov_b32_e32 v2, 0x110
	v_lshl_add_u32 v2, v20, 2, v2
	ds_write2st64_b32 v2, v10, v11 offset1:1
; %bb.58:
	s_or_b64 exec, exec, s[0:1]
	v_cmp_gt_u32_e32 vcc, 64, v0
	s_waitcnt lgkmcnt(0)
	s_barrier
	s_and_saveexec_b64 s[0:1], vcc
	s_cbranch_execz .LBB278_60
; %bb.59:
	v_mov_b32_e32 v2, 0x110
	v_lshl_add_u32 v0, v0, 2, v2
	ds_read2st64_b32 v[2:3], v0 offset1:1
	s_waitcnt lgkmcnt(0)
	v_pk_add_f32 v[10:11], v[10:11], v[2:3]
.LBB278_60:
	s_or_b64 exec, exec, s[0:1]
	s_barrier
	s_and_saveexec_b64 s[0:1], vcc
	s_cbranch_execz .LBB278_62
; %bb.61:
	s_mul_i32 s0, s10, s16
	s_mul_i32 s0, s0, s5
	s_lshl_b32 s0, s0, 7
	s_ashr_i32 s1, s0, 31
	s_lshl_b64 s[0:1], s[0:1], 1
	s_add_u32 s2, s26, s0
	s_mul_i32 s0, s16, s24
	s_addc_u32 s3, s27, s1
	s_ashr_i32 s1, s0, 31
	s_lshl_b64 s[0:1], s[0:1], 1
	s_add_u32 s2, s2, s0
	s_addc_u32 s3, s3, s1
	s_lshl_b32 s0, s4, 7
	s_ashr_i32 s1, s0, 31
	s_lshl_b64 s[0:1], s[0:1], 1
	s_add_u32 s0, s2, s0
	s_addc_u32 s1, s3, s1
	v_cvt_pk_bf16_f32 v0, v10, s0
	global_store_short v1, v0, s[0:1]
	v_cvt_pk_bf16_f32 v0, v11, s0
	global_store_short v1, v0, s[0:1] offset:128
.LBB278_62:
	s_endpgm
	.section	.rodata,"a",@progbits
	.p2align	6, 0x0
	.amdhsa_kernel _ZN4vllm25paged_attention_v1_kernelI14__hip_bfloat16hLi128ELi8ELi128ELNS_18Fp8KVCacheDataTypeE1ELb1EEEvPT_PKS3_PKT0_S9_ifPKiSB_iPKfiiiSD_SD_iiiii
		.amdhsa_group_segment_fixed_size 272
		.amdhsa_private_segment_fixed_size 0
		.amdhsa_kernarg_size 384
		.amdhsa_user_sgpr_count 2
		.amdhsa_user_sgpr_dispatch_ptr 0
		.amdhsa_user_sgpr_queue_ptr 0
		.amdhsa_user_sgpr_kernarg_segment_ptr 1
		.amdhsa_user_sgpr_dispatch_id 0
		.amdhsa_user_sgpr_kernarg_preload_length 0
		.amdhsa_user_sgpr_kernarg_preload_offset 0
		.amdhsa_user_sgpr_private_segment_size 0
		.amdhsa_uses_dynamic_stack 0
		.amdhsa_enable_private_segment 0
		.amdhsa_system_sgpr_workgroup_id_x 1
		.amdhsa_system_sgpr_workgroup_id_y 1
		.amdhsa_system_sgpr_workgroup_id_z 1
		.amdhsa_system_sgpr_workgroup_info 0
		.amdhsa_system_vgpr_workitem_id 0
		.amdhsa_next_free_vgpr 57
		.amdhsa_next_free_sgpr 48
		.amdhsa_accum_offset 60
		.amdhsa_reserve_vcc 1
		.amdhsa_float_round_mode_32 0
		.amdhsa_float_round_mode_16_64 0
		.amdhsa_float_denorm_mode_32 3
		.amdhsa_float_denorm_mode_16_64 3
		.amdhsa_dx10_clamp 1
		.amdhsa_ieee_mode 1
		.amdhsa_fp16_overflow 0
		.amdhsa_tg_split 0
		.amdhsa_exception_fp_ieee_invalid_op 0
		.amdhsa_exception_fp_denorm_src 0
		.amdhsa_exception_fp_ieee_div_zero 0
		.amdhsa_exception_fp_ieee_overflow 0
		.amdhsa_exception_fp_ieee_underflow 0
		.amdhsa_exception_fp_ieee_inexact 0
		.amdhsa_exception_int_div_zero 0
	.end_amdhsa_kernel
	.section	.text._ZN4vllm25paged_attention_v1_kernelI14__hip_bfloat16hLi128ELi8ELi128ELNS_18Fp8KVCacheDataTypeE1ELb1EEEvPT_PKS3_PKT0_S9_ifPKiSB_iPKfiiiSD_SD_iiiii,"axG",@progbits,_ZN4vllm25paged_attention_v1_kernelI14__hip_bfloat16hLi128ELi8ELi128ELNS_18Fp8KVCacheDataTypeE1ELb1EEEvPT_PKS3_PKT0_S9_ifPKiSB_iPKfiiiSD_SD_iiiii,comdat
.Lfunc_end278:
	.size	_ZN4vllm25paged_attention_v1_kernelI14__hip_bfloat16hLi128ELi8ELi128ELNS_18Fp8KVCacheDataTypeE1ELb1EEEvPT_PKS3_PKT0_S9_ifPKiSB_iPKfiiiSD_SD_iiiii, .Lfunc_end278-_ZN4vllm25paged_attention_v1_kernelI14__hip_bfloat16hLi128ELi8ELi128ELNS_18Fp8KVCacheDataTypeE1ELb1EEEvPT_PKS3_PKT0_S9_ifPKiSB_iPKfiiiSD_SD_iiiii
                                        ; -- End function
	.set _ZN4vllm25paged_attention_v1_kernelI14__hip_bfloat16hLi128ELi8ELi128ELNS_18Fp8KVCacheDataTypeE1ELb1EEEvPT_PKS3_PKT0_S9_ifPKiSB_iPKfiiiSD_SD_iiiii.num_vgpr, 57
	.set _ZN4vllm25paged_attention_v1_kernelI14__hip_bfloat16hLi128ELi8ELi128ELNS_18Fp8KVCacheDataTypeE1ELb1EEEvPT_PKS3_PKT0_S9_ifPKiSB_iPKfiiiSD_SD_iiiii.num_agpr, 0
	.set _ZN4vllm25paged_attention_v1_kernelI14__hip_bfloat16hLi128ELi8ELi128ELNS_18Fp8KVCacheDataTypeE1ELb1EEEvPT_PKS3_PKT0_S9_ifPKiSB_iPKfiiiSD_SD_iiiii.numbered_sgpr, 48
	.set _ZN4vllm25paged_attention_v1_kernelI14__hip_bfloat16hLi128ELi8ELi128ELNS_18Fp8KVCacheDataTypeE1ELb1EEEvPT_PKS3_PKT0_S9_ifPKiSB_iPKfiiiSD_SD_iiiii.num_named_barrier, 0
	.set _ZN4vllm25paged_attention_v1_kernelI14__hip_bfloat16hLi128ELi8ELi128ELNS_18Fp8KVCacheDataTypeE1ELb1EEEvPT_PKS3_PKT0_S9_ifPKiSB_iPKfiiiSD_SD_iiiii.private_seg_size, 0
	.set _ZN4vllm25paged_attention_v1_kernelI14__hip_bfloat16hLi128ELi8ELi128ELNS_18Fp8KVCacheDataTypeE1ELb1EEEvPT_PKS3_PKT0_S9_ifPKiSB_iPKfiiiSD_SD_iiiii.uses_vcc, 1
	.set _ZN4vllm25paged_attention_v1_kernelI14__hip_bfloat16hLi128ELi8ELi128ELNS_18Fp8KVCacheDataTypeE1ELb1EEEvPT_PKS3_PKT0_S9_ifPKiSB_iPKfiiiSD_SD_iiiii.uses_flat_scratch, 0
	.set _ZN4vllm25paged_attention_v1_kernelI14__hip_bfloat16hLi128ELi8ELi128ELNS_18Fp8KVCacheDataTypeE1ELb1EEEvPT_PKS3_PKT0_S9_ifPKiSB_iPKfiiiSD_SD_iiiii.has_dyn_sized_stack, 0
	.set _ZN4vllm25paged_attention_v1_kernelI14__hip_bfloat16hLi128ELi8ELi128ELNS_18Fp8KVCacheDataTypeE1ELb1EEEvPT_PKS3_PKT0_S9_ifPKiSB_iPKfiiiSD_SD_iiiii.has_recursion, 0
	.set _ZN4vllm25paged_attention_v1_kernelI14__hip_bfloat16hLi128ELi8ELi128ELNS_18Fp8KVCacheDataTypeE1ELb1EEEvPT_PKS3_PKT0_S9_ifPKiSB_iPKfiiiSD_SD_iiiii.has_indirect_call, 0
	.section	.AMDGPU.csdata,"",@progbits
; Kernel info:
; codeLenInByte = 5420
; TotalNumSgprs: 54
; NumVgprs: 57
; NumAgprs: 0
; TotalNumVgprs: 57
; ScratchSize: 0
; MemoryBound: 0
; FloatMode: 240
; IeeeMode: 1
; LDSByteSize: 272 bytes/workgroup (compile time only)
; SGPRBlocks: 6
; VGPRBlocks: 7
; NumSGPRsForWavesPerEU: 54
; NumVGPRsForWavesPerEU: 57
; AccumOffset: 60
; Occupancy: 8
; WaveLimiterHint : 1
; COMPUTE_PGM_RSRC2:SCRATCH_EN: 0
; COMPUTE_PGM_RSRC2:USER_SGPR: 2
; COMPUTE_PGM_RSRC2:TRAP_HANDLER: 0
; COMPUTE_PGM_RSRC2:TGID_X_EN: 1
; COMPUTE_PGM_RSRC2:TGID_Y_EN: 1
; COMPUTE_PGM_RSRC2:TGID_Z_EN: 1
; COMPUTE_PGM_RSRC2:TIDIG_COMP_CNT: 0
; COMPUTE_PGM_RSRC3_GFX90A:ACCUM_OFFSET: 14
; COMPUTE_PGM_RSRC3_GFX90A:TG_SPLIT: 0
	.section	.text._ZN4vllm25paged_attention_v1_kernelI14__hip_bfloat16hLi192ELi8ELi128ELNS_18Fp8KVCacheDataTypeE1ELb1EEEvPT_PKS3_PKT0_S9_ifPKiSB_iPKfiiiSD_SD_iiiii,"axG",@progbits,_ZN4vllm25paged_attention_v1_kernelI14__hip_bfloat16hLi192ELi8ELi128ELNS_18Fp8KVCacheDataTypeE1ELb1EEEvPT_PKS3_PKT0_S9_ifPKiSB_iPKfiiiSD_SD_iiiii,comdat
	.protected	_ZN4vllm25paged_attention_v1_kernelI14__hip_bfloat16hLi192ELi8ELi128ELNS_18Fp8KVCacheDataTypeE1ELb1EEEvPT_PKS3_PKT0_S9_ifPKiSB_iPKfiiiSD_SD_iiiii ; -- Begin function _ZN4vllm25paged_attention_v1_kernelI14__hip_bfloat16hLi192ELi8ELi128ELNS_18Fp8KVCacheDataTypeE1ELb1EEEvPT_PKS3_PKT0_S9_ifPKiSB_iPKfiiiSD_SD_iiiii
	.globl	_ZN4vllm25paged_attention_v1_kernelI14__hip_bfloat16hLi192ELi8ELi128ELNS_18Fp8KVCacheDataTypeE1ELb1EEEvPT_PKS3_PKT0_S9_ifPKiSB_iPKfiiiSD_SD_iiiii
	.p2align	8
	.type	_ZN4vllm25paged_attention_v1_kernelI14__hip_bfloat16hLi192ELi8ELi128ELNS_18Fp8KVCacheDataTypeE1ELb1EEEvPT_PKS3_PKT0_S9_ifPKiSB_iPKfiiiSD_SD_iiiii,@function
_ZN4vllm25paged_attention_v1_kernelI14__hip_bfloat16hLi192ELi8ELi128ELNS_18Fp8KVCacheDataTypeE1ELb1EEEvPT_PKS3_PKT0_S9_ifPKiSB_iPKfiiiSD_SD_iiiii: ; @_ZN4vllm25paged_attention_v1_kernelI14__hip_bfloat16hLi192ELi8ELi128ELNS_18Fp8KVCacheDataTypeE1ELb1EEEvPT_PKS3_PKT0_S9_ifPKiSB_iPKfiiiSD_SD_iiiii
; %bb.0:
	s_load_dword s5, s[0:1], 0x80
	s_load_dwordx2 s[6:7], s[0:1], 0x30
	s_load_dwordx2 s[36:37], s[0:1], 0x20
	s_mov_b32 s10, s3
	s_ashr_i32 s11, s3, 31
	s_lshl_b64 s[8:9], s[10:11], 2
	s_waitcnt lgkmcnt(0)
	s_add_u32 s6, s6, s8
	s_addc_u32 s7, s7, s9
	s_abs_i32 s3, s36
	v_cvt_f32_u32_e32 v1, s3
	s_sub_i32 s11, 0, s3
	s_abs_i32 s9, s5
	s_xor_b32 s8, s5, s36
	v_rcp_iflag_f32_e32 v1, v1
	s_ashr_i32 s8, s8, 31
	s_mov_b32 s44, 0
	v_mul_f32_e32 v1, 0x4f7ffffe, v1
	v_cvt_u32_f32_e32 v1, v1
	s_nop 0
	v_readfirstlane_b32 s12, v1
	s_mul_i32 s11, s11, s12
	s_mul_hi_u32 s11, s12, s11
	s_add_i32 s12, s12, s11
	s_mul_hi_u32 s11, s9, s12
	s_mul_i32 s12, s11, s3
	s_sub_i32 s9, s9, s12
	s_add_i32 s12, s11, 1
	s_sub_i32 s13, s9, s3
	s_cmp_ge_u32 s9, s3
	s_cselect_b32 s11, s12, s11
	s_cselect_b32 s9, s13, s9
	s_add_i32 s12, s11, 1
	s_cmp_ge_u32 s9, s3
	s_cselect_b32 s3, s12, s11
	s_xor_b32 s3, s3, s8
	s_sub_i32 s11, s3, s8
	s_abs_i32 s12, s11
	v_cvt_f32_u32_e32 v1, s12
	s_load_dwordx2 s[8:9], s[0:1], 0x40
	s_sub_i32 s3, 0, s12
	s_abs_i32 s13, s2
	v_rcp_iflag_f32_e32 v1, v1
	s_nop 0
	v_mul_f32_e32 v1, 0x4f7ffffe, v1
	v_cvt_u32_f32_e32 v1, v1
	s_nop 0
	v_readfirstlane_b32 s14, v1
	s_mul_i32 s3, s3, s14
	s_mul_hi_u32 s3, s14, s3
	s_add_i32 s14, s14, s3
	s_waitcnt lgkmcnt(0)
	s_cmp_eq_u64 s[8:9], 0
	s_mul_hi_u32 s14, s13, s14
	s_cbranch_scc1 .LBB279_2
; %bb.1:
	s_ashr_i32 s3, s2, 31
	s_lshl_b64 s[16:17], s[2:3], 2
	s_add_u32 s8, s8, s16
	s_addc_u32 s9, s9, s17
	s_load_dword s44, s[8:9], 0x0
.LBB279_2:
	s_load_dword s33, s[6:7], 0x0
	s_ashr_i32 s26, s11, 31
	s_load_dword s11, s[0:1], 0x88
	s_load_dwordx4 s[16:19], s[0:1], 0x48
	s_movk_i32 s3, 0xc0
	s_ashr_i32 s15, s2, 31
	v_and_b32_e32 v2, 7, v0
	s_mul_i32 s24, s2, 0xc0
	v_cmp_gt_u32_e32 vcc, s3, v0
	v_lshlrev_b32_e32 v1, 1, v0
	s_and_saveexec_b64 s[6:7], vcc
	s_cbranch_execz .LBB279_5
; %bb.3:
	s_load_dwordx2 s[8:9], s[0:1], 0x8
	s_waitcnt lgkmcnt(0)
	s_mul_i32 s20, s16, s10
	s_ashr_i32 s21, s20, 31
	s_lshl_b64 s[20:21], s[20:21], 1
	v_lshrrev_b32_e32 v4, 3, v0
	s_add_u32 s3, s8, s20
	s_addc_u32 s16, s9, s21
	s_ashr_i32 s25, s24, 31
	s_lshl_b64 s[8:9], s[24:25], 1
	s_add_u32 s8, s3, s8
	s_addc_u32 s9, s16, s9
	global_load_ushort v5, v1, s[8:9]
	v_lshlrev_b32_e32 v3, 1, v4
	v_mad_u32_u24 v3, v2, 48, v3
	v_cmp_gt_u32_e32 vcc, 64, v0
	s_waitcnt vmcnt(0)
	ds_write_b16 v3, v5
	s_and_b64 exec, exec, vcc
	s_cbranch_execz .LBB279_5
; %bb.4:
	v_lshlrev_b32_e32 v4, 4, v4
	v_lshlrev_b32_e32 v5, 1, v2
	s_movk_i32 s3, 0x100
	v_or3_b32 v4, v4, v5, s3
	global_load_ushort v4, v4, s[8:9]
	s_waitcnt vmcnt(0)
	ds_write_b16 v3, v4 offset:32
.LBB279_5:
	s_or_b64 exec, exec, s[6:7]
	s_mul_i32 s7, s14, s12
	s_sub_i32 s7, s13, s7
	s_xor_b32 s6, s15, s26
	s_add_i32 s8, s14, 1
	s_sub_i32 s9, s7, s12
	s_load_dwordx4 s[20:23], s[0:1], 0x68
	s_load_dword s3, s[0:1], 0x78
	s_cmp_ge_u32 s7, s12
	s_cselect_b32 s8, s8, s14
	s_cselect_b32 s7, s9, s7
	s_add_i32 s9, s8, 1
	s_cmp_ge_u32 s7, s12
	s_cselect_b32 s7, s9, s8
	s_waitcnt lgkmcnt(0)
	s_abs_i32 s16, s23
	v_cvt_f32_u32_e32 v3, s16
	s_xor_b32 s7, s7, s6
	s_sub_i32 s43, s7, s6
	s_sub_i32 s6, 0, s16
	v_rcp_iflag_f32_e32 v3, v3
	s_add_i32 s12, s33, -1
	s_abs_i32 s8, s12
	v_mul_f32_e32 v3, 0x4f7ffffe, v3
	v_cvt_u32_f32_e32 v3, v3
	s_barrier
	v_readfirstlane_b32 s25, v3
	s_mul_i32 s6, s6, s25
	s_mul_hi_u32 s6, s25, s6
	s_add_i32 s25, s25, s6
	s_cmp_lt_i32 s3, 0
	s_mul_hi_u32 s9, s8, s25
	s_cbranch_scc0 .LBB279_7
; %bb.6:
	s_mul_i32 s6, s20, s36
	s_add_i32 s6, s43, s6
	s_mul_i32 s6, s6, s3
	s_sub_i32 s36, 1, s6
	s_mov_b64 s[6:7], 0
	s_branch .LBB279_8
.LBB279_7:
	s_mov_b64 s[6:7], -1
                                        ; implicit-def: $sgpr36
.LBB279_8:
	s_load_dwordx2 s[28:29], s[0:1], 0x28
	s_ashr_i32 s19, s12, 31
	s_andn2_b64 vcc, exec, s[6:7]
	s_ashr_i32 s23, s23, 31
	s_cbranch_vccnz .LBB279_10
; %bb.9:
	s_mul_i32 s6, s5, s20
	s_add_i32 s2, s6, s2
	s_mul_i32 s2, s2, s3
	s_add_i32 s36, s2, 1
.LBB279_10:
	s_load_dword s2, s[0:1], 0x38
	s_load_dwordx2 s[26:27], s[0:1], 0x0
	s_load_dwordx2 s[34:35], s[0:1], 0x18
	s_load_dwordx4 s[12:15], s[0:1], 0x58
	s_xor_b32 s3, s19, s23
	s_waitcnt lgkmcnt(0)
	s_mul_i32 s30, s2, s10
	s_mul_i32 s2, s9, s16
	s_sub_i32 s2, s8, s2
	s_ashr_i32 s31, s30, 31
	s_add_i32 s6, s9, 1
	s_sub_i32 s7, s2, s16
	s_cmp_ge_u32 s2, s16
	s_cselect_b32 s6, s6, s9
	s_cselect_b32 s2, s7, s2
	s_add_i32 s7, s6, 1
	s_cmp_ge_u32 s2, s16
	s_cselect_b32 s2, s7, s6
	s_xor_b32 s2, s2, s3
	s_sub_i32 s42, s2, s3
	s_add_i32 s2, s33, 7
	s_ashr_i32 s3, s2, 31
	s_lshr_b32 s3, s3, 29
	s_add_i32 s2, s2, s3
	s_ashr_i32 s20, s2, 3
	v_lshrrev_b32_e32 v20, 6, v0
	v_cmp_gt_i32_e64 s[6:7], s20, v20
	v_mov_b32_e32 v10, 0xff7fffff
	s_mul_i32 s43, s43, s18
	v_lshrrev_b32_e32 v6, 4, v0
	v_lshlrev_b32_e32 v21, 3, v20
	v_mbcnt_lo_u32_b32 v7, -1, 0
	s_and_saveexec_b64 s[18:19], s[6:7]
	s_cbranch_execz .LBB279_22
; %bb.11:
	s_load_dwordx2 s[0:1], s[0:1], 0x10
	s_sub_i32 s45, s42, s21
	s_ashr_i32 s2, s43, 31
	v_bfe_u32 v8, v0, 3, 3
	v_mov_b32_e32 v5, 0
	s_waitcnt lgkmcnt(0)
	s_add_u32 s0, s0, s43
	s_addc_u32 s1, s1, s2
	s_abs_i32 s46, s22
	v_cvt_f32_u32_e32 v3, s46
	v_lshlrev_b32_e32 v4, 4, v8
	v_lshl_add_u64 v[12:13], s[0:1], 0, v[4:5]
	s_sub_i32 s0, 0, s46
	v_rcp_iflag_f32_e32 v3, v3
	v_cmp_eq_u32_e32 vcc, 0, v2
	v_mul_u32_u24_e32 v9, 48, v2
	v_mbcnt_hi_u32_b32 v16, -1, v7
	v_mul_f32_e32 v3, 0x4f7ffffe, v3
	v_cvt_u32_f32_e32 v10, v3
	v_mov_b32_e32 v3, v5
	v_lshl_add_u64 v[2:3], v[12:13], 0, v[2:3]
	s_mov_b32 s47, s17
	v_mul_lo_u32 v4, s0, v10
	v_mul_hi_u32 v4, v10, v4
	v_add_u32_e32 v11, v10, v4
	v_subrev_u32_e32 v10, s33, v8
	s_lshl_b64 s[0:1], s[30:31], 2
	v_add_u32_e32 v13, 1, v10
	v_lshlrev_b32_e32 v10, 2, v8
	s_add_u32 s0, s28, s0
	v_lshl_or_b32 v10, v20, 5, v10
	v_and_b32_e32 v4, 60, v6
	s_addc_u32 s1, s29, s1
	v_add_u32_e32 v14, 0x190, v10
	v_and_b32_e32 v10, 64, v16
	v_cmp_neq_f32_e64 s[2:3], s44, 0
	v_lshl_add_u64 v[4:5], s[0:1], 0, v[4:5]
	v_lshlrev_b32_e32 v12, 3, v20
	v_mov_b32_e32 v15, 0xff7fffff
	s_mov_b64 s[38:39], 0
	v_add_u32_e32 v17, 64, v10
	v_xor_b32_e32 v18, 4, v16
	v_xor_b32_e32 v19, 2, v16
	;; [unrolled: 1-line block ×3, first 2 shown]
	v_mov_b32_e32 v10, 0xff7fffff
	v_mov_b32_e32 v23, v20
	s_branch .LBB279_14
.LBB279_12:                             ;   in Loop: Header=BB279_14 Depth=1
	s_or_b64 exec, exec, s[40:41]
.LBB279_13:                             ;   in Loop: Header=BB279_14 Depth=1
	s_or_b64 exec, exec, s[8:9]
	v_add_u32_e32 v23, 2, v23
	v_cmp_le_i32_e64 s[0:1], s20, v23
	v_lshl_add_u64 v[4:5], v[4:5], 0, 8
	v_add_u32_e32 v12, 16, v12
	s_or_b64 s[38:39], s[0:1], s[38:39]
	v_add_u32_e32 v14, 64, v14
	s_andn2_b64 exec, exec, s[38:39]
	s_cbranch_execz .LBB279_21
.LBB279_14:                             ; =>This Inner Loop Header: Depth=1
	v_mul_hi_u32 v24, v12, s25
	s_waitcnt lgkmcnt(0)
	v_mul_lo_u32 v25, v24, s16
	v_sub_u32_e32 v25, v12, v25
	v_add_u32_e32 v26, 1, v24
	v_cmp_le_u32_e64 s[0:1], s16, v25
	s_nop 1
	v_cndmask_b32_e64 v24, v24, v26, s[0:1]
	v_subrev_u32_e32 v26, s16, v25
	v_cndmask_b32_e64 v25, v25, v26, s[0:1]
	v_add_u32_e32 v26, 1, v24
	v_cmp_le_u32_e64 s[0:1], s16, v25
	s_nop 1
	v_cndmask_b32_e64 v24, v24, v26, s[0:1]
	v_xor_b32_e32 v24, s23, v24
	v_subrev_u32_e32 v24, s23, v24
	v_add_u32_e32 v25, s36, v24
	v_sub_u32_e32 v27, 0, v25
	v_ashrrev_i32_e32 v26, 31, v25
	v_max_i32_e32 v25, v25, v27
	v_mul_hi_u32 v27, v25, v11
	v_mul_lo_u32 v27, v27, s46
	v_sub_u32_e32 v25, v25, v27
	v_subrev_u32_e32 v27, s46, v25
	v_cmp_le_u32_e64 s[0:1], s46, v25
	v_cmp_ge_i32_e64 s[8:9], s45, v24
	s_nop 0
	v_cndmask_b32_e64 v25, v25, v27, s[0:1]
	v_subrev_u32_e32 v27, s46, v25
	v_cmp_le_u32_e64 s[0:1], s46, v25
	s_nop 1
	v_cndmask_b32_e64 v25, v25, v27, s[0:1]
	v_xor_b32_e32 v25, v25, v26
	v_sub_u32_e32 v25, v25, v26
	v_cmp_ne_u32_e64 s[0:1], 0, v25
	s_and_b64 s[0:1], s[0:1], s[8:9]
	s_and_saveexec_b64 s[8:9], s[0:1]
	s_xor_b64 s[0:1], exec, s[8:9]
	s_cbranch_execz .LBB279_18
; %bb.15:                               ;   in Loop: Header=BB279_14 Depth=1
	s_and_saveexec_b64 s[8:9], vcc
; %bb.16:                               ;   in Loop: Header=BB279_14 Depth=1
	ds_write_b32 v14, v15
; %bb.17:                               ;   in Loop: Header=BB279_14 Depth=1
	s_or_b64 exec, exec, s[8:9]
.LBB279_18:                             ;   in Loop: Header=BB279_14 Depth=1
	s_andn2_saveexec_b64 s[8:9], s[0:1]
	s_cbranch_execz .LBB279_13
; %bb.19:                               ;   in Loop: Header=BB279_14 Depth=1
	global_load_dword v24, v[4:5], off
	s_waitcnt vmcnt(0)
	v_mad_i64_i32 v[24:25], s[0:1], v24, s47, v[2:3]
	global_load_ubyte v36, v[24:25], off
	global_load_ubyte v37, v[24:25], off offset:8
	global_load_ubyte v38, v[24:25], off offset:128
	;; [unrolled: 1-line block ×23, first 2 shown]
	ds_read_b128 v[24:27], v9
	ds_read_b128 v[28:31], v9 offset:16
	ds_read_b128 v[32:35], v9 offset:32
	s_load_dword s40, s[12:13], 0x0
	v_cmp_lt_i32_e64 s[0:1], v18, v17
	s_waitcnt lgkmcnt(0)
	v_lshlrev_b32_e32 v61, 16, v24
	v_and_b32_e32 v24, 0xffff0000, v24
	v_lshlrev_b32_e32 v62, 16, v25
	v_and_b32_e32 v25, 0xffff0000, v25
	;; [unrolled: 2-line block ×11, first 2 shown]
	v_lshlrev_b32_e32 v72, 16, v35
	v_cndmask_b32_e64 v60, v16, v18, s[0:1]
	v_and_b32_e32 v35, 0xffff0000, v35
	v_lshlrev_b32_e32 v60, 2, v60
	s_waitcnt vmcnt(23)
	v_cvt_f32_fp8_e32 v36, v36
	s_waitcnt vmcnt(22)
	v_cvt_f32_fp8_e32 v37, v37
	;; [unrolled: 2-line block ×5, first 2 shown]
	v_mul_f32_e32 v37, s40, v37
	s_waitcnt vmcnt(18)
	v_cvt_f32_fp8_e32 v41, v41
	v_mul_f32_e32 v36, s40, v36
	v_cvt_pk_bf16_f32 v37, v37, s0
	s_waitcnt vmcnt(17)
	v_cvt_f32_fp8_e32 v42, v42
	v_mul_f32_e32 v38, s40, v38
	v_cvt_pk_bf16_f32 v36, v36, s0
	v_lshlrev_b32_e32 v37, 16, v37
	s_waitcnt vmcnt(16)
	v_cvt_f32_fp8_e32 v43, v43
	v_mul_f32_e32 v39, s40, v39
	v_cvt_pk_bf16_f32 v38, v38, s0
	v_lshlrev_b32_e32 v36, 16, v36
	v_mul_f32_e32 v24, v24, v37
	s_waitcnt vmcnt(15)
	v_cvt_f32_fp8_e32 v44, v44
	v_mul_f32_e32 v40, s40, v40
	v_cvt_pk_bf16_f32 v39, v39, s0
	v_lshlrev_b32_e32 v38, 16, v38
	v_fmac_f32_e32 v24, v61, v36
	s_waitcnt vmcnt(14)
	v_cvt_f32_fp8_e32 v45, v45
	v_mul_f32_e32 v41, s40, v41
	v_cvt_pk_bf16_f32 v40, v40, s0
	v_lshlrev_b32_e32 v39, 16, v39
	v_fmac_f32_e32 v24, v62, v38
	;; [unrolled: 6-line block ×16, first 2 shown]
	v_mul_f32_e32 v56, s40, v56
	v_cvt_pk_bf16_f32 v55, v55, s0
	v_lshlrev_b32_e32 v54, 16, v54
	v_fmac_f32_e32 v24, v32, v53
	v_mul_f32_e32 v57, s40, v57
	v_cvt_pk_bf16_f32 v56, v56, s0
	v_lshlrev_b32_e32 v55, 16, v55
	v_fmac_f32_e32 v24, v70, v54
	;; [unrolled: 4-line block ×4, first 2 shown]
	v_cvt_pk_bf16_f32 v59, v59, s0
	v_lshlrev_b32_e32 v58, 16, v58
	v_fmac_f32_e32 v24, v34, v57
	v_fmac_f32_e32 v24, v72, v58
	v_lshlrev_b32_e32 v25, 16, v59
	v_fmac_f32_e32 v24, v35, v25
	ds_bpermute_b32 v25, v60, v24
	v_cmp_lt_i32_e64 s[0:1], v19, v17
	s_waitcnt lgkmcnt(0)
	v_add_f32_e32 v24, v24, v25
	v_cndmask_b32_e64 v26, v16, v19, s[0:1]
	v_lshlrev_b32_e32 v26, 2, v26
	ds_bpermute_b32 v25, v26, v24
	v_cmp_lt_i32_e64 s[0:1], v22, v17
	s_waitcnt lgkmcnt(0)
	v_add_f32_e32 v24, v24, v25
	v_cndmask_b32_e64 v26, v16, v22, s[0:1]
	v_lshlrev_b32_e32 v26, 2, v26
	ds_bpermute_b32 v25, v26, v24
	s_and_saveexec_b64 s[40:41], vcc
	s_cbranch_execz .LBB279_12
; %bb.20:                               ;   in Loop: Header=BB279_14 Depth=1
	v_add_u32_e32 v26, v13, v12
	v_cvt_f32_i32_e32 v26, v26
	s_waitcnt lgkmcnt(0)
	v_add_f32_e32 v24, v24, v25
	v_add_u32_e32 v27, v8, v12
	v_cmp_gt_i32_e64 s[0:1], s33, v27
	v_mul_f32_e32 v25, s44, v26
	v_cndmask_b32_e64 v25, 0, v25, s[2:3]
	v_fmac_f32_e32 v25, s37, v24
	v_cndmask_b32_e64 v24, 0, v25, s[0:1]
	ds_write_b32 v14, v24
	v_max_f32_e32 v24, v10, v10
	v_max_f32_e32 v24, v24, v25
	v_cndmask_b32_e64 v10, v10, v24, s[0:1]
	s_branch .LBB279_12
.LBB279_21:
	s_or_b64 exec, exec, s[38:39]
.LBB279_22:
	s_or_b64 exec, exec, s[18:19]
	v_mbcnt_hi_u32_b32 v2, -1, v7
	v_and_b32_e32 v11, 64, v2
	v_add_u32_e32 v3, 64, v11
	v_xor_b32_e32 v4, 32, v2
	v_cmp_lt_i32_e32 vcc, v4, v3
	v_xor_b32_e32 v8, 16, v2
	v_max_f32_e32 v7, v10, v10
	v_cndmask_b32_e32 v4, v2, v4, vcc
	v_lshlrev_b32_e32 v5, 2, v4
	ds_bpermute_b32 v4, v5, v10
	v_cmp_lt_i32_e32 vcc, v8, v3
	v_xor_b32_e32 v9, 8, v2
	v_and_b32_e32 v22, 63, v0
	s_waitcnt lgkmcnt(0)
	v_max_f32_e32 v4, v4, v4
	v_max_f32_e32 v4, v7, v4
	v_cndmask_b32_e32 v7, v2, v8, vcc
	v_lshlrev_b32_e32 v8, 2, v7
	ds_bpermute_b32 v7, v8, v4
	v_cmp_lt_i32_e32 vcc, v9, v3
	s_waitcnt lgkmcnt(0)
	v_max_f32_e32 v7, v7, v7
	v_max_f32_e32 v7, v4, v7
	v_cndmask_b32_e32 v4, v2, v9, vcc
	v_lshlrev_b32_e32 v10, 2, v4
	ds_bpermute_b32 v9, v10, v7
	v_cmp_eq_u32_e32 vcc, 0, v22
	v_lshlrev_b32_e32 v4, 2, v20
	s_and_saveexec_b64 s[0:1], vcc
	s_cbranch_execz .LBB279_24
; %bb.23:
	s_waitcnt lgkmcnt(0)
	v_max_f32_e32 v9, v9, v9
	v_max_f32_e32 v7, v7, v7
	;; [unrolled: 1-line block ×3, first 2 shown]
	ds_write_b32 v4, v7 offset:384
.LBB279_24:
	s_or_b64 exec, exec, s[0:1]
	v_cmp_gt_u32_e64 s[0:1], 2, v22
	v_mov_b32_e32 v12, 0xff7fffff
	v_lshlrev_b32_e32 v7, 2, v22
	s_waitcnt lgkmcnt(0)
	s_barrier
	s_and_saveexec_b64 s[2:3], s[0:1]
; %bb.25:
	ds_read_b32 v12, v7 offset:384
; %bb.26:
	s_or_b64 exec, exec, s[2:3]
	v_xor_b32_e32 v9, 1, v2
	v_cmp_lt_i32_e64 s[2:3], v9, v3
	v_lshlrev_b32_e32 v11, 2, v11
	s_nop 0
	v_cndmask_b32_e64 v9, v2, v9, s[2:3]
	v_lshlrev_b32_e32 v9, 2, v9
	s_waitcnt lgkmcnt(0)
	ds_bpermute_b32 v13, v9, v12
	v_max_f32_e32 v12, v12, v12
	s_lshl_b32 s2, s20, 3
	s_min_i32 s37, s2, s33
	v_cmp_gt_i32_e64 s[2:3], s37, v0
	s_waitcnt lgkmcnt(0)
	v_max_f32_e32 v13, v13, v13
	v_max_f32_e32 v12, v12, v13
	ds_bpermute_b32 v12, v11, v12
	v_mov_b32_e32 v11, 0
	s_and_saveexec_b64 s[12:13], s[2:3]
	s_cbranch_execz .LBB279_30
; %bb.27:
	v_mov_b32_e32 v11, 0x190
	v_lshl_add_u32 v13, v0, 2, v11
	v_mov_b32_e32 v11, 0
	s_mov_b64 s[18:19], 0
	v_mov_b32_e32 v14, v0
.LBB279_28:                             ; =>This Inner Loop Header: Depth=1
	ds_read_b32 v15, v13
	v_add_u32_e32 v14, 0x80, v14
	v_cmp_le_i32_e64 s[8:9], s37, v14
	s_or_b64 s[18:19], s[8:9], s[18:19]
	s_waitcnt lgkmcnt(0)
	v_sub_f32_e32 v15, v15, v12
	v_mul_f32_e32 v15, 0x3fb8aa3b, v15
	v_exp_f32_e32 v15, v15
	ds_write_b32 v13, v15
	v_add_f32_e32 v11, v11, v15
	v_add_u32_e32 v13, 0x200, v13
	s_andn2_b64 exec, exec, s[18:19]
	s_cbranch_execnz .LBB279_28
; %bb.29:
	s_or_b64 exec, exec, s[18:19]
.LBB279_30:
	s_or_b64 exec, exec, s[12:13]
	ds_bpermute_b32 v5, v5, v11
	s_waitcnt lgkmcnt(0)
	v_add_f32_e32 v5, v11, v5
	ds_bpermute_b32 v8, v8, v5
	s_waitcnt lgkmcnt(0)
	v_add_f32_e32 v5, v5, v8
	ds_bpermute_b32 v8, v10, v5
	v_xor_b32_e32 v10, 4, v2
	v_cmp_lt_i32_e64 s[8:9], v10, v3
	s_waitcnt lgkmcnt(0)
	v_add_f32_e32 v5, v5, v8
	v_cndmask_b32_e64 v10, v2, v10, s[8:9]
	v_lshlrev_b32_e32 v10, 2, v10
	ds_bpermute_b32 v8, v10, v5
	v_xor_b32_e32 v10, 2, v2
	v_cmp_lt_i32_e64 s[8:9], v10, v3
	s_waitcnt lgkmcnt(0)
	v_add_f32_e32 v5, v5, v8
	v_cndmask_b32_e64 v3, v2, v10, s[8:9]
	v_lshlrev_b32_e32 v3, 2, v3
	ds_bpermute_b32 v3, v3, v5
	s_waitcnt lgkmcnt(0)
	v_add_f32_e32 v3, v5, v3
	ds_bpermute_b32 v5, v9, v3
	s_waitcnt lgkmcnt(0)
	v_add_f32_e32 v3, v3, v5
	s_and_saveexec_b64 s[8:9], vcc
; %bb.31:
	ds_write_b32 v4, v3 offset:392
; %bb.32:
	s_or_b64 exec, exec, s[8:9]
	s_waitcnt lgkmcnt(0)
	s_barrier
	s_and_saveexec_b64 s[8:9], s[0:1]
; %bb.33:
	ds_read_b32 v3, v7 offset:392
; %bb.34:
	s_or_b64 exec, exec, s[8:9]
	s_waitcnt lgkmcnt(0)
	ds_bpermute_b32 v4, v9, v3
	v_lshlrev_b32_e32 v2, 2, v2
	v_and_b32_e32 v2, 0x100, v2
	s_waitcnt lgkmcnt(0)
	v_add_f32_e32 v3, v3, v4
	ds_bpermute_b32 v2, v2, v3
	s_and_saveexec_b64 s[0:1], s[2:3]
	s_cbranch_execz .LBB279_47
; %bb.35:
	s_waitcnt lgkmcnt(0)
	v_add_f32_e32 v2, 0x358637bd, v2
	v_div_scale_f32 v3, s[2:3], v2, v2, 1.0
	v_rcp_f32_e32 v4, v3
	v_div_scale_f32 v5, vcc, 1.0, v2, 1.0
	s_movk_i32 s2, 0x7f
	v_fma_f32 v7, -v3, v4, 1.0
	v_fmac_f32_e32 v4, v7, v4
	v_mul_f32_e32 v7, v5, v4
	v_fma_f32 v8, -v3, v7, v5
	v_fmac_f32_e32 v7, v8, v4
	v_fma_f32 v3, -v3, v7, v5
	v_div_fmas_f32 v3, v3, v4, v7
	v_xad_u32 v4, v0, -1, s37
	v_div_fixup_f32 v2, v3, v2, 1.0
	v_cmp_lt_u32_e32 vcc, s2, v4
	s_mov_b64 s[8:9], -1
	v_mov_b32_e32 v3, v0
	s_and_saveexec_b64 s[2:3], vcc
	s_cbranch_execz .LBB279_44
; %bb.36:
	v_lshrrev_b32_e32 v4, 7, v4
	v_add_u32_e32 v7, -1, v4
	v_lshrrev_b32_e32 v5, 1, v7
	v_mov_b32_e32 v3, v2
	v_add_u32_e32 v5, 1, v5
	v_cmp_lt_u32_e32 vcc, 13, v7
	v_mov_b32_e32 v9, 0
	s_and_saveexec_b64 s[8:9], vcc
	s_cbranch_execz .LBB279_40
; %bb.37:
	v_mov_b32_e32 v8, 0x190
	v_and_b32_e32 v7, -8, v5
	v_lshl_add_u32 v8, v0, 2, v8
	s_mov_b32 s18, 0
	s_mov_b64 s[12:13], 0
.LBB279_38:                             ; =>This Inner Loop Header: Depth=1
	ds_read2st64_b32 v[10:11], v8 offset1:2
	ds_read2st64_b32 v[12:13], v8 offset0:4 offset1:6
	ds_read2st64_b32 v[14:15], v8 offset0:8 offset1:10
	;; [unrolled: 1-line block ×3, first 2 shown]
	v_add_u32_e32 v7, -8, v7
	s_waitcnt lgkmcnt(3)
	v_pk_mul_f32 v[10:11], v[2:3], v[10:11]
	s_waitcnt lgkmcnt(2)
	v_pk_mul_f32 v[12:13], v[2:3], v[12:13]
	ds_write2st64_b32 v8, v10, v11 offset1:2
	ds_write2st64_b32 v8, v12, v13 offset0:4 offset1:6
	ds_read2st64_b32 v[12:13], v8 offset0:16 offset1:18
	s_waitcnt lgkmcnt(4)
	v_pk_mul_f32 v[10:11], v[2:3], v[14:15]
	ds_write2st64_b32 v8, v10, v11 offset0:8 offset1:10
	s_waitcnt lgkmcnt(4)
	v_pk_mul_f32 v[10:11], v[2:3], v[16:17]
	ds_write2st64_b32 v8, v10, v11 offset0:12 offset1:14
	ds_read2st64_b32 v[10:11], v8 offset0:20 offset1:22
	s_waitcnt lgkmcnt(3)
	v_pk_mul_f32 v[12:13], v[2:3], v[12:13]
	ds_read2st64_b32 v[14:15], v8 offset0:24 offset1:26
	ds_write2st64_b32 v8, v12, v13 offset0:16 offset1:18
	ds_read2st64_b32 v[12:13], v8 offset0:28 offset1:30
	s_waitcnt lgkmcnt(3)
	v_pk_mul_f32 v[10:11], v[2:3], v[10:11]
	ds_write2st64_b32 v8, v10, v11 offset0:20 offset1:22
	s_waitcnt lgkmcnt(3)
	v_pk_mul_f32 v[10:11], v[2:3], v[14:15]
	ds_write2st64_b32 v8, v10, v11 offset0:24 offset1:26
	s_waitcnt lgkmcnt(2)
	v_pk_mul_f32 v[10:11], v[2:3], v[12:13]
	s_add_i32 s18, s18, 16
	v_cmp_eq_u32_e32 vcc, 0, v7
	ds_write2st64_b32 v8, v10, v11 offset0:28 offset1:30
	v_add_u32_e32 v8, 0x2000, v8
	s_or_b64 s[12:13], vcc, s[12:13]
	v_mov_b32_e32 v9, s18
	s_andn2_b64 exec, exec, s[12:13]
	s_cbranch_execnz .LBB279_38
; %bb.39:
	s_or_b64 exec, exec, s[12:13]
.LBB279_40:
	s_or_b64 exec, exec, s[8:9]
	v_and_b32_e32 v5, 7, v5
	v_cmp_ne_u32_e32 vcc, 0, v5
	s_and_saveexec_b64 s[8:9], vcc
	s_cbranch_execz .LBB279_43
; %bb.41:
	v_lshlrev_b32_e32 v7, 9, v9
	v_lshlrev_b32_e32 v8, 2, v0
	s_movk_i32 s12, 0x190
	v_add3_u32 v7, v7, v8, s12
	s_mov_b64 s[12:13], 0
.LBB279_42:                             ; =>This Inner Loop Header: Depth=1
	ds_read2st64_b32 v[8:9], v7 offset1:2
	v_add_u32_e32 v5, -1, v5
	v_cmp_eq_u32_e32 vcc, 0, v5
	s_or_b64 s[12:13], vcc, s[12:13]
	s_waitcnt lgkmcnt(0)
	v_pk_mul_f32 v[8:9], v[2:3], v[8:9]
	ds_write2st64_b32 v7, v8, v9 offset1:2
	v_add_u32_e32 v7, 0x400, v7
	s_andn2_b64 exec, exec, s[12:13]
	s_cbranch_execnz .LBB279_42
.LBB279_43:
	s_or_b64 exec, exec, s[8:9]
	v_add_u32_e32 v4, 1, v4
	v_and_b32_e32 v5, 0x3fffffe, v4
	v_cmp_ne_u32_e32 vcc, v4, v5
	v_lshl_add_u32 v3, v5, 7, v0
	s_orn2_b64 s[8:9], vcc, exec
.LBB279_44:
	s_or_b64 exec, exec, s[2:3]
	s_and_b64 exec, exec, s[8:9]
	s_cbranch_execz .LBB279_47
; %bb.45:
	v_mov_b32_e32 v4, 0x190
	v_lshl_add_u32 v4, v3, 2, v4
	s_mov_b64 s[2:3], 0
.LBB279_46:                             ; =>This Inner Loop Header: Depth=1
	ds_read_b32 v5, v4
	v_add_u32_e32 v3, 0x80, v3
	v_cmp_le_i32_e32 vcc, s37, v3
	s_or_b64 s[2:3], vcc, s[2:3]
	s_waitcnt lgkmcnt(0)
	v_mul_f32_e32 v5, v2, v5
	ds_write_b32 v4, v5
	v_add_u32_e32 v4, 0x200, v4
	s_andn2_b64 exec, exec, s[2:3]
	s_cbranch_execnz .LBB279_46
.LBB279_47:
	s_or_b64 exec, exec, s[0:1]
	v_mov_b32_e32 v13, 0
	v_mov_b32_e32 v12, 0
	;; [unrolled: 1-line block ×3, first 2 shown]
	s_waitcnt lgkmcnt(0)
	s_barrier
	s_and_saveexec_b64 s[2:3], s[6:7]
	s_cbranch_execz .LBB279_59
; %bb.48:
	s_sub_i32 s18, s42, s21
	s_ashr_i32 s1, s43, 31
	s_add_u32 s0, s34, s43
	s_addc_u32 s1, s35, s1
	s_abs_i32 s19, s22
	v_cvt_f32_u32_e32 v2, s19
	v_lshlrev_b32_e32 v10, 3, v22
	v_mov_b32_e32 v11, 0
	v_lshl_add_u64 v[14:15], s[0:1], 0, v[10:11]
	v_rcp_iflag_f32_e32 v2, v2
	s_sub_i32 s0, 0, s19
	s_add_i32 s21, s20, -1
	v_and_b32_e32 v10, 60, v6
	v_mul_f32_e32 v2, 0x4f7ffffe, v2
	v_cvt_u32_f32_e32 v2, v2
	s_mov_b64 s[6:7], 0
	v_mov_b32_e32 v12, v11
	v_mov_b32_e32 v13, v11
	v_mul_lo_u32 v3, s0, v2
	s_lshl_b64 s[0:1], s[30:31], 2
	v_mul_hi_u32 v3, v2, v3
	s_add_u32 s0, s28, s0
	v_add_u32_e32 v23, v2, v3
	s_addc_u32 s1, s29, s1
	v_mov_b32_e32 v2, 0x190
	v_lshl_add_u64 v[16:17], s[0:1], 0, v[10:11]
	v_lshl_add_u32 v10, v20, 5, v2
	s_branch .LBB279_51
.LBB279_49:                             ;   in Loop: Header=BB279_51 Depth=1
	s_or_b64 exec, exec, s[0:1]
	v_cvt_pk_bf16_f32 v6, v6, s0
	v_cvt_pk_bf16_f32 v7, v7, s0
	;; [unrolled: 1-line block ×6, first 2 shown]
	v_lshlrev_b32_e32 v7, 16, v7
	v_lshlrev_b32_e32 v6, 16, v6
	;; [unrolled: 1-line block ×8, first 2 shown]
	v_cvt_pk_bf16_f32 v4, v4, s0
	v_cvt_pk_bf16_f32 v5, v5, s0
	v_lshlrev_b32_e32 v3, 16, v3
	v_lshlrev_b32_e32 v2, 16, v2
	v_mul_f32_e32 v31, v7, v31
	v_mul_f32_e32 v30, v6, v30
	;; [unrolled: 1-line block ×4, first 2 shown]
	v_lshlrev_b32_e32 v27, 16, v27
	v_lshlrev_b32_e32 v26, 16, v26
	;; [unrolled: 1-line block ×4, first 2 shown]
	v_cvt_pk_bf16_f32 v31, v31, s0
	v_cvt_pk_bf16_f32 v30, v30, s0
	;; [unrolled: 1-line block ×4, first 2 shown]
	v_mul_f32_e32 v27, v3, v27
	v_mul_f32_e32 v26, v2, v26
	v_lshlrev_b32_e32 v25, 16, v25
	v_lshlrev_b32_e32 v24, 16, v24
	v_cvt_pk_bf16_f32 v27, v27, s0
	v_cvt_pk_bf16_f32 v26, v26, s0
	v_mul_f32_e32 v25, v5, v25
	v_mul_f32_e32 v24, v4, v24
	v_lshlrev_b32_e32 v30, 16, v30
	v_lshlrev_b32_e32 v31, 16, v31
	;; [unrolled: 1-line block ×4, first 2 shown]
	v_cvt_pk_bf16_f32 v25, v25, s0
	v_cvt_pk_bf16_f32 v24, v24, s0
	v_add_f32_e32 v30, v30, v31
	v_add_f32_e32 v28, v28, v29
	v_lshlrev_b32_e32 v26, 16, v26
	v_lshlrev_b32_e32 v27, 16, v27
	v_add_f32_e32 v28, v28, v30
	v_add_f32_e32 v26, v26, v27
	v_lshlrev_b32_e32 v24, 16, v24
	v_lshlrev_b32_e32 v25, 16, v25
	v_add_f32_e32 v26, v26, v28
	v_add_f32_e32 v24, v24, v25
	;; [unrolled: 1-line block ×3, first 2 shown]
	v_lshlrev_b32_e32 v32, 16, v46
	v_add_f32_e32 v12, v12, v24
	v_lshlrev_b32_e32 v24, 16, v52
	v_mul_f32_e32 v32, v7, v32
	v_lshlrev_b32_e32 v33, 16, v45
	v_mul_f32_e32 v7, v7, v24
	;; [unrolled: 2-line block ×3, first 2 shown]
	v_lshlrev_b32_e32 v34, 16, v44
	v_lshlrev_b32_e32 v35, 16, v43
	v_mul_f32_e32 v6, v6, v24
	v_lshlrev_b32_e32 v24, 16, v50
	v_cvt_pk_bf16_f32 v32, v32, s0
	v_cvt_pk_bf16_f32 v33, v33, s0
	v_mul_f32_e32 v34, v9, v34
	v_mul_f32_e32 v35, v8, v35
	;; [unrolled: 1-line block ×3, first 2 shown]
	v_lshlrev_b32_e32 v24, 16, v49
	v_cvt_pk_bf16_f32 v34, v34, s0
	v_cvt_pk_bf16_f32 v35, v35, s0
	v_lshlrev_b32_e32 v36, 16, v42
	v_lshlrev_b32_e32 v37, 16, v41
	;; [unrolled: 1-line block ×4, first 2 shown]
	v_mul_f32_e32 v8, v8, v24
	v_lshlrev_b32_e32 v24, 16, v48
	v_mul_f32_e32 v36, v3, v36
	v_mul_f32_e32 v37, v2, v37
	v_add_f32_e32 v32, v33, v32
	v_lshlrev_b32_e32 v33, 16, v35
	v_lshlrev_b32_e32 v34, 16, v34
	v_mul_f32_e32 v3, v3, v24
	v_lshlrev_b32_e32 v24, 16, v47
	v_cvt_pk_bf16_f32 v36, v36, s0
	v_cvt_pk_bf16_f32 v37, v37, s0
	v_lshlrev_b32_e32 v38, 16, v40
	v_lshlrev_b32_e32 v39, 16, v39
	v_add_f32_e32 v33, v33, v34
	v_cvt_pk_bf16_f32 v7, v7, s0
	v_cvt_pk_bf16_f32 v6, v6, s0
	;; [unrolled: 1-line block ×4, first 2 shown]
	v_mul_f32_e32 v2, v2, v24
	v_lshlrev_b32_e32 v19, 16, v19
	v_lshlrev_b32_e32 v18, 16, v18
	v_mul_f32_e32 v38, v5, v38
	v_mul_f32_e32 v39, v4, v39
	v_add_f32_e32 v32, v33, v32
	v_lshlrev_b32_e32 v33, 16, v37
	v_lshlrev_b32_e32 v34, 16, v36
	v_cvt_pk_bf16_f32 v3, v3, s0
	v_cvt_pk_bf16_f32 v2, v2, s0
	v_mul_f32_e32 v5, v5, v19
	v_mul_f32_e32 v4, v4, v18
	v_lshlrev_b32_e32 v6, 16, v6
	v_lshlrev_b32_e32 v7, 16, v7
	;; [unrolled: 1-line block ×4, first 2 shown]
	v_cvt_pk_bf16_f32 v38, v38, s0
	v_cvt_pk_bf16_f32 v39, v39, s0
	v_add_f32_e32 v33, v33, v34
	v_cvt_pk_bf16_f32 v5, v5, s0
	v_cvt_pk_bf16_f32 v4, v4, s0
	v_lshlrev_b32_e32 v2, 16, v2
	v_lshlrev_b32_e32 v3, 16, v3
	v_add_f32_e32 v6, v7, v6
	v_add_f32_e32 v7, v9, v8
	;; [unrolled: 1-line block ×3, first 2 shown]
	v_lshlrev_b32_e32 v33, 16, v39
	v_lshlrev_b32_e32 v34, 16, v38
	;; [unrolled: 1-line block ×4, first 2 shown]
	v_add_f32_e32 v6, v7, v6
	v_add_f32_e32 v2, v3, v2
	;; [unrolled: 1-line block ×9, first 2 shown]
.LBB279_50:                             ;   in Loop: Header=BB279_51 Depth=1
	s_or_b64 exec, exec, s[8:9]
	v_add_u32_e32 v20, 2, v20
	v_cmp_le_i32_e32 vcc, s20, v20
	v_lshl_add_u64 v[16:17], v[16:17], 0, 8
	v_add_u32_e32 v21, 16, v21
	s_or_b64 s[6:7], vcc, s[6:7]
	v_add_u32_e32 v10, 64, v10
	s_andn2_b64 exec, exec, s[6:7]
	s_cbranch_execz .LBB279_58
.LBB279_51:                             ; =>This Inner Loop Header: Depth=1
	v_mul_hi_u32 v2, v21, s25
	v_mul_lo_u32 v3, v2, s16
	v_sub_u32_e32 v3, v21, v3
	v_add_u32_e32 v4, 1, v2
	v_cmp_le_u32_e32 vcc, s16, v3
	s_nop 1
	v_cndmask_b32_e32 v2, v2, v4, vcc
	v_subrev_u32_e32 v4, s16, v3
	v_cndmask_b32_e32 v3, v3, v4, vcc
	v_add_u32_e32 v4, 1, v2
	v_cmp_le_u32_e32 vcc, s16, v3
	s_nop 1
	v_cndmask_b32_e32 v2, v2, v4, vcc
	v_xor_b32_e32 v2, s23, v2
	v_subrev_u32_e32 v2, s23, v2
	v_add_u32_e32 v3, s36, v2
	v_sub_u32_e32 v5, 0, v3
	v_ashrrev_i32_e32 v4, 31, v3
	v_max_i32_e32 v3, v3, v5
	v_mul_hi_u32 v5, v3, v23
	v_mul_lo_u32 v5, v5, s19
	v_sub_u32_e32 v3, v3, v5
	v_subrev_u32_e32 v5, s19, v3
	v_cmp_le_u32_e32 vcc, s19, v3
	v_cmp_lt_i32_e64 s[0:1], s18, v2
	s_nop 0
	v_cndmask_b32_e32 v3, v3, v5, vcc
	v_subrev_u32_e32 v5, s19, v3
	v_cmp_le_u32_e32 vcc, s19, v3
	s_nop 1
	v_cndmask_b32_e32 v3, v3, v5, vcc
	v_xor_b32_e32 v3, v3, v4
	v_sub_u32_e32 v3, v3, v4
	v_cmp_eq_u32_e32 vcc, 0, v3
	s_or_b64 s[0:1], vcc, s[0:1]
	s_and_saveexec_b64 s[8:9], s[0:1]
	s_cbranch_execz .LBB279_50
; %bb.52:                               ;   in Loop: Header=BB279_51 Depth=1
	global_load_dword v2, v[16:17], off
	v_cmp_eq_u32_e32 vcc, s21, v20
	v_add_u32_e32 v37, 1, v21
	v_add_u32_e32 v36, 2, v21
	;; [unrolled: 1-line block ×6, first 2 shown]
	s_waitcnt vmcnt(0)
	v_mad_i64_i32 v[18:19], s[0:1], v2, s17, v[14:15]
	global_load_dwordx2 v[24:25], v[18:19], off
	ds_read2_b64 v[6:9], v10 offset1:1
	ds_read2_b64 v[2:5], v10 offset0:2 offset1:3
	s_load_dword s22, s[14:15], 0x0
	s_waitcnt vmcnt(0)
	v_and_b32_e32 v26, 0xff, v24
	v_bfe_u32 v27, v24, 8, 8
	v_bfe_u32 v28, v24, 16, 8
	v_lshrrev_b32_e32 v24, 24, v24
	v_and_b32_e32 v29, 0xff, v25
	v_bfe_u32 v30, v25, 8, 8
	v_bfe_u32 v31, v25, 16, 8
	v_lshrrev_b32_e32 v25, 24, v25
	v_cvt_f32_fp8_e32 v26, v26
	v_cvt_f32_fp8_e32 v27, v27
	;; [unrolled: 1-line block ×8, first 2 shown]
	s_waitcnt lgkmcnt(0)
	v_mul_f32_e32 v26, s22, v26
	v_mul_f32_e32 v27, s22, v27
	;; [unrolled: 1-line block ×8, first 2 shown]
	v_cvt_pk_bf16_f32 v30, v26, s0
	v_cvt_pk_bf16_f32 v31, v27, s0
	;; [unrolled: 1-line block ×8, first 2 shown]
	v_add_u32_e32 v38, 7, v21
	s_and_saveexec_b64 s[12:13], vcc
	s_cbranch_execz .LBB279_54
; %bb.53:                               ;   in Loop: Header=BB279_51 Depth=1
	v_cmp_gt_i32_e64 s[0:1], s33, v21
	s_nop 1
	v_cndmask_b32_e64 v30, 0, v30, s[0:1]
	v_cmp_gt_i32_e64 s[0:1], s33, v37
	s_nop 1
	v_cndmask_b32_e64 v31, 0, v31, s[0:1]
	;; [unrolled: 3-line block ×8, first 2 shown]
.LBB279_54:                             ;   in Loop: Header=BB279_51 Depth=1
	s_or_b64 exec, exec, s[12:13]
	global_load_dwordx2 v[40:41], v[18:19], off offset:512
	s_waitcnt vmcnt(0)
	v_and_b32_e32 v39, 0xff, v40
	v_bfe_u32 v42, v40, 8, 8
	v_bfe_u32 v43, v40, 16, 8
	v_lshrrev_b32_e32 v40, 24, v40
	v_and_b32_e32 v44, 0xff, v41
	v_bfe_u32 v45, v41, 8, 8
	v_bfe_u32 v46, v41, 16, 8
	v_lshrrev_b32_e32 v41, 24, v41
	v_cvt_f32_fp8_e32 v39, v39
	v_cvt_f32_fp8_e32 v42, v42
	;; [unrolled: 1-line block ×8, first 2 shown]
	v_mul_f32_e32 v39, s22, v39
	v_mul_f32_e32 v42, s22, v42
	;; [unrolled: 1-line block ×8, first 2 shown]
	v_cvt_pk_bf16_f32 v45, v39, s0
	v_cvt_pk_bf16_f32 v46, v42, s0
	;; [unrolled: 1-line block ×8, first 2 shown]
	s_and_saveexec_b64 s[12:13], vcc
	s_cbranch_execz .LBB279_56
; %bb.55:                               ;   in Loop: Header=BB279_51 Depth=1
	v_cmp_gt_i32_e64 s[0:1], s33, v21
	s_nop 1
	v_cndmask_b32_e64 v45, 0, v45, s[0:1]
	v_cmp_gt_i32_e64 s[0:1], s33, v37
	s_nop 1
	v_cndmask_b32_e64 v46, 0, v46, s[0:1]
	;; [unrolled: 3-line block ×8, first 2 shown]
.LBB279_56:                             ;   in Loop: Header=BB279_51 Depth=1
	s_or_b64 exec, exec, s[12:13]
	global_load_dwordx2 v[18:19], v[18:19], off offset:1024
	s_waitcnt vmcnt(0)
	v_and_b32_e32 v47, 0xff, v18
	v_bfe_u32 v48, v18, 8, 8
	v_bfe_u32 v49, v18, 16, 8
	v_lshrrev_b32_e32 v18, 24, v18
	v_and_b32_e32 v50, 0xff, v19
	v_bfe_u32 v51, v19, 8, 8
	v_bfe_u32 v52, v19, 16, 8
	v_lshrrev_b32_e32 v19, 24, v19
	v_cvt_f32_fp8_e32 v47, v47
	v_cvt_f32_fp8_e32 v48, v48
	;; [unrolled: 1-line block ×8, first 2 shown]
	v_mul_f32_e32 v47, s22, v47
	v_mul_f32_e32 v48, s22, v48
	;; [unrolled: 1-line block ×8, first 2 shown]
	v_cvt_pk_bf16_f32 v51, v47, s0
	v_cvt_pk_bf16_f32 v52, v48, s0
	v_cvt_pk_bf16_f32 v49, v49, s0
	v_cvt_pk_bf16_f32 v50, v18, s0
	v_cvt_pk_bf16_f32 v47, v53, s0
	v_cvt_pk_bf16_f32 v48, v54, s0
	v_cvt_pk_bf16_f32 v18, v55, s0
	v_cvt_pk_bf16_f32 v19, v19, s0
	s_and_saveexec_b64 s[0:1], vcc
	s_cbranch_execz .LBB279_49
; %bb.57:                               ;   in Loop: Header=BB279_51 Depth=1
	v_cmp_gt_i32_e32 vcc, s33, v21
	s_nop 1
	v_cndmask_b32_e32 v51, 0, v51, vcc
	v_cmp_gt_i32_e32 vcc, s33, v37
	s_nop 1
	v_cndmask_b32_e32 v52, 0, v52, vcc
	;; [unrolled: 3-line block ×8, first 2 shown]
	s_branch .LBB279_49
.LBB279_58:
	s_or_b64 exec, exec, s[6:7]
.LBB279_59:
	s_or_b64 exec, exec, s[2:3]
	v_and_b32_e32 v2, 0x3c0, v0
	v_cmp_eq_u32_e32 vcc, 64, v2
	s_barrier
	s_and_saveexec_b64 s[0:1], vcc
	s_cbranch_execz .LBB279_61
; %bb.60:
	v_mov_b32_e32 v2, 0x190
	v_lshl_add_u32 v2, v22, 2, v2
	ds_write2st64_b32 v2, v12, v13 offset1:1
	ds_write_b32 v2, v11 offset:512
.LBB279_61:
	s_or_b64 exec, exec, s[0:1]
	v_cmp_gt_u32_e32 vcc, 64, v0
	s_waitcnt lgkmcnt(0)
	s_barrier
	s_and_saveexec_b64 s[0:1], vcc
	s_cbranch_execz .LBB279_63
; %bb.62:
	v_mov_b32_e32 v2, 0x190
	v_lshl_add_u32 v0, v0, 2, v2
	ds_read2st64_b32 v[2:3], v0 offset1:1
	ds_read_b32 v0, v0 offset:512
	s_waitcnt lgkmcnt(1)
	v_pk_add_f32 v[12:13], v[12:13], v[2:3]
	s_waitcnt lgkmcnt(0)
	v_add_f32_e32 v11, v11, v0
.LBB279_63:
	s_or_b64 exec, exec, s[0:1]
	s_barrier
	s_and_saveexec_b64 s[0:1], vcc
	s_cbranch_execz .LBB279_65
; %bb.64:
	s_mul_i32 s0, s10, s11
	s_mul_i32 s0, s0, s5
	s_mulk_i32 s0, 0xc0
	s_ashr_i32 s1, s0, 31
	s_lshl_b64 s[0:1], s[0:1], 1
	s_add_u32 s2, s26, s0
	s_mul_i32 s0, s11, s24
	s_addc_u32 s3, s27, s1
	s_ashr_i32 s1, s0, 31
	s_lshl_b64 s[0:1], s[0:1], 1
	s_add_u32 s2, s2, s0
	s_mul_i32 s0, s4, 0xc0
	s_addc_u32 s3, s3, s1
	s_ashr_i32 s1, s0, 31
	s_lshl_b64 s[0:1], s[0:1], 1
	s_add_u32 s0, s2, s0
	s_addc_u32 s1, s3, s1
	v_cvt_pk_bf16_f32 v0, v12, s0
	global_store_short v1, v0, s[0:1]
	v_cvt_pk_bf16_f32 v0, v13, s0
	global_store_short v1, v0, s[0:1] offset:128
	v_cvt_pk_bf16_f32 v0, v11, s0
	global_store_short v1, v0, s[0:1] offset:256
.LBB279_65:
	s_endpgm
	.section	.rodata,"a",@progbits
	.p2align	6, 0x0
	.amdhsa_kernel _ZN4vllm25paged_attention_v1_kernelI14__hip_bfloat16hLi192ELi8ELi128ELNS_18Fp8KVCacheDataTypeE1ELb1EEEvPT_PKS3_PKT0_S9_ifPKiSB_iPKfiiiSD_SD_iiiii
		.amdhsa_group_segment_fixed_size 400
		.amdhsa_private_segment_fixed_size 0
		.amdhsa_kernarg_size 384
		.amdhsa_user_sgpr_count 2
		.amdhsa_user_sgpr_dispatch_ptr 0
		.amdhsa_user_sgpr_queue_ptr 0
		.amdhsa_user_sgpr_kernarg_segment_ptr 1
		.amdhsa_user_sgpr_dispatch_id 0
		.amdhsa_user_sgpr_kernarg_preload_length 0
		.amdhsa_user_sgpr_kernarg_preload_offset 0
		.amdhsa_user_sgpr_private_segment_size 0
		.amdhsa_uses_dynamic_stack 0
		.amdhsa_enable_private_segment 0
		.amdhsa_system_sgpr_workgroup_id_x 1
		.amdhsa_system_sgpr_workgroup_id_y 1
		.amdhsa_system_sgpr_workgroup_id_z 1
		.amdhsa_system_sgpr_workgroup_info 0
		.amdhsa_system_vgpr_workitem_id 0
		.amdhsa_next_free_vgpr 73
		.amdhsa_next_free_sgpr 48
		.amdhsa_accum_offset 76
		.amdhsa_reserve_vcc 1
		.amdhsa_float_round_mode_32 0
		.amdhsa_float_round_mode_16_64 0
		.amdhsa_float_denorm_mode_32 3
		.amdhsa_float_denorm_mode_16_64 3
		.amdhsa_dx10_clamp 1
		.amdhsa_ieee_mode 1
		.amdhsa_fp16_overflow 0
		.amdhsa_tg_split 0
		.amdhsa_exception_fp_ieee_invalid_op 0
		.amdhsa_exception_fp_denorm_src 0
		.amdhsa_exception_fp_ieee_div_zero 0
		.amdhsa_exception_fp_ieee_overflow 0
		.amdhsa_exception_fp_ieee_underflow 0
		.amdhsa_exception_fp_ieee_inexact 0
		.amdhsa_exception_int_div_zero 0
	.end_amdhsa_kernel
	.section	.text._ZN4vllm25paged_attention_v1_kernelI14__hip_bfloat16hLi192ELi8ELi128ELNS_18Fp8KVCacheDataTypeE1ELb1EEEvPT_PKS3_PKT0_S9_ifPKiSB_iPKfiiiSD_SD_iiiii,"axG",@progbits,_ZN4vllm25paged_attention_v1_kernelI14__hip_bfloat16hLi192ELi8ELi128ELNS_18Fp8KVCacheDataTypeE1ELb1EEEvPT_PKS3_PKT0_S9_ifPKiSB_iPKfiiiSD_SD_iiiii,comdat
.Lfunc_end279:
	.size	_ZN4vllm25paged_attention_v1_kernelI14__hip_bfloat16hLi192ELi8ELi128ELNS_18Fp8KVCacheDataTypeE1ELb1EEEvPT_PKS3_PKT0_S9_ifPKiSB_iPKfiiiSD_SD_iiiii, .Lfunc_end279-_ZN4vllm25paged_attention_v1_kernelI14__hip_bfloat16hLi192ELi8ELi128ELNS_18Fp8KVCacheDataTypeE1ELb1EEEvPT_PKS3_PKT0_S9_ifPKiSB_iPKfiiiSD_SD_iiiii
                                        ; -- End function
	.set _ZN4vllm25paged_attention_v1_kernelI14__hip_bfloat16hLi192ELi8ELi128ELNS_18Fp8KVCacheDataTypeE1ELb1EEEvPT_PKS3_PKT0_S9_ifPKiSB_iPKfiiiSD_SD_iiiii.num_vgpr, 73
	.set _ZN4vllm25paged_attention_v1_kernelI14__hip_bfloat16hLi192ELi8ELi128ELNS_18Fp8KVCacheDataTypeE1ELb1EEEvPT_PKS3_PKT0_S9_ifPKiSB_iPKfiiiSD_SD_iiiii.num_agpr, 0
	.set _ZN4vllm25paged_attention_v1_kernelI14__hip_bfloat16hLi192ELi8ELi128ELNS_18Fp8KVCacheDataTypeE1ELb1EEEvPT_PKS3_PKT0_S9_ifPKiSB_iPKfiiiSD_SD_iiiii.numbered_sgpr, 48
	.set _ZN4vllm25paged_attention_v1_kernelI14__hip_bfloat16hLi192ELi8ELi128ELNS_18Fp8KVCacheDataTypeE1ELb1EEEvPT_PKS3_PKT0_S9_ifPKiSB_iPKfiiiSD_SD_iiiii.num_named_barrier, 0
	.set _ZN4vllm25paged_attention_v1_kernelI14__hip_bfloat16hLi192ELi8ELi128ELNS_18Fp8KVCacheDataTypeE1ELb1EEEvPT_PKS3_PKT0_S9_ifPKiSB_iPKfiiiSD_SD_iiiii.private_seg_size, 0
	.set _ZN4vllm25paged_attention_v1_kernelI14__hip_bfloat16hLi192ELi8ELi128ELNS_18Fp8KVCacheDataTypeE1ELb1EEEvPT_PKS3_PKT0_S9_ifPKiSB_iPKfiiiSD_SD_iiiii.uses_vcc, 1
	.set _ZN4vllm25paged_attention_v1_kernelI14__hip_bfloat16hLi192ELi8ELi128ELNS_18Fp8KVCacheDataTypeE1ELb1EEEvPT_PKS3_PKT0_S9_ifPKiSB_iPKfiiiSD_SD_iiiii.uses_flat_scratch, 0
	.set _ZN4vllm25paged_attention_v1_kernelI14__hip_bfloat16hLi192ELi8ELi128ELNS_18Fp8KVCacheDataTypeE1ELb1EEEvPT_PKS3_PKT0_S9_ifPKiSB_iPKfiiiSD_SD_iiiii.has_dyn_sized_stack, 0
	.set _ZN4vllm25paged_attention_v1_kernelI14__hip_bfloat16hLi192ELi8ELi128ELNS_18Fp8KVCacheDataTypeE1ELb1EEEvPT_PKS3_PKT0_S9_ifPKiSB_iPKfiiiSD_SD_iiiii.has_recursion, 0
	.set _ZN4vllm25paged_attention_v1_kernelI14__hip_bfloat16hLi192ELi8ELi128ELNS_18Fp8KVCacheDataTypeE1ELb1EEEvPT_PKS3_PKT0_S9_ifPKiSB_iPKfiiiSD_SD_iiiii.has_indirect_call, 0
	.section	.AMDGPU.csdata,"",@progbits
; Kernel info:
; codeLenInByte = 6404
; TotalNumSgprs: 54
; NumVgprs: 73
; NumAgprs: 0
; TotalNumVgprs: 73
; ScratchSize: 0
; MemoryBound: 0
; FloatMode: 240
; IeeeMode: 1
; LDSByteSize: 400 bytes/workgroup (compile time only)
; SGPRBlocks: 6
; VGPRBlocks: 9
; NumSGPRsForWavesPerEU: 54
; NumVGPRsForWavesPerEU: 73
; AccumOffset: 76
; Occupancy: 6
; WaveLimiterHint : 1
; COMPUTE_PGM_RSRC2:SCRATCH_EN: 0
; COMPUTE_PGM_RSRC2:USER_SGPR: 2
; COMPUTE_PGM_RSRC2:TRAP_HANDLER: 0
; COMPUTE_PGM_RSRC2:TGID_X_EN: 1
; COMPUTE_PGM_RSRC2:TGID_Y_EN: 1
; COMPUTE_PGM_RSRC2:TGID_Z_EN: 1
; COMPUTE_PGM_RSRC2:TIDIG_COMP_CNT: 0
; COMPUTE_PGM_RSRC3_GFX90A:ACCUM_OFFSET: 18
; COMPUTE_PGM_RSRC3_GFX90A:TG_SPLIT: 0
	.section	.text._ZN4vllm25paged_attention_v1_kernelI14__hip_bfloat16hLi256ELi8ELi128ELNS_18Fp8KVCacheDataTypeE1ELb1EEEvPT_PKS3_PKT0_S9_ifPKiSB_iPKfiiiSD_SD_iiiii,"axG",@progbits,_ZN4vllm25paged_attention_v1_kernelI14__hip_bfloat16hLi256ELi8ELi128ELNS_18Fp8KVCacheDataTypeE1ELb1EEEvPT_PKS3_PKT0_S9_ifPKiSB_iPKfiiiSD_SD_iiiii,comdat
	.protected	_ZN4vllm25paged_attention_v1_kernelI14__hip_bfloat16hLi256ELi8ELi128ELNS_18Fp8KVCacheDataTypeE1ELb1EEEvPT_PKS3_PKT0_S9_ifPKiSB_iPKfiiiSD_SD_iiiii ; -- Begin function _ZN4vllm25paged_attention_v1_kernelI14__hip_bfloat16hLi256ELi8ELi128ELNS_18Fp8KVCacheDataTypeE1ELb1EEEvPT_PKS3_PKT0_S9_ifPKiSB_iPKfiiiSD_SD_iiiii
	.globl	_ZN4vllm25paged_attention_v1_kernelI14__hip_bfloat16hLi256ELi8ELi128ELNS_18Fp8KVCacheDataTypeE1ELb1EEEvPT_PKS3_PKT0_S9_ifPKiSB_iPKfiiiSD_SD_iiiii
	.p2align	8
	.type	_ZN4vllm25paged_attention_v1_kernelI14__hip_bfloat16hLi256ELi8ELi128ELNS_18Fp8KVCacheDataTypeE1ELb1EEEvPT_PKS3_PKT0_S9_ifPKiSB_iPKfiiiSD_SD_iiiii,@function
_ZN4vllm25paged_attention_v1_kernelI14__hip_bfloat16hLi256ELi8ELi128ELNS_18Fp8KVCacheDataTypeE1ELb1EEEvPT_PKS3_PKT0_S9_ifPKiSB_iPKfiiiSD_SD_iiiii: ; @_ZN4vllm25paged_attention_v1_kernelI14__hip_bfloat16hLi256ELi8ELi128ELNS_18Fp8KVCacheDataTypeE1ELb1EEEvPT_PKS3_PKT0_S9_ifPKiSB_iPKfiiiSD_SD_iiiii
; %bb.0:
	s_load_dword s5, s[0:1], 0x80
	s_load_dwordx2 s[6:7], s[0:1], 0x30
	s_load_dwordx2 s[36:37], s[0:1], 0x20
	s_mov_b32 s10, s3
	s_ashr_i32 s11, s3, 31
	s_lshl_b64 s[8:9], s[10:11], 2
	s_waitcnt lgkmcnt(0)
	s_add_u32 s6, s6, s8
	s_addc_u32 s7, s7, s9
	s_abs_i32 s3, s36
	v_cvt_f32_u32_e32 v1, s3
	s_sub_i32 s11, 0, s3
	s_abs_i32 s9, s5
	s_xor_b32 s8, s5, s36
	v_rcp_iflag_f32_e32 v1, v1
	s_ashr_i32 s8, s8, 31
	s_mov_b32 s44, 0
	v_mul_f32_e32 v1, 0x4f7ffffe, v1
	v_cvt_u32_f32_e32 v1, v1
	s_nop 0
	v_readfirstlane_b32 s12, v1
	s_mul_i32 s11, s11, s12
	s_mul_hi_u32 s11, s12, s11
	s_add_i32 s12, s12, s11
	s_mul_hi_u32 s11, s9, s12
	s_mul_i32 s12, s11, s3
	s_sub_i32 s9, s9, s12
	s_add_i32 s12, s11, 1
	s_sub_i32 s13, s9, s3
	s_cmp_ge_u32 s9, s3
	s_cselect_b32 s11, s12, s11
	s_cselect_b32 s9, s13, s9
	s_add_i32 s12, s11, 1
	s_cmp_ge_u32 s9, s3
	s_cselect_b32 s3, s12, s11
	s_xor_b32 s3, s3, s8
	s_sub_i32 s11, s3, s8
	s_abs_i32 s12, s11
	v_cvt_f32_u32_e32 v1, s12
	s_load_dwordx2 s[8:9], s[0:1], 0x40
	s_sub_i32 s3, 0, s12
	s_abs_i32 s13, s2
	v_rcp_iflag_f32_e32 v1, v1
	s_nop 0
	v_mul_f32_e32 v1, 0x4f7ffffe, v1
	v_cvt_u32_f32_e32 v1, v1
	s_nop 0
	v_readfirstlane_b32 s14, v1
	s_mul_i32 s3, s3, s14
	s_mul_hi_u32 s3, s14, s3
	s_add_i32 s14, s14, s3
	s_waitcnt lgkmcnt(0)
	s_cmp_eq_u64 s[8:9], 0
	s_mul_hi_u32 s14, s13, s14
	s_cbranch_scc1 .LBB280_2
; %bb.1:
	s_ashr_i32 s3, s2, 31
	s_lshl_b64 s[16:17], s[2:3], 2
	s_add_u32 s8, s8, s16
	s_addc_u32 s9, s9, s17
	s_load_dword s44, s[8:9], 0x0
.LBB280_2:
	s_load_dword s33, s[6:7], 0x0
	s_ashr_i32 s26, s11, 31
	s_load_dword s11, s[0:1], 0x88
	s_load_dwordx4 s[16:19], s[0:1], 0x48
	s_movk_i32 s3, 0x100
	s_ashr_i32 s15, s2, 31
	v_and_b32_e32 v2, 7, v0
	s_lshl_b32 s24, s2, 8
	v_cmp_gt_u32_e32 vcc, s3, v0
	v_lshlrev_b32_e32 v1, 1, v0
	s_and_saveexec_b64 s[6:7], vcc
	s_cbranch_execz .LBB280_5
; %bb.3:
	s_load_dwordx2 s[8:9], s[0:1], 0x8
	s_waitcnt lgkmcnt(0)
	s_mul_i32 s20, s16, s10
	s_ashr_i32 s21, s20, 31
	s_lshl_b64 s[20:21], s[20:21], 1
	v_lshrrev_b32_e32 v4, 3, v0
	s_add_u32 s3, s8, s20
	s_addc_u32 s16, s9, s21
	s_ashr_i32 s25, s24, 31
	s_lshl_b64 s[8:9], s[24:25], 1
	s_add_u32 s8, s3, s8
	s_addc_u32 s9, s16, s9
	global_load_ushort v5, v1, s[8:9]
	s_movk_i32 s3, 0x80
	v_lshlrev_b32_e32 v3, 1, v4
	v_lshl_add_u32 v3, v2, 6, v3
	v_cmp_gt_u32_e32 vcc, s3, v0
	s_waitcnt vmcnt(0)
	ds_write_b16 v3, v5
	s_and_b64 exec, exec, vcc
	s_cbranch_execz .LBB280_5
; %bb.4:
	v_lshlrev_b32_e32 v4, 4, v4
	v_lshlrev_b32_e32 v5, 1, v2
	s_movk_i32 s3, 0x100
	v_or3_b32 v4, v4, v5, s3
	global_load_ushort v4, v4, s[8:9]
	s_waitcnt vmcnt(0)
	ds_write_b16 v3, v4 offset:32
.LBB280_5:
	s_or_b64 exec, exec, s[6:7]
	s_mul_i32 s7, s14, s12
	s_sub_i32 s7, s13, s7
	s_xor_b32 s6, s15, s26
	s_add_i32 s8, s14, 1
	s_sub_i32 s9, s7, s12
	s_load_dwordx4 s[20:23], s[0:1], 0x68
	s_load_dword s3, s[0:1], 0x78
	s_cmp_ge_u32 s7, s12
	s_cselect_b32 s8, s8, s14
	s_cselect_b32 s7, s9, s7
	s_add_i32 s9, s8, 1
	s_cmp_ge_u32 s7, s12
	s_cselect_b32 s7, s9, s8
	s_waitcnt lgkmcnt(0)
	s_abs_i32 s16, s23
	v_cvt_f32_u32_e32 v3, s16
	s_xor_b32 s7, s7, s6
	s_sub_i32 s43, s7, s6
	s_sub_i32 s6, 0, s16
	v_rcp_iflag_f32_e32 v3, v3
	s_add_i32 s12, s33, -1
	s_abs_i32 s8, s12
	v_mul_f32_e32 v3, 0x4f7ffffe, v3
	v_cvt_u32_f32_e32 v3, v3
	s_barrier
	v_readfirstlane_b32 s25, v3
	s_mul_i32 s6, s6, s25
	s_mul_hi_u32 s6, s25, s6
	s_add_i32 s25, s25, s6
	s_cmp_lt_i32 s3, 0
	s_mul_hi_u32 s9, s8, s25
	s_cbranch_scc0 .LBB280_7
; %bb.6:
	s_mul_i32 s6, s20, s36
	s_add_i32 s6, s43, s6
	s_mul_i32 s6, s6, s3
	s_sub_i32 s36, 1, s6
	s_mov_b64 s[6:7], 0
	s_branch .LBB280_8
.LBB280_7:
	s_mov_b64 s[6:7], -1
                                        ; implicit-def: $sgpr36
.LBB280_8:
	s_load_dwordx2 s[28:29], s[0:1], 0x28
	s_ashr_i32 s19, s12, 31
	s_andn2_b64 vcc, exec, s[6:7]
	s_ashr_i32 s23, s23, 31
	s_cbranch_vccnz .LBB280_10
; %bb.9:
	s_mul_i32 s6, s5, s20
	s_add_i32 s2, s6, s2
	s_mul_i32 s2, s2, s3
	s_add_i32 s36, s2, 1
.LBB280_10:
	s_load_dword s2, s[0:1], 0x38
	s_load_dwordx2 s[26:27], s[0:1], 0x0
	s_load_dwordx2 s[34:35], s[0:1], 0x18
	s_load_dwordx4 s[12:15], s[0:1], 0x58
	s_xor_b32 s3, s19, s23
	s_waitcnt lgkmcnt(0)
	s_mul_i32 s30, s2, s10
	s_mul_i32 s2, s9, s16
	s_sub_i32 s2, s8, s2
	s_ashr_i32 s31, s30, 31
	s_add_i32 s6, s9, 1
	s_sub_i32 s7, s2, s16
	s_cmp_ge_u32 s2, s16
	s_cselect_b32 s6, s6, s9
	s_cselect_b32 s2, s7, s2
	s_add_i32 s7, s6, 1
	s_cmp_ge_u32 s2, s16
	s_cselect_b32 s2, s7, s6
	s_xor_b32 s2, s2, s3
	s_sub_i32 s42, s2, s3
	s_add_i32 s2, s33, 7
	s_ashr_i32 s3, s2, 31
	s_lshr_b32 s3, s3, 29
	s_add_i32 s2, s2, s3
	s_ashr_i32 s20, s2, 3
	v_lshrrev_b32_e32 v13, 6, v0
	v_cmp_gt_i32_e64 s[6:7], s20, v13
	v_mov_b32_e32 v16, 0xff7fffff
	s_mul_i32 s43, s43, s18
	v_lshrrev_b32_e32 v18, 4, v0
	v_lshlrev_b32_e32 v22, 3, v13
	v_mbcnt_lo_u32_b32 v12, -1, 0
	s_and_saveexec_b64 s[18:19], s[6:7]
	s_cbranch_execz .LBB280_22
; %bb.11:
	s_load_dwordx2 s[0:1], s[0:1], 0x10
	s_sub_i32 s45, s42, s21
	s_ashr_i32 s2, s43, 31
	v_bfe_u32 v14, v0, 3, 3
	v_mov_b32_e32 v5, 0
	s_waitcnt lgkmcnt(0)
	s_add_u32 s0, s0, s43
	s_addc_u32 s1, s1, s2
	s_abs_i32 s46, s22
	v_cvt_f32_u32_e32 v3, s46
	v_lshlrev_b32_e32 v4, 4, v14
	v_lshl_add_u64 v[6:7], s[0:1], 0, v[4:5]
	v_cmp_eq_u32_e32 vcc, 0, v2
	v_rcp_iflag_f32_e32 v3, v3
	v_lshlrev_b32_e32 v15, 6, v2
	s_sub_i32 s0, 0, s46
	v_mbcnt_hi_u32_b32 v24, -1, v12
	v_mul_f32_e32 v3, 0x4f7ffffe, v3
	v_cvt_u32_f32_e32 v8, v3
	v_mov_b32_e32 v3, v5
	v_lshl_add_u64 v[6:7], v[6:7], 0, v[2:3]
	v_subrev_u32_e32 v2, s33, v14
	v_mul_lo_u32 v4, s0, v8
	s_lshl_b64 s[0:1], s[30:31], 2
	v_add_u32_e32 v20, 1, v2
	v_lshlrev_b32_e32 v2, 2, v14
	v_mul_hi_u32 v4, v8, v4
	s_add_u32 s0, s28, s0
	v_lshl_or_b32 v2, v13, 5, v2
	v_add_u32_e32 v17, v8, v4
	v_and_b32_e32 v4, 60, v18
	s_addc_u32 s1, s29, s1
	v_add_u32_e32 v21, 0x210, v2
	v_and_b32_e32 v2, 64, v24
	s_mov_b32 s47, s17
	v_cmp_neq_f32_e64 s[2:3], s44, 0
	v_lshl_add_u64 v[8:9], s[0:1], 0, v[4:5]
	v_lshlrev_b32_e32 v19, 3, v13
	v_mov_b32_e32 v23, 0xff7fffff
	s_mov_b64 s[38:39], 0
	v_add_u32_e32 v25, 64, v2
	v_xor_b32_e32 v26, 4, v24
	v_xor_b32_e32 v27, 2, v24
	;; [unrolled: 1-line block ×3, first 2 shown]
	v_mov_b32_e32 v16, 0xff7fffff
	v_mov_b32_e32 v29, v13
	s_branch .LBB280_14
.LBB280_12:                             ;   in Loop: Header=BB280_14 Depth=1
	s_or_b64 exec, exec, s[40:41]
.LBB280_13:                             ;   in Loop: Header=BB280_14 Depth=1
	s_or_b64 exec, exec, s[8:9]
	v_add_u32_e32 v29, 2, v29
	v_cmp_le_i32_e64 s[0:1], s20, v29
	v_lshl_add_u64 v[8:9], v[8:9], 0, 8
	v_add_u32_e32 v19, 16, v19
	s_or_b64 s[38:39], s[0:1], s[38:39]
	v_add_u32_e32 v21, 64, v21
	s_andn2_b64 exec, exec, s[38:39]
	s_cbranch_execz .LBB280_21
.LBB280_14:                             ; =>This Inner Loop Header: Depth=1
	v_mul_hi_u32 v2, v19, s25
	s_waitcnt lgkmcnt(0)
	v_mul_lo_u32 v3, v2, s16
	v_sub_u32_e32 v3, v19, v3
	v_add_u32_e32 v4, 1, v2
	v_cmp_le_u32_e64 s[0:1], s16, v3
	s_nop 1
	v_cndmask_b32_e64 v2, v2, v4, s[0:1]
	v_subrev_u32_e32 v4, s16, v3
	v_cndmask_b32_e64 v3, v3, v4, s[0:1]
	v_add_u32_e32 v4, 1, v2
	v_cmp_le_u32_e64 s[0:1], s16, v3
	s_nop 1
	v_cndmask_b32_e64 v2, v2, v4, s[0:1]
	v_xor_b32_e32 v2, s23, v2
	v_subrev_u32_e32 v2, s23, v2
	v_add_u32_e32 v3, s36, v2
	v_sub_u32_e32 v5, 0, v3
	v_ashrrev_i32_e32 v4, 31, v3
	v_max_i32_e32 v3, v3, v5
	v_mul_hi_u32 v5, v3, v17
	v_mul_lo_u32 v5, v5, s46
	v_sub_u32_e32 v3, v3, v5
	v_subrev_u32_e32 v5, s46, v3
	v_cmp_le_u32_e64 s[0:1], s46, v3
	v_cmp_ge_i32_e64 s[8:9], s45, v2
	s_nop 0
	v_cndmask_b32_e64 v3, v3, v5, s[0:1]
	v_subrev_u32_e32 v5, s46, v3
	v_cmp_le_u32_e64 s[0:1], s46, v3
	s_nop 1
	v_cndmask_b32_e64 v3, v3, v5, s[0:1]
	v_xor_b32_e32 v3, v3, v4
	v_sub_u32_e32 v3, v3, v4
	v_cmp_ne_u32_e64 s[0:1], 0, v3
	s_and_b64 s[0:1], s[0:1], s[8:9]
	s_and_saveexec_b64 s[8:9], s[0:1]
	s_xor_b64 s[0:1], exec, s[8:9]
	s_cbranch_execz .LBB280_18
; %bb.15:                               ;   in Loop: Header=BB280_14 Depth=1
	s_and_saveexec_b64 s[8:9], vcc
; %bb.16:                               ;   in Loop: Header=BB280_14 Depth=1
	ds_write_b32 v21, v23
; %bb.17:                               ;   in Loop: Header=BB280_14 Depth=1
	s_or_b64 exec, exec, s[8:9]
.LBB280_18:                             ;   in Loop: Header=BB280_14 Depth=1
	s_andn2_saveexec_b64 s[8:9], s[0:1]
	s_cbranch_execz .LBB280_13
; %bb.19:                               ;   in Loop: Header=BB280_14 Depth=1
	global_load_dword v10, v[8:9], off
	ds_read_b128 v[30:33], v15
	ds_read_b128 v[34:37], v15 offset:16
	ds_read_b128 v[60:63], v15 offset:32
	ds_read_b128 v[2:5], v15 offset:48
	s_waitcnt lgkmcnt(3)
	v_lshlrev_b32_e32 v52, 16, v31
	v_and_b32_e32 v53, 0xffff0000, v31
	v_lshlrev_b32_e32 v54, 16, v32
	v_and_b32_e32 v55, 0xffff0000, v32
	s_waitcnt lgkmcnt(2)
	v_lshlrev_b32_e32 v50, 16, v34
	v_and_b32_e32 v49, 0xffff0000, v34
	v_lshlrev_b32_e32 v46, 16, v36
	v_and_b32_e32 v45, 0xffff0000, v36
	;; [unrolled: 5-line block ×3, first 2 shown]
	v_lshlrev_b32_e32 v36, 16, v62
	v_and_b32_e32 v34, 0xffff0000, v62
	v_lshlrev_b32_e32 v32, 16, v63
	v_and_b32_e32 v31, 0xffff0000, v63
	v_lshlrev_b32_e32 v56, 16, v33
	v_and_b32_e32 v57, 0xffff0000, v33
	v_lshlrev_b32_e32 v48, 16, v35
	v_and_b32_e32 v47, 0xffff0000, v35
	v_lshlrev_b32_e32 v44, 16, v37
	v_and_b32_e32 v43, 0xffff0000, v37
	s_waitcnt lgkmcnt(0)
	v_lshlrev_b32_e32 v39, 16, v3
	v_and_b32_e32 v37, 0xffff0000, v3
	v_lshlrev_b32_e32 v35, 16, v4
	v_and_b32_e32 v33, 0xffff0000, v4
	;; [unrolled: 2-line block ×3, first 2 shown]
	v_and_b32_e32 v58, 0xffff0000, v30
	v_lshlrev_b32_e32 v51, 16, v30
	v_lshlrev_b32_e32 v30, 16, v2
	v_and_b32_e32 v2, 0xffff0000, v2
	s_waitcnt vmcnt(0)
	v_mad_i64_i32 v[10:11], s[0:1], v10, s47, v[6:7]
	global_load_ubyte v59, v[10:11], off offset:8
	global_load_ubyte v60, v[10:11], off offset:128
	;; [unrolled: 1-line block ×7, first 2 shown]
	global_load_ubyte v66, v[10:11], off
	global_load_ubyte v5, v[10:11], off offset:512
	global_load_ubyte v67, v[10:11], off offset:520
	;; [unrolled: 1-line block ×22, first 2 shown]
	s_load_dword s40, s[12:13], 0x0
	global_load_ubyte v89, v[10:11], off offset:1920
	s_nop 0
	global_load_ubyte v10, v[10:11], off offset:1928
	v_cmp_lt_i32_e64 s[0:1], v26, v25
	s_waitcnt vmcnt(23)
	v_cvt_f32_fp8_e32 v5, v5
	v_cndmask_b32_e64 v88, v24, v26, s[0:1]
	s_waitcnt lgkmcnt(0)
	v_mul_f32_e32 v5, s40, v5
	v_cvt_pk_bf16_f32 v5, v5, s0
	v_lshlrev_b32_e32 v5, 16, v5
	v_cvt_f32_fp8_e32 v11, v59
	v_cvt_f32_fp8_e32 v60, v60
	;; [unrolled: 1-line block ×4, first 2 shown]
	v_mul_f32_e32 v11, s40, v11
	v_cvt_f32_fp8_e32 v63, v63
	v_cvt_pk_bf16_f32 v11, v11, s0
	v_cvt_f32_fp8_e32 v59, v66
	v_cvt_f32_fp8_e32 v64, v64
	v_mul_f32_e32 v60, s40, v60
	v_lshlrev_b32_e32 v11, 16, v11
	v_mul_f32_e32 v59, s40, v59
	v_cvt_pk_bf16_f32 v59, v59, s0
	v_cvt_f32_fp8_e32 v65, v65
	v_mul_f32_e32 v61, s40, v61
	v_cvt_pk_bf16_f32 v60, v60, s0
	v_lshlrev_b32_e32 v59, 16, v59
	v_mul_f32_e32 v11, v58, v11
	v_mul_f32_e32 v62, s40, v62
	v_cvt_pk_bf16_f32 v61, v61, s0
	v_lshlrev_b32_e32 v60, 16, v60
	v_fmac_f32_e32 v11, v51, v59
	s_waitcnt vmcnt(22)
	v_cvt_f32_fp8_e32 v66, v67
	v_mul_f32_e32 v63, s40, v63
	v_cvt_pk_bf16_f32 v62, v62, s0
	v_lshlrev_b32_e32 v61, 16, v61
	v_fmac_f32_e32 v11, v52, v60
	s_waitcnt vmcnt(21)
	v_cvt_f32_fp8_e32 v67, v68
	;; [unrolled: 6-line block ×4, first 2 shown]
	v_cvt_pk_bf16_f32 v65, v65, s0
	v_lshlrev_b32_e32 v64, 16, v64
	v_fmac_f32_e32 v11, v55, v63
	s_waitcnt vmcnt(18)
	v_cvt_f32_fp8_e32 v70, v71
	v_mul_f32_e32 v66, s40, v66
	v_lshlrev_b32_e32 v65, 16, v65
	v_fmac_f32_e32 v11, v56, v64
	s_waitcnt vmcnt(17)
	v_cvt_f32_fp8_e32 v71, v72
	v_mul_f32_e32 v67, s40, v67
	v_cvt_pk_bf16_f32 v66, v66, s0
	v_fmac_f32_e32 v11, v57, v65
	s_waitcnt vmcnt(16)
	v_cvt_f32_fp8_e32 v72, v73
	v_mul_f32_e32 v68, s40, v68
	v_cvt_pk_bf16_f32 v67, v67, s0
	v_fmac_f32_e32 v11, v50, v5
	v_lshlrev_b32_e32 v5, 16, v66
	s_waitcnt vmcnt(15)
	v_cvt_f32_fp8_e32 v73, v74
	v_mul_f32_e32 v69, s40, v69
	v_cvt_pk_bf16_f32 v68, v68, s0
	v_fmac_f32_e32 v11, v49, v5
	v_lshlrev_b32_e32 v5, 16, v67
	;; [unrolled: 6-line block ×15, first 2 shown]
	v_mul_f32_e32 v83, s40, v83
	v_cvt_pk_bf16_f32 v82, v82, s0
	s_waitcnt vmcnt(1)
	v_cvt_f32_fp8_e32 v52, v89
	v_fmac_f32_e32 v11, v31, v5
	v_lshlrev_b32_e32 v5, 16, v81
	v_mul_f32_e32 v84, s40, v84
	v_cvt_pk_bf16_f32 v83, v83, s0
	s_waitcnt vmcnt(0)
	v_cvt_f32_fp8_e32 v10, v10
	v_fmac_f32_e32 v11, v30, v5
	v_lshlrev_b32_e32 v5, 16, v82
	v_cvt_pk_bf16_f32 v84, v84, s0
	v_mul_f32_e32 v51, s40, v85
	v_fmac_f32_e32 v11, v2, v5
	v_lshlrev_b32_e32 v2, 16, v83
	v_cvt_pk_bf16_f32 v51, v51, s0
	v_mul_f32_e32 v53, s40, v86
	;; [unrolled: 4-line block ×4, first 2 shown]
	v_fmac_f32_e32 v11, v35, v2
	v_lshlrev_b32_e32 v2, 16, v53
	v_cvt_pk_bf16_f32 v10, v10, s0
	v_fmac_f32_e32 v11, v33, v2
	v_lshlrev_b32_e32 v2, 16, v52
	v_fmac_f32_e32 v11, v4, v2
	v_lshlrev_b32_e32 v2, 16, v10
	v_lshlrev_b32_e32 v54, 2, v88
	v_fmac_f32_e32 v11, v3, v2
	ds_bpermute_b32 v2, v54, v11
	v_cmp_lt_i32_e64 s[0:1], v27, v25
	s_waitcnt lgkmcnt(0)
	v_add_f32_e32 v2, v11, v2
	v_cndmask_b32_e64 v3, v24, v27, s[0:1]
	v_lshlrev_b32_e32 v3, 2, v3
	ds_bpermute_b32 v3, v3, v2
	v_cmp_lt_i32_e64 s[0:1], v28, v25
	s_waitcnt lgkmcnt(0)
	v_add_f32_e32 v2, v2, v3
	v_cndmask_b32_e64 v4, v24, v28, s[0:1]
	v_lshlrev_b32_e32 v4, 2, v4
	ds_bpermute_b32 v3, v4, v2
	s_and_saveexec_b64 s[40:41], vcc
	s_cbranch_execz .LBB280_12
; %bb.20:                               ;   in Loop: Header=BB280_14 Depth=1
	v_add_u32_e32 v4, v20, v19
	v_cvt_f32_i32_e32 v4, v4
	s_waitcnt lgkmcnt(0)
	v_add_f32_e32 v2, v2, v3
	v_add_u32_e32 v5, v14, v19
	v_cmp_gt_i32_e64 s[0:1], s33, v5
	v_mul_f32_e32 v3, s44, v4
	v_cndmask_b32_e64 v3, 0, v3, s[2:3]
	v_fmac_f32_e32 v3, s37, v2
	v_cndmask_b32_e64 v2, 0, v3, s[0:1]
	ds_write_b32 v21, v2
	v_max_f32_e32 v2, v16, v16
	v_max_f32_e32 v2, v2, v3
	v_cndmask_b32_e64 v16, v16, v2, s[0:1]
	s_branch .LBB280_12
.LBB280_21:
	s_or_b64 exec, exec, s[38:39]
.LBB280_22:
	s_or_b64 exec, exec, s[18:19]
	v_mbcnt_hi_u32_b32 v2, -1, v12
	v_and_b32_e32 v10, 64, v2
	s_waitcnt lgkmcnt(0)
	v_add_u32_e32 v3, 64, v10
	v_xor_b32_e32 v4, 32, v2
	v_cmp_lt_i32_e32 vcc, v4, v3
	v_xor_b32_e32 v7, 16, v2
	v_max_f32_e32 v6, v16, v16
	v_cndmask_b32_e32 v4, v2, v4, vcc
	v_lshlrev_b32_e32 v5, 2, v4
	ds_bpermute_b32 v4, v5, v16
	v_cmp_lt_i32_e32 vcc, v7, v3
	v_xor_b32_e32 v8, 8, v2
	v_and_b32_e32 v23, 63, v0
	s_waitcnt lgkmcnt(0)
	v_max_f32_e32 v4, v4, v4
	v_max_f32_e32 v4, v6, v4
	v_cndmask_b32_e32 v6, v2, v7, vcc
	v_lshlrev_b32_e32 v7, 2, v6
	ds_bpermute_b32 v6, v7, v4
	v_cmp_lt_i32_e32 vcc, v8, v3
	s_waitcnt lgkmcnt(0)
	v_max_f32_e32 v6, v6, v6
	v_max_f32_e32 v6, v4, v6
	v_cndmask_b32_e32 v4, v2, v8, vcc
	v_lshlrev_b32_e32 v9, 2, v4
	ds_bpermute_b32 v8, v9, v6
	v_cmp_eq_u32_e32 vcc, 0, v23
	v_lshlrev_b32_e32 v4, 2, v13
	s_and_saveexec_b64 s[0:1], vcc
	s_cbranch_execz .LBB280_24
; %bb.23:
	s_waitcnt lgkmcnt(0)
	v_max_f32_e32 v8, v8, v8
	v_max_f32_e32 v6, v6, v6
	;; [unrolled: 1-line block ×3, first 2 shown]
	ds_write_b32 v4, v6 offset:512
.LBB280_24:
	s_or_b64 exec, exec, s[0:1]
	v_cmp_gt_u32_e64 s[0:1], 2, v23
	v_mov_b32_e32 v11, 0xff7fffff
	v_lshlrev_b32_e32 v6, 2, v23
	s_waitcnt lgkmcnt(0)
	s_barrier
	s_and_saveexec_b64 s[2:3], s[0:1]
; %bb.25:
	ds_read_b32 v11, v6 offset:512
; %bb.26:
	s_or_b64 exec, exec, s[2:3]
	v_xor_b32_e32 v8, 1, v2
	v_cmp_lt_i32_e64 s[2:3], v8, v3
	v_lshlrev_b32_e32 v10, 2, v10
	s_nop 0
	v_cndmask_b32_e64 v8, v2, v8, s[2:3]
	v_lshlrev_b32_e32 v8, 2, v8
	s_waitcnt lgkmcnt(0)
	ds_bpermute_b32 v12, v8, v11
	v_max_f32_e32 v11, v11, v11
	s_lshl_b32 s2, s20, 3
	s_min_i32 s37, s2, s33
	v_cmp_gt_i32_e64 s[2:3], s37, v0
	s_waitcnt lgkmcnt(0)
	v_max_f32_e32 v12, v12, v12
	v_max_f32_e32 v11, v11, v12
	ds_bpermute_b32 v11, v10, v11
	v_mov_b32_e32 v10, 0
	s_and_saveexec_b64 s[12:13], s[2:3]
	s_cbranch_execz .LBB280_30
; %bb.27:
	v_mov_b32_e32 v10, 0x210
	v_lshl_add_u32 v12, v0, 2, v10
	v_mov_b32_e32 v10, 0
	s_mov_b64 s[18:19], 0
	v_mov_b32_e32 v14, v0
.LBB280_28:                             ; =>This Inner Loop Header: Depth=1
	ds_read_b32 v15, v12
	v_add_u32_e32 v14, 0x80, v14
	v_cmp_le_i32_e64 s[8:9], s37, v14
	s_or_b64 s[18:19], s[8:9], s[18:19]
	s_waitcnt lgkmcnt(0)
	v_sub_f32_e32 v15, v15, v11
	v_mul_f32_e32 v15, 0x3fb8aa3b, v15
	v_exp_f32_e32 v15, v15
	ds_write_b32 v12, v15
	v_add_f32_e32 v10, v10, v15
	v_add_u32_e32 v12, 0x200, v12
	s_andn2_b64 exec, exec, s[18:19]
	s_cbranch_execnz .LBB280_28
; %bb.29:
	s_or_b64 exec, exec, s[18:19]
.LBB280_30:
	s_or_b64 exec, exec, s[12:13]
	ds_bpermute_b32 v5, v5, v10
	s_waitcnt lgkmcnt(0)
	v_add_f32_e32 v5, v10, v5
	ds_bpermute_b32 v7, v7, v5
	s_waitcnt lgkmcnt(0)
	v_add_f32_e32 v5, v5, v7
	ds_bpermute_b32 v7, v9, v5
	v_xor_b32_e32 v9, 4, v2
	v_cmp_lt_i32_e64 s[8:9], v9, v3
	s_waitcnt lgkmcnt(0)
	v_add_f32_e32 v5, v5, v7
	v_cndmask_b32_e64 v9, v2, v9, s[8:9]
	v_lshlrev_b32_e32 v9, 2, v9
	ds_bpermute_b32 v7, v9, v5
	v_xor_b32_e32 v9, 2, v2
	v_cmp_lt_i32_e64 s[8:9], v9, v3
	s_waitcnt lgkmcnt(0)
	v_add_f32_e32 v5, v5, v7
	v_cndmask_b32_e64 v3, v2, v9, s[8:9]
	v_lshlrev_b32_e32 v3, 2, v3
	ds_bpermute_b32 v3, v3, v5
	s_waitcnt lgkmcnt(0)
	v_add_f32_e32 v3, v5, v3
	ds_bpermute_b32 v5, v8, v3
	s_waitcnt lgkmcnt(0)
	v_add_f32_e32 v3, v3, v5
	s_and_saveexec_b64 s[8:9], vcc
; %bb.31:
	ds_write_b32 v4, v3 offset:520
; %bb.32:
	s_or_b64 exec, exec, s[8:9]
	s_waitcnt lgkmcnt(0)
	s_barrier
	s_and_saveexec_b64 s[8:9], s[0:1]
; %bb.33:
	ds_read_b32 v3, v6 offset:520
; %bb.34:
	s_or_b64 exec, exec, s[8:9]
	s_waitcnt lgkmcnt(0)
	ds_bpermute_b32 v4, v8, v3
	v_lshlrev_b32_e32 v2, 2, v2
	v_and_b32_e32 v2, 0x100, v2
	s_waitcnt lgkmcnt(0)
	v_add_f32_e32 v3, v3, v4
	ds_bpermute_b32 v2, v2, v3
	s_and_saveexec_b64 s[0:1], s[2:3]
	s_cbranch_execz .LBB280_47
; %bb.35:
	s_waitcnt lgkmcnt(0)
	v_add_f32_e32 v2, 0x358637bd, v2
	v_div_scale_f32 v3, s[2:3], v2, v2, 1.0
	v_rcp_f32_e32 v4, v3
	v_div_scale_f32 v5, vcc, 1.0, v2, 1.0
	s_movk_i32 s2, 0x7f
	v_fma_f32 v6, -v3, v4, 1.0
	v_fmac_f32_e32 v4, v6, v4
	v_mul_f32_e32 v6, v5, v4
	v_fma_f32 v7, -v3, v6, v5
	v_fmac_f32_e32 v6, v7, v4
	v_fma_f32 v3, -v3, v6, v5
	v_div_fmas_f32 v3, v3, v4, v6
	v_xad_u32 v4, v0, -1, s37
	v_div_fixup_f32 v2, v3, v2, 1.0
	v_cmp_lt_u32_e32 vcc, s2, v4
	s_mov_b64 s[8:9], -1
	v_mov_b32_e32 v3, v0
	s_and_saveexec_b64 s[2:3], vcc
	s_cbranch_execz .LBB280_44
; %bb.36:
	v_lshrrev_b32_e32 v4, 7, v4
	v_add_u32_e32 v6, -1, v4
	v_lshrrev_b32_e32 v5, 1, v6
	v_mov_b32_e32 v3, v2
	v_add_u32_e32 v5, 1, v5
	v_cmp_lt_u32_e32 vcc, 13, v6
	v_mov_b32_e32 v8, 0
	s_and_saveexec_b64 s[8:9], vcc
	s_cbranch_execz .LBB280_40
; %bb.37:
	v_mov_b32_e32 v7, 0x210
	v_and_b32_e32 v6, -8, v5
	v_lshl_add_u32 v7, v0, 2, v7
	s_mov_b32 s18, 0
	s_mov_b64 s[12:13], 0
.LBB280_38:                             ; =>This Inner Loop Header: Depth=1
	ds_read2st64_b32 v[8:9], v7 offset1:2
	ds_read2st64_b32 v[10:11], v7 offset0:4 offset1:6
	ds_read2st64_b32 v[14:15], v7 offset0:8 offset1:10
	;; [unrolled: 1-line block ×3, first 2 shown]
	v_add_u32_e32 v6, -8, v6
	s_waitcnt lgkmcnt(3)
	v_pk_mul_f32 v[8:9], v[2:3], v[8:9]
	s_waitcnt lgkmcnt(2)
	v_pk_mul_f32 v[10:11], v[2:3], v[10:11]
	ds_write2st64_b32 v7, v8, v9 offset1:2
	ds_write2st64_b32 v7, v10, v11 offset0:4 offset1:6
	ds_read2st64_b32 v[10:11], v7 offset0:16 offset1:18
	s_waitcnt lgkmcnt(4)
	v_pk_mul_f32 v[8:9], v[2:3], v[14:15]
	ds_write2st64_b32 v7, v8, v9 offset0:8 offset1:10
	s_waitcnt lgkmcnt(4)
	v_pk_mul_f32 v[8:9], v[2:3], v[16:17]
	ds_write2st64_b32 v7, v8, v9 offset0:12 offset1:14
	ds_read2st64_b32 v[8:9], v7 offset0:20 offset1:22
	s_waitcnt lgkmcnt(3)
	v_pk_mul_f32 v[10:11], v[2:3], v[10:11]
	ds_read2st64_b32 v[14:15], v7 offset0:24 offset1:26
	ds_write2st64_b32 v7, v10, v11 offset0:16 offset1:18
	ds_read2st64_b32 v[10:11], v7 offset0:28 offset1:30
	s_waitcnt lgkmcnt(3)
	v_pk_mul_f32 v[8:9], v[2:3], v[8:9]
	ds_write2st64_b32 v7, v8, v9 offset0:20 offset1:22
	s_waitcnt lgkmcnt(3)
	v_pk_mul_f32 v[8:9], v[2:3], v[14:15]
	ds_write2st64_b32 v7, v8, v9 offset0:24 offset1:26
	s_waitcnt lgkmcnt(2)
	v_pk_mul_f32 v[8:9], v[2:3], v[10:11]
	s_add_i32 s18, s18, 16
	v_cmp_eq_u32_e32 vcc, 0, v6
	ds_write2st64_b32 v7, v8, v9 offset0:28 offset1:30
	v_add_u32_e32 v7, 0x2000, v7
	s_or_b64 s[12:13], vcc, s[12:13]
	v_mov_b32_e32 v8, s18
	s_andn2_b64 exec, exec, s[12:13]
	s_cbranch_execnz .LBB280_38
; %bb.39:
	s_or_b64 exec, exec, s[12:13]
.LBB280_40:
	s_or_b64 exec, exec, s[8:9]
	v_and_b32_e32 v5, 7, v5
	v_cmp_ne_u32_e32 vcc, 0, v5
	s_and_saveexec_b64 s[8:9], vcc
	s_cbranch_execz .LBB280_43
; %bb.41:
	v_lshlrev_b32_e32 v6, 9, v8
	v_lshlrev_b32_e32 v7, 2, v0
	s_movk_i32 s12, 0x210
	v_add3_u32 v6, v6, v7, s12
	s_mov_b64 s[12:13], 0
.LBB280_42:                             ; =>This Inner Loop Header: Depth=1
	ds_read2st64_b32 v[8:9], v6 offset1:2
	v_add_u32_e32 v5, -1, v5
	v_cmp_eq_u32_e32 vcc, 0, v5
	s_or_b64 s[12:13], vcc, s[12:13]
	s_waitcnt lgkmcnt(0)
	v_pk_mul_f32 v[8:9], v[2:3], v[8:9]
	ds_write2st64_b32 v6, v8, v9 offset1:2
	v_add_u32_e32 v6, 0x400, v6
	s_andn2_b64 exec, exec, s[12:13]
	s_cbranch_execnz .LBB280_42
.LBB280_43:
	s_or_b64 exec, exec, s[8:9]
	v_add_u32_e32 v4, 1, v4
	v_and_b32_e32 v5, 0x3fffffe, v4
	v_cmp_ne_u32_e32 vcc, v4, v5
	v_lshl_add_u32 v3, v5, 7, v0
	s_orn2_b64 s[8:9], vcc, exec
.LBB280_44:
	s_or_b64 exec, exec, s[2:3]
	s_and_b64 exec, exec, s[8:9]
	s_cbranch_execz .LBB280_47
; %bb.45:
	v_mov_b32_e32 v4, 0x210
	v_lshl_add_u32 v4, v3, 2, v4
	s_mov_b64 s[2:3], 0
.LBB280_46:                             ; =>This Inner Loop Header: Depth=1
	ds_read_b32 v5, v4
	v_add_u32_e32 v3, 0x80, v3
	v_cmp_le_i32_e32 vcc, s37, v3
	s_or_b64 s[2:3], vcc, s[2:3]
	s_waitcnt lgkmcnt(0)
	v_mul_f32_e32 v5, v2, v5
	ds_write_b32 v4, v5
	v_add_u32_e32 v4, 0x200, v4
	s_andn2_b64 exec, exec, s[2:3]
	s_cbranch_execnz .LBB280_46
.LBB280_47:
	s_or_b64 exec, exec, s[0:1]
	v_mov_b32_e32 v14, 0
	v_mov_b32_e32 v15, v14
	;; [unrolled: 1-line block ×3, first 2 shown]
	v_mov_b64_e32 v[10:11], v[14:15]
	s_waitcnt lgkmcnt(0)
	s_barrier
	s_and_saveexec_b64 s[2:3], s[6:7]
	s_cbranch_execz .LBB280_61
; %bb.48:
	s_sub_i32 s18, s42, s21
	s_ashr_i32 s1, s43, 31
	s_add_u32 s0, s34, s43
	s_addc_u32 s1, s35, s1
	s_abs_i32 s19, s22
	v_cvt_f32_u32_e32 v2, s19
	v_lshlrev_b32_e32 v10, 3, v23
	v_mov_b32_e32 v11, 0
	v_lshl_add_u64 v[16:17], s[0:1], 0, v[10:11]
	v_rcp_iflag_f32_e32 v2, v2
	s_sub_i32 s0, 0, s19
	s_add_i32 s21, s20, -1
	v_and_b32_e32 v10, 60, v18
	v_mul_f32_e32 v2, 0x4f7ffffe, v2
	v_cvt_u32_f32_e32 v2, v2
	s_mov_b64 s[6:7], 0
	v_mov_b32_e32 v12, v11
	v_mov_b32_e32 v14, v11
	v_mul_lo_u32 v3, s0, v2
	s_lshl_b64 s[0:1], s[30:31], 2
	v_mul_hi_u32 v3, v2, v3
	s_add_u32 s0, s28, s0
	v_add_u32_e32 v15, v2, v3
	s_addc_u32 s1, s29, s1
	v_mov_b32_e32 v2, 0x210
	v_lshl_add_u64 v[18:19], s[0:1], 0, v[10:11]
	v_lshl_add_u32 v24, v13, 5, v2
	v_mov_b32_e32 v10, v11
	s_branch .LBB280_51
.LBB280_49:                             ;   in Loop: Header=BB280_51 Depth=1
	s_or_b64 exec, exec, s[0:1]
	v_cvt_pk_bf16_f32 v6, v6, s0
	v_cvt_pk_bf16_f32 v7, v7, s0
	v_cvt_pk_bf16_f32 v8, v8, s0
	v_cvt_pk_bf16_f32 v9, v9, s0
	v_lshlrev_b32_e32 v7, 16, v7
	v_lshlrev_b32_e32 v33, 16, v61
	;; [unrolled: 1-line block ×4, first 2 shown]
	v_cvt_pk_bf16_f32 v2, v2, s0
	v_cvt_pk_bf16_f32 v3, v3, s0
	v_mul_f32_e32 v33, v7, v33
	v_mul_f32_e32 v34, v6, v34
	v_lshlrev_b32_e32 v9, 16, v9
	v_lshlrev_b32_e32 v35, 16, v59
	v_lshlrev_b32_e32 v8, 16, v8
	v_lshlrev_b32_e32 v36, 16, v58
	v_lshlrev_b32_e32 v32, 16, v32
	v_lshlrev_b32_e32 v31, 16, v31
	v_lshlrev_b32_e32 v30, 16, v30
	v_lshlrev_b32_e32 v29, 16, v29
	v_cvt_pk_bf16_f32 v4, v4, s0
	v_cvt_pk_bf16_f32 v5, v5, s0
	;; [unrolled: 1-line block ×4, first 2 shown]
	v_mul_f32_e32 v35, v9, v35
	v_mul_f32_e32 v36, v8, v36
	v_lshlrev_b32_e32 v3, 16, v3
	v_lshlrev_b32_e32 v38, 16, v2
	v_mul_f32_e32 v32, v7, v32
	v_mul_f32_e32 v31, v6, v31
	;; [unrolled: 1-line block ×4, first 2 shown]
	v_lshlrev_b32_e32 v28, 16, v28
	v_lshlrev_b32_e32 v27, 16, v27
	v_cvt_pk_bf16_f32 v35, v35, s0
	v_cvt_pk_bf16_f32 v36, v36, s0
	v_lshlrev_b32_e32 v37, 16, v57
	v_lshlrev_b32_e32 v2, 16, v56
	;; [unrolled: 1-line block ×6, first 2 shown]
	v_cvt_pk_bf16_f32 v32, v32, s0
	v_cvt_pk_bf16_f32 v31, v31, s0
	;; [unrolled: 1-line block ×4, first 2 shown]
	v_mul_f32_e32 v28, v3, v28
	v_mul_f32_e32 v27, v38, v27
	v_lshlrev_b32_e32 v26, 16, v26
	v_lshlrev_b32_e32 v25, 16, v25
	v_mul_f32_e32 v37, v3, v37
	v_mul_f32_e32 v2, v38, v2
	v_add_f32_e32 v33, v34, v33
	v_lshlrev_b32_e32 v34, 16, v36
	v_lshlrev_b32_e32 v35, 16, v35
	v_cvt_pk_bf16_f32 v28, v28, s0
	v_cvt_pk_bf16_f32 v27, v27, s0
	v_mul_f32_e32 v26, v5, v26
	v_mul_f32_e32 v25, v4, v25
	v_lshlrev_b32_e32 v31, 16, v31
	v_lshlrev_b32_e32 v32, 16, v32
	;; [unrolled: 1-line block ×4, first 2 shown]
	v_cvt_pk_bf16_f32 v37, v37, s0
	v_cvt_pk_bf16_f32 v2, v2, s0
	v_lshlrev_b32_e32 v39, 16, v55
	v_lshlrev_b32_e32 v54, 16, v54
	v_add_f32_e32 v34, v34, v35
	v_cvt_pk_bf16_f32 v26, v26, s0
	v_cvt_pk_bf16_f32 v25, v25, s0
	v_add_f32_e32 v31, v31, v32
	v_add_f32_e32 v29, v29, v30
	v_lshlrev_b32_e32 v27, 16, v27
	v_lshlrev_b32_e32 v28, 16, v28
	v_mul_f32_e32 v39, v5, v39
	v_mul_f32_e32 v54, v4, v54
	v_add_f32_e32 v33, v34, v33
	v_lshlrev_b32_e32 v2, 16, v2
	v_lshlrev_b32_e32 v34, 16, v37
	v_add_f32_e32 v29, v29, v31
	v_add_f32_e32 v27, v27, v28
	v_lshlrev_b32_e32 v25, 16, v25
	v_lshlrev_b32_e32 v26, 16, v26
	v_cvt_pk_bf16_f32 v39, v39, s0
	v_cvt_pk_bf16_f32 v54, v54, s0
	v_add_f32_e32 v2, v2, v34
	v_add_f32_e32 v27, v27, v29
	;; [unrolled: 1-line block ×4, first 2 shown]
	v_lshlrev_b32_e32 v33, 16, v54
	v_lshlrev_b32_e32 v34, 16, v39
	v_add_f32_e32 v25, v25, v27
	v_add_f32_e32 v33, v33, v34
	v_lshlrev_b32_e32 v34, 16, v46
	v_add_f32_e32 v12, v12, v25
	v_lshlrev_b32_e32 v25, 16, v53
	;; [unrolled: 2-line block ×3, first 2 shown]
	v_mul_f32_e32 v34, v6, v34
	v_mul_f32_e32 v6, v6, v25
	v_lshlrev_b32_e32 v25, 16, v52
	v_mul_f32_e32 v33, v7, v33
	v_lshlrev_b32_e32 v36, 16, v44
	v_lshlrev_b32_e32 v40, 16, v40
	v_mul_f32_e32 v7, v7, v25
	v_lshlrev_b32_e32 v25, 16, v51
	v_lshlrev_b32_e32 v21, 16, v21
	v_lshlrev_b32_e32 v35, 16, v45
	v_mul_f32_e32 v36, v8, v36
	v_mul_f32_e32 v40, v4, v40
	;; [unrolled: 1-line block ×3, first 2 shown]
	v_lshlrev_b32_e32 v25, 16, v50
	v_mul_f32_e32 v4, v4, v21
	v_cvt_pk_bf16_f32 v33, v33, s0
	v_cvt_pk_bf16_f32 v34, v34, s0
	v_mul_f32_e32 v35, v9, v35
	v_lshlrev_b32_e32 v37, 16, v43
	v_mul_f32_e32 v9, v9, v25
	v_lshlrev_b32_e32 v25, 16, v49
	v_lshlrev_b32_e32 v26, 16, v48
	v_cvt_pk_bf16_f32 v21, v4, s0
	v_lshlrev_b32_e32 v4, 16, v20
	v_cvt_pk_bf16_f32 v35, v35, s0
	v_cvt_pk_bf16_f32 v36, v36, s0
	v_mul_f32_e32 v37, v3, v37
	v_lshlrev_b32_e32 v39, 16, v42
	v_lshlrev_b32_e32 v41, 16, v41
	;; [unrolled: 1-line block ×4, first 2 shown]
	v_cvt_pk_bf16_f32 v6, v6, s0
	v_cvt_pk_bf16_f32 v7, v7, s0
	;; [unrolled: 1-line block ×4, first 2 shown]
	v_mul_f32_e32 v25, v38, v25
	v_mul_f32_e32 v3, v3, v26
	;; [unrolled: 1-line block ×5, first 2 shown]
	v_add_f32_e32 v33, v34, v33
	v_lshlrev_b32_e32 v34, 16, v36
	v_lshlrev_b32_e32 v35, 16, v35
	v_cvt_pk_bf16_f32 v25, v25, s0
	v_cvt_pk_bf16_f32 v3, v3, s0
	;; [unrolled: 1-line block ×3, first 2 shown]
	v_lshlrev_b32_e32 v5, 16, v7
	v_lshlrev_b32_e32 v7, 16, v6
	;; [unrolled: 1-line block ×4, first 2 shown]
	v_cvt_pk_bf16_f32 v37, v37, s0
	v_cvt_pk_bf16_f32 v39, v39, s0
	v_add_f32_e32 v34, v34, v35
	v_pk_add_f32 v[4:5], v[6:7], v[4:5]
	v_lshlrev_b32_e32 v7, 16, v3
	v_lshlrev_b32_e32 v9, 16, v25
	;; [unrolled: 1-line block ×4, first 2 shown]
	v_add_f32_e32 v33, v34, v33
	v_lshlrev_b32_e32 v34, 16, v39
	v_lshlrev_b32_e32 v35, 16, v37
	v_pk_add_f32 v[6:7], v[8:9], v[6:7]
	v_add_f32_e32 v3, v4, v5
	v_cvt_pk_bf16_f32 v41, v41, s0
	v_cvt_pk_bf16_f32 v40, v40, s0
	v_add_f32_e32 v34, v34, v35
	v_add_f32_e32 v3, v7, v3
	;; [unrolled: 1-line block ×3, first 2 shown]
	v_lshlrev_b32_e32 v34, 16, v40
	v_lshlrev_b32_e32 v35, 16, v41
	v_add_f32_e32 v4, v6, v3
	v_add_f32_e32 v34, v34, v35
	v_pk_add_f32 v[4:5], v[10:11], v[4:5] op_sel_hi:[1,0]
	v_add_f32_e32 v2, v10, v2
	v_add_f32_e32 v33, v34, v33
	v_mov_b32_e32 v3, v5
	v_add_f32_e32 v14, v14, v33
	v_mov_b64_e32 v[10:11], v[2:3]
.LBB280_50:                             ;   in Loop: Header=BB280_51 Depth=1
	s_or_b64 exec, exec, s[8:9]
	v_add_u32_e32 v13, 2, v13
	v_cmp_le_i32_e32 vcc, s20, v13
	v_lshl_add_u64 v[18:19], v[18:19], 0, 8
	v_add_u32_e32 v22, 16, v22
	s_or_b64 s[6:7], vcc, s[6:7]
	v_add_u32_e32 v24, 64, v24
	s_andn2_b64 exec, exec, s[6:7]
	s_cbranch_execz .LBB280_60
.LBB280_51:                             ; =>This Inner Loop Header: Depth=1
	v_mul_hi_u32 v2, v22, s25
	v_mul_lo_u32 v3, v2, s16
	v_sub_u32_e32 v3, v22, v3
	v_add_u32_e32 v4, 1, v2
	v_cmp_le_u32_e32 vcc, s16, v3
	s_nop 1
	v_cndmask_b32_e32 v2, v2, v4, vcc
	v_subrev_u32_e32 v4, s16, v3
	v_cndmask_b32_e32 v3, v3, v4, vcc
	v_add_u32_e32 v4, 1, v2
	v_cmp_le_u32_e32 vcc, s16, v3
	s_nop 1
	v_cndmask_b32_e32 v2, v2, v4, vcc
	v_xor_b32_e32 v2, s23, v2
	v_subrev_u32_e32 v2, s23, v2
	v_add_u32_e32 v3, s36, v2
	v_sub_u32_e32 v5, 0, v3
	v_ashrrev_i32_e32 v4, 31, v3
	v_max_i32_e32 v3, v3, v5
	v_mul_hi_u32 v5, v3, v15
	v_mul_lo_u32 v5, v5, s19
	v_sub_u32_e32 v3, v3, v5
	v_subrev_u32_e32 v5, s19, v3
	v_cmp_le_u32_e32 vcc, s19, v3
	v_cmp_lt_i32_e64 s[0:1], s18, v2
	s_nop 0
	v_cndmask_b32_e32 v3, v3, v5, vcc
	v_subrev_u32_e32 v5, s19, v3
	v_cmp_le_u32_e32 vcc, s19, v3
	s_nop 1
	v_cndmask_b32_e32 v3, v3, v5, vcc
	v_xor_b32_e32 v3, v3, v4
	v_sub_u32_e32 v3, v3, v4
	v_cmp_eq_u32_e32 vcc, 0, v3
	s_or_b64 s[0:1], vcc, s[0:1]
	s_and_saveexec_b64 s[8:9], s[0:1]
	s_cbranch_execz .LBB280_50
; %bb.52:                               ;   in Loop: Header=BB280_51 Depth=1
	global_load_dword v2, v[18:19], off
	v_cmp_eq_u32_e32 vcc, s21, v13
	v_add_u32_e32 v38, 1, v22
	v_add_u32_e32 v37, 2, v22
	;; [unrolled: 1-line block ×6, first 2 shown]
	s_waitcnt vmcnt(0)
	v_mad_i64_i32 v[20:21], s[0:1], v2, s17, v[16:17]
	global_load_dwordx2 v[26:27], v[20:21], off
	ds_read2_b64 v[6:9], v24 offset1:1
	ds_read2_b64 v[2:5], v24 offset0:2 offset1:3
	s_load_dword s22, s[14:15], 0x0
	s_waitcnt vmcnt(0)
	v_and_b32_e32 v25, 0xff, v26
	v_bfe_u32 v28, v26, 8, 8
	v_bfe_u32 v29, v26, 16, 8
	v_lshrrev_b32_e32 v26, 24, v26
	v_and_b32_e32 v30, 0xff, v27
	v_bfe_u32 v31, v27, 8, 8
	v_bfe_u32 v32, v27, 16, 8
	v_lshrrev_b32_e32 v27, 24, v27
	v_cvt_f32_fp8_e32 v25, v25
	v_cvt_f32_fp8_e32 v28, v28
	;; [unrolled: 1-line block ×8, first 2 shown]
	s_waitcnt lgkmcnt(0)
	v_mul_f32_e32 v25, s22, v25
	v_mul_f32_e32 v28, s22, v28
	;; [unrolled: 1-line block ×8, first 2 shown]
	v_cvt_pk_bf16_f32 v31, v25, s0
	v_cvt_pk_bf16_f32 v32, v28, s0
	;; [unrolled: 1-line block ×8, first 2 shown]
	v_add_u32_e32 v39, 7, v22
	s_and_saveexec_b64 s[12:13], vcc
	s_cbranch_execz .LBB280_54
; %bb.53:                               ;   in Loop: Header=BB280_51 Depth=1
	v_cmp_gt_i32_e64 s[0:1], s33, v22
	s_nop 1
	v_cndmask_b32_e64 v31, 0, v31, s[0:1]
	v_cmp_gt_i32_e64 s[0:1], s33, v38
	s_nop 1
	v_cndmask_b32_e64 v32, 0, v32, s[0:1]
	v_cmp_gt_i32_e64 s[0:1], s33, v37
	s_nop 1
	v_cndmask_b32_e64 v29, 0, v29, s[0:1]
	v_cmp_gt_i32_e64 s[0:1], s33, v36
	s_nop 1
	v_cndmask_b32_e64 v30, 0, v30, s[0:1]
	v_cmp_gt_i32_e64 s[0:1], s33, v35
	s_nop 1
	v_cndmask_b32_e64 v27, 0, v27, s[0:1]
	v_cmp_gt_i32_e64 s[0:1], s33, v34
	s_nop 1
	v_cndmask_b32_e64 v28, 0, v28, s[0:1]
	v_cmp_gt_i32_e64 s[0:1], s33, v33
	s_nop 1
	v_cndmask_b32_e64 v25, 0, v25, s[0:1]
	v_cmp_gt_i32_e64 s[0:1], s33, v39
	s_nop 1
	v_cndmask_b32_e64 v26, 0, v26, s[0:1]
.LBB280_54:                             ;   in Loop: Header=BB280_51 Depth=1
	s_or_b64 exec, exec, s[12:13]
	global_load_dwordx2 v[40:41], v[20:21], off offset:512
	s_waitcnt vmcnt(0)
	v_and_b32_e32 v42, 0xff, v40
	v_bfe_u32 v43, v40, 8, 8
	v_bfe_u32 v44, v40, 16, 8
	v_lshrrev_b32_e32 v40, 24, v40
	v_and_b32_e32 v45, 0xff, v41
	v_bfe_u32 v46, v41, 8, 8
	v_bfe_u32 v47, v41, 16, 8
	v_lshrrev_b32_e32 v41, 24, v41
	v_cvt_f32_fp8_e32 v42, v42
	v_cvt_f32_fp8_e32 v43, v43
	v_cvt_f32_fp8_e32 v44, v44
	v_cvt_f32_fp8_e32 v40, v40
	v_cvt_f32_fp8_e32 v45, v45
	v_cvt_f32_fp8_e32 v46, v46
	v_cvt_f32_fp8_e32 v47, v47
	v_cvt_f32_fp8_e32 v41, v41
	v_mul_f32_e32 v42, s22, v42
	v_mul_f32_e32 v43, s22, v43
	v_mul_f32_e32 v44, s22, v44
	v_mul_f32_e32 v40, s22, v40
	v_mul_f32_e32 v48, s22, v45
	v_mul_f32_e32 v49, s22, v46
	v_mul_f32_e32 v50, s22, v47
	v_mul_f32_e32 v41, s22, v41
	v_cvt_pk_bf16_f32 v46, v42, s0
	v_cvt_pk_bf16_f32 v47, v43, s0
	v_cvt_pk_bf16_f32 v44, v44, s0
	v_cvt_pk_bf16_f32 v45, v40, s0
	v_cvt_pk_bf16_f32 v42, v48, s0
	v_cvt_pk_bf16_f32 v43, v49, s0
	v_cvt_pk_bf16_f32 v40, v50, s0
	v_cvt_pk_bf16_f32 v41, v41, s0
	s_and_saveexec_b64 s[12:13], vcc
	s_cbranch_execz .LBB280_56
; %bb.55:                               ;   in Loop: Header=BB280_51 Depth=1
	v_cmp_gt_i32_e64 s[0:1], s33, v22
	s_nop 1
	v_cndmask_b32_e64 v46, 0, v46, s[0:1]
	v_cmp_gt_i32_e64 s[0:1], s33, v38
	s_nop 1
	v_cndmask_b32_e64 v47, 0, v47, s[0:1]
	v_cmp_gt_i32_e64 s[0:1], s33, v37
	s_nop 1
	v_cndmask_b32_e64 v44, 0, v44, s[0:1]
	v_cmp_gt_i32_e64 s[0:1], s33, v36
	s_nop 1
	v_cndmask_b32_e64 v45, 0, v45, s[0:1]
	v_cmp_gt_i32_e64 s[0:1], s33, v35
	s_nop 1
	v_cndmask_b32_e64 v42, 0, v42, s[0:1]
	v_cmp_gt_i32_e64 s[0:1], s33, v34
	s_nop 1
	v_cndmask_b32_e64 v43, 0, v43, s[0:1]
	v_cmp_gt_i32_e64 s[0:1], s33, v33
	s_nop 1
	v_cndmask_b32_e64 v40, 0, v40, s[0:1]
	v_cmp_gt_i32_e64 s[0:1], s33, v39
	s_nop 1
	v_cndmask_b32_e64 v41, 0, v41, s[0:1]
.LBB280_56:                             ;   in Loop: Header=BB280_51 Depth=1
	s_or_b64 exec, exec, s[12:13]
	global_load_dwordx2 v[48:49], v[20:21], off offset:1024
	s_waitcnt vmcnt(0)
	v_and_b32_e32 v50, 0xff, v48
	v_bfe_u32 v51, v48, 8, 8
	v_bfe_u32 v52, v48, 16, 8
	v_lshrrev_b32_e32 v48, 24, v48
	v_and_b32_e32 v53, 0xff, v49
	v_bfe_u32 v54, v49, 8, 8
	v_bfe_u32 v55, v49, 16, 8
	v_lshrrev_b32_e32 v49, 24, v49
	v_cvt_f32_fp8_e32 v50, v50
	v_cvt_f32_fp8_e32 v51, v51
	v_cvt_f32_fp8_e32 v52, v52
	v_cvt_f32_fp8_e32 v48, v48
	v_cvt_f32_fp8_e32 v53, v53
	v_cvt_f32_fp8_e32 v54, v54
	v_cvt_f32_fp8_e32 v55, v55
	v_cvt_f32_fp8_e32 v49, v49
	v_mul_f32_e32 v50, s22, v50
	v_mul_f32_e32 v51, s22, v51
	v_mul_f32_e32 v52, s22, v52
	v_mul_f32_e32 v48, s22, v48
	v_mul_f32_e32 v53, s22, v53
	v_mul_f32_e32 v54, s22, v54
	v_mul_f32_e32 v55, s22, v55
	v_mul_f32_e32 v49, s22, v49
	v_cvt_pk_bf16_f32 v60, v50, s0
	v_cvt_pk_bf16_f32 v61, v51, s0
	v_cvt_pk_bf16_f32 v58, v52, s0
	v_cvt_pk_bf16_f32 v59, v48, s0
	v_cvt_pk_bf16_f32 v56, v53, s0
	v_cvt_pk_bf16_f32 v57, v54, s0
	v_cvt_pk_bf16_f32 v54, v55, s0
	v_cvt_pk_bf16_f32 v55, v49, s0
	;; [unrolled: 63-line block ×3, first 2 shown]
	s_and_saveexec_b64 s[0:1], vcc
	s_cbranch_execz .LBB280_49
; %bb.59:                               ;   in Loop: Header=BB280_51 Depth=1
	v_cmp_gt_i32_e32 vcc, s33, v22
	s_nop 1
	v_cndmask_b32_e32 v53, 0, v53, vcc
	v_cmp_gt_i32_e32 vcc, s33, v38
	s_nop 1
	v_cndmask_b32_e32 v52, 0, v52, vcc
	;; [unrolled: 3-line block ×8, first 2 shown]
	s_branch .LBB280_49
.LBB280_60:
	s_or_b64 exec, exec, s[6:7]
.LBB280_61:
	s_or_b64 exec, exec, s[2:3]
	v_and_b32_e32 v2, 0x3c0, v0
	v_cmp_eq_u32_e32 vcc, 64, v2
	s_barrier
	s_and_saveexec_b64 s[0:1], vcc
	s_cbranch_execz .LBB280_63
; %bb.62:
	v_mov_b32_e32 v2, 0x210
	v_lshl_add_u32 v2, v23, 2, v2
	ds_write2st64_b32 v2, v12, v14 offset1:1
	ds_write2st64_b32 v2, v10, v11 offset0:2 offset1:3
.LBB280_63:
	s_or_b64 exec, exec, s[0:1]
	v_cmp_gt_u32_e32 vcc, 64, v0
	s_waitcnt lgkmcnt(0)
	s_barrier
	s_and_saveexec_b64 s[0:1], vcc
	s_cbranch_execz .LBB280_65
; %bb.64:
	v_mov_b32_e32 v2, 0x210
	v_lshl_add_u32 v0, v0, 2, v2
	ds_read2st64_b32 v[2:3], v0 offset1:1
	ds_read2st64_b32 v[4:5], v0 offset0:2 offset1:3
	v_mov_b32_e32 v13, v14
	s_waitcnt lgkmcnt(1)
	v_pk_add_f32 v[12:13], v[12:13], v[2:3]
	s_waitcnt lgkmcnt(0)
	v_pk_add_f32 v[10:11], v[10:11], v[4:5]
	v_mov_b32_e32 v14, v13
.LBB280_65:
	s_or_b64 exec, exec, s[0:1]
	s_barrier
	s_and_saveexec_b64 s[0:1], vcc
	s_cbranch_execz .LBB280_67
; %bb.66:
	s_mul_i32 s0, s10, s11
	s_mul_i32 s0, s0, s5
	s_lshl_b32 s0, s0, 8
	s_ashr_i32 s1, s0, 31
	s_lshl_b64 s[0:1], s[0:1], 1
	s_add_u32 s2, s26, s0
	s_mul_i32 s0, s11, s24
	s_addc_u32 s3, s27, s1
	s_ashr_i32 s1, s0, 31
	s_lshl_b64 s[0:1], s[0:1], 1
	s_add_u32 s2, s2, s0
	s_addc_u32 s3, s3, s1
	s_lshl_b32 s0, s4, 8
	s_ashr_i32 s1, s0, 31
	s_lshl_b64 s[0:1], s[0:1], 1
	s_add_u32 s0, s2, s0
	s_addc_u32 s1, s3, s1
	v_cvt_pk_bf16_f32 v0, v12, s0
	global_store_short v1, v0, s[0:1]
	v_cvt_pk_bf16_f32 v0, v14, s0
	global_store_short v1, v0, s[0:1] offset:128
	v_cvt_pk_bf16_f32 v0, v10, s0
	global_store_short v1, v0, s[0:1] offset:256
	;; [unrolled: 2-line block ×3, first 2 shown]
.LBB280_67:
	s_endpgm
	.section	.rodata,"a",@progbits
	.p2align	6, 0x0
	.amdhsa_kernel _ZN4vllm25paged_attention_v1_kernelI14__hip_bfloat16hLi256ELi8ELi128ELNS_18Fp8KVCacheDataTypeE1ELb1EEEvPT_PKS3_PKT0_S9_ifPKiSB_iPKfiiiSD_SD_iiiii
		.amdhsa_group_segment_fixed_size 528
		.amdhsa_private_segment_fixed_size 0
		.amdhsa_kernarg_size 384
		.amdhsa_user_sgpr_count 2
		.amdhsa_user_sgpr_dispatch_ptr 0
		.amdhsa_user_sgpr_queue_ptr 0
		.amdhsa_user_sgpr_kernarg_segment_ptr 1
		.amdhsa_user_sgpr_dispatch_id 0
		.amdhsa_user_sgpr_kernarg_preload_length 0
		.amdhsa_user_sgpr_kernarg_preload_offset 0
		.amdhsa_user_sgpr_private_segment_size 0
		.amdhsa_uses_dynamic_stack 0
		.amdhsa_enable_private_segment 0
		.amdhsa_system_sgpr_workgroup_id_x 1
		.amdhsa_system_sgpr_workgroup_id_y 1
		.amdhsa_system_sgpr_workgroup_id_z 1
		.amdhsa_system_sgpr_workgroup_info 0
		.amdhsa_system_vgpr_workitem_id 0
		.amdhsa_next_free_vgpr 90
		.amdhsa_next_free_sgpr 48
		.amdhsa_accum_offset 92
		.amdhsa_reserve_vcc 1
		.amdhsa_float_round_mode_32 0
		.amdhsa_float_round_mode_16_64 0
		.amdhsa_float_denorm_mode_32 3
		.amdhsa_float_denorm_mode_16_64 3
		.amdhsa_dx10_clamp 1
		.amdhsa_ieee_mode 1
		.amdhsa_fp16_overflow 0
		.amdhsa_tg_split 0
		.amdhsa_exception_fp_ieee_invalid_op 0
		.amdhsa_exception_fp_denorm_src 0
		.amdhsa_exception_fp_ieee_div_zero 0
		.amdhsa_exception_fp_ieee_overflow 0
		.amdhsa_exception_fp_ieee_underflow 0
		.amdhsa_exception_fp_ieee_inexact 0
		.amdhsa_exception_int_div_zero 0
	.end_amdhsa_kernel
	.section	.text._ZN4vllm25paged_attention_v1_kernelI14__hip_bfloat16hLi256ELi8ELi128ELNS_18Fp8KVCacheDataTypeE1ELb1EEEvPT_PKS3_PKT0_S9_ifPKiSB_iPKfiiiSD_SD_iiiii,"axG",@progbits,_ZN4vllm25paged_attention_v1_kernelI14__hip_bfloat16hLi256ELi8ELi128ELNS_18Fp8KVCacheDataTypeE1ELb1EEEvPT_PKS3_PKT0_S9_ifPKiSB_iPKfiiiSD_SD_iiiii,comdat
.Lfunc_end280:
	.size	_ZN4vllm25paged_attention_v1_kernelI14__hip_bfloat16hLi256ELi8ELi128ELNS_18Fp8KVCacheDataTypeE1ELb1EEEvPT_PKS3_PKT0_S9_ifPKiSB_iPKfiiiSD_SD_iiiii, .Lfunc_end280-_ZN4vllm25paged_attention_v1_kernelI14__hip_bfloat16hLi256ELi8ELi128ELNS_18Fp8KVCacheDataTypeE1ELb1EEEvPT_PKS3_PKT0_S9_ifPKiSB_iPKfiiiSD_SD_iiiii
                                        ; -- End function
	.set _ZN4vllm25paged_attention_v1_kernelI14__hip_bfloat16hLi256ELi8ELi128ELNS_18Fp8KVCacheDataTypeE1ELb1EEEvPT_PKS3_PKT0_S9_ifPKiSB_iPKfiiiSD_SD_iiiii.num_vgpr, 90
	.set _ZN4vllm25paged_attention_v1_kernelI14__hip_bfloat16hLi256ELi8ELi128ELNS_18Fp8KVCacheDataTypeE1ELb1EEEvPT_PKS3_PKT0_S9_ifPKiSB_iPKfiiiSD_SD_iiiii.num_agpr, 0
	.set _ZN4vllm25paged_attention_v1_kernelI14__hip_bfloat16hLi256ELi8ELi128ELNS_18Fp8KVCacheDataTypeE1ELb1EEEvPT_PKS3_PKT0_S9_ifPKiSB_iPKfiiiSD_SD_iiiii.numbered_sgpr, 48
	.set _ZN4vllm25paged_attention_v1_kernelI14__hip_bfloat16hLi256ELi8ELi128ELNS_18Fp8KVCacheDataTypeE1ELb1EEEvPT_PKS3_PKT0_S9_ifPKiSB_iPKfiiiSD_SD_iiiii.num_named_barrier, 0
	.set _ZN4vllm25paged_attention_v1_kernelI14__hip_bfloat16hLi256ELi8ELi128ELNS_18Fp8KVCacheDataTypeE1ELb1EEEvPT_PKS3_PKT0_S9_ifPKiSB_iPKfiiiSD_SD_iiiii.private_seg_size, 0
	.set _ZN4vllm25paged_attention_v1_kernelI14__hip_bfloat16hLi256ELi8ELi128ELNS_18Fp8KVCacheDataTypeE1ELb1EEEvPT_PKS3_PKT0_S9_ifPKiSB_iPKfiiiSD_SD_iiiii.uses_vcc, 1
	.set _ZN4vllm25paged_attention_v1_kernelI14__hip_bfloat16hLi256ELi8ELi128ELNS_18Fp8KVCacheDataTypeE1ELb1EEEvPT_PKS3_PKT0_S9_ifPKiSB_iPKfiiiSD_SD_iiiii.uses_flat_scratch, 0
	.set _ZN4vllm25paged_attention_v1_kernelI14__hip_bfloat16hLi256ELi8ELi128ELNS_18Fp8KVCacheDataTypeE1ELb1EEEvPT_PKS3_PKT0_S9_ifPKiSB_iPKfiiiSD_SD_iiiii.has_dyn_sized_stack, 0
	.set _ZN4vllm25paged_attention_v1_kernelI14__hip_bfloat16hLi256ELi8ELi128ELNS_18Fp8KVCacheDataTypeE1ELb1EEEvPT_PKS3_PKT0_S9_ifPKiSB_iPKfiiiSD_SD_iiiii.has_recursion, 0
	.set _ZN4vllm25paged_attention_v1_kernelI14__hip_bfloat16hLi256ELi8ELi128ELNS_18Fp8KVCacheDataTypeE1ELb1EEEvPT_PKS3_PKT0_S9_ifPKiSB_iPKfiiiSD_SD_iiiii.has_indirect_call, 0
	.section	.AMDGPU.csdata,"",@progbits
; Kernel info:
; codeLenInByte = 7344
; TotalNumSgprs: 54
; NumVgprs: 90
; NumAgprs: 0
; TotalNumVgprs: 90
; ScratchSize: 0
; MemoryBound: 0
; FloatMode: 240
; IeeeMode: 1
; LDSByteSize: 528 bytes/workgroup (compile time only)
; SGPRBlocks: 6
; VGPRBlocks: 11
; NumSGPRsForWavesPerEU: 54
; NumVGPRsForWavesPerEU: 90
; AccumOffset: 92
; Occupancy: 5
; WaveLimiterHint : 1
; COMPUTE_PGM_RSRC2:SCRATCH_EN: 0
; COMPUTE_PGM_RSRC2:USER_SGPR: 2
; COMPUTE_PGM_RSRC2:TRAP_HANDLER: 0
; COMPUTE_PGM_RSRC2:TGID_X_EN: 1
; COMPUTE_PGM_RSRC2:TGID_Y_EN: 1
; COMPUTE_PGM_RSRC2:TGID_Z_EN: 1
; COMPUTE_PGM_RSRC2:TIDIG_COMP_CNT: 0
; COMPUTE_PGM_RSRC3_GFX90A:ACCUM_OFFSET: 22
; COMPUTE_PGM_RSRC3_GFX90A:TG_SPLIT: 0
	.section	.text._ZN4vllm25paged_attention_v1_kernelI14__hip_bfloat16hLi32ELi8ELi128ELNS_18Fp8KVCacheDataTypeE1ELb0EEEvPT_PKS3_PKT0_S9_ifPKiSB_iPKfiiiSD_SD_iiiii,"axG",@progbits,_ZN4vllm25paged_attention_v1_kernelI14__hip_bfloat16hLi32ELi8ELi128ELNS_18Fp8KVCacheDataTypeE1ELb0EEEvPT_PKS3_PKT0_S9_ifPKiSB_iPKfiiiSD_SD_iiiii,comdat
	.protected	_ZN4vllm25paged_attention_v1_kernelI14__hip_bfloat16hLi32ELi8ELi128ELNS_18Fp8KVCacheDataTypeE1ELb0EEEvPT_PKS3_PKT0_S9_ifPKiSB_iPKfiiiSD_SD_iiiii ; -- Begin function _ZN4vllm25paged_attention_v1_kernelI14__hip_bfloat16hLi32ELi8ELi128ELNS_18Fp8KVCacheDataTypeE1ELb0EEEvPT_PKS3_PKT0_S9_ifPKiSB_iPKfiiiSD_SD_iiiii
	.globl	_ZN4vllm25paged_attention_v1_kernelI14__hip_bfloat16hLi32ELi8ELi128ELNS_18Fp8KVCacheDataTypeE1ELb0EEEvPT_PKS3_PKT0_S9_ifPKiSB_iPKfiiiSD_SD_iiiii
	.p2align	8
	.type	_ZN4vllm25paged_attention_v1_kernelI14__hip_bfloat16hLi32ELi8ELi128ELNS_18Fp8KVCacheDataTypeE1ELb0EEEvPT_PKS3_PKT0_S9_ifPKiSB_iPKfiiiSD_SD_iiiii,@function
_ZN4vllm25paged_attention_v1_kernelI14__hip_bfloat16hLi32ELi8ELi128ELNS_18Fp8KVCacheDataTypeE1ELb0EEEvPT_PKS3_PKT0_S9_ifPKiSB_iPKfiiiSD_SD_iiiii: ; @_ZN4vllm25paged_attention_v1_kernelI14__hip_bfloat16hLi32ELi8ELi128ELNS_18Fp8KVCacheDataTypeE1ELb0EEEvPT_PKS3_PKT0_S9_ifPKiSB_iPKfiiiSD_SD_iiiii
; %bb.0:
	s_load_dword s5, s[0:1], 0x80
	s_load_dwordx2 s[6:7], s[0:1], 0x30
	s_load_dwordx2 s[28:29], s[0:1], 0x20
	s_mov_b32 s16, s3
	s_ashr_i32 s17, s3, 31
	s_lshl_b64 s[8:9], s[16:17], 2
	s_waitcnt lgkmcnt(0)
	s_add_u32 s6, s6, s8
	s_addc_u32 s7, s7, s9
	s_abs_i32 s3, s28
	v_cvt_f32_u32_e32 v1, s3
	s_sub_i32 s10, 0, s3
	s_abs_i32 s9, s5
	s_xor_b32 s8, s5, s28
	v_rcp_iflag_f32_e32 v1, v1
	s_ashr_i32 s8, s8, 31
	s_mov_b32 s28, 0
	v_mul_f32_e32 v1, 0x4f7ffffe, v1
	v_cvt_u32_f32_e32 v1, v1
	s_nop 0
	v_readfirstlane_b32 s11, v1
	s_mul_i32 s10, s10, s11
	s_mul_hi_u32 s10, s11, s10
	s_add_i32 s11, s11, s10
	s_mul_hi_u32 s10, s9, s11
	s_mul_i32 s11, s10, s3
	s_sub_i32 s9, s9, s11
	s_add_i32 s11, s10, 1
	s_sub_i32 s12, s9, s3
	s_cmp_ge_u32 s9, s3
	s_cselect_b32 s10, s11, s10
	s_cselect_b32 s9, s12, s9
	s_add_i32 s11, s10, 1
	s_cmp_ge_u32 s9, s3
	s_cselect_b32 s3, s11, s10
	s_xor_b32 s3, s3, s8
	s_sub_i32 s18, s3, s8
	s_abs_i32 s10, s18
	v_cvt_f32_u32_e32 v1, s10
	s_load_dwordx2 s[8:9], s[0:1], 0x40
	s_sub_i32 s3, 0, s10
	s_abs_i32 s11, s2
	v_rcp_iflag_f32_e32 v1, v1
	s_nop 0
	v_mul_f32_e32 v1, 0x4f7ffffe, v1
	v_cvt_u32_f32_e32 v1, v1
	s_nop 0
	v_readfirstlane_b32 s12, v1
	s_mul_i32 s3, s3, s12
	s_mul_hi_u32 s3, s12, s3
	s_add_i32 s12, s12, s3
	s_waitcnt lgkmcnt(0)
	s_cmp_eq_u64 s[8:9], 0
	s_mul_hi_u32 s20, s11, s12
	s_cbranch_scc1 .LBB281_2
; %bb.1:
	s_ashr_i32 s3, s2, 31
	s_lshl_b64 s[12:13], s[2:3], 2
	s_add_u32 s8, s8, s12
	s_addc_u32 s9, s9, s13
	s_load_dword s28, s[8:9], 0x0
.LBB281_2:
	s_load_dword s17, s[6:7], 0x0
	s_load_dwordx4 s[12:15], s[0:1], 0x48
	s_ashr_i32 s6, s2, 31
	s_ashr_i32 s7, s18, 31
	v_and_b32_e32 v2, 7, v0
	s_lshl_b32 s18, s2, 5
	v_cmp_gt_u32_e32 vcc, 32, v0
	s_and_saveexec_b64 s[2:3], vcc
	s_cbranch_execz .LBB281_4
; %bb.3:
	s_load_dwordx2 s[8:9], s[0:1], 0x8
	s_waitcnt lgkmcnt(0)
	s_mul_i32 s22, s12, s16
	s_ashr_i32 s23, s22, 31
	s_lshl_b64 s[22:23], s[22:23], 1
	v_lshlrev_b32_e32 v1, 1, v0
	s_add_u32 s12, s8, s22
	s_addc_u32 s15, s9, s23
	s_ashr_i32 s19, s18, 31
	s_lshl_b64 s[8:9], s[18:19], 1
	s_add_u32 s8, s12, s8
	s_addc_u32 s9, s15, s9
	global_load_ushort v1, v1, s[8:9]
	v_lshrrev_b32_e32 v3, 2, v0
	v_and_b32_e32 v3, 0xfe, v3
	v_lshl_add_u32 v3, v2, 3, v3
	s_waitcnt vmcnt(0)
	ds_write_b16 v3, v1
.LBB281_4:
	s_or_b64 exec, exec, s[2:3]
	s_waitcnt lgkmcnt(0)
	s_add_i32 s3, s17, 7
	s_ashr_i32 s8, s3, 31
	s_lshr_b32 s8, s8, 29
	s_add_i32 s3, s3, s8
	s_ashr_i32 s33, s3, 3
	s_xor_b32 s3, s6, s7
	s_mul_i32 s6, s20, s10
	s_sub_i32 s6, s11, s6
	s_add_i32 s7, s20, 1
	s_sub_i32 s8, s6, s10
	s_load_dwordx2 s[22:23], s[0:1], 0x28
	s_load_dword s2, s[0:1], 0x38
	s_cmp_ge_u32 s6, s10
	s_cselect_b32 s7, s7, s20
	s_cselect_b32 s6, s8, s6
	s_add_i32 s8, s7, 1
	s_cmp_ge_u32 s6, s10
	s_cselect_b32 s6, s8, s7
	v_lshrrev_b32_e32 v1, 6, v0
	s_xor_b32 s6, s6, s3
	s_waitcnt lgkmcnt(0)
	s_mul_i32 s24, s2, s16
	s_sub_i32 s12, s6, s3
	s_ashr_i32 s25, s24, 31
	v_cmp_gt_i32_e64 s[2:3], s33, v1
	v_cmp_le_i32_e32 vcc, s33, v1
	v_mbcnt_lo_u32_b32 v3, -1, 0
	s_barrier
                                        ; implicit-def: $vgpr7
                                        ; implicit-def: $vgpr9
                                        ; implicit-def: $vgpr8
	s_and_saveexec_b64 s[6:7], vcc
	s_xor_b64 s[6:7], exec, s[6:7]
; %bb.5:
	v_mbcnt_hi_u32_b32 v7, -1, v3
	v_and_b32_e32 v9, 64, v7
	v_add_u32_e32 v8, 64, v9
                                        ; implicit-def: $vgpr2
                                        ; implicit-def: $vgpr3
; %bb.6:
	s_or_saveexec_b64 s[30:31], s[6:7]
	s_load_dwordx2 s[20:21], s[0:1], 0x0
	s_load_dwordx2 s[26:27], s[0:1], 0x18
	s_load_dword s19, s[0:1], 0x88
	s_load_dwordx4 s[8:11], s[0:1], 0x58
	v_mov_b32_e32 v14, 0xff7fffff
	s_mul_i32 s12, s12, s14
	v_lshrrev_b32_e32 v6, 4, v0
	s_xor_b64 exec, exec, s[30:31]
	s_cbranch_execz .LBB281_12
; %bb.7:
	v_mbcnt_hi_u32_b32 v7, -1, v3
	v_and_b32_e32 v9, 64, v7
	v_add_u32_e32 v8, 64, v9
	v_xor_b32_e32 v3, 4, v7
	s_load_dwordx2 s[0:1], s[0:1], 0x10
	v_cmp_lt_i32_e32 vcc, v3, v8
	v_lshlrev_b32_e32 v4, 3, v2
	ds_read_b64 v[4:5], v4
	v_cndmask_b32_e32 v3, v7, v3, vcc
	v_lshlrev_b32_e32 v15, 2, v3
	v_xor_b32_e32 v3, 2, v7
	v_cmp_lt_i32_e32 vcc, v3, v8
	s_ashr_i32 s6, s12, 31
	s_waitcnt lgkmcnt(0)
	s_add_u32 s0, s0, s12
	v_cndmask_b32_e32 v3, v7, v3, vcc
	v_lshlrev_b32_e32 v16, 2, v3
	v_xor_b32_e32 v3, 1, v7
	s_load_dword s35, s[8:9], 0x0
	v_bfe_u32 v14, v0, 3, 3
	s_addc_u32 s1, s1, s6
	v_cmp_lt_i32_e32 vcc, v3, v8
	s_sub_i32 s36, 1, s17
	s_lshl_b64 s[6:7], s[24:25], 2
	v_lshlrev_b32_e32 v20, 4, v14
	v_mov_b32_e32 v21, 0
	v_lshlrev_b32_e32 v10, 16, v4
	v_and_b32_e32 v11, 0xffff0000, v4
	v_cndmask_b32_e32 v3, v7, v3, vcc
	v_lshlrev_b32_e32 v4, 2, v14
	s_add_u32 s6, s22, s6
	v_lshl_add_u64 v[18:19], s[0:1], 0, v[20:21]
	v_lshlrev_b32_e32 v17, 2, v3
	v_mov_b32_e32 v3, v21
	v_lshl_or_b32 v4, v1, 5, v4
	v_and_b32_e32 v20, 60, v6
	s_addc_u32 s7, s23, s7
	s_mov_b32 s34, s13
	v_lshlrev_b32_e32 v12, 16, v5
	v_and_b32_e32 v13, 0xffff0000, v5
	v_cmp_eq_u32_e32 vcc, 0, v2
	v_cmp_neq_f32_e64 s[0:1], s28, 0
	v_lshl_add_u64 v[2:3], v[18:19], 0, v[2:3]
	v_lshl_or_b32 v18, v1, 3, v14
	v_add_u32_e32 v19, 0x50, v4
	v_lshl_add_u64 v[4:5], s[6:7], 0, v[20:21]
	v_mov_b32_e32 v14, 0xff7fffff
	s_mov_b64 s[8:9], 0
	v_mov_b32_e32 v20, v1
	s_branch .LBB281_9
.LBB281_8:                              ;   in Loop: Header=BB281_9 Depth=1
	s_or_b64 exec, exec, s[14:15]
	v_add_u32_e32 v20, 2, v20
	v_cmp_le_i32_e64 s[6:7], s33, v20
	v_add_u32_e32 v18, 16, v18
	v_add_u32_e32 v19, 64, v19
	s_or_b64 s[8:9], s[6:7], s[8:9]
	v_lshl_add_u64 v[4:5], v[4:5], 0, 8
	s_andn2_b64 exec, exec, s[8:9]
	s_cbranch_execz .LBB281_11
.LBB281_9:                              ; =>This Inner Loop Header: Depth=1
	global_load_dword v21, v[4:5], off
	s_waitcnt vmcnt(0) lgkmcnt(0)
	v_mad_i64_i32 v[22:23], s[6:7], v21, s34, v[2:3]
	global_load_ubyte v21, v[22:23], off
	global_load_ubyte v24, v[22:23], off offset:8
	global_load_ubyte v25, v[22:23], off offset:128
	;; [unrolled: 1-line block ×3, first 2 shown]
	s_waitcnt vmcnt(3)
	v_cvt_f32_fp8_e32 v21, v21
	s_waitcnt vmcnt(2)
	v_cvt_f32_fp8_e32 v22, v24
	;; [unrolled: 2-line block ×4, first 2 shown]
	s_waitcnt lgkmcnt(0)
	v_mul_f32_e32 v21, s35, v21
	v_mul_f32_e32 v22, s35, v22
	v_cvt_pk_bf16_f32 v22, v22, s0
	v_mul_f32_e32 v23, s35, v23
	v_cvt_pk_bf16_f32 v21, v21, s0
	v_lshlrev_b32_e32 v22, 16, v22
	v_mul_f32_e32 v24, s35, v24
	v_cvt_pk_bf16_f32 v23, v23, s0
	v_lshlrev_b32_e32 v21, 16, v21
	;; [unrolled: 3-line block ×3, first 2 shown]
	v_fmac_f32_e32 v22, v10, v21
	v_fmac_f32_e32 v22, v12, v23
	v_lshlrev_b32_e32 v21, 16, v24
	v_fmac_f32_e32 v22, v13, v21
	ds_bpermute_b32 v21, v15, v22
	s_waitcnt lgkmcnt(0)
	v_add_f32_e32 v21, v22, v21
	ds_bpermute_b32 v22, v16, v21
	s_waitcnt lgkmcnt(0)
	v_add_f32_e32 v21, v21, v22
	ds_bpermute_b32 v22, v17, v21
	s_and_saveexec_b64 s[14:15], vcc
	s_cbranch_execz .LBB281_8
; %bb.10:                               ;   in Loop: Header=BB281_9 Depth=1
	v_add_u32_e32 v23, s36, v18
	v_cvt_f32_i32_e32 v23, v23
	s_waitcnt lgkmcnt(0)
	v_add_f32_e32 v21, v21, v22
	v_cmp_gt_i32_e64 s[6:7], s17, v18
	v_max_f32_e32 v22, v14, v14
	v_mul_f32_e32 v23, s28, v23
	v_cndmask_b32_e64 v23, 0, v23, s[0:1]
	v_fmac_f32_e32 v23, s29, v21
	v_cndmask_b32_e64 v21, 0, v23, s[6:7]
	ds_write_b32 v19, v21
	v_max_f32_e32 v21, v22, v23
	v_cndmask_b32_e64 v14, v14, v21, s[6:7]
	s_branch .LBB281_8
.LBB281_11:
	s_or_b64 exec, exec, s[8:9]
.LBB281_12:
	s_or_b64 exec, exec, s[30:31]
	v_xor_b32_e32 v2, 32, v7
	v_cmp_lt_i32_e32 vcc, v2, v8
	v_xor_b32_e32 v5, 16, v7
	v_max_f32_e32 v4, v14, v14
	v_cndmask_b32_e32 v2, v7, v2, vcc
	v_lshlrev_b32_e32 v3, 2, v2
	ds_bpermute_b32 v2, v3, v14
	v_cmp_lt_i32_e32 vcc, v5, v8
	v_xor_b32_e32 v10, 8, v7
	v_and_b32_e32 v16, 63, v0
	s_waitcnt lgkmcnt(0)
	v_max_f32_e32 v2, v2, v2
	v_max_f32_e32 v2, v4, v2
	v_cndmask_b32_e32 v4, v7, v5, vcc
	v_lshlrev_b32_e32 v5, 2, v4
	ds_bpermute_b32 v4, v5, v2
	v_cmp_lt_i32_e32 vcc, v10, v8
	s_waitcnt lgkmcnt(0)
	v_max_f32_e32 v4, v4, v4
	v_max_f32_e32 v4, v2, v4
	v_cndmask_b32_e32 v2, v7, v10, vcc
	v_lshlrev_b32_e32 v11, 2, v2
	ds_bpermute_b32 v10, v11, v4
	v_cmp_eq_u32_e32 vcc, 0, v16
	v_lshlrev_b32_e32 v2, 2, v1
	s_and_saveexec_b64 s[0:1], vcc
	s_cbranch_execz .LBB281_14
; %bb.13:
	s_waitcnt lgkmcnt(0)
	v_max_f32_e32 v10, v10, v10
	v_max_f32_e32 v4, v4, v4
	;; [unrolled: 1-line block ×3, first 2 shown]
	ds_write_b32 v2, v4 offset:64
.LBB281_14:
	s_or_b64 exec, exec, s[0:1]
	v_cmp_gt_u32_e64 s[0:1], 2, v16
	v_mov_b32_e32 v12, 0xff7fffff
	v_lshlrev_b32_e32 v4, 2, v16
	s_waitcnt lgkmcnt(0)
	s_barrier
	s_and_saveexec_b64 s[6:7], s[0:1]
; %bb.15:
	ds_read_b32 v12, v4 offset:64
; %bb.16:
	s_or_b64 exec, exec, s[6:7]
	v_xor_b32_e32 v10, 1, v7
	v_cmp_lt_i32_e64 s[6:7], v10, v8
	v_lshlrev_b32_e32 v9, 2, v9
	s_nop 0
	v_cndmask_b32_e64 v10, v7, v10, s[6:7]
	v_lshlrev_b32_e32 v10, 2, v10
	s_waitcnt lgkmcnt(0)
	ds_bpermute_b32 v13, v10, v12
	v_max_f32_e32 v12, v12, v12
	s_lshl_b32 s6, s33, 3
	s_min_i32 s30, s6, s17
	v_cmp_gt_i32_e64 s[6:7], s30, v0
	s_waitcnt lgkmcnt(0)
	v_max_f32_e32 v13, v13, v13
	v_max_f32_e32 v12, v12, v13
	ds_bpermute_b32 v12, v9, v12
	v_mov_b32_e32 v9, 0
	s_and_saveexec_b64 s[14:15], s[6:7]
	s_cbranch_execz .LBB281_20
; %bb.17:
	v_mov_b32_e32 v9, 0x50
	v_lshl_add_u32 v13, v0, 2, v9
	v_mov_b32_e32 v9, 0
	s_mov_b64 s[28:29], 0
	v_mov_b32_e32 v14, v0
.LBB281_18:                             ; =>This Inner Loop Header: Depth=1
	ds_read_b32 v15, v13
	v_add_u32_e32 v14, 0x80, v14
	v_cmp_le_i32_e64 s[8:9], s30, v14
	s_or_b64 s[28:29], s[8:9], s[28:29]
	s_waitcnt lgkmcnt(0)
	v_sub_f32_e32 v15, v15, v12
	v_mul_f32_e32 v15, 0x3fb8aa3b, v15
	v_exp_f32_e32 v15, v15
	ds_write_b32 v13, v15
	v_add_f32_e32 v9, v9, v15
	v_add_u32_e32 v13, 0x200, v13
	s_andn2_b64 exec, exec, s[28:29]
	s_cbranch_execnz .LBB281_18
; %bb.19:
	s_or_b64 exec, exec, s[28:29]
.LBB281_20:
	s_or_b64 exec, exec, s[14:15]
	ds_bpermute_b32 v3, v3, v9
	s_waitcnt lgkmcnt(0)
	v_add_f32_e32 v3, v9, v3
	ds_bpermute_b32 v5, v5, v3
	v_xor_b32_e32 v9, 4, v7
	v_cmp_lt_i32_e64 s[8:9], v9, v8
	s_waitcnt lgkmcnt(0)
	v_add_f32_e32 v3, v3, v5
	ds_bpermute_b32 v5, v11, v3
	v_cndmask_b32_e64 v9, v7, v9, s[8:9]
	v_lshlrev_b32_e32 v9, 2, v9
	s_waitcnt lgkmcnt(0)
	v_add_f32_e32 v3, v3, v5
	ds_bpermute_b32 v5, v9, v3
	v_xor_b32_e32 v9, 2, v7
	v_cmp_lt_i32_e64 s[8:9], v9, v8
	s_waitcnt lgkmcnt(0)
	v_add_f32_e32 v3, v3, v5
	v_cndmask_b32_e64 v8, v7, v9, s[8:9]
	v_lshlrev_b32_e32 v5, 2, v8
	ds_bpermute_b32 v5, v5, v3
	s_waitcnt lgkmcnt(0)
	v_add_f32_e32 v3, v3, v5
	ds_bpermute_b32 v5, v10, v3
	s_waitcnt lgkmcnt(0)
	v_add_f32_e32 v3, v3, v5
	s_and_saveexec_b64 s[8:9], vcc
; %bb.21:
	ds_write_b32 v2, v3 offset:72
; %bb.22:
	s_or_b64 exec, exec, s[8:9]
	s_waitcnt lgkmcnt(0)
	s_barrier
	s_and_saveexec_b64 s[8:9], s[0:1]
; %bb.23:
	ds_read_b32 v3, v4 offset:72
; %bb.24:
	s_or_b64 exec, exec, s[8:9]
	s_waitcnt lgkmcnt(0)
	ds_bpermute_b32 v2, v10, v3
	v_lshlrev_b32_e32 v4, 2, v7
	s_waitcnt lgkmcnt(0)
	v_add_f32_e32 v2, v3, v2
	v_and_b32_e32 v3, 0xffffff00, v4
	ds_bpermute_b32 v2, v3, v2
	s_and_saveexec_b64 s[0:1], s[6:7]
	s_cbranch_execz .LBB281_37
; %bb.25:
	s_waitcnt lgkmcnt(0)
	v_add_f32_e32 v2, 0x358637bd, v2
	v_div_scale_f32 v3, s[6:7], v2, v2, 1.0
	v_rcp_f32_e32 v4, v3
	v_div_scale_f32 v5, vcc, 1.0, v2, 1.0
	s_movk_i32 s6, 0x7f
	v_fma_f32 v7, -v3, v4, 1.0
	v_fmac_f32_e32 v4, v7, v4
	v_mul_f32_e32 v7, v5, v4
	v_fma_f32 v8, -v3, v7, v5
	v_fmac_f32_e32 v7, v8, v4
	v_fma_f32 v3, -v3, v7, v5
	v_div_fmas_f32 v3, v3, v4, v7
	v_xad_u32 v4, v0, -1, s30
	v_div_fixup_f32 v2, v3, v2, 1.0
	v_cmp_lt_u32_e32 vcc, s6, v4
	s_mov_b64 s[8:9], -1
	v_mov_b32_e32 v3, v0
	s_and_saveexec_b64 s[6:7], vcc
	s_cbranch_execz .LBB281_34
; %bb.26:
	v_lshrrev_b32_e32 v4, 7, v4
	v_add_u32_e32 v7, -1, v4
	v_lshrrev_b32_e32 v5, 1, v7
	v_mov_b32_e32 v3, v2
	v_add_u32_e32 v5, 1, v5
	v_cmp_lt_u32_e32 vcc, 13, v7
	v_mov_b32_e32 v9, 0
	s_and_saveexec_b64 s[8:9], vcc
	s_cbranch_execz .LBB281_30
; %bb.27:
	v_mov_b32_e32 v8, 0x50
	v_and_b32_e32 v7, -8, v5
	v_lshl_add_u32 v8, v0, 2, v8
	s_mov_b32 s28, 0
	s_mov_b64 s[14:15], 0
.LBB281_28:                             ; =>This Inner Loop Header: Depth=1
	ds_read2st64_b32 v[10:11], v8 offset1:2
	ds_read2st64_b32 v[12:13], v8 offset0:4 offset1:6
	ds_read2st64_b32 v[14:15], v8 offset0:8 offset1:10
	;; [unrolled: 1-line block ×3, first 2 shown]
	v_add_u32_e32 v7, -8, v7
	s_waitcnt lgkmcnt(3)
	v_pk_mul_f32 v[10:11], v[2:3], v[10:11]
	s_waitcnt lgkmcnt(2)
	v_pk_mul_f32 v[12:13], v[2:3], v[12:13]
	ds_write2st64_b32 v8, v10, v11 offset1:2
	ds_write2st64_b32 v8, v12, v13 offset0:4 offset1:6
	ds_read2st64_b32 v[12:13], v8 offset0:16 offset1:18
	s_waitcnt lgkmcnt(4)
	v_pk_mul_f32 v[10:11], v[2:3], v[14:15]
	ds_write2st64_b32 v8, v10, v11 offset0:8 offset1:10
	s_waitcnt lgkmcnt(4)
	v_pk_mul_f32 v[10:11], v[2:3], v[18:19]
	ds_write2st64_b32 v8, v10, v11 offset0:12 offset1:14
	ds_read2st64_b32 v[10:11], v8 offset0:20 offset1:22
	s_waitcnt lgkmcnt(3)
	v_pk_mul_f32 v[12:13], v[2:3], v[12:13]
	ds_read2st64_b32 v[14:15], v8 offset0:24 offset1:26
	ds_write2st64_b32 v8, v12, v13 offset0:16 offset1:18
	ds_read2st64_b32 v[12:13], v8 offset0:28 offset1:30
	s_waitcnt lgkmcnt(3)
	v_pk_mul_f32 v[10:11], v[2:3], v[10:11]
	ds_write2st64_b32 v8, v10, v11 offset0:20 offset1:22
	s_waitcnt lgkmcnt(3)
	v_pk_mul_f32 v[10:11], v[2:3], v[14:15]
	ds_write2st64_b32 v8, v10, v11 offset0:24 offset1:26
	s_waitcnt lgkmcnt(2)
	v_pk_mul_f32 v[10:11], v[2:3], v[12:13]
	s_add_i32 s28, s28, 16
	v_cmp_eq_u32_e32 vcc, 0, v7
	ds_write2st64_b32 v8, v10, v11 offset0:28 offset1:30
	v_add_u32_e32 v8, 0x2000, v8
	s_or_b64 s[14:15], vcc, s[14:15]
	v_mov_b32_e32 v9, s28
	s_andn2_b64 exec, exec, s[14:15]
	s_cbranch_execnz .LBB281_28
; %bb.29:
	s_or_b64 exec, exec, s[14:15]
.LBB281_30:
	s_or_b64 exec, exec, s[8:9]
	v_and_b32_e32 v5, 7, v5
	v_cmp_ne_u32_e32 vcc, 0, v5
	s_and_saveexec_b64 s[8:9], vcc
	s_cbranch_execz .LBB281_33
; %bb.31:
	v_lshlrev_b32_e32 v7, 9, v9
	v_lshlrev_b32_e32 v8, 2, v0
	s_movk_i32 s14, 0x50
	v_add3_u32 v7, v7, v8, s14
	s_mov_b64 s[14:15], 0
.LBB281_32:                             ; =>This Inner Loop Header: Depth=1
	ds_read2st64_b32 v[8:9], v7 offset1:2
	v_add_u32_e32 v5, -1, v5
	v_cmp_eq_u32_e32 vcc, 0, v5
	s_or_b64 s[14:15], vcc, s[14:15]
	s_waitcnt lgkmcnt(0)
	v_pk_mul_f32 v[8:9], v[2:3], v[8:9]
	ds_write2st64_b32 v7, v8, v9 offset1:2
	v_add_u32_e32 v7, 0x400, v7
	s_andn2_b64 exec, exec, s[14:15]
	s_cbranch_execnz .LBB281_32
.LBB281_33:
	s_or_b64 exec, exec, s[8:9]
	v_add_u32_e32 v4, 1, v4
	v_and_b32_e32 v5, 0x3fffffe, v4
	v_cmp_ne_u32_e32 vcc, v4, v5
	v_lshl_add_u32 v3, v5, 7, v0
	s_orn2_b64 s[8:9], vcc, exec
.LBB281_34:
	s_or_b64 exec, exec, s[6:7]
	s_and_b64 exec, exec, s[8:9]
	s_cbranch_execz .LBB281_37
; %bb.35:
	v_mov_b32_e32 v4, 0x50
	v_lshl_add_u32 v4, v3, 2, v4
	s_mov_b64 s[6:7], 0
.LBB281_36:                             ; =>This Inner Loop Header: Depth=1
	ds_read_b32 v5, v4
	v_add_u32_e32 v3, 0x80, v3
	v_cmp_le_i32_e32 vcc, s30, v3
	s_or_b64 s[6:7], vcc, s[6:7]
	s_waitcnt lgkmcnt(0)
	v_mul_f32_e32 v5, v2, v5
	ds_write_b32 v4, v5
	v_add_u32_e32 v4, 0x200, v4
	s_andn2_b64 exec, exec, s[6:7]
	s_cbranch_execnz .LBB281_36
.LBB281_37:
	s_or_b64 exec, exec, s[0:1]
	v_mov_b32_e32 v11, 0
	s_waitcnt lgkmcnt(0)
	s_barrier
	s_and_saveexec_b64 s[6:7], s[2:3]
	s_cbranch_execz .LBB281_45
; %bb.38:
	s_ashr_i32 s1, s12, 31
	s_add_u32 s0, s26, s12
	s_addc_u32 s1, s27, s1
	v_lshlrev_b32_e32 v10, 3, v16
	v_mov_b32_e32 v11, 0
	v_lshl_add_u64 v[12:13], s[0:1], 0, v[10:11]
	s_add_i32 s15, s33, -1
	s_lshl_b64 s[0:1], s[24:25], 2
	s_add_u32 s0, s22, s0
	v_and_b32_e32 v10, 60, v6
	s_addc_u32 s1, s23, s1
	v_mov_b32_e32 v2, 0x50
	s_mov_b32 s14, s13
	v_cmp_gt_u32_e32 vcc, 32, v16
	v_lshl_add_u64 v[14:15], s[0:1], 0, v[10:11]
	v_lshl_or_b32 v10, v1, 3, 7
	v_lshl_add_u32 v17, v1, 5, v2
	s_mov_b64 s[2:3], 0
	s_branch .LBB281_41
.LBB281_39:                             ;   in Loop: Header=BB281_41 Depth=1
	s_or_b64 exec, exec, s[12:13]
	v_cvt_pk_bf16_f32 v6, v6, s0
	v_cvt_pk_bf16_f32 v7, v7, s0
	;; [unrolled: 1-line block ×6, first 2 shown]
	v_lshlrev_b32_e32 v7, 16, v7
	v_lshlrev_b32_e32 v25, 16, v25
	;; [unrolled: 1-line block ×8, first 2 shown]
	v_cvt_pk_bf16_f32 v4, v4, s0
	v_cvt_pk_bf16_f32 v5, v5, s0
	v_mul_f32_e32 v7, v7, v25
	v_mul_f32_e32 v6, v6, v24
	;; [unrolled: 1-line block ×4, first 2 shown]
	v_lshlrev_b32_e32 v3, 16, v3
	v_lshlrev_b32_e32 v21, 16, v21
	;; [unrolled: 1-line block ×4, first 2 shown]
	v_cvt_pk_bf16_f32 v7, v7, s0
	v_cvt_pk_bf16_f32 v6, v6, s0
	;; [unrolled: 1-line block ×4, first 2 shown]
	v_mul_f32_e32 v3, v3, v21
	v_mul_f32_e32 v2, v2, v20
	v_lshlrev_b32_e32 v5, 16, v5
	v_lshlrev_b32_e32 v19, 16, v19
	;; [unrolled: 1-line block ×4, first 2 shown]
	v_cvt_pk_bf16_f32 v3, v3, s0
	v_cvt_pk_bf16_f32 v2, v2, s0
	v_mul_f32_e32 v5, v5, v19
	v_mul_f32_e32 v4, v4, v18
	v_lshlrev_b32_e32 v6, 16, v6
	v_lshlrev_b32_e32 v7, 16, v7
	;; [unrolled: 1-line block ×4, first 2 shown]
	v_cvt_pk_bf16_f32 v5, v5, s0
	v_cvt_pk_bf16_f32 v4, v4, s0
	v_lshlrev_b32_e32 v2, 16, v2
	v_lshlrev_b32_e32 v3, 16, v3
	v_add_f32_e32 v6, v7, v6
	v_add_f32_e32 v7, v9, v8
	v_lshlrev_b32_e32 v4, 16, v4
	v_lshlrev_b32_e32 v5, 16, v5
	v_add_f32_e32 v6, v7, v6
	v_add_f32_e32 v2, v3, v2
	;; [unrolled: 1-line block ×6, first 2 shown]
.LBB281_40:                             ;   in Loop: Header=BB281_41 Depth=1
	s_or_b64 exec, exec, s[8:9]
	v_add_u32_e32 v1, 2, v1
	v_cmp_le_i32_e64 s[0:1], s33, v1
	v_lshl_add_u64 v[14:15], v[14:15], 0, 8
	v_add_u32_e32 v10, 16, v10
	s_or_b64 s[2:3], s[0:1], s[2:3]
	v_add_u32_e32 v17, 64, v17
	s_andn2_b64 exec, exec, s[2:3]
	s_cbranch_execz .LBB281_44
.LBB281_41:                             ; =>This Inner Loop Header: Depth=1
	s_and_saveexec_b64 s[8:9], vcc
	s_cbranch_execz .LBB281_40
; %bb.42:                               ;   in Loop: Header=BB281_41 Depth=1
	global_load_dword v2, v[14:15], off
	s_waitcnt vmcnt(0)
	v_mad_i64_i32 v[2:3], s[0:1], v2, s14, v[12:13]
	global_load_dwordx2 v[18:19], v[2:3], off
	ds_read2_b64 v[6:9], v17 offset1:1
	ds_read2_b64 v[2:5], v17 offset0:2 offset1:3
	s_load_dword s12, s[10:11], 0x0
	v_cmp_eq_u32_e64 s[0:1], s15, v1
	s_waitcnt vmcnt(0)
	v_and_b32_e32 v20, 0xff, v18
	v_bfe_u32 v21, v18, 8, 8
	v_bfe_u32 v22, v18, 16, 8
	v_lshrrev_b32_e32 v18, 24, v18
	v_and_b32_e32 v23, 0xff, v19
	v_bfe_u32 v24, v19, 8, 8
	v_bfe_u32 v25, v19, 16, 8
	v_lshrrev_b32_e32 v19, 24, v19
	v_cvt_f32_fp8_e32 v20, v20
	v_cvt_f32_fp8_e32 v21, v21
	;; [unrolled: 1-line block ×8, first 2 shown]
	s_waitcnt lgkmcnt(0)
	v_mul_f32_e32 v20, s12, v20
	v_mul_f32_e32 v21, s12, v21
	;; [unrolled: 1-line block ×8, first 2 shown]
	v_cvt_pk_bf16_f32 v24, v20, s0
	v_cvt_pk_bf16_f32 v25, v21, s0
	;; [unrolled: 1-line block ×8, first 2 shown]
	s_and_saveexec_b64 s[12:13], s[0:1]
	s_cbranch_execz .LBB281_39
; %bb.43:                               ;   in Loop: Header=BB281_41 Depth=1
	v_add_u32_e32 v26, -7, v10
	v_cmp_gt_i32_e64 s[0:1], s17, v26
	v_add_u32_e32 v26, -6, v10
	s_nop 0
	v_cndmask_b32_e64 v24, 0, v24, s[0:1]
	v_cmp_gt_i32_e64 s[0:1], s17, v26
	v_add_u32_e32 v26, -5, v10
	s_nop 0
	v_cndmask_b32_e64 v25, 0, v25, s[0:1]
	v_cmp_gt_i32_e64 s[0:1], s17, v26
	v_add_u32_e32 v26, -4, v10
	s_nop 0
	v_cndmask_b32_e64 v22, 0, v22, s[0:1]
	v_cmp_gt_i32_e64 s[0:1], s17, v26
	v_add_u32_e32 v26, -3, v10
	s_nop 0
	v_cndmask_b32_e64 v23, 0, v23, s[0:1]
	v_cmp_gt_i32_e64 s[0:1], s17, v26
	v_add_u32_e32 v26, -2, v10
	s_nop 0
	v_cndmask_b32_e64 v20, 0, v20, s[0:1]
	v_cmp_gt_i32_e64 s[0:1], s17, v26
	v_add_u32_e32 v26, -1, v10
	s_nop 0
	v_cndmask_b32_e64 v21, 0, v21, s[0:1]
	v_cmp_gt_i32_e64 s[0:1], s17, v26
	s_nop 1
	v_cndmask_b32_e64 v18, 0, v18, s[0:1]
	v_cmp_gt_i32_e64 s[0:1], s17, v10
	s_nop 1
	v_cndmask_b32_e64 v19, 0, v19, s[0:1]
	s_branch .LBB281_39
.LBB281_44:
	s_or_b64 exec, exec, s[2:3]
.LBB281_45:
	s_or_b64 exec, exec, s[6:7]
	v_and_b32_e32 v1, 0x3c0, v0
	v_cmp_eq_u32_e64 s[0:1], 64, v1
	v_cmp_gt_u32_e64 s[2:3], 32, v16
	v_mov_b32_e32 v1, 0x50
	v_cmp_lt_u32_e32 vcc, 31, v16
	v_lshl_add_u32 v1, v16, 2, v1
	s_and_b64 s[2:3], s[0:1], s[2:3]
	s_barrier
	s_and_saveexec_b64 s[0:1], s[2:3]
; %bb.46:
	ds_write_b32 v1, v11
; %bb.47:
	s_or_b64 exec, exec, s[0:1]
	v_cmp_gt_u32_e64 s[0:1], 64, v0
	s_xor_b64 s[2:3], vcc, -1
	s_and_b64 s[2:3], s[0:1], s[2:3]
	s_waitcnt lgkmcnt(0)
	s_barrier
	s_and_saveexec_b64 s[0:1], s[2:3]
	s_cbranch_execz .LBB281_49
; %bb.48:
	ds_read_b32 v1, v1
	s_waitcnt lgkmcnt(0)
	v_add_f32_e32 v11, v11, v1
.LBB281_49:
	s_or_b64 exec, exec, s[0:1]
	v_cmp_gt_u32_e32 vcc, 64, v0
	v_cmp_gt_u32_e64 s[0:1], 32, v16
	s_and_b64 s[0:1], vcc, s[0:1]
	s_barrier
	s_and_saveexec_b64 s[2:3], s[0:1]
	s_cbranch_execz .LBB281_51
; %bb.50:
	s_mul_i32 s0, s16, s19
	s_mul_i32 s0, s0, s5
	s_lshl_b32 s0, s0, 5
	s_ashr_i32 s1, s0, 31
	s_lshl_b64 s[0:1], s[0:1], 1
	s_add_u32 s2, s20, s0
	s_mul_i32 s0, s19, s18
	s_addc_u32 s3, s21, s1
	s_ashr_i32 s1, s0, 31
	s_lshl_b64 s[0:1], s[0:1], 1
	s_add_u32 s2, s2, s0
	s_addc_u32 s3, s3, s1
	s_lshl_b32 s0, s4, 5
	s_ashr_i32 s1, s0, 31
	s_lshl_b64 s[0:1], s[0:1], 1
	s_add_u32 s0, s2, s0
	s_addc_u32 s1, s3, s1
	v_lshlrev_b32_e32 v0, 1, v16
	v_cvt_pk_bf16_f32 v1, v11, s0
	global_store_short v0, v1, s[0:1]
.LBB281_51:
	s_endpgm
	.section	.rodata,"a",@progbits
	.p2align	6, 0x0
	.amdhsa_kernel _ZN4vllm25paged_attention_v1_kernelI14__hip_bfloat16hLi32ELi8ELi128ELNS_18Fp8KVCacheDataTypeE1ELb0EEEvPT_PKS3_PKT0_S9_ifPKiSB_iPKfiiiSD_SD_iiiii
		.amdhsa_group_segment_fixed_size 80
		.amdhsa_private_segment_fixed_size 0
		.amdhsa_kernarg_size 384
		.amdhsa_user_sgpr_count 2
		.amdhsa_user_sgpr_dispatch_ptr 0
		.amdhsa_user_sgpr_queue_ptr 0
		.amdhsa_user_sgpr_kernarg_segment_ptr 1
		.amdhsa_user_sgpr_dispatch_id 0
		.amdhsa_user_sgpr_kernarg_preload_length 0
		.amdhsa_user_sgpr_kernarg_preload_offset 0
		.amdhsa_user_sgpr_private_segment_size 0
		.amdhsa_uses_dynamic_stack 0
		.amdhsa_enable_private_segment 0
		.amdhsa_system_sgpr_workgroup_id_x 1
		.amdhsa_system_sgpr_workgroup_id_y 1
		.amdhsa_system_sgpr_workgroup_id_z 1
		.amdhsa_system_sgpr_workgroup_info 0
		.amdhsa_system_vgpr_workitem_id 0
		.amdhsa_next_free_vgpr 29
		.amdhsa_next_free_sgpr 37
		.amdhsa_accum_offset 32
		.amdhsa_reserve_vcc 1
		.amdhsa_float_round_mode_32 0
		.amdhsa_float_round_mode_16_64 0
		.amdhsa_float_denorm_mode_32 3
		.amdhsa_float_denorm_mode_16_64 3
		.amdhsa_dx10_clamp 1
		.amdhsa_ieee_mode 1
		.amdhsa_fp16_overflow 0
		.amdhsa_tg_split 0
		.amdhsa_exception_fp_ieee_invalid_op 0
		.amdhsa_exception_fp_denorm_src 0
		.amdhsa_exception_fp_ieee_div_zero 0
		.amdhsa_exception_fp_ieee_overflow 0
		.amdhsa_exception_fp_ieee_underflow 0
		.amdhsa_exception_fp_ieee_inexact 0
		.amdhsa_exception_int_div_zero 0
	.end_amdhsa_kernel
	.section	.text._ZN4vllm25paged_attention_v1_kernelI14__hip_bfloat16hLi32ELi8ELi128ELNS_18Fp8KVCacheDataTypeE1ELb0EEEvPT_PKS3_PKT0_S9_ifPKiSB_iPKfiiiSD_SD_iiiii,"axG",@progbits,_ZN4vllm25paged_attention_v1_kernelI14__hip_bfloat16hLi32ELi8ELi128ELNS_18Fp8KVCacheDataTypeE1ELb0EEEvPT_PKS3_PKT0_S9_ifPKiSB_iPKfiiiSD_SD_iiiii,comdat
.Lfunc_end281:
	.size	_ZN4vllm25paged_attention_v1_kernelI14__hip_bfloat16hLi32ELi8ELi128ELNS_18Fp8KVCacheDataTypeE1ELb0EEEvPT_PKS3_PKT0_S9_ifPKiSB_iPKfiiiSD_SD_iiiii, .Lfunc_end281-_ZN4vllm25paged_attention_v1_kernelI14__hip_bfloat16hLi32ELi8ELi128ELNS_18Fp8KVCacheDataTypeE1ELb0EEEvPT_PKS3_PKT0_S9_ifPKiSB_iPKfiiiSD_SD_iiiii
                                        ; -- End function
	.set _ZN4vllm25paged_attention_v1_kernelI14__hip_bfloat16hLi32ELi8ELi128ELNS_18Fp8KVCacheDataTypeE1ELb0EEEvPT_PKS3_PKT0_S9_ifPKiSB_iPKfiiiSD_SD_iiiii.num_vgpr, 29
	.set _ZN4vllm25paged_attention_v1_kernelI14__hip_bfloat16hLi32ELi8ELi128ELNS_18Fp8KVCacheDataTypeE1ELb0EEEvPT_PKS3_PKT0_S9_ifPKiSB_iPKfiiiSD_SD_iiiii.num_agpr, 0
	.set _ZN4vllm25paged_attention_v1_kernelI14__hip_bfloat16hLi32ELi8ELi128ELNS_18Fp8KVCacheDataTypeE1ELb0EEEvPT_PKS3_PKT0_S9_ifPKiSB_iPKfiiiSD_SD_iiiii.numbered_sgpr, 37
	.set _ZN4vllm25paged_attention_v1_kernelI14__hip_bfloat16hLi32ELi8ELi128ELNS_18Fp8KVCacheDataTypeE1ELb0EEEvPT_PKS3_PKT0_S9_ifPKiSB_iPKfiiiSD_SD_iiiii.num_named_barrier, 0
	.set _ZN4vllm25paged_attention_v1_kernelI14__hip_bfloat16hLi32ELi8ELi128ELNS_18Fp8KVCacheDataTypeE1ELb0EEEvPT_PKS3_PKT0_S9_ifPKiSB_iPKfiiiSD_SD_iiiii.private_seg_size, 0
	.set _ZN4vllm25paged_attention_v1_kernelI14__hip_bfloat16hLi32ELi8ELi128ELNS_18Fp8KVCacheDataTypeE1ELb0EEEvPT_PKS3_PKT0_S9_ifPKiSB_iPKfiiiSD_SD_iiiii.uses_vcc, 1
	.set _ZN4vllm25paged_attention_v1_kernelI14__hip_bfloat16hLi32ELi8ELi128ELNS_18Fp8KVCacheDataTypeE1ELb0EEEvPT_PKS3_PKT0_S9_ifPKiSB_iPKfiiiSD_SD_iiiii.uses_flat_scratch, 0
	.set _ZN4vllm25paged_attention_v1_kernelI14__hip_bfloat16hLi32ELi8ELi128ELNS_18Fp8KVCacheDataTypeE1ELb0EEEvPT_PKS3_PKT0_S9_ifPKiSB_iPKfiiiSD_SD_iiiii.has_dyn_sized_stack, 0
	.set _ZN4vllm25paged_attention_v1_kernelI14__hip_bfloat16hLi32ELi8ELi128ELNS_18Fp8KVCacheDataTypeE1ELb0EEEvPT_PKS3_PKT0_S9_ifPKiSB_iPKfiiiSD_SD_iiiii.has_recursion, 0
	.set _ZN4vllm25paged_attention_v1_kernelI14__hip_bfloat16hLi32ELi8ELi128ELNS_18Fp8KVCacheDataTypeE1ELb0EEEvPT_PKS3_PKT0_S9_ifPKiSB_iPKfiiiSD_SD_iiiii.has_indirect_call, 0
	.section	.AMDGPU.csdata,"",@progbits
; Kernel info:
; codeLenInByte = 3688
; TotalNumSgprs: 43
; NumVgprs: 29
; NumAgprs: 0
; TotalNumVgprs: 29
; ScratchSize: 0
; MemoryBound: 0
; FloatMode: 240
; IeeeMode: 1
; LDSByteSize: 80 bytes/workgroup (compile time only)
; SGPRBlocks: 5
; VGPRBlocks: 3
; NumSGPRsForWavesPerEU: 43
; NumVGPRsForWavesPerEU: 29
; AccumOffset: 32
; Occupancy: 8
; WaveLimiterHint : 1
; COMPUTE_PGM_RSRC2:SCRATCH_EN: 0
; COMPUTE_PGM_RSRC2:USER_SGPR: 2
; COMPUTE_PGM_RSRC2:TRAP_HANDLER: 0
; COMPUTE_PGM_RSRC2:TGID_X_EN: 1
; COMPUTE_PGM_RSRC2:TGID_Y_EN: 1
; COMPUTE_PGM_RSRC2:TGID_Z_EN: 1
; COMPUTE_PGM_RSRC2:TIDIG_COMP_CNT: 0
; COMPUTE_PGM_RSRC3_GFX90A:ACCUM_OFFSET: 7
; COMPUTE_PGM_RSRC3_GFX90A:TG_SPLIT: 0
	.section	.text._ZN4vllm25paged_attention_v1_kernelI14__hip_bfloat16hLi64ELi8ELi128ELNS_18Fp8KVCacheDataTypeE1ELb0EEEvPT_PKS3_PKT0_S9_ifPKiSB_iPKfiiiSD_SD_iiiii,"axG",@progbits,_ZN4vllm25paged_attention_v1_kernelI14__hip_bfloat16hLi64ELi8ELi128ELNS_18Fp8KVCacheDataTypeE1ELb0EEEvPT_PKS3_PKT0_S9_ifPKiSB_iPKfiiiSD_SD_iiiii,comdat
	.protected	_ZN4vllm25paged_attention_v1_kernelI14__hip_bfloat16hLi64ELi8ELi128ELNS_18Fp8KVCacheDataTypeE1ELb0EEEvPT_PKS3_PKT0_S9_ifPKiSB_iPKfiiiSD_SD_iiiii ; -- Begin function _ZN4vllm25paged_attention_v1_kernelI14__hip_bfloat16hLi64ELi8ELi128ELNS_18Fp8KVCacheDataTypeE1ELb0EEEvPT_PKS3_PKT0_S9_ifPKiSB_iPKfiiiSD_SD_iiiii
	.globl	_ZN4vllm25paged_attention_v1_kernelI14__hip_bfloat16hLi64ELi8ELi128ELNS_18Fp8KVCacheDataTypeE1ELb0EEEvPT_PKS3_PKT0_S9_ifPKiSB_iPKfiiiSD_SD_iiiii
	.p2align	8
	.type	_ZN4vllm25paged_attention_v1_kernelI14__hip_bfloat16hLi64ELi8ELi128ELNS_18Fp8KVCacheDataTypeE1ELb0EEEvPT_PKS3_PKT0_S9_ifPKiSB_iPKfiiiSD_SD_iiiii,@function
_ZN4vllm25paged_attention_v1_kernelI14__hip_bfloat16hLi64ELi8ELi128ELNS_18Fp8KVCacheDataTypeE1ELb0EEEvPT_PKS3_PKT0_S9_ifPKiSB_iPKfiiiSD_SD_iiiii: ; @_ZN4vllm25paged_attention_v1_kernelI14__hip_bfloat16hLi64ELi8ELi128ELNS_18Fp8KVCacheDataTypeE1ELb0EEEvPT_PKS3_PKT0_S9_ifPKiSB_iPKfiiiSD_SD_iiiii
; %bb.0:
	s_load_dword s5, s[0:1], 0x80
	s_load_dwordx2 s[6:7], s[0:1], 0x30
	s_load_dwordx2 s[10:11], s[0:1], 0x20
	s_mov_b32 s20, s3
	s_ashr_i32 s21, s3, 31
	s_lshl_b64 s[8:9], s[20:21], 2
	s_waitcnt lgkmcnt(0)
	s_add_u32 s6, s6, s8
	s_addc_u32 s7, s7, s9
	s_abs_i32 s3, s10
	v_cvt_f32_u32_e32 v1, s3
	s_xor_b32 s8, s5, s10
	s_sub_i32 s10, 0, s3
	s_abs_i32 s9, s5
	v_rcp_iflag_f32_e32 v1, v1
	s_ashr_i32 s8, s8, 31
	v_mul_f32_e32 v1, 0x4f7ffffe, v1
	v_cvt_u32_f32_e32 v1, v1
	s_nop 0
	v_readfirstlane_b32 s12, v1
	s_mul_i32 s10, s10, s12
	s_mul_hi_u32 s10, s12, s10
	s_add_i32 s12, s12, s10
	s_mul_hi_u32 s10, s9, s12
	s_mul_i32 s12, s10, s3
	s_sub_i32 s9, s9, s12
	s_add_i32 s12, s10, 1
	s_sub_i32 s13, s9, s3
	s_cmp_ge_u32 s9, s3
	s_cselect_b32 s10, s12, s10
	s_cselect_b32 s9, s13, s9
	s_add_i32 s12, s10, 1
	s_cmp_ge_u32 s9, s3
	s_cselect_b32 s3, s12, s10
	s_xor_b32 s3, s3, s8
	s_sub_i32 s19, s3, s8
	s_abs_i32 s16, s19
	v_cvt_f32_u32_e32 v1, s16
	s_load_dwordx2 s[8:9], s[0:1], 0x40
	s_sub_i32 s3, 0, s16
	s_abs_i32 s17, s2
	v_rcp_iflag_f32_e32 v1, v1
	s_mov_b32 s10, 0
	v_mul_f32_e32 v1, 0x4f7ffffe, v1
	v_cvt_u32_f32_e32 v1, v1
	s_nop 0
	v_readfirstlane_b32 s12, v1
	s_mul_i32 s3, s3, s12
	s_mul_hi_u32 s3, s12, s3
	s_add_i32 s12, s12, s3
	s_waitcnt lgkmcnt(0)
	s_cmp_eq_u64 s[8:9], 0
	s_mul_hi_u32 s18, s17, s12
	s_cbranch_scc1 .LBB282_2
; %bb.1:
	s_ashr_i32 s3, s2, 31
	s_lshl_b64 s[12:13], s[2:3], 2
	s_add_u32 s8, s8, s12
	s_addc_u32 s9, s9, s13
	s_load_dword s10, s[8:9], 0x0
.LBB282_2:
	s_load_dword s21, s[6:7], 0x0
	s_load_dwordx4 s[12:15], s[0:1], 0x48
	s_ashr_i32 s6, s2, 31
	s_ashr_i32 s7, s19, 31
	v_and_b32_e32 v2, 7, v0
	s_lshl_b32 s22, s2, 6
	v_cmp_gt_u32_e64 s[8:9], 64, v0
	s_and_saveexec_b64 s[2:3], s[8:9]
	s_cbranch_execz .LBB282_4
; %bb.3:
	s_load_dwordx2 s[24:25], s[0:1], 0x8
	s_waitcnt lgkmcnt(0)
	s_mul_i32 s26, s12, s20
	s_ashr_i32 s27, s26, 31
	s_lshl_b64 s[26:27], s[26:27], 1
	v_lshlrev_b32_e32 v1, 1, v0
	s_add_u32 s12, s24, s26
	s_addc_u32 s15, s25, s27
	s_ashr_i32 s23, s22, 31
	s_lshl_b64 s[24:25], s[22:23], 1
	s_add_u32 s24, s12, s24
	s_addc_u32 s25, s15, s25
	global_load_ushort v1, v1, s[24:25]
	v_lshrrev_b32_e32 v3, 2, v0
	v_and_b32_e32 v3, 0xfe, v3
	v_lshl_add_u32 v3, v2, 4, v3
	s_waitcnt vmcnt(0)
	ds_write_b16 v3, v1
.LBB282_4:
	s_or_b64 exec, exec, s[2:3]
	s_waitcnt lgkmcnt(0)
	s_add_i32 s3, s21, 7
	s_ashr_i32 s12, s3, 31
	s_lshr_b32 s12, s12, 29
	s_add_i32 s3, s3, s12
	s_ashr_i32 s23, s3, 3
	s_xor_b32 s3, s6, s7
	s_mul_i32 s6, s18, s16
	s_sub_i32 s6, s17, s6
	s_add_i32 s7, s18, 1
	s_sub_i32 s12, s6, s16
	s_load_dwordx2 s[26:27], s[0:1], 0x28
	s_load_dword s2, s[0:1], 0x38
	s_cmp_ge_u32 s6, s16
	s_cselect_b32 s7, s7, s18
	s_cselect_b32 s6, s12, s6
	s_add_i32 s12, s7, 1
	s_cmp_ge_u32 s6, s16
	s_cselect_b32 s6, s12, s7
	v_lshrrev_b32_e32 v1, 6, v0
	s_xor_b32 s6, s6, s3
	s_waitcnt lgkmcnt(0)
	s_mul_i32 s28, s2, s20
	s_sub_i32 s33, s6, s3
	s_ashr_i32 s29, s28, 31
	v_cmp_gt_i32_e64 s[2:3], s23, v1
	v_cmp_le_i32_e32 vcc, s23, v1
	v_mbcnt_lo_u32_b32 v3, -1, 0
	s_barrier
                                        ; implicit-def: $vgpr7
                                        ; implicit-def: $vgpr9
                                        ; implicit-def: $vgpr8
	s_and_saveexec_b64 s[6:7], vcc
	s_xor_b64 s[6:7], exec, s[6:7]
; %bb.5:
	v_mbcnt_hi_u32_b32 v7, -1, v3
	v_and_b32_e32 v9, 64, v7
	v_add_u32_e32 v8, 64, v9
                                        ; implicit-def: $vgpr2
                                        ; implicit-def: $vgpr3
; %bb.6:
	s_or_saveexec_b64 s[34:35], s[6:7]
	s_load_dwordx2 s[24:25], s[0:1], 0x0
	s_load_dwordx2 s[30:31], s[0:1], 0x18
	s_load_dword s12, s[0:1], 0x88
	s_load_dwordx4 s[16:19], s[0:1], 0x58
	v_mov_b32_e32 v18, 0xff7fffff
	s_mul_i32 s33, s33, s14
	v_lshrrev_b32_e32 v6, 4, v0
	s_xor_b64 exec, exec, s[34:35]
	s_cbranch_execz .LBB282_12
; %bb.7:
	v_mbcnt_hi_u32_b32 v7, -1, v3
	v_and_b32_e32 v9, 64, v7
	v_add_u32_e32 v8, 64, v9
	v_xor_b32_e32 v3, 4, v7
	s_load_dwordx2 s[0:1], s[0:1], 0x10
	v_cmp_lt_i32_e32 vcc, v3, v8
	s_ashr_i32 s6, s33, 31
	v_lshlrev_b32_e32 v4, 4, v2
	v_cndmask_b32_e32 v3, v7, v3, vcc
	v_lshlrev_b32_e32 v19, 2, v3
	v_xor_b32_e32 v3, 2, v7
	v_cmp_lt_i32_e32 vcc, v3, v8
	v_bfe_u32 v18, v0, 3, 3
	s_waitcnt lgkmcnt(0)
	s_add_u32 s0, s0, s33
	v_cndmask_b32_e32 v3, v7, v3, vcc
	ds_read_b128 v[14:17], v4
	v_lshlrev_b32_e32 v20, 2, v3
	v_xor_b32_e32 v3, 1, v7
	s_addc_u32 s1, s1, s6
	v_lshlrev_b32_e32 v4, 4, v18
	v_mov_b32_e32 v5, 0
	v_cmp_lt_i32_e32 vcc, v3, v8
	s_load_dword s37, s[16:17], 0x0
	v_lshl_add_u64 v[22:23], s[0:1], 0, v[4:5]
	v_cndmask_b32_e32 v3, v7, v3, vcc
	s_sub_i32 s38, 1, s21
	v_lshlrev_b32_e32 v4, 2, v18
	s_lshl_b64 s[6:7], s[28:29], 2
	v_lshlrev_b32_e32 v21, 2, v3
	v_mov_b32_e32 v3, v5
	v_lshl_or_b32 v4, v1, 5, v4
	s_add_u32 s6, s26, s6
	v_cmp_eq_u32_e32 vcc, 0, v2
	v_lshl_add_u64 v[2:3], v[22:23], 0, v[2:3]
	v_add_u32_e32 v23, 0x90, v4
	v_and_b32_e32 v4, 60, v6
	s_addc_u32 s7, s27, s7
	s_mov_b32 s36, s13
	s_waitcnt lgkmcnt(0)
	v_lshlrev_b32_e32 v10, 16, v14
	v_and_b32_e32 v11, 0xffff0000, v14
	v_lshlrev_b32_e32 v12, 16, v15
	v_and_b32_e32 v13, 0xffff0000, v15
	;; [unrolled: 2-line block ×4, first 2 shown]
	v_cmp_neq_f32_e64 s[0:1], s10, 0
	v_lshl_or_b32 v22, v1, 3, v18
	v_lshl_add_u64 v[4:5], s[6:7], 0, v[4:5]
	v_mov_b32_e32 v18, 0xff7fffff
	s_mov_b64 s[14:15], 0
	v_mov_b32_e32 v24, v1
	s_branch .LBB282_9
.LBB282_8:                              ;   in Loop: Header=BB282_9 Depth=1
	s_or_b64 exec, exec, s[16:17]
	v_add_u32_e32 v24, 2, v24
	v_cmp_le_i32_e64 s[6:7], s23, v24
	v_add_u32_e32 v22, 16, v22
	v_add_u32_e32 v23, 64, v23
	s_or_b64 s[14:15], s[6:7], s[14:15]
	v_lshl_add_u64 v[4:5], v[4:5], 0, 8
	s_andn2_b64 exec, exec, s[14:15]
	s_cbranch_execz .LBB282_11
.LBB282_9:                              ; =>This Inner Loop Header: Depth=1
	global_load_dword v25, v[4:5], off
	s_waitcnt vmcnt(0) lgkmcnt(0)
	v_mad_i64_i32 v[26:27], s[6:7], v25, s36, v[2:3]
	global_load_ubyte v25, v[26:27], off
	global_load_ubyte v28, v[26:27], off offset:8
	global_load_ubyte v29, v[26:27], off offset:128
	;; [unrolled: 1-line block ×7, first 2 shown]
	s_waitcnt vmcnt(7)
	v_cvt_f32_fp8_e32 v25, v25
	s_waitcnt vmcnt(6)
	v_cvt_f32_fp8_e32 v26, v28
	;; [unrolled: 2-line block ×5, first 2 shown]
	v_mul_f32_e32 v26, s37, v26
	s_waitcnt vmcnt(2)
	v_cvt_f32_fp8_e32 v30, v32
	v_mul_f32_e32 v25, s37, v25
	v_cvt_pk_bf16_f32 v26, v26, s0
	s_waitcnt vmcnt(1)
	v_cvt_f32_fp8_e32 v31, v33
	v_mul_f32_e32 v27, s37, v27
	v_cvt_pk_bf16_f32 v25, v25, s0
	v_lshlrev_b32_e32 v26, 16, v26
	s_waitcnt vmcnt(0)
	v_cvt_f32_fp8_e32 v32, v34
	v_mul_f32_e32 v28, s37, v28
	v_cvt_pk_bf16_f32 v27, v27, s0
	v_lshlrev_b32_e32 v25, 16, v25
	v_mul_f32_e32 v26, v11, v26
	v_mul_f32_e32 v29, s37, v29
	v_cvt_pk_bf16_f32 v28, v28, s0
	v_lshlrev_b32_e32 v27, 16, v27
	v_fmac_f32_e32 v26, v10, v25
	v_mul_f32_e32 v30, s37, v30
	v_cvt_pk_bf16_f32 v29, v29, s0
	v_lshlrev_b32_e32 v28, 16, v28
	v_fmac_f32_e32 v26, v12, v27
	;; [unrolled: 4-line block ×4, first 2 shown]
	v_cvt_pk_bf16_f32 v32, v32, s0
	v_lshlrev_b32_e32 v31, 16, v31
	v_fmac_f32_e32 v26, v15, v30
	v_fmac_f32_e32 v26, v16, v31
	v_lshlrev_b32_e32 v25, 16, v32
	v_fmac_f32_e32 v26, v17, v25
	ds_bpermute_b32 v25, v19, v26
	s_waitcnt lgkmcnt(0)
	v_add_f32_e32 v25, v26, v25
	ds_bpermute_b32 v26, v20, v25
	s_waitcnt lgkmcnt(0)
	v_add_f32_e32 v25, v25, v26
	ds_bpermute_b32 v26, v21, v25
	s_and_saveexec_b64 s[16:17], vcc
	s_cbranch_execz .LBB282_8
; %bb.10:                               ;   in Loop: Header=BB282_9 Depth=1
	v_add_u32_e32 v27, s38, v22
	v_cvt_f32_i32_e32 v27, v27
	s_waitcnt lgkmcnt(0)
	v_add_f32_e32 v25, v25, v26
	v_cmp_gt_i32_e64 s[6:7], s21, v22
	v_max_f32_e32 v26, v18, v18
	v_mul_f32_e32 v27, s10, v27
	v_cndmask_b32_e64 v27, 0, v27, s[0:1]
	v_fmac_f32_e32 v27, s11, v25
	v_cndmask_b32_e64 v25, 0, v27, s[6:7]
	ds_write_b32 v23, v25
	v_max_f32_e32 v25, v26, v27
	v_cndmask_b32_e64 v18, v18, v25, s[6:7]
	s_branch .LBB282_8
.LBB282_11:
	s_or_b64 exec, exec, s[14:15]
.LBB282_12:
	s_or_b64 exec, exec, s[34:35]
	v_xor_b32_e32 v2, 32, v7
	v_cmp_lt_i32_e32 vcc, v2, v8
	v_xor_b32_e32 v5, 16, v7
	v_max_f32_e32 v4, v18, v18
	v_cndmask_b32_e32 v2, v7, v2, vcc
	v_lshlrev_b32_e32 v3, 2, v2
	ds_bpermute_b32 v2, v3, v18
	v_cmp_lt_i32_e32 vcc, v5, v8
	v_xor_b32_e32 v10, 8, v7
	v_and_b32_e32 v16, 63, v0
	s_waitcnt lgkmcnt(0)
	v_max_f32_e32 v2, v2, v2
	v_max_f32_e32 v2, v4, v2
	v_cndmask_b32_e32 v4, v7, v5, vcc
	v_lshlrev_b32_e32 v5, 2, v4
	ds_bpermute_b32 v4, v5, v2
	v_cmp_lt_i32_e32 vcc, v10, v8
	s_waitcnt lgkmcnt(0)
	v_max_f32_e32 v4, v4, v4
	v_max_f32_e32 v4, v2, v4
	v_cndmask_b32_e32 v2, v7, v10, vcc
	v_lshlrev_b32_e32 v11, 2, v2
	ds_bpermute_b32 v10, v11, v4
	v_cmp_eq_u32_e32 vcc, 0, v16
	v_lshlrev_b32_e32 v2, 2, v1
	s_and_saveexec_b64 s[0:1], vcc
	s_cbranch_execz .LBB282_14
; %bb.13:
	s_waitcnt lgkmcnt(0)
	v_max_f32_e32 v10, v10, v10
	v_max_f32_e32 v4, v4, v4
	;; [unrolled: 1-line block ×3, first 2 shown]
	ds_write_b32 v2, v4 offset:128
.LBB282_14:
	s_or_b64 exec, exec, s[0:1]
	v_cmp_gt_u32_e64 s[0:1], 2, v16
	v_mov_b32_e32 v12, 0xff7fffff
	v_lshlrev_b32_e32 v4, 2, v16
	s_waitcnt lgkmcnt(0)
	s_barrier
	s_and_saveexec_b64 s[6:7], s[0:1]
; %bb.15:
	ds_read_b32 v12, v4 offset:128
; %bb.16:
	s_or_b64 exec, exec, s[6:7]
	v_xor_b32_e32 v10, 1, v7
	v_cmp_lt_i32_e64 s[6:7], v10, v8
	v_lshlrev_b32_e32 v9, 2, v9
	s_nop 0
	v_cndmask_b32_e64 v10, v7, v10, s[6:7]
	v_lshlrev_b32_e32 v10, 2, v10
	s_waitcnt lgkmcnt(0)
	ds_bpermute_b32 v13, v10, v12
	v_max_f32_e32 v12, v12, v12
	s_lshl_b32 s6, s23, 3
	s_min_i32 s34, s6, s21
	v_cmp_gt_i32_e64 s[6:7], s34, v0
	s_waitcnt lgkmcnt(0)
	v_max_f32_e32 v13, v13, v13
	v_max_f32_e32 v12, v12, v13
	ds_bpermute_b32 v12, v9, v12
	v_mov_b32_e32 v9, 0
	s_and_saveexec_b64 s[14:15], s[6:7]
	s_cbranch_execz .LBB282_20
; %bb.17:
	v_mov_b32_e32 v9, 0x90
	v_lshl_add_u32 v13, v0, 2, v9
	v_mov_b32_e32 v9, 0
	s_mov_b64 s[16:17], 0
	v_mov_b32_e32 v14, v0
.LBB282_18:                             ; =>This Inner Loop Header: Depth=1
	ds_read_b32 v15, v13
	v_add_u32_e32 v14, 0x80, v14
	v_cmp_le_i32_e64 s[10:11], s34, v14
	s_or_b64 s[16:17], s[10:11], s[16:17]
	s_waitcnt lgkmcnt(0)
	v_sub_f32_e32 v15, v15, v12
	v_mul_f32_e32 v15, 0x3fb8aa3b, v15
	v_exp_f32_e32 v15, v15
	ds_write_b32 v13, v15
	v_add_f32_e32 v9, v9, v15
	v_add_u32_e32 v13, 0x200, v13
	s_andn2_b64 exec, exec, s[16:17]
	s_cbranch_execnz .LBB282_18
; %bb.19:
	s_or_b64 exec, exec, s[16:17]
.LBB282_20:
	s_or_b64 exec, exec, s[14:15]
	ds_bpermute_b32 v3, v3, v9
	s_waitcnt lgkmcnt(0)
	v_add_f32_e32 v3, v9, v3
	ds_bpermute_b32 v5, v5, v3
	v_xor_b32_e32 v9, 4, v7
	v_cmp_lt_i32_e64 s[10:11], v9, v8
	s_waitcnt lgkmcnt(0)
	v_add_f32_e32 v3, v3, v5
	ds_bpermute_b32 v5, v11, v3
	v_cndmask_b32_e64 v9, v7, v9, s[10:11]
	v_lshlrev_b32_e32 v9, 2, v9
	s_waitcnt lgkmcnt(0)
	v_add_f32_e32 v3, v3, v5
	ds_bpermute_b32 v5, v9, v3
	v_xor_b32_e32 v9, 2, v7
	v_cmp_lt_i32_e64 s[10:11], v9, v8
	s_waitcnt lgkmcnt(0)
	v_add_f32_e32 v3, v3, v5
	v_cndmask_b32_e64 v8, v7, v9, s[10:11]
	v_lshlrev_b32_e32 v5, 2, v8
	ds_bpermute_b32 v5, v5, v3
	s_waitcnt lgkmcnt(0)
	v_add_f32_e32 v3, v3, v5
	ds_bpermute_b32 v5, v10, v3
	s_waitcnt lgkmcnt(0)
	v_add_f32_e32 v3, v3, v5
	s_and_saveexec_b64 s[10:11], vcc
; %bb.21:
	ds_write_b32 v2, v3 offset:136
; %bb.22:
	s_or_b64 exec, exec, s[10:11]
	s_waitcnt lgkmcnt(0)
	s_barrier
	s_and_saveexec_b64 s[10:11], s[0:1]
; %bb.23:
	ds_read_b32 v3, v4 offset:136
; %bb.24:
	s_or_b64 exec, exec, s[10:11]
	s_waitcnt lgkmcnt(0)
	ds_bpermute_b32 v2, v10, v3
	v_lshlrev_b32_e32 v4, 2, v7
	s_waitcnt lgkmcnt(0)
	v_add_f32_e32 v2, v3, v2
	v_and_b32_e32 v3, 0xffffff00, v4
	ds_bpermute_b32 v2, v3, v2
	s_and_saveexec_b64 s[0:1], s[6:7]
	s_cbranch_execz .LBB282_37
; %bb.25:
	s_waitcnt lgkmcnt(0)
	v_add_f32_e32 v2, 0x358637bd, v2
	v_div_scale_f32 v3, s[6:7], v2, v2, 1.0
	v_rcp_f32_e32 v4, v3
	v_div_scale_f32 v5, vcc, 1.0, v2, 1.0
	s_movk_i32 s6, 0x7f
	v_fma_f32 v7, -v3, v4, 1.0
	v_fmac_f32_e32 v4, v7, v4
	v_mul_f32_e32 v7, v5, v4
	v_fma_f32 v8, -v3, v7, v5
	v_fmac_f32_e32 v7, v8, v4
	v_fma_f32 v3, -v3, v7, v5
	v_div_fmas_f32 v3, v3, v4, v7
	v_xad_u32 v4, v0, -1, s34
	v_div_fixup_f32 v2, v3, v2, 1.0
	v_cmp_lt_u32_e32 vcc, s6, v4
	s_mov_b64 s[10:11], -1
	v_mov_b32_e32 v3, v0
	s_and_saveexec_b64 s[6:7], vcc
	s_cbranch_execz .LBB282_34
; %bb.26:
	v_lshrrev_b32_e32 v4, 7, v4
	v_add_u32_e32 v7, -1, v4
	v_lshrrev_b32_e32 v5, 1, v7
	v_mov_b32_e32 v3, v2
	v_add_u32_e32 v5, 1, v5
	v_cmp_lt_u32_e32 vcc, 13, v7
	v_mov_b32_e32 v9, 0
	s_and_saveexec_b64 s[10:11], vcc
	s_cbranch_execz .LBB282_30
; %bb.27:
	v_mov_b32_e32 v8, 0x90
	v_and_b32_e32 v7, -8, v5
	v_lshl_add_u32 v8, v0, 2, v8
	s_mov_b32 s16, 0
	s_mov_b64 s[14:15], 0
.LBB282_28:                             ; =>This Inner Loop Header: Depth=1
	ds_read2st64_b32 v[10:11], v8 offset1:2
	ds_read2st64_b32 v[12:13], v8 offset0:4 offset1:6
	ds_read2st64_b32 v[14:15], v8 offset0:8 offset1:10
	;; [unrolled: 1-line block ×3, first 2 shown]
	v_add_u32_e32 v7, -8, v7
	s_waitcnt lgkmcnt(3)
	v_pk_mul_f32 v[10:11], v[2:3], v[10:11]
	s_waitcnt lgkmcnt(2)
	v_pk_mul_f32 v[12:13], v[2:3], v[12:13]
	ds_write2st64_b32 v8, v10, v11 offset1:2
	ds_write2st64_b32 v8, v12, v13 offset0:4 offset1:6
	ds_read2st64_b32 v[12:13], v8 offset0:16 offset1:18
	s_waitcnt lgkmcnt(4)
	v_pk_mul_f32 v[10:11], v[2:3], v[14:15]
	ds_write2st64_b32 v8, v10, v11 offset0:8 offset1:10
	s_waitcnt lgkmcnt(4)
	v_pk_mul_f32 v[10:11], v[2:3], v[18:19]
	ds_write2st64_b32 v8, v10, v11 offset0:12 offset1:14
	ds_read2st64_b32 v[10:11], v8 offset0:20 offset1:22
	s_waitcnt lgkmcnt(3)
	v_pk_mul_f32 v[12:13], v[2:3], v[12:13]
	ds_read2st64_b32 v[14:15], v8 offset0:24 offset1:26
	ds_write2st64_b32 v8, v12, v13 offset0:16 offset1:18
	ds_read2st64_b32 v[12:13], v8 offset0:28 offset1:30
	s_waitcnt lgkmcnt(3)
	v_pk_mul_f32 v[10:11], v[2:3], v[10:11]
	ds_write2st64_b32 v8, v10, v11 offset0:20 offset1:22
	s_waitcnt lgkmcnt(3)
	v_pk_mul_f32 v[10:11], v[2:3], v[14:15]
	ds_write2st64_b32 v8, v10, v11 offset0:24 offset1:26
	s_waitcnt lgkmcnt(2)
	v_pk_mul_f32 v[10:11], v[2:3], v[12:13]
	s_add_i32 s16, s16, 16
	v_cmp_eq_u32_e32 vcc, 0, v7
	ds_write2st64_b32 v8, v10, v11 offset0:28 offset1:30
	v_add_u32_e32 v8, 0x2000, v8
	s_or_b64 s[14:15], vcc, s[14:15]
	v_mov_b32_e32 v9, s16
	s_andn2_b64 exec, exec, s[14:15]
	s_cbranch_execnz .LBB282_28
; %bb.29:
	s_or_b64 exec, exec, s[14:15]
.LBB282_30:
	s_or_b64 exec, exec, s[10:11]
	v_and_b32_e32 v5, 7, v5
	v_cmp_ne_u32_e32 vcc, 0, v5
	s_and_saveexec_b64 s[10:11], vcc
	s_cbranch_execz .LBB282_33
; %bb.31:
	v_lshlrev_b32_e32 v7, 9, v9
	v_lshlrev_b32_e32 v8, 2, v0
	s_movk_i32 s14, 0x90
	v_add3_u32 v7, v7, v8, s14
	s_mov_b64 s[14:15], 0
.LBB282_32:                             ; =>This Inner Loop Header: Depth=1
	ds_read2st64_b32 v[8:9], v7 offset1:2
	v_add_u32_e32 v5, -1, v5
	v_cmp_eq_u32_e32 vcc, 0, v5
	s_or_b64 s[14:15], vcc, s[14:15]
	s_waitcnt lgkmcnt(0)
	v_pk_mul_f32 v[8:9], v[2:3], v[8:9]
	ds_write2st64_b32 v7, v8, v9 offset1:2
	v_add_u32_e32 v7, 0x400, v7
	s_andn2_b64 exec, exec, s[14:15]
	s_cbranch_execnz .LBB282_32
.LBB282_33:
	s_or_b64 exec, exec, s[10:11]
	v_add_u32_e32 v4, 1, v4
	v_and_b32_e32 v5, 0x3fffffe, v4
	v_cmp_ne_u32_e32 vcc, v4, v5
	v_lshl_add_u32 v3, v5, 7, v0
	s_orn2_b64 s[10:11], vcc, exec
.LBB282_34:
	s_or_b64 exec, exec, s[6:7]
	s_and_b64 exec, exec, s[10:11]
	s_cbranch_execz .LBB282_37
; %bb.35:
	v_mov_b32_e32 v4, 0x90
	v_lshl_add_u32 v4, v3, 2, v4
	s_mov_b64 s[6:7], 0
.LBB282_36:                             ; =>This Inner Loop Header: Depth=1
	ds_read_b32 v5, v4
	v_add_u32_e32 v3, 0x80, v3
	v_cmp_le_i32_e32 vcc, s34, v3
	s_or_b64 s[6:7], vcc, s[6:7]
	s_waitcnt lgkmcnt(0)
	v_mul_f32_e32 v5, v2, v5
	ds_write_b32 v4, v5
	v_add_u32_e32 v4, 0x200, v4
	s_andn2_b64 exec, exec, s[6:7]
	s_cbranch_execnz .LBB282_36
.LBB282_37:
	s_or_b64 exec, exec, s[0:1]
	v_mov_b32_e32 v11, 0
	s_waitcnt lgkmcnt(0)
	s_barrier
	s_and_saveexec_b64 s[0:1], s[2:3]
	s_cbranch_execz .LBB282_43
; %bb.38:
	s_ashr_i32 s3, s33, 31
	s_add_u32 s2, s30, s33
	s_addc_u32 s3, s31, s3
	v_lshlrev_b32_e32 v10, 3, v16
	v_mov_b32_e32 v11, 0
	s_load_dword s11, s[18:19], 0x0
	s_mov_b32 s10, s13
	v_lshl_add_u64 v[12:13], s[2:3], 0, v[10:11]
	s_add_i32 s13, s23, -1
	s_lshl_b64 s[2:3], s[28:29], 2
	s_add_u32 s2, s26, s2
	v_mov_b32_e32 v2, 0x90
	v_and_b32_e32 v10, 60, v6
	s_addc_u32 s3, s27, s3
	v_lshl_or_b32 v17, v1, 3, 7
	v_lshl_add_u32 v18, v1, 5, v2
	v_lshl_add_u64 v[14:15], s[2:3], 0, v[10:11]
	s_mov_b64 s[2:3], 0
	s_branch .LBB282_40
.LBB282_39:                             ;   in Loop: Header=BB282_40 Depth=1
	s_or_b64 exec, exec, s[6:7]
	v_cvt_pk_bf16_f32 v2, v2, s0
	v_lshlrev_b32_e32 v2, 16, v2
	v_lshlrev_b32_e32 v21, 16, v21
	v_cvt_pk_bf16_f32 v3, v3, s0
	v_mul_f32_e32 v2, v2, v21
	v_cvt_pk_bf16_f32 v21, v2, s0
	v_lshlrev_b32_e32 v2, 16, v3
	v_lshlrev_b32_e32 v3, 16, v20
	v_cvt_pk_bf16_f32 v4, v4, s0
	v_mul_f32_e32 v2, v2, v3
	v_cvt_pk_bf16_f32 v6, v6, s0
	v_cvt_pk_bf16_f32 v7, v7, s0
	;; [unrolled: 1-line block ×5, first 2 shown]
	v_lshlrev_b32_e32 v2, 16, v4
	v_lshlrev_b32_e32 v3, 16, v19
	v_cvt_pk_bf16_f32 v5, v5, s0
	v_lshlrev_b32_e32 v6, 16, v6
	v_lshlrev_b32_e32 v25, 16, v25
	;; [unrolled: 1-line block ×8, first 2 shown]
	v_mul_f32_e32 v2, v2, v3
	v_mul_f32_e32 v6, v6, v25
	;; [unrolled: 1-line block ×5, first 2 shown]
	v_cvt_pk_bf16_f32 v19, v2, s0
	v_lshlrev_b32_e32 v2, 16, v5
	v_lshlrev_b32_e32 v3, 16, v10
	v_cvt_pk_bf16_f32 v6, v6, s0
	v_cvt_pk_bf16_f32 v7, v7, s0
	;; [unrolled: 1-line block ×4, first 2 shown]
	v_mul_f32_e32 v2, v2, v3
	v_cvt_pk_bf16_f32 v10, v2, s0
	v_lshlrev_b32_e32 v3, 16, v7
	v_lshlrev_b32_e32 v5, 16, v6
	;; [unrolled: 1-line block ×4, first 2 shown]
	v_pk_add_f32 v[2:3], v[4:5], v[2:3]
	v_lshlrev_b32_e32 v5, 16, v20
	v_lshlrev_b32_e32 v7, 16, v21
	;; [unrolled: 1-line block ×4, first 2 shown]
	v_pk_add_f32 v[4:5], v[6:7], v[4:5]
	v_add_f32_e32 v2, v2, v3
	v_add_f32_e32 v2, v5, v2
	v_add_u32_e32 v1, 2, v1
	v_add_f32_e32 v2, v4, v2
	v_cmp_le_i32_e32 vcc, s23, v1
	v_add_f32_e32 v11, v11, v2
	v_add_u32_e32 v17, 16, v17
	v_add_u32_e32 v18, 64, v18
	s_or_b64 s[2:3], vcc, s[2:3]
	v_lshl_add_u64 v[14:15], v[14:15], 0, 8
	s_andn2_b64 exec, exec, s[2:3]
	s_cbranch_execz .LBB282_42
.LBB282_40:                             ; =>This Inner Loop Header: Depth=1
	global_load_dword v2, v[14:15], off
	v_cmp_eq_u32_e32 vcc, s13, v1
	s_waitcnt vmcnt(0)
	v_mad_i64_i32 v[2:3], s[6:7], v2, s10, v[12:13]
	global_load_dwordx2 v[20:21], v[2:3], off
	ds_read2_b64 v[6:9], v18 offset1:1
	ds_read2_b64 v[2:5], v18 offset0:2 offset1:3
	s_waitcnt vmcnt(0)
	v_and_b32_e32 v10, 0xff, v20
	v_bfe_u32 v19, v20, 8, 8
	v_bfe_u32 v22, v20, 16, 8
	v_lshrrev_b32_e32 v20, 24, v20
	v_and_b32_e32 v23, 0xff, v21
	v_bfe_u32 v24, v21, 8, 8
	v_bfe_u32 v25, v21, 16, 8
	v_lshrrev_b32_e32 v21, 24, v21
	v_cvt_f32_fp8_e32 v10, v10
	v_cvt_f32_fp8_e32 v19, v19
	;; [unrolled: 1-line block ×8, first 2 shown]
	s_waitcnt lgkmcnt(0)
	v_mul_f32_e32 v10, s11, v10
	v_mul_f32_e32 v19, s11, v19
	;; [unrolled: 1-line block ×8, first 2 shown]
	v_cvt_pk_bf16_f32 v25, v10, s0
	v_cvt_pk_bf16_f32 v24, v19, s0
	;; [unrolled: 1-line block ×8, first 2 shown]
	s_and_saveexec_b64 s[6:7], vcc
	s_cbranch_execz .LBB282_39
; %bb.41:                               ;   in Loop: Header=BB282_40 Depth=1
	v_add_u32_e32 v26, -7, v17
	v_cmp_gt_i32_e32 vcc, s21, v26
	v_add_u32_e32 v26, -6, v17
	s_nop 0
	v_cndmask_b32_e32 v25, 0, v25, vcc
	v_cmp_gt_i32_e32 vcc, s21, v26
	v_add_u32_e32 v26, -5, v17
	s_nop 0
	v_cndmask_b32_e32 v24, 0, v24, vcc
	v_cmp_gt_i32_e32 vcc, s21, v26
	v_add_u32_e32 v26, -4, v17
	s_nop 0
	v_cndmask_b32_e32 v23, 0, v23, vcc
	v_cmp_gt_i32_e32 vcc, s21, v26
	v_add_u32_e32 v26, -3, v17
	s_nop 0
	v_cndmask_b32_e32 v22, 0, v22, vcc
	v_cmp_gt_i32_e32 vcc, s21, v26
	v_add_u32_e32 v26, -2, v17
	s_nop 0
	v_cndmask_b32_e32 v21, 0, v21, vcc
	v_cmp_gt_i32_e32 vcc, s21, v26
	v_add_u32_e32 v26, -1, v17
	s_nop 0
	v_cndmask_b32_e32 v20, 0, v20, vcc
	v_cmp_gt_i32_e32 vcc, s21, v26
	s_nop 1
	v_cndmask_b32_e32 v19, 0, v19, vcc
	v_cmp_gt_i32_e32 vcc, s21, v17
	s_nop 1
	v_cndmask_b32_e32 v10, 0, v10, vcc
	s_branch .LBB282_39
.LBB282_42:
	s_or_b64 exec, exec, s[2:3]
.LBB282_43:
	s_or_b64 exec, exec, s[0:1]
	v_and_b32_e32 v0, 0x3c0, v0
	v_cmp_eq_u32_e32 vcc, 64, v0
	v_mov_b32_e32 v0, 0x90
	v_lshl_add_u32 v0, v16, 2, v0
	s_barrier
	s_and_saveexec_b64 s[0:1], vcc
; %bb.44:
	ds_write_b32 v0, v11
; %bb.45:
	s_or_b64 exec, exec, s[0:1]
	s_waitcnt lgkmcnt(0)
	s_barrier
	s_and_saveexec_b64 s[0:1], s[8:9]
	s_cbranch_execz .LBB282_47
; %bb.46:
	ds_read_b32 v0, v0
	s_waitcnt lgkmcnt(0)
	v_add_f32_e32 v11, v11, v0
.LBB282_47:
	s_or_b64 exec, exec, s[0:1]
	s_barrier
	s_and_saveexec_b64 s[0:1], s[8:9]
	s_cbranch_execz .LBB282_49
; %bb.48:
	s_mul_i32 s0, s20, s12
	s_mul_i32 s0, s0, s5
	s_lshl_b32 s0, s0, 6
	s_ashr_i32 s1, s0, 31
	s_lshl_b64 s[0:1], s[0:1], 1
	s_add_u32 s2, s24, s0
	s_mul_i32 s0, s12, s22
	s_addc_u32 s3, s25, s1
	s_ashr_i32 s1, s0, 31
	s_lshl_b64 s[0:1], s[0:1], 1
	s_add_u32 s2, s2, s0
	s_addc_u32 s3, s3, s1
	s_lshl_b32 s0, s4, 6
	s_ashr_i32 s1, s0, 31
	s_lshl_b64 s[0:1], s[0:1], 1
	s_add_u32 s0, s2, s0
	s_addc_u32 s1, s3, s1
	v_lshlrev_b32_e32 v0, 1, v16
	v_cvt_pk_bf16_f32 v1, v11, s0
	global_store_short v0, v1, s[0:1]
.LBB282_49:
	s_endpgm
	.section	.rodata,"a",@progbits
	.p2align	6, 0x0
	.amdhsa_kernel _ZN4vllm25paged_attention_v1_kernelI14__hip_bfloat16hLi64ELi8ELi128ELNS_18Fp8KVCacheDataTypeE1ELb0EEEvPT_PKS3_PKT0_S9_ifPKiSB_iPKfiiiSD_SD_iiiii
		.amdhsa_group_segment_fixed_size 144
		.amdhsa_private_segment_fixed_size 0
		.amdhsa_kernarg_size 384
		.amdhsa_user_sgpr_count 2
		.amdhsa_user_sgpr_dispatch_ptr 0
		.amdhsa_user_sgpr_queue_ptr 0
		.amdhsa_user_sgpr_kernarg_segment_ptr 1
		.amdhsa_user_sgpr_dispatch_id 0
		.amdhsa_user_sgpr_kernarg_preload_length 0
		.amdhsa_user_sgpr_kernarg_preload_offset 0
		.amdhsa_user_sgpr_private_segment_size 0
		.amdhsa_uses_dynamic_stack 0
		.amdhsa_enable_private_segment 0
		.amdhsa_system_sgpr_workgroup_id_x 1
		.amdhsa_system_sgpr_workgroup_id_y 1
		.amdhsa_system_sgpr_workgroup_id_z 1
		.amdhsa_system_sgpr_workgroup_info 0
		.amdhsa_system_vgpr_workitem_id 0
		.amdhsa_next_free_vgpr 35
		.amdhsa_next_free_sgpr 39
		.amdhsa_accum_offset 36
		.amdhsa_reserve_vcc 1
		.amdhsa_float_round_mode_32 0
		.amdhsa_float_round_mode_16_64 0
		.amdhsa_float_denorm_mode_32 3
		.amdhsa_float_denorm_mode_16_64 3
		.amdhsa_dx10_clamp 1
		.amdhsa_ieee_mode 1
		.amdhsa_fp16_overflow 0
		.amdhsa_tg_split 0
		.amdhsa_exception_fp_ieee_invalid_op 0
		.amdhsa_exception_fp_denorm_src 0
		.amdhsa_exception_fp_ieee_div_zero 0
		.amdhsa_exception_fp_ieee_overflow 0
		.amdhsa_exception_fp_ieee_underflow 0
		.amdhsa_exception_fp_ieee_inexact 0
		.amdhsa_exception_int_div_zero 0
	.end_amdhsa_kernel
	.section	.text._ZN4vllm25paged_attention_v1_kernelI14__hip_bfloat16hLi64ELi8ELi128ELNS_18Fp8KVCacheDataTypeE1ELb0EEEvPT_PKS3_PKT0_S9_ifPKiSB_iPKfiiiSD_SD_iiiii,"axG",@progbits,_ZN4vllm25paged_attention_v1_kernelI14__hip_bfloat16hLi64ELi8ELi128ELNS_18Fp8KVCacheDataTypeE1ELb0EEEvPT_PKS3_PKT0_S9_ifPKiSB_iPKfiiiSD_SD_iiiii,comdat
.Lfunc_end282:
	.size	_ZN4vllm25paged_attention_v1_kernelI14__hip_bfloat16hLi64ELi8ELi128ELNS_18Fp8KVCacheDataTypeE1ELb0EEEvPT_PKS3_PKT0_S9_ifPKiSB_iPKfiiiSD_SD_iiiii, .Lfunc_end282-_ZN4vllm25paged_attention_v1_kernelI14__hip_bfloat16hLi64ELi8ELi128ELNS_18Fp8KVCacheDataTypeE1ELb0EEEvPT_PKS3_PKT0_S9_ifPKiSB_iPKfiiiSD_SD_iiiii
                                        ; -- End function
	.set _ZN4vllm25paged_attention_v1_kernelI14__hip_bfloat16hLi64ELi8ELi128ELNS_18Fp8KVCacheDataTypeE1ELb0EEEvPT_PKS3_PKT0_S9_ifPKiSB_iPKfiiiSD_SD_iiiii.num_vgpr, 35
	.set _ZN4vllm25paged_attention_v1_kernelI14__hip_bfloat16hLi64ELi8ELi128ELNS_18Fp8KVCacheDataTypeE1ELb0EEEvPT_PKS3_PKT0_S9_ifPKiSB_iPKfiiiSD_SD_iiiii.num_agpr, 0
	.set _ZN4vllm25paged_attention_v1_kernelI14__hip_bfloat16hLi64ELi8ELi128ELNS_18Fp8KVCacheDataTypeE1ELb0EEEvPT_PKS3_PKT0_S9_ifPKiSB_iPKfiiiSD_SD_iiiii.numbered_sgpr, 39
	.set _ZN4vllm25paged_attention_v1_kernelI14__hip_bfloat16hLi64ELi8ELi128ELNS_18Fp8KVCacheDataTypeE1ELb0EEEvPT_PKS3_PKT0_S9_ifPKiSB_iPKfiiiSD_SD_iiiii.num_named_barrier, 0
	.set _ZN4vllm25paged_attention_v1_kernelI14__hip_bfloat16hLi64ELi8ELi128ELNS_18Fp8KVCacheDataTypeE1ELb0EEEvPT_PKS3_PKT0_S9_ifPKiSB_iPKfiiiSD_SD_iiiii.private_seg_size, 0
	.set _ZN4vllm25paged_attention_v1_kernelI14__hip_bfloat16hLi64ELi8ELi128ELNS_18Fp8KVCacheDataTypeE1ELb0EEEvPT_PKS3_PKT0_S9_ifPKiSB_iPKfiiiSD_SD_iiiii.uses_vcc, 1
	.set _ZN4vllm25paged_attention_v1_kernelI14__hip_bfloat16hLi64ELi8ELi128ELNS_18Fp8KVCacheDataTypeE1ELb0EEEvPT_PKS3_PKT0_S9_ifPKiSB_iPKfiiiSD_SD_iiiii.uses_flat_scratch, 0
	.set _ZN4vllm25paged_attention_v1_kernelI14__hip_bfloat16hLi64ELi8ELi128ELNS_18Fp8KVCacheDataTypeE1ELb0EEEvPT_PKS3_PKT0_S9_ifPKiSB_iPKfiiiSD_SD_iiiii.has_dyn_sized_stack, 0
	.set _ZN4vllm25paged_attention_v1_kernelI14__hip_bfloat16hLi64ELi8ELi128ELNS_18Fp8KVCacheDataTypeE1ELb0EEEvPT_PKS3_PKT0_S9_ifPKiSB_iPKfiiiSD_SD_iiiii.has_recursion, 0
	.set _ZN4vllm25paged_attention_v1_kernelI14__hip_bfloat16hLi64ELi8ELi128ELNS_18Fp8KVCacheDataTypeE1ELb0EEEvPT_PKS3_PKT0_S9_ifPKiSB_iPKfiiiSD_SD_iiiii.has_indirect_call, 0
	.section	.AMDGPU.csdata,"",@progbits
; Kernel info:
; codeLenInByte = 3716
; TotalNumSgprs: 45
; NumVgprs: 35
; NumAgprs: 0
; TotalNumVgprs: 35
; ScratchSize: 0
; MemoryBound: 0
; FloatMode: 240
; IeeeMode: 1
; LDSByteSize: 144 bytes/workgroup (compile time only)
; SGPRBlocks: 5
; VGPRBlocks: 4
; NumSGPRsForWavesPerEU: 45
; NumVGPRsForWavesPerEU: 35
; AccumOffset: 36
; Occupancy: 8
; WaveLimiterHint : 1
; COMPUTE_PGM_RSRC2:SCRATCH_EN: 0
; COMPUTE_PGM_RSRC2:USER_SGPR: 2
; COMPUTE_PGM_RSRC2:TRAP_HANDLER: 0
; COMPUTE_PGM_RSRC2:TGID_X_EN: 1
; COMPUTE_PGM_RSRC2:TGID_Y_EN: 1
; COMPUTE_PGM_RSRC2:TGID_Z_EN: 1
; COMPUTE_PGM_RSRC2:TIDIG_COMP_CNT: 0
; COMPUTE_PGM_RSRC3_GFX90A:ACCUM_OFFSET: 8
; COMPUTE_PGM_RSRC3_GFX90A:TG_SPLIT: 0
	.section	.text._ZN4vllm25paged_attention_v1_kernelI14__hip_bfloat16hLi80ELi8ELi128ELNS_18Fp8KVCacheDataTypeE1ELb0EEEvPT_PKS3_PKT0_S9_ifPKiSB_iPKfiiiSD_SD_iiiii,"axG",@progbits,_ZN4vllm25paged_attention_v1_kernelI14__hip_bfloat16hLi80ELi8ELi128ELNS_18Fp8KVCacheDataTypeE1ELb0EEEvPT_PKS3_PKT0_S9_ifPKiSB_iPKfiiiSD_SD_iiiii,comdat
	.protected	_ZN4vllm25paged_attention_v1_kernelI14__hip_bfloat16hLi80ELi8ELi128ELNS_18Fp8KVCacheDataTypeE1ELb0EEEvPT_PKS3_PKT0_S9_ifPKiSB_iPKfiiiSD_SD_iiiii ; -- Begin function _ZN4vllm25paged_attention_v1_kernelI14__hip_bfloat16hLi80ELi8ELi128ELNS_18Fp8KVCacheDataTypeE1ELb0EEEvPT_PKS3_PKT0_S9_ifPKiSB_iPKfiiiSD_SD_iiiii
	.globl	_ZN4vllm25paged_attention_v1_kernelI14__hip_bfloat16hLi80ELi8ELi128ELNS_18Fp8KVCacheDataTypeE1ELb0EEEvPT_PKS3_PKT0_S9_ifPKiSB_iPKfiiiSD_SD_iiiii
	.p2align	8
	.type	_ZN4vllm25paged_attention_v1_kernelI14__hip_bfloat16hLi80ELi8ELi128ELNS_18Fp8KVCacheDataTypeE1ELb0EEEvPT_PKS3_PKT0_S9_ifPKiSB_iPKfiiiSD_SD_iiiii,@function
_ZN4vllm25paged_attention_v1_kernelI14__hip_bfloat16hLi80ELi8ELi128ELNS_18Fp8KVCacheDataTypeE1ELb0EEEvPT_PKS3_PKT0_S9_ifPKiSB_iPKfiiiSD_SD_iiiii: ; @_ZN4vllm25paged_attention_v1_kernelI14__hip_bfloat16hLi80ELi8ELi128ELNS_18Fp8KVCacheDataTypeE1ELb0EEEvPT_PKS3_PKT0_S9_ifPKiSB_iPKfiiiSD_SD_iiiii
; %bb.0:
	s_load_dword s5, s[0:1], 0x80
	s_load_dwordx2 s[6:7], s[0:1], 0x30
	s_load_dwordx2 s[10:11], s[0:1], 0x20
	s_mov_b32 s20, s3
	s_ashr_i32 s21, s3, 31
	s_lshl_b64 s[8:9], s[20:21], 2
	s_waitcnt lgkmcnt(0)
	s_add_u32 s6, s6, s8
	s_addc_u32 s7, s7, s9
	s_abs_i32 s3, s10
	v_cvt_f32_u32_e32 v1, s3
	s_xor_b32 s8, s5, s10
	s_sub_i32 s10, 0, s3
	s_abs_i32 s9, s5
	v_rcp_iflag_f32_e32 v1, v1
	s_ashr_i32 s8, s8, 31
	v_mul_f32_e32 v1, 0x4f7ffffe, v1
	v_cvt_u32_f32_e32 v1, v1
	s_nop 0
	v_readfirstlane_b32 s12, v1
	s_mul_i32 s10, s10, s12
	s_mul_hi_u32 s10, s12, s10
	s_add_i32 s12, s12, s10
	s_mul_hi_u32 s10, s9, s12
	s_mul_i32 s12, s10, s3
	s_sub_i32 s9, s9, s12
	s_add_i32 s12, s10, 1
	s_sub_i32 s13, s9, s3
	s_cmp_ge_u32 s9, s3
	s_cselect_b32 s10, s12, s10
	s_cselect_b32 s9, s13, s9
	s_add_i32 s12, s10, 1
	s_cmp_ge_u32 s9, s3
	s_cselect_b32 s3, s12, s10
	s_xor_b32 s3, s3, s8
	s_sub_i32 s12, s3, s8
	s_abs_i32 s16, s12
	v_cvt_f32_u32_e32 v1, s16
	s_load_dwordx2 s[8:9], s[0:1], 0x40
	s_sub_i32 s3, 0, s16
	s_abs_i32 s17, s2
	v_rcp_iflag_f32_e32 v1, v1
	s_mov_b32 s10, 0
	v_mul_f32_e32 v1, 0x4f7ffffe, v1
	v_cvt_u32_f32_e32 v1, v1
	s_nop 0
	v_readfirstlane_b32 s13, v1
	s_mul_i32 s3, s3, s13
	s_mul_hi_u32 s3, s13, s3
	s_add_i32 s13, s13, s3
	s_waitcnt lgkmcnt(0)
	s_cmp_eq_u64 s[8:9], 0
	s_mul_hi_u32 s18, s17, s13
	s_cbranch_scc1 .LBB283_2
; %bb.1:
	s_ashr_i32 s3, s2, 31
	s_lshl_b64 s[14:15], s[2:3], 2
	s_add_u32 s8, s8, s14
	s_addc_u32 s9, s9, s15
	s_load_dword s10, s[8:9], 0x0
.LBB283_2:
	s_load_dword s21, s[6:7], 0x0
	s_ashr_i32 s7, s12, 31
	s_load_dwordx4 s[12:15], s[0:1], 0x48
	s_movk_i32 s3, 0x50
	s_ashr_i32 s6, s2, 31
	v_and_b32_e32 v2, 7, v0
	s_mul_i32 s22, s2, 0x50
	v_cmp_gt_u32_e64 s[8:9], s3, v0
	v_lshlrev_b32_e32 v10, 1, v0
	s_and_saveexec_b64 s[2:3], s[8:9]
	s_cbranch_execz .LBB283_4
; %bb.3:
	s_load_dwordx2 s[24:25], s[0:1], 0x8
	s_waitcnt lgkmcnt(0)
	s_mul_i32 s26, s12, s20
	s_ashr_i32 s27, s26, 31
	s_lshl_b64 s[26:27], s[26:27], 1
	v_lshrrev_b32_e32 v3, 2, v0
	s_add_u32 s12, s24, s26
	s_addc_u32 s15, s25, s27
	s_ashr_i32 s23, s22, 31
	s_lshl_b64 s[24:25], s[22:23], 1
	s_add_u32 s24, s12, s24
	s_addc_u32 s25, s15, s25
	global_load_ushort v1, v10, s[24:25]
	v_and_b32_e32 v3, 0xfe, v3
	v_mad_u32_u24 v3, v2, 20, v3
	s_waitcnt vmcnt(0)
	ds_write_b16 v3, v1
.LBB283_4:
	s_or_b64 exec, exec, s[2:3]
	s_waitcnt lgkmcnt(0)
	s_add_i32 s3, s21, 7
	s_ashr_i32 s12, s3, 31
	s_lshr_b32 s12, s12, 29
	s_add_i32 s3, s3, s12
	s_ashr_i32 s33, s3, 3
	s_xor_b32 s3, s6, s7
	s_mul_i32 s6, s18, s16
	s_sub_i32 s6, s17, s6
	s_add_i32 s7, s18, 1
	s_sub_i32 s12, s6, s16
	s_load_dwordx2 s[26:27], s[0:1], 0x28
	s_load_dword s2, s[0:1], 0x38
	s_cmp_ge_u32 s6, s16
	s_cselect_b32 s7, s7, s18
	s_cselect_b32 s6, s12, s6
	s_add_i32 s12, s7, 1
	s_cmp_ge_u32 s6, s16
	s_cselect_b32 s6, s12, s7
	v_lshrrev_b32_e32 v1, 6, v0
	s_xor_b32 s6, s6, s3
	s_waitcnt lgkmcnt(0)
	s_mul_i32 s28, s2, s20
	s_sub_i32 s12, s6, s3
	s_ashr_i32 s29, s28, 31
	v_cmp_gt_i32_e64 s[2:3], s33, v1
	v_cmp_le_i32_e32 vcc, s33, v1
	v_mbcnt_lo_u32_b32 v3, -1, 0
	s_barrier
                                        ; implicit-def: $vgpr7
                                        ; implicit-def: $vgpr9
                                        ; implicit-def: $vgpr8
	s_and_saveexec_b64 s[6:7], vcc
	s_xor_b64 s[6:7], exec, s[6:7]
; %bb.5:
	v_mbcnt_hi_u32_b32 v7, -1, v3
	v_and_b32_e32 v9, 64, v7
	v_add_u32_e32 v8, 64, v9
                                        ; implicit-def: $vgpr2
                                        ; implicit-def: $vgpr3
; %bb.6:
	s_or_saveexec_b64 s[34:35], s[6:7]
	s_load_dwordx2 s[24:25], s[0:1], 0x0
	s_load_dwordx2 s[30:31], s[0:1], 0x18
	s_load_dword s23, s[0:1], 0x88
	s_load_dwordx4 s[16:19], s[0:1], 0x58
	v_mov_b32_e32 v21, 0xff7fffff
	s_mul_i32 s12, s12, s14
	v_lshrrev_b32_e32 v6, 4, v0
	s_xor_b64 exec, exec, s[34:35]
	s_cbranch_execz .LBB283_12
; %bb.7:
	s_load_dwordx2 s[0:1], s[0:1], 0x10
	v_mul_u32_u24_e32 v7, 20, v2
	ds_read2_b32 v[8:9], v7 offset1:1
	s_ashr_i32 s6, s12, 31
	v_bfe_u32 v21, v0, 3, 3
	s_waitcnt lgkmcnt(0)
	s_add_u32 s0, s0, s12
	v_lshlrev_b32_e32 v4, 4, v21
	s_addc_u32 s1, s1, s6
	v_mov_b32_e32 v5, 0
	v_lshl_add_u64 v[26:27], s[0:1], 0, v[4:5]
	ds_read2_b32 v[18:19], v7 offset0:2 offset1:3
	ds_read_b32 v4, v7 offset:16
	v_mbcnt_hi_u32_b32 v7, -1, v3
	v_lshlrev_b32_e32 v13, 16, v9
	v_and_b32_e32 v14, 0xffff0000, v9
	v_and_b32_e32 v9, 64, v7
	v_lshlrev_b32_e32 v11, 16, v8
	v_and_b32_e32 v12, 0xffff0000, v8
	v_add_u32_e32 v8, 64, v9
	v_xor_b32_e32 v3, 4, v7
	v_cmp_lt_i32_e32 vcc, v3, v8
	s_load_dword s37, s[16:17], 0x0
	s_waitcnt lgkmcnt(0)
	v_lshlrev_b32_e32 v15, 16, v18
	v_cndmask_b32_e32 v3, v7, v3, vcc
	v_lshlrev_b32_e32 v22, 2, v3
	v_xor_b32_e32 v3, 2, v7
	v_cmp_lt_i32_e32 vcc, v3, v8
	v_and_b32_e32 v16, 0xffff0000, v18
	v_lshlrev_b32_e32 v17, 16, v19
	v_cndmask_b32_e32 v3, v7, v3, vcc
	v_lshlrev_b32_e32 v23, 2, v3
	v_xor_b32_e32 v3, 1, v7
	v_cmp_lt_i32_e32 vcc, v3, v8
	v_and_b32_e32 v18, 0xffff0000, v19
	v_lshlrev_b32_e32 v19, 16, v4
	v_and_b32_e32 v20, 0xffff0000, v4
	v_cndmask_b32_e32 v3, v7, v3, vcc
	s_sub_i32 s38, 1, s21
	v_lshlrev_b32_e32 v4, 2, v21
	s_lshl_b64 s[6:7], s[28:29], 2
	v_lshlrev_b32_e32 v24, 2, v3
	v_mov_b32_e32 v3, v5
	v_lshl_or_b32 v4, v1, 5, v4
	s_add_u32 s6, s26, s6
	v_cmp_eq_u32_e32 vcc, 0, v2
	v_lshl_add_u64 v[2:3], v[26:27], 0, v[2:3]
	v_add_u32_e32 v26, 0xb0, v4
	v_and_b32_e32 v4, 60, v6
	s_addc_u32 s7, s27, s7
	s_mov_b32 s36, s13
	v_cmp_neq_f32_e64 s[0:1], s10, 0
	v_lshl_or_b32 v25, v1, 3, v21
	v_lshl_add_u64 v[4:5], s[6:7], 0, v[4:5]
	v_mov_b32_e32 v21, 0xff7fffff
	s_mov_b64 s[14:15], 0
	v_mov_b32_e32 v27, v1
	s_branch .LBB283_9
.LBB283_8:                              ;   in Loop: Header=BB283_9 Depth=1
	s_or_b64 exec, exec, s[16:17]
	v_add_u32_e32 v27, 2, v27
	v_cmp_le_i32_e64 s[6:7], s33, v27
	v_add_u32_e32 v25, 16, v25
	v_add_u32_e32 v26, 64, v26
	s_or_b64 s[14:15], s[6:7], s[14:15]
	v_lshl_add_u64 v[4:5], v[4:5], 0, 8
	s_andn2_b64 exec, exec, s[14:15]
	s_cbranch_execz .LBB283_11
.LBB283_9:                              ; =>This Inner Loop Header: Depth=1
	global_load_dword v28, v[4:5], off
	s_waitcnt vmcnt(0) lgkmcnt(0)
	v_mad_i64_i32 v[28:29], s[6:7], v28, s36, v[2:3]
	global_load_ubyte v30, v[28:29], off
	global_load_ubyte v31, v[28:29], off offset:8
	global_load_ubyte v32, v[28:29], off offset:128
	;; [unrolled: 1-line block ×9, first 2 shown]
	s_waitcnt vmcnt(9)
	v_cvt_f32_fp8_e32 v28, v30
	s_waitcnt vmcnt(8)
	v_cvt_f32_fp8_e32 v29, v31
	;; [unrolled: 2-line block ×5, first 2 shown]
	v_mul_f32_e32 v29, s37, v29
	s_waitcnt vmcnt(4)
	v_cvt_f32_fp8_e32 v33, v35
	v_mul_f32_e32 v28, s37, v28
	v_cvt_pk_bf16_f32 v29, v29, s0
	s_waitcnt vmcnt(3)
	v_cvt_f32_fp8_e32 v34, v36
	v_mul_f32_e32 v30, s37, v30
	v_cvt_pk_bf16_f32 v28, v28, s0
	v_lshlrev_b32_e32 v29, 16, v29
	s_waitcnt vmcnt(2)
	v_cvt_f32_fp8_e32 v35, v37
	v_mul_f32_e32 v31, s37, v31
	v_cvt_pk_bf16_f32 v30, v30, s0
	v_lshlrev_b32_e32 v28, 16, v28
	v_mul_f32_e32 v29, v12, v29
	s_waitcnt vmcnt(1)
	v_cvt_f32_fp8_e32 v36, v38
	v_mul_f32_e32 v32, s37, v32
	v_cvt_pk_bf16_f32 v31, v31, s0
	v_lshlrev_b32_e32 v30, 16, v30
	v_fmac_f32_e32 v29, v11, v28
	s_waitcnt vmcnt(0)
	v_cvt_f32_fp8_e32 v37, v39
	v_mul_f32_e32 v33, s37, v33
	v_cvt_pk_bf16_f32 v32, v32, s0
	v_lshlrev_b32_e32 v31, 16, v31
	v_fmac_f32_e32 v29, v13, v30
	v_mul_f32_e32 v34, s37, v34
	v_cvt_pk_bf16_f32 v33, v33, s0
	v_lshlrev_b32_e32 v32, 16, v32
	v_fmac_f32_e32 v29, v14, v31
	;; [unrolled: 4-line block ×5, first 2 shown]
	v_cvt_pk_bf16_f32 v37, v37, s0
	v_lshlrev_b32_e32 v36, 16, v36
	v_fmac_f32_e32 v29, v18, v35
	v_fmac_f32_e32 v29, v19, v36
	v_lshlrev_b32_e32 v28, 16, v37
	v_fmac_f32_e32 v29, v20, v28
	ds_bpermute_b32 v28, v22, v29
	s_waitcnt lgkmcnt(0)
	v_add_f32_e32 v28, v29, v28
	ds_bpermute_b32 v29, v23, v28
	s_waitcnt lgkmcnt(0)
	v_add_f32_e32 v28, v28, v29
	ds_bpermute_b32 v29, v24, v28
	s_and_saveexec_b64 s[16:17], vcc
	s_cbranch_execz .LBB283_8
; %bb.10:                               ;   in Loop: Header=BB283_9 Depth=1
	v_add_u32_e32 v30, s38, v25
	v_cvt_f32_i32_e32 v30, v30
	s_waitcnt lgkmcnt(0)
	v_add_f32_e32 v28, v28, v29
	v_cmp_gt_i32_e64 s[6:7], s21, v25
	v_max_f32_e32 v29, v21, v21
	v_mul_f32_e32 v30, s10, v30
	v_cndmask_b32_e64 v30, 0, v30, s[0:1]
	v_fmac_f32_e32 v30, s11, v28
	v_cndmask_b32_e64 v28, 0, v30, s[6:7]
	ds_write_b32 v26, v28
	v_max_f32_e32 v28, v29, v30
	v_cndmask_b32_e64 v21, v21, v28, s[6:7]
	s_branch .LBB283_8
.LBB283_11:
	s_or_b64 exec, exec, s[14:15]
.LBB283_12:
	s_or_b64 exec, exec, s[34:35]
	v_xor_b32_e32 v2, 32, v7
	v_cmp_lt_i32_e32 vcc, v2, v8
	v_xor_b32_e32 v5, 16, v7
	v_max_f32_e32 v4, v21, v21
	v_cndmask_b32_e32 v2, v7, v2, vcc
	v_lshlrev_b32_e32 v3, 2, v2
	ds_bpermute_b32 v2, v3, v21
	v_cmp_lt_i32_e32 vcc, v5, v8
	v_xor_b32_e32 v11, 8, v7
	s_waitcnt lgkmcnt(0)
	v_max_f32_e32 v2, v2, v2
	v_max_f32_e32 v2, v4, v2
	v_cndmask_b32_e32 v4, v7, v5, vcc
	v_lshlrev_b32_e32 v5, 2, v4
	ds_bpermute_b32 v4, v5, v2
	v_cmp_lt_i32_e32 vcc, v11, v8
	s_waitcnt lgkmcnt(0)
	v_max_f32_e32 v4, v4, v4
	v_max_f32_e32 v4, v2, v4
	v_cndmask_b32_e32 v2, v7, v11, vcc
	v_lshlrev_b32_e32 v13, 2, v2
	ds_bpermute_b32 v12, v13, v4
	v_and_b32_e32 v11, 63, v0
	v_cmp_eq_u32_e32 vcc, 0, v11
	v_lshlrev_b32_e32 v2, 2, v1
	s_and_saveexec_b64 s[0:1], vcc
	s_cbranch_execz .LBB283_14
; %bb.13:
	s_waitcnt lgkmcnt(0)
	v_max_f32_e32 v12, v12, v12
	v_max_f32_e32 v4, v4, v4
	;; [unrolled: 1-line block ×3, first 2 shown]
	ds_write_b32 v2, v4 offset:160
.LBB283_14:
	s_or_b64 exec, exec, s[0:1]
	v_cmp_gt_u32_e64 s[0:1], 2, v11
	v_mov_b32_e32 v14, 0xff7fffff
	v_lshlrev_b32_e32 v4, 2, v11
	s_waitcnt lgkmcnt(0)
	s_barrier
	s_and_saveexec_b64 s[6:7], s[0:1]
; %bb.15:
	ds_read_b32 v14, v4 offset:160
; %bb.16:
	s_or_b64 exec, exec, s[6:7]
	v_xor_b32_e32 v12, 1, v7
	v_cmp_lt_i32_e64 s[6:7], v12, v8
	v_lshlrev_b32_e32 v9, 2, v9
	s_nop 0
	v_cndmask_b32_e64 v12, v7, v12, s[6:7]
	v_lshlrev_b32_e32 v12, 2, v12
	s_waitcnt lgkmcnt(0)
	ds_bpermute_b32 v15, v12, v14
	v_max_f32_e32 v14, v14, v14
	s_lshl_b32 s6, s33, 3
	s_min_i32 s34, s6, s21
	v_cmp_gt_i32_e64 s[6:7], s34, v0
	s_waitcnt lgkmcnt(0)
	v_max_f32_e32 v15, v15, v15
	v_max_f32_e32 v14, v14, v15
	ds_bpermute_b32 v14, v9, v14
	v_mov_b32_e32 v9, 0
	s_and_saveexec_b64 s[14:15], s[6:7]
	s_cbranch_execz .LBB283_20
; %bb.17:
	v_mov_b32_e32 v9, 0xb0
	v_lshl_add_u32 v15, v0, 2, v9
	v_mov_b32_e32 v9, 0
	s_mov_b64 s[16:17], 0
	v_mov_b32_e32 v16, v0
.LBB283_18:                             ; =>This Inner Loop Header: Depth=1
	ds_read_b32 v17, v15
	v_add_u32_e32 v16, 0x80, v16
	v_cmp_le_i32_e64 s[10:11], s34, v16
	s_or_b64 s[16:17], s[10:11], s[16:17]
	s_waitcnt lgkmcnt(0)
	v_sub_f32_e32 v17, v17, v14
	v_mul_f32_e32 v17, 0x3fb8aa3b, v17
	v_exp_f32_e32 v17, v17
	ds_write_b32 v15, v17
	v_add_f32_e32 v9, v9, v17
	v_add_u32_e32 v15, 0x200, v15
	s_andn2_b64 exec, exec, s[16:17]
	s_cbranch_execnz .LBB283_18
; %bb.19:
	s_or_b64 exec, exec, s[16:17]
.LBB283_20:
	s_or_b64 exec, exec, s[14:15]
	ds_bpermute_b32 v3, v3, v9
	s_waitcnt lgkmcnt(0)
	v_add_f32_e32 v3, v9, v3
	ds_bpermute_b32 v5, v5, v3
	v_xor_b32_e32 v9, 4, v7
	v_cmp_lt_i32_e64 s[10:11], v9, v8
	s_waitcnt lgkmcnt(0)
	v_add_f32_e32 v3, v3, v5
	ds_bpermute_b32 v5, v13, v3
	v_cndmask_b32_e64 v9, v7, v9, s[10:11]
	v_lshlrev_b32_e32 v9, 2, v9
	s_waitcnt lgkmcnt(0)
	v_add_f32_e32 v3, v3, v5
	ds_bpermute_b32 v5, v9, v3
	v_xor_b32_e32 v9, 2, v7
	v_cmp_lt_i32_e64 s[10:11], v9, v8
	s_waitcnt lgkmcnt(0)
	v_add_f32_e32 v3, v3, v5
	v_cndmask_b32_e64 v8, v7, v9, s[10:11]
	v_lshlrev_b32_e32 v5, 2, v8
	ds_bpermute_b32 v5, v5, v3
	s_waitcnt lgkmcnt(0)
	v_add_f32_e32 v3, v3, v5
	ds_bpermute_b32 v5, v12, v3
	s_waitcnt lgkmcnt(0)
	v_add_f32_e32 v3, v3, v5
	s_and_saveexec_b64 s[10:11], vcc
; %bb.21:
	ds_write_b32 v2, v3 offset:168
; %bb.22:
	s_or_b64 exec, exec, s[10:11]
	s_waitcnt lgkmcnt(0)
	s_barrier
	s_and_saveexec_b64 s[10:11], s[0:1]
; %bb.23:
	ds_read_b32 v3, v4 offset:168
; %bb.24:
	s_or_b64 exec, exec, s[10:11]
	s_waitcnt lgkmcnt(0)
	ds_bpermute_b32 v2, v12, v3
	v_lshlrev_b32_e32 v4, 2, v7
	s_waitcnt lgkmcnt(0)
	v_add_f32_e32 v2, v3, v2
	v_and_b32_e32 v3, 0xffffff00, v4
	ds_bpermute_b32 v2, v3, v2
	s_and_saveexec_b64 s[0:1], s[6:7]
	s_cbranch_execz .LBB283_37
; %bb.25:
	s_waitcnt lgkmcnt(0)
	v_add_f32_e32 v2, 0x358637bd, v2
	v_div_scale_f32 v3, s[6:7], v2, v2, 1.0
	v_rcp_f32_e32 v4, v3
	v_div_scale_f32 v5, vcc, 1.0, v2, 1.0
	s_movk_i32 s6, 0x7f
	v_fma_f32 v7, -v3, v4, 1.0
	v_fmac_f32_e32 v4, v7, v4
	v_mul_f32_e32 v7, v5, v4
	v_fma_f32 v8, -v3, v7, v5
	v_fmac_f32_e32 v7, v8, v4
	v_fma_f32 v3, -v3, v7, v5
	v_div_fmas_f32 v3, v3, v4, v7
	v_xad_u32 v4, v0, -1, s34
	v_div_fixup_f32 v2, v3, v2, 1.0
	v_cmp_lt_u32_e32 vcc, s6, v4
	s_mov_b64 s[10:11], -1
	v_mov_b32_e32 v3, v0
	s_and_saveexec_b64 s[6:7], vcc
	s_cbranch_execz .LBB283_34
; %bb.26:
	v_lshrrev_b32_e32 v4, 7, v4
	v_add_u32_e32 v7, -1, v4
	v_lshrrev_b32_e32 v5, 1, v7
	v_mov_b32_e32 v3, v2
	v_add_u32_e32 v5, 1, v5
	v_cmp_lt_u32_e32 vcc, 13, v7
	v_mov_b32_e32 v9, 0
	s_and_saveexec_b64 s[10:11], vcc
	s_cbranch_execz .LBB283_30
; %bb.27:
	v_mov_b32_e32 v8, 0xb0
	v_and_b32_e32 v7, -8, v5
	v_lshl_add_u32 v8, v0, 2, v8
	s_mov_b32 s16, 0
	s_mov_b64 s[14:15], 0
.LBB283_28:                             ; =>This Inner Loop Header: Depth=1
	ds_read2st64_b32 v[12:13], v8 offset1:2
	ds_read2st64_b32 v[14:15], v8 offset0:4 offset1:6
	ds_read2st64_b32 v[16:17], v8 offset0:8 offset1:10
	;; [unrolled: 1-line block ×3, first 2 shown]
	v_add_u32_e32 v7, -8, v7
	s_waitcnt lgkmcnt(3)
	v_pk_mul_f32 v[12:13], v[2:3], v[12:13]
	s_waitcnt lgkmcnt(2)
	v_pk_mul_f32 v[14:15], v[2:3], v[14:15]
	ds_write2st64_b32 v8, v12, v13 offset1:2
	ds_write2st64_b32 v8, v14, v15 offset0:4 offset1:6
	ds_read2st64_b32 v[14:15], v8 offset0:16 offset1:18
	s_waitcnt lgkmcnt(4)
	v_pk_mul_f32 v[12:13], v[2:3], v[16:17]
	ds_write2st64_b32 v8, v12, v13 offset0:8 offset1:10
	s_waitcnt lgkmcnt(4)
	v_pk_mul_f32 v[12:13], v[2:3], v[18:19]
	ds_write2st64_b32 v8, v12, v13 offset0:12 offset1:14
	ds_read2st64_b32 v[12:13], v8 offset0:20 offset1:22
	s_waitcnt lgkmcnt(3)
	v_pk_mul_f32 v[14:15], v[2:3], v[14:15]
	ds_read2st64_b32 v[16:17], v8 offset0:24 offset1:26
	ds_write2st64_b32 v8, v14, v15 offset0:16 offset1:18
	ds_read2st64_b32 v[14:15], v8 offset0:28 offset1:30
	s_waitcnt lgkmcnt(3)
	v_pk_mul_f32 v[12:13], v[2:3], v[12:13]
	ds_write2st64_b32 v8, v12, v13 offset0:20 offset1:22
	s_waitcnt lgkmcnt(3)
	v_pk_mul_f32 v[12:13], v[2:3], v[16:17]
	ds_write2st64_b32 v8, v12, v13 offset0:24 offset1:26
	s_waitcnt lgkmcnt(2)
	v_pk_mul_f32 v[12:13], v[2:3], v[14:15]
	s_add_i32 s16, s16, 16
	v_cmp_eq_u32_e32 vcc, 0, v7
	ds_write2st64_b32 v8, v12, v13 offset0:28 offset1:30
	v_add_u32_e32 v8, 0x2000, v8
	s_or_b64 s[14:15], vcc, s[14:15]
	v_mov_b32_e32 v9, s16
	s_andn2_b64 exec, exec, s[14:15]
	s_cbranch_execnz .LBB283_28
; %bb.29:
	s_or_b64 exec, exec, s[14:15]
.LBB283_30:
	s_or_b64 exec, exec, s[10:11]
	v_and_b32_e32 v5, 7, v5
	v_cmp_ne_u32_e32 vcc, 0, v5
	s_and_saveexec_b64 s[10:11], vcc
	s_cbranch_execz .LBB283_33
; %bb.31:
	v_lshlrev_b32_e32 v7, 9, v9
	v_lshlrev_b32_e32 v8, 2, v0
	s_movk_i32 s14, 0xb0
	v_add3_u32 v7, v7, v8, s14
	s_mov_b64 s[14:15], 0
.LBB283_32:                             ; =>This Inner Loop Header: Depth=1
	ds_read2st64_b32 v[8:9], v7 offset1:2
	v_add_u32_e32 v5, -1, v5
	v_cmp_eq_u32_e32 vcc, 0, v5
	s_or_b64 s[14:15], vcc, s[14:15]
	s_waitcnt lgkmcnt(0)
	v_pk_mul_f32 v[8:9], v[2:3], v[8:9]
	ds_write2st64_b32 v7, v8, v9 offset1:2
	v_add_u32_e32 v7, 0x400, v7
	s_andn2_b64 exec, exec, s[14:15]
	s_cbranch_execnz .LBB283_32
.LBB283_33:
	s_or_b64 exec, exec, s[10:11]
	v_add_u32_e32 v4, 1, v4
	v_and_b32_e32 v5, 0x3fffffe, v4
	v_cmp_ne_u32_e32 vcc, v4, v5
	v_lshl_add_u32 v3, v5, 7, v0
	s_orn2_b64 s[10:11], vcc, exec
.LBB283_34:
	s_or_b64 exec, exec, s[6:7]
	s_and_b64 exec, exec, s[10:11]
	s_cbranch_execz .LBB283_37
; %bb.35:
	v_mov_b32_e32 v4, 0xb0
	v_lshl_add_u32 v4, v3, 2, v4
	s_mov_b64 s[6:7], 0
.LBB283_36:                             ; =>This Inner Loop Header: Depth=1
	ds_read_b32 v5, v4
	v_add_u32_e32 v3, 0x80, v3
	v_cmp_le_i32_e32 vcc, s34, v3
	s_or_b64 s[6:7], vcc, s[6:7]
	s_waitcnt lgkmcnt(0)
	v_mul_f32_e32 v5, v2, v5
	ds_write_b32 v4, v5
	v_add_u32_e32 v4, 0x200, v4
	s_andn2_b64 exec, exec, s[6:7]
	s_cbranch_execnz .LBB283_36
.LBB283_37:
	s_or_b64 exec, exec, s[0:1]
	v_mov_b32_e32 v13, 0
	v_mov_b32_e32 v22, v13
	s_waitcnt lgkmcnt(0)
	s_barrier
	s_and_saveexec_b64 s[6:7], s[2:3]
	s_cbranch_execz .LBB283_47
; %bb.38:
	s_ashr_i32 s1, s12, 31
	s_add_u32 s0, s30, s12
	s_load_dword s18, s[18:19], 0x0
	v_or_b32_e32 v2, 64, v11
	s_movk_i32 s2, 0x50
	s_addc_u32 s1, s31, s1
	s_add_i32 s17, s33, -1
	v_cmp_gt_u32_e32 vcc, s2, v2
	s_lshl_b64 s[2:3], s[28:29], 2
	v_mov_b32_e32 v15, 0
	v_lshlrev_b32_e32 v16, 3, v2
	v_mov_b32_e32 v2, 0xb0
	s_add_u32 s2, s26, s2
	v_lshl_add_u32 v27, v1, 5, v2
	v_and_b32_e32 v2, 60, v6
	v_mov_b32_e32 v3, v15
	s_addc_u32 s3, s27, s3
	s_mov_b32 s16, s13
	v_lshlrev_b32_e32 v14, 3, v11
	v_mov_b32_e32 v17, v15
	v_lshl_or_b32 v26, v1, 3, 7
	v_lshl_add_u64 v[18:19], s[2:3], 0, v[2:3]
	s_mov_b64 s[10:11], 0
	v_mov_b64_e32 v[20:21], s[0:1]
	v_mov_b32_e32 v12, v15
	v_mov_b32_e32 v13, v15
	s_branch .LBB283_41
.LBB283_39:                             ;   in Loop: Header=BB283_41 Depth=1
	s_or_b64 exec, exec, s[14:15]
	v_cvt_pk_bf16_f32 v6, v6, v7
	v_cvt_pk_bf16_f32 v2, v2, v3
	;; [unrolled: 1-line block ×3, first 2 shown]
	v_lshlrev_b32_e32 v4, 16, v6
	v_lshlrev_b32_e32 v5, 16, v33
	v_cvt_pk_bf16_f32 v7, v8, v9
	v_mul_f32_e32 v4, v4, v5
	v_and_b32_e32 v5, 0xffff0000, v6
	v_lshlrev_b32_e32 v6, 16, v32
	v_mul_f32_e32 v5, v5, v6
	v_lshlrev_b32_e32 v6, 16, v7
	v_lshlrev_b32_e32 v8, 16, v31
	v_mul_f32_e32 v6, v6, v8
	v_and_b32_e32 v7, 0xffff0000, v7
	v_lshlrev_b32_e32 v8, 16, v30
	v_mul_f32_e32 v7, v7, v8
	v_lshlrev_b32_e32 v8, 16, v2
	v_lshlrev_b32_e32 v9, 16, v29
	v_mul_f32_e32 v8, v8, v9
	v_and_b32_e32 v2, 0xffff0000, v2
	v_lshlrev_b32_e32 v9, 16, v25
	v_mul_f32_e32 v2, v2, v9
	v_cvt_pk_bf16_f32 v9, v2, s0
	v_lshlrev_b32_e32 v2, 16, v3
	v_lshlrev_b32_e32 v24, 16, v24
	v_mul_f32_e32 v2, v2, v24
	v_cvt_pk_bf16_f32 v24, v2, s0
	v_and_b32_e32 v2, 0xffff0000, v3
	v_lshlrev_b32_e32 v3, 16, v23
	v_cvt_pk_bf16_f32 v4, v4, s0
	v_cvt_pk_bf16_f32 v5, v5, s0
	;; [unrolled: 1-line block ×4, first 2 shown]
	v_mul_f32_e32 v2, v2, v3
	v_cvt_pk_bf16_f32 v8, v8, s0
	v_cvt_pk_bf16_f32 v23, v2, s0
	v_lshlrev_b32_e32 v3, 16, v5
	v_lshlrev_b32_e32 v5, 16, v4
	;; [unrolled: 1-line block ×4, first 2 shown]
	v_pk_add_f32 v[2:3], v[4:5], v[2:3]
	v_lshlrev_b32_e32 v5, 16, v9
	v_lshlrev_b32_e32 v7, 16, v8
	v_lshlrev_b32_e32 v4, 16, v23
	v_lshlrev_b32_e32 v6, 16, v24
	v_pk_add_f32 v[4:5], v[6:7], v[4:5]
	v_add_f32_e32 v2, v2, v3
	v_add_f32_e32 v2, v5, v2
	;; [unrolled: 1-line block ×3, first 2 shown]
	v_pk_add_f32 v[12:13], v[12:13], v[2:3] op_sel_hi:[1,0]
.LBB283_40:                             ;   in Loop: Header=BB283_41 Depth=1
	s_or_b64 exec, exec, s[12:13]
	v_add_u32_e32 v1, 2, v1
	v_cmp_le_i32_e64 s[0:1], s33, v1
	v_add_u32_e32 v26, 16, v26
	v_add_u32_e32 v27, 64, v27
	v_lshl_add_u64 v[18:19], v[18:19], 0, 8
	s_or_b64 s[10:11], s[0:1], s[10:11]
	v_mov_b32_e32 v12, v22
	s_andn2_b64 exec, exec, s[10:11]
	s_cbranch_execz .LBB283_46
.LBB283_41:                             ; =>This Inner Loop Header: Depth=1
	global_load_dword v2, v[18:19], off
	v_add_u32_e32 v28, -7, v26
	v_cmp_eq_u32_e64 s[2:3], s17, v1
	s_waitcnt vmcnt(0)
	v_mad_i64_i32 v[24:25], s[0:1], v2, s16, v[20:21]
	v_lshl_add_u64 v[2:3], v[24:25], 0, v[14:15]
	global_load_dwordx2 v[22:23], v[2:3], off
	ds_read2_b64 v[6:9], v27 offset1:1
	ds_read2_b64 v[2:5], v27 offset0:2 offset1:3
	s_waitcnt vmcnt(0)
	v_and_b32_e32 v29, 0xff, v22
	v_bfe_u32 v30, v22, 8, 8
	v_bfe_u32 v31, v22, 16, 8
	v_lshrrev_b32_e32 v22, 24, v22
	v_and_b32_e32 v32, 0xff, v23
	v_bfe_u32 v33, v23, 8, 8
	v_bfe_u32 v34, v23, 16, 8
	v_lshrrev_b32_e32 v23, 24, v23
	v_cvt_f32_fp8_e32 v29, v29
	v_cvt_f32_fp8_e32 v30, v30
	v_cvt_f32_fp8_e32 v31, v31
	v_cvt_f32_fp8_e32 v22, v22
	v_cvt_f32_fp8_e32 v32, v32
	v_cvt_f32_fp8_e32 v33, v33
	v_cvt_f32_fp8_e32 v34, v34
	v_cvt_f32_fp8_e32 v23, v23
	s_waitcnt lgkmcnt(0)
	v_mul_f32_e32 v29, s18, v29
	v_mul_f32_e32 v30, s18, v30
	;; [unrolled: 1-line block ×8, first 2 shown]
	v_cvt_pk_bf16_f32 v34, v29, s0
	v_cvt_pk_bf16_f32 v33, v30, s0
	;; [unrolled: 1-line block ×8, first 2 shown]
	s_and_saveexec_b64 s[12:13], s[2:3]
	s_cbranch_execz .LBB283_43
; %bb.42:                               ;   in Loop: Header=BB283_41 Depth=1
	v_cmp_gt_i32_e64 s[0:1], s21, v28
	v_add_u32_e32 v35, -6, v26
	s_nop 0
	v_cndmask_b32_e64 v34, 0, v34, s[0:1]
	v_cmp_gt_i32_e64 s[0:1], s21, v35
	v_add_u32_e32 v35, -5, v26
	s_nop 0
	v_cndmask_b32_e64 v33, 0, v33, s[0:1]
	;; [unrolled: 4-line block ×6, first 2 shown]
	v_cmp_gt_i32_e64 s[0:1], s21, v35
	s_nop 1
	v_cndmask_b32_e64 v23, 0, v23, s[0:1]
	v_cmp_gt_i32_e64 s[0:1], s21, v26
	s_nop 1
	v_cndmask_b32_e64 v22, 0, v22, s[0:1]
.LBB283_43:                             ;   in Loop: Header=BB283_41 Depth=1
	s_or_b64 exec, exec, s[12:13]
	v_cvt_pk_bf16_f32 v35, v6, s0
	v_cvt_pk_bf16_f32 v36, v7, s0
	v_lshlrev_b32_e32 v35, 16, v35
	v_lshlrev_b32_e32 v34, 16, v34
	v_cvt_pk_bf16_f32 v37, v8, s0
	v_mul_f32_e32 v34, v35, v34
	v_lshlrev_b32_e32 v35, 16, v36
	v_lshlrev_b32_e32 v33, 16, v33
	v_cvt_pk_bf16_f32 v38, v9, s0
	v_mul_f32_e32 v33, v35, v33
	v_lshlrev_b32_e32 v35, 16, v37
	v_lshlrev_b32_e32 v32, 16, v32
	v_mul_f32_e32 v32, v35, v32
	v_lshlrev_b32_e32 v35, 16, v38
	v_lshlrev_b32_e32 v31, 16, v31
	v_cvt_pk_bf16_f32 v39, v2, s0
	v_mul_f32_e32 v31, v35, v31
	v_cvt_pk_bf16_f32 v35, v31, s0
	v_lshlrev_b32_e32 v31, 16, v39
	v_lshlrev_b32_e32 v30, 16, v30
	v_cvt_pk_bf16_f32 v40, v3, s0
	v_mul_f32_e32 v30, v31, v30
	v_cvt_pk_bf16_f32 v41, v4, s0
	v_cvt_pk_bf16_f32 v36, v30, s0
	v_lshlrev_b32_e32 v30, 16, v40
	v_lshlrev_b32_e32 v29, 16, v29
	v_mul_f32_e32 v29, v30, v29
	v_lshlrev_b32_e32 v30, 16, v41
	v_lshlrev_b32_e32 v23, 16, v23
	v_cvt_pk_bf16_f32 v42, v5, s0
	v_mul_f32_e32 v23, v30, v23
	v_cvt_pk_bf16_f32 v37, v23, s0
	v_lshlrev_b32_e32 v23, 16, v42
	v_lshlrev_b32_e32 v22, 16, v22
	v_cvt_pk_bf16_f32 v34, v34, s0
	v_cvt_pk_bf16_f32 v33, v33, s0
	;; [unrolled: 1-line block ×3, first 2 shown]
	v_mul_f32_e32 v22, v23, v22
	v_cvt_pk_bf16_f32 v29, v29, s0
	v_cvt_pk_bf16_f32 v38, v22, s0
	v_lshlrev_b32_e32 v23, 16, v33
	v_lshlrev_b32_e32 v31, 16, v34
	;; [unrolled: 1-line block ×4, first 2 shown]
	v_pk_add_f32 v[22:23], v[30:31], v[22:23]
	v_lshlrev_b32_e32 v31, 16, v29
	v_lshlrev_b32_e32 v33, 16, v36
	;; [unrolled: 1-line block ×4, first 2 shown]
	v_pk_add_f32 v[22:23], v[22:23], v[22:23] op_sel:[0,1] op_sel_hi:[1,0]
	v_pk_add_f32 v[30:31], v[32:33], v[30:31]
	s_nop 0
	v_pk_add_f32 v[22:23], v[30:31], v[22:23] op_sel:[1,0] op_sel_hi:[0,1]
	v_pk_add_f32 v[22:23], v[30:31], v[22:23]
	s_nop 0
	v_pk_add_f32 v[22:23], v[12:13], v[22:23]
	s_and_saveexec_b64 s[12:13], vcc
	s_cbranch_execz .LBB283_40
; %bb.44:                               ;   in Loop: Header=BB283_41 Depth=1
	v_lshl_add_u64 v[24:25], v[24:25], 0, v[16:17]
	global_load_dwordx2 v[24:25], v[24:25], off
	s_waitcnt vmcnt(0)
	v_and_b32_e32 v23, 0xff, v24
	v_bfe_u32 v29, v24, 8, 8
	v_bfe_u32 v30, v24, 16, 8
	v_lshrrev_b32_e32 v24, 24, v24
	v_and_b32_e32 v31, 0xff, v25
	v_bfe_u32 v32, v25, 8, 8
	v_bfe_u32 v33, v25, 16, 8
	v_lshrrev_b32_e32 v25, 24, v25
	v_cvt_f32_fp8_e32 v23, v23
	v_cvt_f32_fp8_e32 v29, v29
	;; [unrolled: 1-line block ×8, first 2 shown]
	v_mul_f32_e32 v23, s18, v23
	v_mul_f32_e32 v29, s18, v29
	;; [unrolled: 1-line block ×8, first 2 shown]
	v_cvt_pk_bf16_f32 v33, v23, s0
	v_cvt_pk_bf16_f32 v32, v29, s0
	;; [unrolled: 1-line block ×8, first 2 shown]
	s_and_saveexec_b64 s[14:15], s[2:3]
	s_cbranch_execz .LBB283_39
; %bb.45:                               ;   in Loop: Header=BB283_41 Depth=1
	v_cmp_gt_i32_e64 s[0:1], s21, v28
	v_add_u32_e32 v28, -6, v26
	s_nop 0
	v_cndmask_b32_e64 v33, 0, v33, s[0:1]
	v_cmp_gt_i32_e64 s[0:1], s21, v28
	v_add_u32_e32 v28, -5, v26
	s_nop 0
	v_cndmask_b32_e64 v32, 0, v32, s[0:1]
	v_cmp_gt_i32_e64 s[0:1], s21, v28
	v_add_u32_e32 v28, -4, v26
	s_nop 0
	v_cndmask_b32_e64 v31, 0, v31, s[0:1]
	v_cmp_gt_i32_e64 s[0:1], s21, v28
	v_add_u32_e32 v28, -3, v26
	s_nop 0
	v_cndmask_b32_e64 v30, 0, v30, s[0:1]
	v_cmp_gt_i32_e64 s[0:1], s21, v28
	v_add_u32_e32 v28, -2, v26
	s_nop 0
	v_cndmask_b32_e64 v29, 0, v29, s[0:1]
	v_cmp_gt_i32_e64 s[0:1], s21, v28
	v_add_u32_e32 v28, -1, v26
	s_nop 0
	v_cndmask_b32_e64 v25, 0, v25, s[0:1]
	v_cmp_gt_i32_e64 s[0:1], s21, v28
	s_nop 1
	v_cndmask_b32_e64 v24, 0, v24, s[0:1]
	v_cmp_gt_i32_e64 s[0:1], s21, v26
	s_nop 1
	v_cndmask_b32_e64 v23, 0, v23, s[0:1]
	s_branch .LBB283_39
.LBB283_46:
	s_or_b64 exec, exec, s[10:11]
.LBB283_47:
	s_or_b64 exec, exec, s[6:7]
	v_and_b32_e32 v1, 0x3c0, v0
	v_cmp_eq_u32_e32 vcc, 64, v1
	s_barrier
	s_and_saveexec_b64 s[0:1], vcc
	s_cbranch_execz .LBB283_50
; %bb.48:
	v_mov_b32_e32 v1, 0xb0
	v_lshl_add_u32 v2, v11, 2, v1
	ds_write_b32 v2, v22
	s_and_b64 exec, exec, s[8:9]
; %bb.49:
	v_lshl_add_u32 v1, v0, 2, v1
	ds_write_b32 v1, v13
.LBB283_50:
	s_or_b64 exec, exec, s[0:1]
	v_cmp_gt_u32_e32 vcc, 64, v0
	v_or_b32_e32 v1, 64, v0
	s_waitcnt lgkmcnt(0)
	s_barrier
	s_and_saveexec_b64 s[2:3], vcc
	s_cbranch_execz .LBB283_54
; %bb.51:
	v_mov_b32_e32 v2, 0xb0
	v_lshl_add_u32 v2, v0, 2, v2
	ds_read_b32 v0, v2
	s_movk_i32 s0, 0x50
	v_cmp_gt_u32_e64 s[0:1], s0, v1
	s_and_saveexec_b64 s[6:7], s[0:1]
	s_cbranch_execz .LBB283_53
; %bb.52:
	ds_read_b32 v2, v2 offset:256
	s_waitcnt lgkmcnt(0)
	v_add_f32_e32 v13, v13, v2
.LBB283_53:
	s_or_b64 exec, exec, s[6:7]
	s_waitcnt lgkmcnt(0)
	v_add_f32_e32 v22, v22, v0
.LBB283_54:
	s_or_b64 exec, exec, s[2:3]
	s_barrier
	s_and_saveexec_b64 s[0:1], vcc
	s_cbranch_execz .LBB283_57
; %bb.55:
	s_mul_i32 s0, s20, s23
	s_mul_i32 s0, s0, s5
	s_mulk_i32 s0, 0x50
	s_ashr_i32 s1, s0, 31
	s_lshl_b64 s[0:1], s[0:1], 1
	s_add_u32 s3, s24, s0
	s_mul_i32 s0, s23, s22
	s_addc_u32 s5, s25, s1
	s_ashr_i32 s1, s0, 31
	s_lshl_b64 s[0:1], s[0:1], 1
	s_add_u32 s3, s3, s0
	s_mul_i32 s0, s4, 0x50
	s_addc_u32 s5, s5, s1
	s_ashr_i32 s1, s0, 31
	s_lshl_b64 s[0:1], s[0:1], 1
	s_movk_i32 s2, 0x50
	s_add_u32 s0, s3, s0
	s_addc_u32 s1, s5, s1
	v_cvt_pk_bf16_f32 v0, v22, s0
	v_cmp_gt_u32_e32 vcc, s2, v1
	global_store_short v10, v0, s[0:1]
	s_and_b64 exec, exec, vcc
	s_cbranch_execz .LBB283_57
; %bb.56:
	v_mov_b32_e32 v11, 0
	v_lshl_add_u64 v[0:1], s[0:1], 0, v[10:11]
	v_cvt_pk_bf16_f32 v2, v13, s0
	global_store_short v[0:1], v2, off offset:128
.LBB283_57:
	s_endpgm
	.section	.rodata,"a",@progbits
	.p2align	6, 0x0
	.amdhsa_kernel _ZN4vllm25paged_attention_v1_kernelI14__hip_bfloat16hLi80ELi8ELi128ELNS_18Fp8KVCacheDataTypeE1ELb0EEEvPT_PKS3_PKT0_S9_ifPKiSB_iPKfiiiSD_SD_iiiii
		.amdhsa_group_segment_fixed_size 176
		.amdhsa_private_segment_fixed_size 0
		.amdhsa_kernarg_size 384
		.amdhsa_user_sgpr_count 2
		.amdhsa_user_sgpr_dispatch_ptr 0
		.amdhsa_user_sgpr_queue_ptr 0
		.amdhsa_user_sgpr_kernarg_segment_ptr 1
		.amdhsa_user_sgpr_dispatch_id 0
		.amdhsa_user_sgpr_kernarg_preload_length 0
		.amdhsa_user_sgpr_kernarg_preload_offset 0
		.amdhsa_user_sgpr_private_segment_size 0
		.amdhsa_uses_dynamic_stack 0
		.amdhsa_enable_private_segment 0
		.amdhsa_system_sgpr_workgroup_id_x 1
		.amdhsa_system_sgpr_workgroup_id_y 1
		.amdhsa_system_sgpr_workgroup_id_z 1
		.amdhsa_system_sgpr_workgroup_info 0
		.amdhsa_system_vgpr_workitem_id 0
		.amdhsa_next_free_vgpr 43
		.amdhsa_next_free_sgpr 39
		.amdhsa_accum_offset 44
		.amdhsa_reserve_vcc 1
		.amdhsa_float_round_mode_32 0
		.amdhsa_float_round_mode_16_64 0
		.amdhsa_float_denorm_mode_32 3
		.amdhsa_float_denorm_mode_16_64 3
		.amdhsa_dx10_clamp 1
		.amdhsa_ieee_mode 1
		.amdhsa_fp16_overflow 0
		.amdhsa_tg_split 0
		.amdhsa_exception_fp_ieee_invalid_op 0
		.amdhsa_exception_fp_denorm_src 0
		.amdhsa_exception_fp_ieee_div_zero 0
		.amdhsa_exception_fp_ieee_overflow 0
		.amdhsa_exception_fp_ieee_underflow 0
		.amdhsa_exception_fp_ieee_inexact 0
		.amdhsa_exception_int_div_zero 0
	.end_amdhsa_kernel
	.section	.text._ZN4vllm25paged_attention_v1_kernelI14__hip_bfloat16hLi80ELi8ELi128ELNS_18Fp8KVCacheDataTypeE1ELb0EEEvPT_PKS3_PKT0_S9_ifPKiSB_iPKfiiiSD_SD_iiiii,"axG",@progbits,_ZN4vllm25paged_attention_v1_kernelI14__hip_bfloat16hLi80ELi8ELi128ELNS_18Fp8KVCacheDataTypeE1ELb0EEEvPT_PKS3_PKT0_S9_ifPKiSB_iPKfiiiSD_SD_iiiii,comdat
.Lfunc_end283:
	.size	_ZN4vllm25paged_attention_v1_kernelI14__hip_bfloat16hLi80ELi8ELi128ELNS_18Fp8KVCacheDataTypeE1ELb0EEEvPT_PKS3_PKT0_S9_ifPKiSB_iPKfiiiSD_SD_iiiii, .Lfunc_end283-_ZN4vllm25paged_attention_v1_kernelI14__hip_bfloat16hLi80ELi8ELi128ELNS_18Fp8KVCacheDataTypeE1ELb0EEEvPT_PKS3_PKT0_S9_ifPKiSB_iPKfiiiSD_SD_iiiii
                                        ; -- End function
	.set _ZN4vllm25paged_attention_v1_kernelI14__hip_bfloat16hLi80ELi8ELi128ELNS_18Fp8KVCacheDataTypeE1ELb0EEEvPT_PKS3_PKT0_S9_ifPKiSB_iPKfiiiSD_SD_iiiii.num_vgpr, 43
	.set _ZN4vllm25paged_attention_v1_kernelI14__hip_bfloat16hLi80ELi8ELi128ELNS_18Fp8KVCacheDataTypeE1ELb0EEEvPT_PKS3_PKT0_S9_ifPKiSB_iPKfiiiSD_SD_iiiii.num_agpr, 0
	.set _ZN4vllm25paged_attention_v1_kernelI14__hip_bfloat16hLi80ELi8ELi128ELNS_18Fp8KVCacheDataTypeE1ELb0EEEvPT_PKS3_PKT0_S9_ifPKiSB_iPKfiiiSD_SD_iiiii.numbered_sgpr, 39
	.set _ZN4vllm25paged_attention_v1_kernelI14__hip_bfloat16hLi80ELi8ELi128ELNS_18Fp8KVCacheDataTypeE1ELb0EEEvPT_PKS3_PKT0_S9_ifPKiSB_iPKfiiiSD_SD_iiiii.num_named_barrier, 0
	.set _ZN4vllm25paged_attention_v1_kernelI14__hip_bfloat16hLi80ELi8ELi128ELNS_18Fp8KVCacheDataTypeE1ELb0EEEvPT_PKS3_PKT0_S9_ifPKiSB_iPKfiiiSD_SD_iiiii.private_seg_size, 0
	.set _ZN4vllm25paged_attention_v1_kernelI14__hip_bfloat16hLi80ELi8ELi128ELNS_18Fp8KVCacheDataTypeE1ELb0EEEvPT_PKS3_PKT0_S9_ifPKiSB_iPKfiiiSD_SD_iiiii.uses_vcc, 1
	.set _ZN4vllm25paged_attention_v1_kernelI14__hip_bfloat16hLi80ELi8ELi128ELNS_18Fp8KVCacheDataTypeE1ELb0EEEvPT_PKS3_PKT0_S9_ifPKiSB_iPKfiiiSD_SD_iiiii.uses_flat_scratch, 0
	.set _ZN4vllm25paged_attention_v1_kernelI14__hip_bfloat16hLi80ELi8ELi128ELNS_18Fp8KVCacheDataTypeE1ELb0EEEvPT_PKS3_PKT0_S9_ifPKiSB_iPKfiiiSD_SD_iiiii.has_dyn_sized_stack, 0
	.set _ZN4vllm25paged_attention_v1_kernelI14__hip_bfloat16hLi80ELi8ELi128ELNS_18Fp8KVCacheDataTypeE1ELb0EEEvPT_PKS3_PKT0_S9_ifPKiSB_iPKfiiiSD_SD_iiiii.has_recursion, 0
	.set _ZN4vllm25paged_attention_v1_kernelI14__hip_bfloat16hLi80ELi8ELi128ELNS_18Fp8KVCacheDataTypeE1ELb0EEEvPT_PKS3_PKT0_S9_ifPKiSB_iPKfiiiSD_SD_iiiii.has_indirect_call, 0
	.section	.AMDGPU.csdata,"",@progbits
; Kernel info:
; codeLenInByte = 4784
; TotalNumSgprs: 45
; NumVgprs: 43
; NumAgprs: 0
; TotalNumVgprs: 43
; ScratchSize: 0
; MemoryBound: 0
; FloatMode: 240
; IeeeMode: 1
; LDSByteSize: 176 bytes/workgroup (compile time only)
; SGPRBlocks: 5
; VGPRBlocks: 5
; NumSGPRsForWavesPerEU: 45
; NumVGPRsForWavesPerEU: 43
; AccumOffset: 44
; Occupancy: 8
; WaveLimiterHint : 1
; COMPUTE_PGM_RSRC2:SCRATCH_EN: 0
; COMPUTE_PGM_RSRC2:USER_SGPR: 2
; COMPUTE_PGM_RSRC2:TRAP_HANDLER: 0
; COMPUTE_PGM_RSRC2:TGID_X_EN: 1
; COMPUTE_PGM_RSRC2:TGID_Y_EN: 1
; COMPUTE_PGM_RSRC2:TGID_Z_EN: 1
; COMPUTE_PGM_RSRC2:TIDIG_COMP_CNT: 0
; COMPUTE_PGM_RSRC3_GFX90A:ACCUM_OFFSET: 10
; COMPUTE_PGM_RSRC3_GFX90A:TG_SPLIT: 0
	.section	.text._ZN4vllm25paged_attention_v1_kernelI14__hip_bfloat16hLi96ELi8ELi128ELNS_18Fp8KVCacheDataTypeE1ELb0EEEvPT_PKS3_PKT0_S9_ifPKiSB_iPKfiiiSD_SD_iiiii,"axG",@progbits,_ZN4vllm25paged_attention_v1_kernelI14__hip_bfloat16hLi96ELi8ELi128ELNS_18Fp8KVCacheDataTypeE1ELb0EEEvPT_PKS3_PKT0_S9_ifPKiSB_iPKfiiiSD_SD_iiiii,comdat
	.protected	_ZN4vllm25paged_attention_v1_kernelI14__hip_bfloat16hLi96ELi8ELi128ELNS_18Fp8KVCacheDataTypeE1ELb0EEEvPT_PKS3_PKT0_S9_ifPKiSB_iPKfiiiSD_SD_iiiii ; -- Begin function _ZN4vllm25paged_attention_v1_kernelI14__hip_bfloat16hLi96ELi8ELi128ELNS_18Fp8KVCacheDataTypeE1ELb0EEEvPT_PKS3_PKT0_S9_ifPKiSB_iPKfiiiSD_SD_iiiii
	.globl	_ZN4vllm25paged_attention_v1_kernelI14__hip_bfloat16hLi96ELi8ELi128ELNS_18Fp8KVCacheDataTypeE1ELb0EEEvPT_PKS3_PKT0_S9_ifPKiSB_iPKfiiiSD_SD_iiiii
	.p2align	8
	.type	_ZN4vllm25paged_attention_v1_kernelI14__hip_bfloat16hLi96ELi8ELi128ELNS_18Fp8KVCacheDataTypeE1ELb0EEEvPT_PKS3_PKT0_S9_ifPKiSB_iPKfiiiSD_SD_iiiii,@function
_ZN4vllm25paged_attention_v1_kernelI14__hip_bfloat16hLi96ELi8ELi128ELNS_18Fp8KVCacheDataTypeE1ELb0EEEvPT_PKS3_PKT0_S9_ifPKiSB_iPKfiiiSD_SD_iiiii: ; @_ZN4vllm25paged_attention_v1_kernelI14__hip_bfloat16hLi96ELi8ELi128ELNS_18Fp8KVCacheDataTypeE1ELb0EEEvPT_PKS3_PKT0_S9_ifPKiSB_iPKfiiiSD_SD_iiiii
; %bb.0:
	s_load_dword s5, s[0:1], 0x80
	s_load_dwordx2 s[6:7], s[0:1], 0x30
	s_load_dwordx2 s[10:11], s[0:1], 0x20
	s_mov_b32 s20, s3
	s_ashr_i32 s21, s3, 31
	s_lshl_b64 s[8:9], s[20:21], 2
	s_waitcnt lgkmcnt(0)
	s_add_u32 s6, s6, s8
	s_addc_u32 s7, s7, s9
	s_abs_i32 s3, s10
	v_cvt_f32_u32_e32 v1, s3
	s_xor_b32 s8, s5, s10
	s_sub_i32 s10, 0, s3
	s_abs_i32 s9, s5
	v_rcp_iflag_f32_e32 v1, v1
	s_ashr_i32 s8, s8, 31
	v_mul_f32_e32 v1, 0x4f7ffffe, v1
	v_cvt_u32_f32_e32 v1, v1
	s_nop 0
	v_readfirstlane_b32 s12, v1
	s_mul_i32 s10, s10, s12
	s_mul_hi_u32 s10, s12, s10
	s_add_i32 s12, s12, s10
	s_mul_hi_u32 s10, s9, s12
	s_mul_i32 s12, s10, s3
	s_sub_i32 s9, s9, s12
	s_add_i32 s12, s10, 1
	s_sub_i32 s13, s9, s3
	s_cmp_ge_u32 s9, s3
	s_cselect_b32 s10, s12, s10
	s_cselect_b32 s9, s13, s9
	s_add_i32 s12, s10, 1
	s_cmp_ge_u32 s9, s3
	s_cselect_b32 s3, s12, s10
	s_xor_b32 s3, s3, s8
	s_sub_i32 s12, s3, s8
	s_abs_i32 s16, s12
	v_cvt_f32_u32_e32 v1, s16
	s_load_dwordx2 s[8:9], s[0:1], 0x40
	s_sub_i32 s3, 0, s16
	s_abs_i32 s17, s2
	v_rcp_iflag_f32_e32 v1, v1
	s_mov_b32 s10, 0
	v_mul_f32_e32 v1, 0x4f7ffffe, v1
	v_cvt_u32_f32_e32 v1, v1
	s_nop 0
	v_readfirstlane_b32 s13, v1
	s_mul_i32 s3, s3, s13
	s_mul_hi_u32 s3, s13, s3
	s_add_i32 s13, s13, s3
	s_waitcnt lgkmcnt(0)
	s_cmp_eq_u64 s[8:9], 0
	s_mul_hi_u32 s18, s17, s13
	s_cbranch_scc1 .LBB284_2
; %bb.1:
	s_ashr_i32 s3, s2, 31
	s_lshl_b64 s[14:15], s[2:3], 2
	s_add_u32 s8, s8, s14
	s_addc_u32 s9, s9, s15
	s_load_dword s10, s[8:9], 0x0
.LBB284_2:
	s_load_dword s21, s[6:7], 0x0
	s_ashr_i32 s9, s12, 31
	s_load_dwordx4 s[12:15], s[0:1], 0x48
	s_movk_i32 s3, 0x60
	s_ashr_i32 s8, s2, 31
	v_and_b32_e32 v2, 7, v0
	s_mul_i32 s22, s2, 0x60
	v_cmp_gt_u32_e64 s[6:7], s3, v0
	v_lshlrev_b32_e32 v10, 1, v0
	s_and_saveexec_b64 s[2:3], s[6:7]
	s_cbranch_execz .LBB284_4
; %bb.3:
	s_load_dwordx2 s[24:25], s[0:1], 0x8
	s_waitcnt lgkmcnt(0)
	s_mul_i32 s26, s12, s20
	s_ashr_i32 s27, s26, 31
	s_lshl_b64 s[26:27], s[26:27], 1
	v_lshrrev_b32_e32 v3, 2, v0
	s_add_u32 s12, s24, s26
	s_addc_u32 s15, s25, s27
	s_ashr_i32 s23, s22, 31
	s_lshl_b64 s[24:25], s[22:23], 1
	s_add_u32 s24, s12, s24
	s_addc_u32 s25, s15, s25
	global_load_ushort v1, v10, s[24:25]
	v_and_b32_e32 v3, 0xfe, v3
	v_mad_u32_u24 v3, v2, 24, v3
	s_waitcnt vmcnt(0)
	ds_write_b16 v3, v1
.LBB284_4:
	s_or_b64 exec, exec, s[2:3]
	s_waitcnt lgkmcnt(0)
	s_add_i32 s3, s21, 7
	s_ashr_i32 s12, s3, 31
	s_lshr_b32 s12, s12, 29
	s_add_i32 s3, s3, s12
	s_ashr_i32 s33, s3, 3
	s_xor_b32 s3, s8, s9
	s_mul_i32 s8, s18, s16
	s_sub_i32 s8, s17, s8
	s_add_i32 s9, s18, 1
	s_sub_i32 s12, s8, s16
	s_load_dwordx2 s[26:27], s[0:1], 0x28
	s_load_dword s2, s[0:1], 0x38
	s_cmp_ge_u32 s8, s16
	s_cselect_b32 s9, s9, s18
	s_cselect_b32 s8, s12, s8
	s_add_i32 s12, s9, 1
	s_cmp_ge_u32 s8, s16
	s_cselect_b32 s8, s12, s9
	v_lshrrev_b32_e32 v1, 6, v0
	s_xor_b32 s8, s8, s3
	s_waitcnt lgkmcnt(0)
	s_mul_i32 s28, s2, s20
	s_sub_i32 s12, s8, s3
	s_ashr_i32 s29, s28, 31
	v_cmp_gt_i32_e64 s[2:3], s33, v1
	v_cmp_le_i32_e32 vcc, s33, v1
	v_mbcnt_lo_u32_b32 v3, -1, 0
	s_barrier
                                        ; implicit-def: $vgpr7
                                        ; implicit-def: $vgpr9
                                        ; implicit-def: $vgpr8
	s_and_saveexec_b64 s[8:9], vcc
	s_xor_b64 s[8:9], exec, s[8:9]
; %bb.5:
	v_mbcnt_hi_u32_b32 v7, -1, v3
	v_and_b32_e32 v9, 64, v7
	v_add_u32_e32 v8, 64, v9
                                        ; implicit-def: $vgpr2
                                        ; implicit-def: $vgpr3
; %bb.6:
	s_or_saveexec_b64 s[34:35], s[8:9]
	s_load_dwordx2 s[24:25], s[0:1], 0x0
	s_load_dwordx2 s[30:31], s[0:1], 0x18
	s_load_dword s23, s[0:1], 0x88
	s_load_dwordx4 s[16:19], s[0:1], 0x58
	v_mov_b32_e32 v23, 0xff7fffff
	s_mul_i32 s12, s12, s14
	v_lshrrev_b32_e32 v6, 4, v0
	s_xor_b64 exec, exec, s[34:35]
	s_cbranch_execz .LBB284_12
; %bb.7:
	v_mul_u32_u24_e32 v7, 24, v2
	ds_read2_b64 v[16:19], v7 offset1:1
	ds_read_b64 v[8:9], v7 offset:16
	v_mbcnt_hi_u32_b32 v7, -1, v3
	v_xor_b32_e32 v3, 4, v7
	s_load_dwordx2 s[0:1], s[0:1], 0x10
	s_waitcnt lgkmcnt(0)
	v_lshlrev_b32_e32 v11, 16, v16
	v_lshlrev_b32_e32 v21, 16, v9
	v_and_b32_e32 v22, 0xffff0000, v9
	v_and_b32_e32 v9, 64, v7
	;; [unrolled: 1-line block ×3, first 2 shown]
	v_lshlrev_b32_e32 v13, 16, v17
	v_and_b32_e32 v14, 0xffff0000, v17
	v_lshlrev_b32_e32 v15, 16, v18
	v_and_b32_e32 v16, 0xffff0000, v18
	;; [unrolled: 2-line block ×4, first 2 shown]
	v_add_u32_e32 v8, 64, v9
	v_cmp_lt_i32_e32 vcc, v3, v8
	s_ashr_i32 s8, s12, 31
	v_bfe_u32 v23, v0, 3, 3
	v_cndmask_b32_e32 v3, v7, v3, vcc
	v_lshlrev_b32_e32 v24, 2, v3
	v_xor_b32_e32 v3, 2, v7
	v_cmp_lt_i32_e32 vcc, v3, v8
	s_add_u32 s0, s0, s12
	s_addc_u32 s1, s1, s8
	v_cndmask_b32_e32 v3, v7, v3, vcc
	v_lshlrev_b32_e32 v25, 2, v3
	v_xor_b32_e32 v3, 1, v7
	v_lshlrev_b32_e32 v4, 4, v23
	v_mov_b32_e32 v5, 0
	v_cmp_lt_i32_e32 vcc, v3, v8
	s_load_dword s37, s[16:17], 0x0
	v_lshl_add_u64 v[28:29], s[0:1], 0, v[4:5]
	v_cndmask_b32_e32 v3, v7, v3, vcc
	s_sub_i32 s38, 1, s21
	v_lshlrev_b32_e32 v4, 2, v23
	s_lshl_b64 s[8:9], s[28:29], 2
	v_lshlrev_b32_e32 v26, 2, v3
	v_mov_b32_e32 v3, v5
	v_lshl_or_b32 v4, v1, 5, v4
	s_add_u32 s8, s26, s8
	v_cmp_eq_u32_e32 vcc, 0, v2
	v_lshl_add_u64 v[2:3], v[28:29], 0, v[2:3]
	v_add_u32_e32 v28, 0xd0, v4
	v_and_b32_e32 v4, 60, v6
	s_addc_u32 s9, s27, s9
	s_mov_b32 s36, s13
	v_cmp_neq_f32_e64 s[0:1], s10, 0
	v_lshl_or_b32 v27, v1, 3, v23
	v_lshl_add_u64 v[4:5], s[8:9], 0, v[4:5]
	v_mov_b32_e32 v23, 0xff7fffff
	s_mov_b64 s[14:15], 0
	v_mov_b32_e32 v29, v1
	s_branch .LBB284_9
.LBB284_8:                              ;   in Loop: Header=BB284_9 Depth=1
	s_or_b64 exec, exec, s[16:17]
	v_add_u32_e32 v29, 2, v29
	v_cmp_le_i32_e64 s[8:9], s33, v29
	v_add_u32_e32 v27, 16, v27
	v_add_u32_e32 v28, 64, v28
	s_or_b64 s[14:15], s[8:9], s[14:15]
	v_lshl_add_u64 v[4:5], v[4:5], 0, 8
	s_andn2_b64 exec, exec, s[14:15]
	s_cbranch_execz .LBB284_11
.LBB284_9:                              ; =>This Inner Loop Header: Depth=1
	global_load_dword v30, v[4:5], off
	s_waitcnt vmcnt(0) lgkmcnt(0)
	v_mad_i64_i32 v[30:31], s[8:9], v30, s36, v[2:3]
	global_load_ubyte v32, v[30:31], off
	global_load_ubyte v33, v[30:31], off offset:8
	global_load_ubyte v34, v[30:31], off offset:128
	;; [unrolled: 1-line block ×11, first 2 shown]
	s_waitcnt vmcnt(11)
	v_cvt_f32_fp8_e32 v30, v32
	s_waitcnt vmcnt(10)
	v_cvt_f32_fp8_e32 v31, v33
	;; [unrolled: 2-line block ×5, first 2 shown]
	s_waitcnt lgkmcnt(0)
	v_mul_f32_e32 v31, s37, v31
	s_waitcnt vmcnt(6)
	v_cvt_f32_fp8_e32 v35, v37
	v_mul_f32_e32 v30, s37, v30
	v_cvt_pk_bf16_f32 v31, v31, s0
	s_waitcnt vmcnt(5)
	v_cvt_f32_fp8_e32 v36, v38
	v_mul_f32_e32 v32, s37, v32
	v_cvt_pk_bf16_f32 v30, v30, s0
	v_lshlrev_b32_e32 v31, 16, v31
	s_waitcnt vmcnt(4)
	v_cvt_f32_fp8_e32 v37, v39
	v_mul_f32_e32 v33, s37, v33
	v_cvt_pk_bf16_f32 v32, v32, s0
	v_lshlrev_b32_e32 v30, 16, v30
	v_mul_f32_e32 v31, v12, v31
	s_waitcnt vmcnt(3)
	v_cvt_f32_fp8_e32 v38, v40
	v_mul_f32_e32 v34, s37, v34
	v_cvt_pk_bf16_f32 v33, v33, s0
	v_lshlrev_b32_e32 v32, 16, v32
	v_fmac_f32_e32 v31, v11, v30
	s_waitcnt vmcnt(2)
	v_cvt_f32_fp8_e32 v39, v41
	v_mul_f32_e32 v35, s37, v35
	v_cvt_pk_bf16_f32 v34, v34, s0
	v_lshlrev_b32_e32 v33, 16, v33
	v_fmac_f32_e32 v31, v13, v32
	;; [unrolled: 6-line block ×4, first 2 shown]
	v_mul_f32_e32 v38, s37, v38
	v_cvt_pk_bf16_f32 v37, v37, s0
	v_lshlrev_b32_e32 v36, 16, v36
	v_fmac_f32_e32 v31, v16, v35
	v_mul_f32_e32 v39, s37, v39
	v_cvt_pk_bf16_f32 v38, v38, s0
	v_lshlrev_b32_e32 v37, 16, v37
	v_fmac_f32_e32 v31, v17, v36
	v_mul_f32_e32 v40, s37, v40
	v_cvt_pk_bf16_f32 v39, v39, s0
	v_lshlrev_b32_e32 v38, 16, v38
	v_fmac_f32_e32 v31, v18, v37
	v_mul_f32_e32 v41, s37, v41
	v_cvt_pk_bf16_f32 v40, v40, s0
	v_lshlrev_b32_e32 v39, 16, v39
	v_fmac_f32_e32 v31, v19, v38
	v_cvt_pk_bf16_f32 v41, v41, s0
	v_lshlrev_b32_e32 v40, 16, v40
	v_fmac_f32_e32 v31, v20, v39
	v_fmac_f32_e32 v31, v21, v40
	v_lshlrev_b32_e32 v30, 16, v41
	v_fmac_f32_e32 v31, v22, v30
	ds_bpermute_b32 v30, v24, v31
	s_waitcnt lgkmcnt(0)
	v_add_f32_e32 v30, v31, v30
	ds_bpermute_b32 v31, v25, v30
	s_waitcnt lgkmcnt(0)
	v_add_f32_e32 v30, v30, v31
	ds_bpermute_b32 v31, v26, v30
	s_and_saveexec_b64 s[16:17], vcc
	s_cbranch_execz .LBB284_8
; %bb.10:                               ;   in Loop: Header=BB284_9 Depth=1
	v_add_u32_e32 v32, s38, v27
	v_cvt_f32_i32_e32 v32, v32
	s_waitcnt lgkmcnt(0)
	v_add_f32_e32 v30, v30, v31
	v_cmp_gt_i32_e64 s[8:9], s21, v27
	v_max_f32_e32 v31, v23, v23
	v_mul_f32_e32 v32, s10, v32
	v_cndmask_b32_e64 v32, 0, v32, s[0:1]
	v_fmac_f32_e32 v32, s11, v30
	v_cndmask_b32_e64 v30, 0, v32, s[8:9]
	ds_write_b32 v28, v30
	v_max_f32_e32 v30, v31, v32
	v_cndmask_b32_e64 v23, v23, v30, s[8:9]
	s_branch .LBB284_8
.LBB284_11:
	s_or_b64 exec, exec, s[14:15]
.LBB284_12:
	s_or_b64 exec, exec, s[34:35]
	v_xor_b32_e32 v2, 32, v7
	v_cmp_lt_i32_e32 vcc, v2, v8
	v_xor_b32_e32 v5, 16, v7
	v_max_f32_e32 v4, v23, v23
	v_cndmask_b32_e32 v2, v7, v2, vcc
	v_lshlrev_b32_e32 v3, 2, v2
	ds_bpermute_b32 v2, v3, v23
	v_cmp_lt_i32_e32 vcc, v5, v8
	v_xor_b32_e32 v11, 8, v7
	s_waitcnt lgkmcnt(0)
	v_max_f32_e32 v2, v2, v2
	v_max_f32_e32 v2, v4, v2
	v_cndmask_b32_e32 v4, v7, v5, vcc
	v_lshlrev_b32_e32 v5, 2, v4
	ds_bpermute_b32 v4, v5, v2
	v_cmp_lt_i32_e32 vcc, v11, v8
	s_waitcnt lgkmcnt(0)
	v_max_f32_e32 v4, v4, v4
	v_max_f32_e32 v4, v2, v4
	v_cndmask_b32_e32 v2, v7, v11, vcc
	v_lshlrev_b32_e32 v13, 2, v2
	ds_bpermute_b32 v12, v13, v4
	v_and_b32_e32 v11, 63, v0
	v_cmp_eq_u32_e32 vcc, 0, v11
	v_lshlrev_b32_e32 v2, 2, v1
	s_and_saveexec_b64 s[0:1], vcc
	s_cbranch_execz .LBB284_14
; %bb.13:
	s_waitcnt lgkmcnt(0)
	v_max_f32_e32 v12, v12, v12
	v_max_f32_e32 v4, v4, v4
	;; [unrolled: 1-line block ×3, first 2 shown]
	ds_write_b32 v2, v4 offset:192
.LBB284_14:
	s_or_b64 exec, exec, s[0:1]
	v_cmp_gt_u32_e64 s[0:1], 2, v11
	v_mov_b32_e32 v14, 0xff7fffff
	v_lshlrev_b32_e32 v4, 2, v11
	s_waitcnt lgkmcnt(0)
	s_barrier
	s_and_saveexec_b64 s[8:9], s[0:1]
; %bb.15:
	ds_read_b32 v14, v4 offset:192
; %bb.16:
	s_or_b64 exec, exec, s[8:9]
	v_xor_b32_e32 v12, 1, v7
	v_cmp_lt_i32_e64 s[8:9], v12, v8
	v_lshlrev_b32_e32 v9, 2, v9
	s_nop 0
	v_cndmask_b32_e64 v12, v7, v12, s[8:9]
	v_lshlrev_b32_e32 v12, 2, v12
	s_waitcnt lgkmcnt(0)
	ds_bpermute_b32 v15, v12, v14
	v_max_f32_e32 v14, v14, v14
	s_lshl_b32 s8, s33, 3
	s_min_i32 s34, s8, s21
	v_cmp_gt_i32_e64 s[8:9], s34, v0
	s_waitcnt lgkmcnt(0)
	v_max_f32_e32 v15, v15, v15
	v_max_f32_e32 v14, v14, v15
	ds_bpermute_b32 v14, v9, v14
	v_mov_b32_e32 v9, 0
	s_and_saveexec_b64 s[14:15], s[8:9]
	s_cbranch_execz .LBB284_20
; %bb.17:
	v_mov_b32_e32 v9, 0xd0
	v_lshl_add_u32 v15, v0, 2, v9
	v_mov_b32_e32 v9, 0
	s_mov_b64 s[16:17], 0
	v_mov_b32_e32 v16, v0
.LBB284_18:                             ; =>This Inner Loop Header: Depth=1
	ds_read_b32 v17, v15
	v_add_u32_e32 v16, 0x80, v16
	v_cmp_le_i32_e64 s[10:11], s34, v16
	s_or_b64 s[16:17], s[10:11], s[16:17]
	s_waitcnt lgkmcnt(0)
	v_sub_f32_e32 v17, v17, v14
	v_mul_f32_e32 v17, 0x3fb8aa3b, v17
	v_exp_f32_e32 v17, v17
	ds_write_b32 v15, v17
	v_add_f32_e32 v9, v9, v17
	v_add_u32_e32 v15, 0x200, v15
	s_andn2_b64 exec, exec, s[16:17]
	s_cbranch_execnz .LBB284_18
; %bb.19:
	s_or_b64 exec, exec, s[16:17]
.LBB284_20:
	s_or_b64 exec, exec, s[14:15]
	ds_bpermute_b32 v3, v3, v9
	s_waitcnt lgkmcnt(0)
	v_add_f32_e32 v3, v9, v3
	ds_bpermute_b32 v5, v5, v3
	v_xor_b32_e32 v9, 4, v7
	v_cmp_lt_i32_e64 s[10:11], v9, v8
	s_waitcnt lgkmcnt(0)
	v_add_f32_e32 v3, v3, v5
	ds_bpermute_b32 v5, v13, v3
	v_cndmask_b32_e64 v9, v7, v9, s[10:11]
	v_lshlrev_b32_e32 v9, 2, v9
	s_waitcnt lgkmcnt(0)
	v_add_f32_e32 v3, v3, v5
	ds_bpermute_b32 v5, v9, v3
	v_xor_b32_e32 v9, 2, v7
	v_cmp_lt_i32_e64 s[10:11], v9, v8
	s_waitcnt lgkmcnt(0)
	v_add_f32_e32 v3, v3, v5
	v_cndmask_b32_e64 v8, v7, v9, s[10:11]
	v_lshlrev_b32_e32 v5, 2, v8
	ds_bpermute_b32 v5, v5, v3
	s_waitcnt lgkmcnt(0)
	v_add_f32_e32 v3, v3, v5
	ds_bpermute_b32 v5, v12, v3
	s_waitcnt lgkmcnt(0)
	v_add_f32_e32 v3, v3, v5
	s_and_saveexec_b64 s[10:11], vcc
; %bb.21:
	ds_write_b32 v2, v3 offset:200
; %bb.22:
	s_or_b64 exec, exec, s[10:11]
	s_waitcnt lgkmcnt(0)
	s_barrier
	s_and_saveexec_b64 s[10:11], s[0:1]
; %bb.23:
	ds_read_b32 v3, v4 offset:200
; %bb.24:
	s_or_b64 exec, exec, s[10:11]
	s_waitcnt lgkmcnt(0)
	ds_bpermute_b32 v2, v12, v3
	v_lshlrev_b32_e32 v4, 2, v7
	s_waitcnt lgkmcnt(0)
	v_add_f32_e32 v2, v3, v2
	v_and_b32_e32 v3, 0xffffff00, v4
	ds_bpermute_b32 v2, v3, v2
	s_and_saveexec_b64 s[0:1], s[8:9]
	s_cbranch_execz .LBB284_37
; %bb.25:
	s_waitcnt lgkmcnt(0)
	v_add_f32_e32 v2, 0x358637bd, v2
	v_div_scale_f32 v3, s[8:9], v2, v2, 1.0
	v_rcp_f32_e32 v4, v3
	v_div_scale_f32 v5, vcc, 1.0, v2, 1.0
	s_movk_i32 s8, 0x7f
	v_fma_f32 v7, -v3, v4, 1.0
	v_fmac_f32_e32 v4, v7, v4
	v_mul_f32_e32 v7, v5, v4
	v_fma_f32 v8, -v3, v7, v5
	v_fmac_f32_e32 v7, v8, v4
	v_fma_f32 v3, -v3, v7, v5
	v_div_fmas_f32 v3, v3, v4, v7
	v_xad_u32 v4, v0, -1, s34
	v_div_fixup_f32 v2, v3, v2, 1.0
	v_cmp_lt_u32_e32 vcc, s8, v4
	s_mov_b64 s[10:11], -1
	v_mov_b32_e32 v3, v0
	s_and_saveexec_b64 s[8:9], vcc
	s_cbranch_execz .LBB284_34
; %bb.26:
	v_lshrrev_b32_e32 v4, 7, v4
	v_add_u32_e32 v7, -1, v4
	v_lshrrev_b32_e32 v5, 1, v7
	v_mov_b32_e32 v3, v2
	v_add_u32_e32 v5, 1, v5
	v_cmp_lt_u32_e32 vcc, 13, v7
	v_mov_b32_e32 v9, 0
	s_and_saveexec_b64 s[10:11], vcc
	s_cbranch_execz .LBB284_30
; %bb.27:
	v_mov_b32_e32 v8, 0xd0
	v_and_b32_e32 v7, -8, v5
	v_lshl_add_u32 v8, v0, 2, v8
	s_mov_b32 s16, 0
	s_mov_b64 s[14:15], 0
.LBB284_28:                             ; =>This Inner Loop Header: Depth=1
	ds_read2st64_b32 v[12:13], v8 offset1:2
	ds_read2st64_b32 v[14:15], v8 offset0:4 offset1:6
	ds_read2st64_b32 v[16:17], v8 offset0:8 offset1:10
	ds_read2st64_b32 v[18:19], v8 offset0:12 offset1:14
	v_add_u32_e32 v7, -8, v7
	s_waitcnt lgkmcnt(3)
	v_pk_mul_f32 v[12:13], v[2:3], v[12:13]
	s_waitcnt lgkmcnt(2)
	v_pk_mul_f32 v[14:15], v[2:3], v[14:15]
	ds_write2st64_b32 v8, v12, v13 offset1:2
	ds_write2st64_b32 v8, v14, v15 offset0:4 offset1:6
	ds_read2st64_b32 v[14:15], v8 offset0:16 offset1:18
	s_waitcnt lgkmcnt(4)
	v_pk_mul_f32 v[12:13], v[2:3], v[16:17]
	ds_write2st64_b32 v8, v12, v13 offset0:8 offset1:10
	s_waitcnt lgkmcnt(4)
	v_pk_mul_f32 v[12:13], v[2:3], v[18:19]
	ds_write2st64_b32 v8, v12, v13 offset0:12 offset1:14
	ds_read2st64_b32 v[12:13], v8 offset0:20 offset1:22
	s_waitcnt lgkmcnt(3)
	v_pk_mul_f32 v[14:15], v[2:3], v[14:15]
	ds_read2st64_b32 v[16:17], v8 offset0:24 offset1:26
	ds_write2st64_b32 v8, v14, v15 offset0:16 offset1:18
	ds_read2st64_b32 v[14:15], v8 offset0:28 offset1:30
	s_waitcnt lgkmcnt(3)
	v_pk_mul_f32 v[12:13], v[2:3], v[12:13]
	ds_write2st64_b32 v8, v12, v13 offset0:20 offset1:22
	s_waitcnt lgkmcnt(3)
	v_pk_mul_f32 v[12:13], v[2:3], v[16:17]
	ds_write2st64_b32 v8, v12, v13 offset0:24 offset1:26
	s_waitcnt lgkmcnt(2)
	v_pk_mul_f32 v[12:13], v[2:3], v[14:15]
	s_add_i32 s16, s16, 16
	v_cmp_eq_u32_e32 vcc, 0, v7
	ds_write2st64_b32 v8, v12, v13 offset0:28 offset1:30
	v_add_u32_e32 v8, 0x2000, v8
	s_or_b64 s[14:15], vcc, s[14:15]
	v_mov_b32_e32 v9, s16
	s_andn2_b64 exec, exec, s[14:15]
	s_cbranch_execnz .LBB284_28
; %bb.29:
	s_or_b64 exec, exec, s[14:15]
.LBB284_30:
	s_or_b64 exec, exec, s[10:11]
	v_and_b32_e32 v5, 7, v5
	v_cmp_ne_u32_e32 vcc, 0, v5
	s_and_saveexec_b64 s[10:11], vcc
	s_cbranch_execz .LBB284_33
; %bb.31:
	v_lshlrev_b32_e32 v7, 9, v9
	v_lshlrev_b32_e32 v8, 2, v0
	s_movk_i32 s14, 0xd0
	v_add3_u32 v7, v7, v8, s14
	s_mov_b64 s[14:15], 0
.LBB284_32:                             ; =>This Inner Loop Header: Depth=1
	ds_read2st64_b32 v[8:9], v7 offset1:2
	v_add_u32_e32 v5, -1, v5
	v_cmp_eq_u32_e32 vcc, 0, v5
	s_or_b64 s[14:15], vcc, s[14:15]
	s_waitcnt lgkmcnt(0)
	v_pk_mul_f32 v[8:9], v[2:3], v[8:9]
	ds_write2st64_b32 v7, v8, v9 offset1:2
	v_add_u32_e32 v7, 0x400, v7
	s_andn2_b64 exec, exec, s[14:15]
	s_cbranch_execnz .LBB284_32
.LBB284_33:
	s_or_b64 exec, exec, s[10:11]
	v_add_u32_e32 v4, 1, v4
	v_and_b32_e32 v5, 0x3fffffe, v4
	v_cmp_ne_u32_e32 vcc, v4, v5
	v_lshl_add_u32 v3, v5, 7, v0
	s_orn2_b64 s[10:11], vcc, exec
.LBB284_34:
	s_or_b64 exec, exec, s[8:9]
	s_and_b64 exec, exec, s[10:11]
	s_cbranch_execz .LBB284_37
; %bb.35:
	v_mov_b32_e32 v4, 0xd0
	v_lshl_add_u32 v4, v3, 2, v4
	s_mov_b64 s[8:9], 0
.LBB284_36:                             ; =>This Inner Loop Header: Depth=1
	ds_read_b32 v5, v4
	v_add_u32_e32 v3, 0x80, v3
	v_cmp_le_i32_e32 vcc, s34, v3
	s_or_b64 s[8:9], vcc, s[8:9]
	s_waitcnt lgkmcnt(0)
	v_mul_f32_e32 v5, v2, v5
	ds_write_b32 v4, v5
	v_add_u32_e32 v4, 0x200, v4
	s_andn2_b64 exec, exec, s[8:9]
	s_cbranch_execnz .LBB284_36
.LBB284_37:
	s_or_b64 exec, exec, s[0:1]
	v_mov_b32_e32 v13, 0
	v_mov_b32_e32 v22, v13
	s_waitcnt lgkmcnt(0)
	s_barrier
	s_and_saveexec_b64 s[8:9], s[2:3]
	s_cbranch_execz .LBB284_47
; %bb.38:
	s_ashr_i32 s1, s12, 31
	s_add_u32 s0, s30, s12
	s_load_dword s18, s[18:19], 0x0
	v_or_b32_e32 v2, 64, v11
	s_movk_i32 s2, 0x60
	s_addc_u32 s1, s31, s1
	s_add_i32 s17, s33, -1
	v_cmp_gt_u32_e32 vcc, s2, v2
	s_lshl_b64 s[2:3], s[28:29], 2
	v_mov_b32_e32 v15, 0
	v_lshlrev_b32_e32 v16, 3, v2
	v_mov_b32_e32 v2, 0xd0
	s_add_u32 s2, s26, s2
	v_lshl_add_u32 v27, v1, 5, v2
	v_and_b32_e32 v2, 60, v6
	v_mov_b32_e32 v3, v15
	s_addc_u32 s3, s27, s3
	s_mov_b32 s16, s13
	v_lshlrev_b32_e32 v14, 3, v11
	v_mov_b32_e32 v17, v15
	v_lshl_or_b32 v26, v1, 3, 7
	v_lshl_add_u64 v[18:19], s[2:3], 0, v[2:3]
	s_mov_b64 s[10:11], 0
	v_mov_b64_e32 v[20:21], s[0:1]
	v_mov_b32_e32 v12, v15
	v_mov_b32_e32 v13, v15
	s_branch .LBB284_41
.LBB284_39:                             ;   in Loop: Header=BB284_41 Depth=1
	s_or_b64 exec, exec, s[14:15]
	v_cvt_pk_bf16_f32 v6, v6, v7
	v_cvt_pk_bf16_f32 v2, v2, v3
	;; [unrolled: 1-line block ×3, first 2 shown]
	v_lshlrev_b32_e32 v4, 16, v6
	v_lshlrev_b32_e32 v5, 16, v33
	v_cvt_pk_bf16_f32 v7, v8, v9
	v_mul_f32_e32 v4, v4, v5
	v_and_b32_e32 v5, 0xffff0000, v6
	v_lshlrev_b32_e32 v6, 16, v32
	v_mul_f32_e32 v5, v5, v6
	v_lshlrev_b32_e32 v6, 16, v7
	v_lshlrev_b32_e32 v8, 16, v31
	v_mul_f32_e32 v6, v6, v8
	v_and_b32_e32 v7, 0xffff0000, v7
	v_lshlrev_b32_e32 v8, 16, v30
	v_mul_f32_e32 v7, v7, v8
	v_lshlrev_b32_e32 v8, 16, v2
	v_lshlrev_b32_e32 v9, 16, v29
	v_mul_f32_e32 v8, v8, v9
	v_and_b32_e32 v2, 0xffff0000, v2
	v_lshlrev_b32_e32 v9, 16, v25
	v_mul_f32_e32 v2, v2, v9
	v_cvt_pk_bf16_f32 v9, v2, s0
	v_lshlrev_b32_e32 v2, 16, v3
	v_lshlrev_b32_e32 v24, 16, v24
	v_mul_f32_e32 v2, v2, v24
	v_cvt_pk_bf16_f32 v24, v2, s0
	v_and_b32_e32 v2, 0xffff0000, v3
	v_lshlrev_b32_e32 v3, 16, v23
	v_cvt_pk_bf16_f32 v4, v4, s0
	v_cvt_pk_bf16_f32 v5, v5, s0
	;; [unrolled: 1-line block ×4, first 2 shown]
	v_mul_f32_e32 v2, v2, v3
	v_cvt_pk_bf16_f32 v8, v8, s0
	v_cvt_pk_bf16_f32 v23, v2, s0
	v_lshlrev_b32_e32 v3, 16, v5
	v_lshlrev_b32_e32 v5, 16, v4
	;; [unrolled: 1-line block ×4, first 2 shown]
	v_pk_add_f32 v[2:3], v[4:5], v[2:3]
	v_lshlrev_b32_e32 v5, 16, v9
	v_lshlrev_b32_e32 v7, 16, v8
	;; [unrolled: 1-line block ×4, first 2 shown]
	v_pk_add_f32 v[4:5], v[6:7], v[4:5]
	v_add_f32_e32 v2, v2, v3
	v_add_f32_e32 v2, v5, v2
	;; [unrolled: 1-line block ×3, first 2 shown]
	v_pk_add_f32 v[12:13], v[12:13], v[2:3] op_sel_hi:[1,0]
.LBB284_40:                             ;   in Loop: Header=BB284_41 Depth=1
	s_or_b64 exec, exec, s[12:13]
	v_add_u32_e32 v1, 2, v1
	v_cmp_le_i32_e64 s[0:1], s33, v1
	v_add_u32_e32 v26, 16, v26
	v_add_u32_e32 v27, 64, v27
	v_lshl_add_u64 v[18:19], v[18:19], 0, 8
	s_or_b64 s[10:11], s[0:1], s[10:11]
	v_mov_b32_e32 v12, v22
	s_andn2_b64 exec, exec, s[10:11]
	s_cbranch_execz .LBB284_46
.LBB284_41:                             ; =>This Inner Loop Header: Depth=1
	global_load_dword v2, v[18:19], off
	v_add_u32_e32 v28, -7, v26
	v_cmp_eq_u32_e64 s[2:3], s17, v1
	s_waitcnt vmcnt(0)
	v_mad_i64_i32 v[24:25], s[0:1], v2, s16, v[20:21]
	v_lshl_add_u64 v[2:3], v[24:25], 0, v[14:15]
	global_load_dwordx2 v[22:23], v[2:3], off
	ds_read2_b64 v[6:9], v27 offset1:1
	ds_read2_b64 v[2:5], v27 offset0:2 offset1:3
	s_waitcnt vmcnt(0)
	v_and_b32_e32 v29, 0xff, v22
	v_bfe_u32 v30, v22, 8, 8
	v_bfe_u32 v31, v22, 16, 8
	v_lshrrev_b32_e32 v22, 24, v22
	v_and_b32_e32 v32, 0xff, v23
	v_bfe_u32 v33, v23, 8, 8
	v_bfe_u32 v34, v23, 16, 8
	v_lshrrev_b32_e32 v23, 24, v23
	v_cvt_f32_fp8_e32 v29, v29
	v_cvt_f32_fp8_e32 v30, v30
	;; [unrolled: 1-line block ×8, first 2 shown]
	s_waitcnt lgkmcnt(0)
	v_mul_f32_e32 v29, s18, v29
	v_mul_f32_e32 v30, s18, v30
	;; [unrolled: 1-line block ×8, first 2 shown]
	v_cvt_pk_bf16_f32 v34, v29, s0
	v_cvt_pk_bf16_f32 v33, v30, s0
	;; [unrolled: 1-line block ×8, first 2 shown]
	s_and_saveexec_b64 s[12:13], s[2:3]
	s_cbranch_execz .LBB284_43
; %bb.42:                               ;   in Loop: Header=BB284_41 Depth=1
	v_cmp_gt_i32_e64 s[0:1], s21, v28
	v_add_u32_e32 v35, -6, v26
	s_nop 0
	v_cndmask_b32_e64 v34, 0, v34, s[0:1]
	v_cmp_gt_i32_e64 s[0:1], s21, v35
	v_add_u32_e32 v35, -5, v26
	s_nop 0
	v_cndmask_b32_e64 v33, 0, v33, s[0:1]
	;; [unrolled: 4-line block ×6, first 2 shown]
	v_cmp_gt_i32_e64 s[0:1], s21, v35
	s_nop 1
	v_cndmask_b32_e64 v23, 0, v23, s[0:1]
	v_cmp_gt_i32_e64 s[0:1], s21, v26
	s_nop 1
	v_cndmask_b32_e64 v22, 0, v22, s[0:1]
.LBB284_43:                             ;   in Loop: Header=BB284_41 Depth=1
	s_or_b64 exec, exec, s[12:13]
	v_cvt_pk_bf16_f32 v35, v6, s0
	v_cvt_pk_bf16_f32 v36, v7, s0
	v_lshlrev_b32_e32 v35, 16, v35
	v_lshlrev_b32_e32 v34, 16, v34
	v_cvt_pk_bf16_f32 v37, v8, s0
	v_mul_f32_e32 v34, v35, v34
	v_lshlrev_b32_e32 v35, 16, v36
	v_lshlrev_b32_e32 v33, 16, v33
	v_cvt_pk_bf16_f32 v38, v9, s0
	v_mul_f32_e32 v33, v35, v33
	v_lshlrev_b32_e32 v35, 16, v37
	v_lshlrev_b32_e32 v32, 16, v32
	v_mul_f32_e32 v32, v35, v32
	v_lshlrev_b32_e32 v35, 16, v38
	v_lshlrev_b32_e32 v31, 16, v31
	v_cvt_pk_bf16_f32 v39, v2, s0
	v_mul_f32_e32 v31, v35, v31
	v_cvt_pk_bf16_f32 v35, v31, s0
	v_lshlrev_b32_e32 v31, 16, v39
	v_lshlrev_b32_e32 v30, 16, v30
	v_cvt_pk_bf16_f32 v40, v3, s0
	v_mul_f32_e32 v30, v31, v30
	v_cvt_pk_bf16_f32 v41, v4, s0
	v_cvt_pk_bf16_f32 v36, v30, s0
	v_lshlrev_b32_e32 v30, 16, v40
	v_lshlrev_b32_e32 v29, 16, v29
	v_mul_f32_e32 v29, v30, v29
	v_lshlrev_b32_e32 v30, 16, v41
	v_lshlrev_b32_e32 v23, 16, v23
	v_cvt_pk_bf16_f32 v42, v5, s0
	v_mul_f32_e32 v23, v30, v23
	v_cvt_pk_bf16_f32 v37, v23, s0
	v_lshlrev_b32_e32 v23, 16, v42
	v_lshlrev_b32_e32 v22, 16, v22
	v_cvt_pk_bf16_f32 v34, v34, s0
	v_cvt_pk_bf16_f32 v33, v33, s0
	;; [unrolled: 1-line block ×3, first 2 shown]
	v_mul_f32_e32 v22, v23, v22
	v_cvt_pk_bf16_f32 v29, v29, s0
	v_cvt_pk_bf16_f32 v38, v22, s0
	v_lshlrev_b32_e32 v23, 16, v33
	v_lshlrev_b32_e32 v31, 16, v34
	;; [unrolled: 1-line block ×4, first 2 shown]
	v_pk_add_f32 v[22:23], v[30:31], v[22:23]
	v_lshlrev_b32_e32 v31, 16, v29
	v_lshlrev_b32_e32 v33, 16, v36
	;; [unrolled: 1-line block ×4, first 2 shown]
	v_pk_add_f32 v[22:23], v[22:23], v[22:23] op_sel:[0,1] op_sel_hi:[1,0]
	v_pk_add_f32 v[30:31], v[32:33], v[30:31]
	s_nop 0
	v_pk_add_f32 v[22:23], v[30:31], v[22:23] op_sel:[1,0] op_sel_hi:[0,1]
	v_pk_add_f32 v[22:23], v[30:31], v[22:23]
	s_nop 0
	v_pk_add_f32 v[22:23], v[12:13], v[22:23]
	s_and_saveexec_b64 s[12:13], vcc
	s_cbranch_execz .LBB284_40
; %bb.44:                               ;   in Loop: Header=BB284_41 Depth=1
	v_lshl_add_u64 v[24:25], v[24:25], 0, v[16:17]
	global_load_dwordx2 v[24:25], v[24:25], off
	s_waitcnt vmcnt(0)
	v_and_b32_e32 v23, 0xff, v24
	v_bfe_u32 v29, v24, 8, 8
	v_bfe_u32 v30, v24, 16, 8
	v_lshrrev_b32_e32 v24, 24, v24
	v_and_b32_e32 v31, 0xff, v25
	v_bfe_u32 v32, v25, 8, 8
	v_bfe_u32 v33, v25, 16, 8
	v_lshrrev_b32_e32 v25, 24, v25
	v_cvt_f32_fp8_e32 v23, v23
	v_cvt_f32_fp8_e32 v29, v29
	;; [unrolled: 1-line block ×8, first 2 shown]
	v_mul_f32_e32 v23, s18, v23
	v_mul_f32_e32 v29, s18, v29
	;; [unrolled: 1-line block ×8, first 2 shown]
	v_cvt_pk_bf16_f32 v33, v23, s0
	v_cvt_pk_bf16_f32 v32, v29, s0
	;; [unrolled: 1-line block ×8, first 2 shown]
	s_and_saveexec_b64 s[14:15], s[2:3]
	s_cbranch_execz .LBB284_39
; %bb.45:                               ;   in Loop: Header=BB284_41 Depth=1
	v_cmp_gt_i32_e64 s[0:1], s21, v28
	v_add_u32_e32 v28, -6, v26
	s_nop 0
	v_cndmask_b32_e64 v33, 0, v33, s[0:1]
	v_cmp_gt_i32_e64 s[0:1], s21, v28
	v_add_u32_e32 v28, -5, v26
	s_nop 0
	v_cndmask_b32_e64 v32, 0, v32, s[0:1]
	;; [unrolled: 4-line block ×6, first 2 shown]
	v_cmp_gt_i32_e64 s[0:1], s21, v28
	s_nop 1
	v_cndmask_b32_e64 v24, 0, v24, s[0:1]
	v_cmp_gt_i32_e64 s[0:1], s21, v26
	s_nop 1
	v_cndmask_b32_e64 v23, 0, v23, s[0:1]
	s_branch .LBB284_39
.LBB284_46:
	s_or_b64 exec, exec, s[10:11]
.LBB284_47:
	s_or_b64 exec, exec, s[8:9]
	v_and_b32_e32 v1, 0x3c0, v0
	v_cmp_eq_u32_e32 vcc, 64, v1
	s_barrier
	s_and_saveexec_b64 s[0:1], vcc
	s_cbranch_execz .LBB284_50
; %bb.48:
	v_mov_b32_e32 v1, 0xd0
	v_lshl_add_u32 v2, v11, 2, v1
	ds_write_b32 v2, v22
	s_and_b64 exec, exec, s[6:7]
; %bb.49:
	v_lshl_add_u32 v1, v0, 2, v1
	ds_write_b32 v1, v13
.LBB284_50:
	s_or_b64 exec, exec, s[0:1]
	v_cmp_gt_u32_e32 vcc, 64, v0
	v_or_b32_e32 v1, 64, v0
	s_waitcnt lgkmcnt(0)
	s_barrier
	s_and_saveexec_b64 s[2:3], vcc
	s_cbranch_execz .LBB284_54
; %bb.51:
	v_mov_b32_e32 v2, 0xd0
	v_lshl_add_u32 v2, v0, 2, v2
	ds_read_b32 v0, v2
	s_movk_i32 s0, 0x60
	v_cmp_gt_u32_e64 s[0:1], s0, v1
	s_and_saveexec_b64 s[6:7], s[0:1]
	s_cbranch_execz .LBB284_53
; %bb.52:
	ds_read_b32 v2, v2 offset:256
	s_waitcnt lgkmcnt(0)
	v_add_f32_e32 v13, v13, v2
.LBB284_53:
	s_or_b64 exec, exec, s[6:7]
	s_waitcnt lgkmcnt(0)
	v_add_f32_e32 v22, v22, v0
.LBB284_54:
	s_or_b64 exec, exec, s[2:3]
	s_barrier
	s_and_saveexec_b64 s[0:1], vcc
	s_cbranch_execz .LBB284_57
; %bb.55:
	s_mul_i32 s0, s20, s23
	s_mul_i32 s0, s0, s5
	s_mulk_i32 s0, 0x60
	s_ashr_i32 s1, s0, 31
	s_lshl_b64 s[0:1], s[0:1], 1
	s_add_u32 s3, s24, s0
	s_mul_i32 s0, s23, s22
	s_addc_u32 s5, s25, s1
	s_ashr_i32 s1, s0, 31
	s_lshl_b64 s[0:1], s[0:1], 1
	s_add_u32 s3, s3, s0
	s_mul_i32 s0, s4, 0x60
	s_addc_u32 s5, s5, s1
	s_ashr_i32 s1, s0, 31
	s_lshl_b64 s[0:1], s[0:1], 1
	s_movk_i32 s2, 0x60
	s_add_u32 s0, s3, s0
	s_addc_u32 s1, s5, s1
	v_cvt_pk_bf16_f32 v0, v22, s0
	v_cmp_gt_u32_e32 vcc, s2, v1
	global_store_short v10, v0, s[0:1]
	s_and_b64 exec, exec, vcc
	s_cbranch_execz .LBB284_57
; %bb.56:
	v_mov_b32_e32 v11, 0
	v_lshl_add_u64 v[0:1], s[0:1], 0, v[10:11]
	v_cvt_pk_bf16_f32 v2, v13, s0
	global_store_short v[0:1], v2, off offset:128
.LBB284_57:
	s_endpgm
	.section	.rodata,"a",@progbits
	.p2align	6, 0x0
	.amdhsa_kernel _ZN4vllm25paged_attention_v1_kernelI14__hip_bfloat16hLi96ELi8ELi128ELNS_18Fp8KVCacheDataTypeE1ELb0EEEvPT_PKS3_PKT0_S9_ifPKiSB_iPKfiiiSD_SD_iiiii
		.amdhsa_group_segment_fixed_size 208
		.amdhsa_private_segment_fixed_size 0
		.amdhsa_kernarg_size 384
		.amdhsa_user_sgpr_count 2
		.amdhsa_user_sgpr_dispatch_ptr 0
		.amdhsa_user_sgpr_queue_ptr 0
		.amdhsa_user_sgpr_kernarg_segment_ptr 1
		.amdhsa_user_sgpr_dispatch_id 0
		.amdhsa_user_sgpr_kernarg_preload_length 0
		.amdhsa_user_sgpr_kernarg_preload_offset 0
		.amdhsa_user_sgpr_private_segment_size 0
		.amdhsa_uses_dynamic_stack 0
		.amdhsa_enable_private_segment 0
		.amdhsa_system_sgpr_workgroup_id_x 1
		.amdhsa_system_sgpr_workgroup_id_y 1
		.amdhsa_system_sgpr_workgroup_id_z 1
		.amdhsa_system_sgpr_workgroup_info 0
		.amdhsa_system_vgpr_workitem_id 0
		.amdhsa_next_free_vgpr 44
		.amdhsa_next_free_sgpr 39
		.amdhsa_accum_offset 44
		.amdhsa_reserve_vcc 1
		.amdhsa_float_round_mode_32 0
		.amdhsa_float_round_mode_16_64 0
		.amdhsa_float_denorm_mode_32 3
		.amdhsa_float_denorm_mode_16_64 3
		.amdhsa_dx10_clamp 1
		.amdhsa_ieee_mode 1
		.amdhsa_fp16_overflow 0
		.amdhsa_tg_split 0
		.amdhsa_exception_fp_ieee_invalid_op 0
		.amdhsa_exception_fp_denorm_src 0
		.amdhsa_exception_fp_ieee_div_zero 0
		.amdhsa_exception_fp_ieee_overflow 0
		.amdhsa_exception_fp_ieee_underflow 0
		.amdhsa_exception_fp_ieee_inexact 0
		.amdhsa_exception_int_div_zero 0
	.end_amdhsa_kernel
	.section	.text._ZN4vllm25paged_attention_v1_kernelI14__hip_bfloat16hLi96ELi8ELi128ELNS_18Fp8KVCacheDataTypeE1ELb0EEEvPT_PKS3_PKT0_S9_ifPKiSB_iPKfiiiSD_SD_iiiii,"axG",@progbits,_ZN4vllm25paged_attention_v1_kernelI14__hip_bfloat16hLi96ELi8ELi128ELNS_18Fp8KVCacheDataTypeE1ELb0EEEvPT_PKS3_PKT0_S9_ifPKiSB_iPKfiiiSD_SD_iiiii,comdat
.Lfunc_end284:
	.size	_ZN4vllm25paged_attention_v1_kernelI14__hip_bfloat16hLi96ELi8ELi128ELNS_18Fp8KVCacheDataTypeE1ELb0EEEvPT_PKS3_PKT0_S9_ifPKiSB_iPKfiiiSD_SD_iiiii, .Lfunc_end284-_ZN4vllm25paged_attention_v1_kernelI14__hip_bfloat16hLi96ELi8ELi128ELNS_18Fp8KVCacheDataTypeE1ELb0EEEvPT_PKS3_PKT0_S9_ifPKiSB_iPKfiiiSD_SD_iiiii
                                        ; -- End function
	.set _ZN4vllm25paged_attention_v1_kernelI14__hip_bfloat16hLi96ELi8ELi128ELNS_18Fp8KVCacheDataTypeE1ELb0EEEvPT_PKS3_PKT0_S9_ifPKiSB_iPKfiiiSD_SD_iiiii.num_vgpr, 44
	.set _ZN4vllm25paged_attention_v1_kernelI14__hip_bfloat16hLi96ELi8ELi128ELNS_18Fp8KVCacheDataTypeE1ELb0EEEvPT_PKS3_PKT0_S9_ifPKiSB_iPKfiiiSD_SD_iiiii.num_agpr, 0
	.set _ZN4vllm25paged_attention_v1_kernelI14__hip_bfloat16hLi96ELi8ELi128ELNS_18Fp8KVCacheDataTypeE1ELb0EEEvPT_PKS3_PKT0_S9_ifPKiSB_iPKfiiiSD_SD_iiiii.numbered_sgpr, 39
	.set _ZN4vllm25paged_attention_v1_kernelI14__hip_bfloat16hLi96ELi8ELi128ELNS_18Fp8KVCacheDataTypeE1ELb0EEEvPT_PKS3_PKT0_S9_ifPKiSB_iPKfiiiSD_SD_iiiii.num_named_barrier, 0
	.set _ZN4vllm25paged_attention_v1_kernelI14__hip_bfloat16hLi96ELi8ELi128ELNS_18Fp8KVCacheDataTypeE1ELb0EEEvPT_PKS3_PKT0_S9_ifPKiSB_iPKfiiiSD_SD_iiiii.private_seg_size, 0
	.set _ZN4vllm25paged_attention_v1_kernelI14__hip_bfloat16hLi96ELi8ELi128ELNS_18Fp8KVCacheDataTypeE1ELb0EEEvPT_PKS3_PKT0_S9_ifPKiSB_iPKfiiiSD_SD_iiiii.uses_vcc, 1
	.set _ZN4vllm25paged_attention_v1_kernelI14__hip_bfloat16hLi96ELi8ELi128ELNS_18Fp8KVCacheDataTypeE1ELb0EEEvPT_PKS3_PKT0_S9_ifPKiSB_iPKfiiiSD_SD_iiiii.uses_flat_scratch, 0
	.set _ZN4vllm25paged_attention_v1_kernelI14__hip_bfloat16hLi96ELi8ELi128ELNS_18Fp8KVCacheDataTypeE1ELb0EEEvPT_PKS3_PKT0_S9_ifPKiSB_iPKfiiiSD_SD_iiiii.has_dyn_sized_stack, 0
	.set _ZN4vllm25paged_attention_v1_kernelI14__hip_bfloat16hLi96ELi8ELi128ELNS_18Fp8KVCacheDataTypeE1ELb0EEEvPT_PKS3_PKT0_S9_ifPKiSB_iPKfiiiSD_SD_iiiii.has_recursion, 0
	.set _ZN4vllm25paged_attention_v1_kernelI14__hip_bfloat16hLi96ELi8ELi128ELNS_18Fp8KVCacheDataTypeE1ELb0EEEvPT_PKS3_PKT0_S9_ifPKiSB_iPKfiiiSD_SD_iiiii.has_indirect_call, 0
	.section	.AMDGPU.csdata,"",@progbits
; Kernel info:
; codeLenInByte = 4860
; TotalNumSgprs: 45
; NumVgprs: 44
; NumAgprs: 0
; TotalNumVgprs: 44
; ScratchSize: 0
; MemoryBound: 0
; FloatMode: 240
; IeeeMode: 1
; LDSByteSize: 208 bytes/workgroup (compile time only)
; SGPRBlocks: 5
; VGPRBlocks: 5
; NumSGPRsForWavesPerEU: 45
; NumVGPRsForWavesPerEU: 44
; AccumOffset: 44
; Occupancy: 8
; WaveLimiterHint : 1
; COMPUTE_PGM_RSRC2:SCRATCH_EN: 0
; COMPUTE_PGM_RSRC2:USER_SGPR: 2
; COMPUTE_PGM_RSRC2:TRAP_HANDLER: 0
; COMPUTE_PGM_RSRC2:TGID_X_EN: 1
; COMPUTE_PGM_RSRC2:TGID_Y_EN: 1
; COMPUTE_PGM_RSRC2:TGID_Z_EN: 1
; COMPUTE_PGM_RSRC2:TIDIG_COMP_CNT: 0
; COMPUTE_PGM_RSRC3_GFX90A:ACCUM_OFFSET: 10
; COMPUTE_PGM_RSRC3_GFX90A:TG_SPLIT: 0
	.section	.text._ZN4vllm25paged_attention_v1_kernelI14__hip_bfloat16hLi112ELi8ELi128ELNS_18Fp8KVCacheDataTypeE1ELb0EEEvPT_PKS3_PKT0_S9_ifPKiSB_iPKfiiiSD_SD_iiiii,"axG",@progbits,_ZN4vllm25paged_attention_v1_kernelI14__hip_bfloat16hLi112ELi8ELi128ELNS_18Fp8KVCacheDataTypeE1ELb0EEEvPT_PKS3_PKT0_S9_ifPKiSB_iPKfiiiSD_SD_iiiii,comdat
	.protected	_ZN4vllm25paged_attention_v1_kernelI14__hip_bfloat16hLi112ELi8ELi128ELNS_18Fp8KVCacheDataTypeE1ELb0EEEvPT_PKS3_PKT0_S9_ifPKiSB_iPKfiiiSD_SD_iiiii ; -- Begin function _ZN4vllm25paged_attention_v1_kernelI14__hip_bfloat16hLi112ELi8ELi128ELNS_18Fp8KVCacheDataTypeE1ELb0EEEvPT_PKS3_PKT0_S9_ifPKiSB_iPKfiiiSD_SD_iiiii
	.globl	_ZN4vllm25paged_attention_v1_kernelI14__hip_bfloat16hLi112ELi8ELi128ELNS_18Fp8KVCacheDataTypeE1ELb0EEEvPT_PKS3_PKT0_S9_ifPKiSB_iPKfiiiSD_SD_iiiii
	.p2align	8
	.type	_ZN4vllm25paged_attention_v1_kernelI14__hip_bfloat16hLi112ELi8ELi128ELNS_18Fp8KVCacheDataTypeE1ELb0EEEvPT_PKS3_PKT0_S9_ifPKiSB_iPKfiiiSD_SD_iiiii,@function
_ZN4vllm25paged_attention_v1_kernelI14__hip_bfloat16hLi112ELi8ELi128ELNS_18Fp8KVCacheDataTypeE1ELb0EEEvPT_PKS3_PKT0_S9_ifPKiSB_iPKfiiiSD_SD_iiiii: ; @_ZN4vllm25paged_attention_v1_kernelI14__hip_bfloat16hLi112ELi8ELi128ELNS_18Fp8KVCacheDataTypeE1ELb0EEEvPT_PKS3_PKT0_S9_ifPKiSB_iPKfiiiSD_SD_iiiii
; %bb.0:
	s_load_dword s5, s[0:1], 0x80
	s_load_dwordx2 s[6:7], s[0:1], 0x30
	s_load_dwordx2 s[10:11], s[0:1], 0x20
	s_mov_b32 s20, s3
	s_ashr_i32 s21, s3, 31
	s_lshl_b64 s[8:9], s[20:21], 2
	s_waitcnt lgkmcnt(0)
	s_add_u32 s6, s6, s8
	s_addc_u32 s7, s7, s9
	s_abs_i32 s3, s10
	v_cvt_f32_u32_e32 v1, s3
	s_xor_b32 s8, s5, s10
	s_sub_i32 s10, 0, s3
	s_abs_i32 s9, s5
	v_rcp_iflag_f32_e32 v1, v1
	s_ashr_i32 s8, s8, 31
	v_mul_f32_e32 v1, 0x4f7ffffe, v1
	v_cvt_u32_f32_e32 v1, v1
	s_nop 0
	v_readfirstlane_b32 s12, v1
	s_mul_i32 s10, s10, s12
	s_mul_hi_u32 s10, s12, s10
	s_add_i32 s12, s12, s10
	s_mul_hi_u32 s10, s9, s12
	s_mul_i32 s12, s10, s3
	s_sub_i32 s9, s9, s12
	s_add_i32 s12, s10, 1
	s_sub_i32 s13, s9, s3
	s_cmp_ge_u32 s9, s3
	s_cselect_b32 s10, s12, s10
	s_cselect_b32 s9, s13, s9
	s_add_i32 s12, s10, 1
	s_cmp_ge_u32 s9, s3
	s_cselect_b32 s3, s12, s10
	s_xor_b32 s3, s3, s8
	s_sub_i32 s12, s3, s8
	s_abs_i32 s16, s12
	v_cvt_f32_u32_e32 v1, s16
	s_load_dwordx2 s[8:9], s[0:1], 0x40
	s_sub_i32 s3, 0, s16
	s_abs_i32 s17, s2
	v_rcp_iflag_f32_e32 v1, v1
	s_mov_b32 s10, 0
	v_mul_f32_e32 v1, 0x4f7ffffe, v1
	v_cvt_u32_f32_e32 v1, v1
	s_nop 0
	v_readfirstlane_b32 s13, v1
	s_mul_i32 s3, s3, s13
	s_mul_hi_u32 s3, s13, s3
	s_add_i32 s13, s13, s3
	s_waitcnt lgkmcnt(0)
	s_cmp_eq_u64 s[8:9], 0
	s_mul_hi_u32 s18, s17, s13
	s_cbranch_scc1 .LBB285_2
; %bb.1:
	s_ashr_i32 s3, s2, 31
	s_lshl_b64 s[14:15], s[2:3], 2
	s_add_u32 s8, s8, s14
	s_addc_u32 s9, s9, s15
	s_load_dword s10, s[8:9], 0x0
.LBB285_2:
	s_load_dword s21, s[6:7], 0x0
	s_ashr_i32 s9, s12, 31
	s_load_dwordx4 s[12:15], s[0:1], 0x48
	s_movk_i32 s3, 0x70
	s_ashr_i32 s8, s2, 31
	v_and_b32_e32 v2, 7, v0
	s_mul_i32 s22, s2, 0x70
	v_cmp_gt_u32_e64 s[6:7], s3, v0
	v_lshlrev_b32_e32 v10, 1, v0
	s_and_saveexec_b64 s[2:3], s[6:7]
	s_cbranch_execz .LBB285_4
; %bb.3:
	s_load_dwordx2 s[24:25], s[0:1], 0x8
	s_waitcnt lgkmcnt(0)
	s_mul_i32 s26, s12, s20
	s_ashr_i32 s27, s26, 31
	s_lshl_b64 s[26:27], s[26:27], 1
	v_lshrrev_b32_e32 v3, 2, v0
	s_add_u32 s12, s24, s26
	s_addc_u32 s15, s25, s27
	s_ashr_i32 s23, s22, 31
	s_lshl_b64 s[24:25], s[22:23], 1
	s_add_u32 s24, s12, s24
	s_addc_u32 s25, s15, s25
	global_load_ushort v1, v10, s[24:25]
	v_and_b32_e32 v3, 0xfe, v3
	v_mad_u32_u24 v3, v2, 28, v3
	s_waitcnt vmcnt(0)
	ds_write_b16 v3, v1
.LBB285_4:
	s_or_b64 exec, exec, s[2:3]
	s_waitcnt lgkmcnt(0)
	s_add_i32 s3, s21, 7
	s_ashr_i32 s12, s3, 31
	s_lshr_b32 s12, s12, 29
	s_add_i32 s3, s3, s12
	s_ashr_i32 s33, s3, 3
	s_xor_b32 s3, s8, s9
	s_mul_i32 s8, s18, s16
	s_sub_i32 s8, s17, s8
	s_add_i32 s9, s18, 1
	s_sub_i32 s12, s8, s16
	s_load_dwordx2 s[26:27], s[0:1], 0x28
	s_load_dword s2, s[0:1], 0x38
	s_cmp_ge_u32 s8, s16
	s_cselect_b32 s9, s9, s18
	s_cselect_b32 s8, s12, s8
	s_add_i32 s12, s9, 1
	s_cmp_ge_u32 s8, s16
	s_cselect_b32 s8, s12, s9
	v_lshrrev_b32_e32 v1, 6, v0
	s_xor_b32 s8, s8, s3
	s_waitcnt lgkmcnt(0)
	s_mul_i32 s28, s2, s20
	s_sub_i32 s12, s8, s3
	s_ashr_i32 s29, s28, 31
	v_cmp_gt_i32_e64 s[2:3], s33, v1
	v_cmp_le_i32_e32 vcc, s33, v1
	v_mbcnt_lo_u32_b32 v3, -1, 0
	s_barrier
                                        ; implicit-def: $vgpr7
                                        ; implicit-def: $vgpr9
                                        ; implicit-def: $vgpr8
	s_and_saveexec_b64 s[8:9], vcc
	s_xor_b64 s[8:9], exec, s[8:9]
; %bb.5:
	v_mbcnt_hi_u32_b32 v7, -1, v3
	v_and_b32_e32 v9, 64, v7
	v_add_u32_e32 v8, 64, v9
                                        ; implicit-def: $vgpr2
                                        ; implicit-def: $vgpr3
; %bb.6:
	s_or_saveexec_b64 s[34:35], s[8:9]
	s_load_dwordx2 s[24:25], s[0:1], 0x0
	s_load_dwordx2 s[30:31], s[0:1], 0x18
	s_load_dword s23, s[0:1], 0x88
	s_load_dwordx4 s[16:19], s[0:1], 0x58
	v_mov_b32_e32 v25, 0xff7fffff
	s_mul_i32 s12, s12, s14
	v_lshrrev_b32_e32 v6, 4, v0
	s_xor_b64 exec, exec, s[34:35]
	s_cbranch_execz .LBB285_12
; %bb.7:
	s_load_dwordx2 s[0:1], s[0:1], 0x10
	v_mul_u32_u24_e32 v7, 28, v2
	ds_read2_b32 v[8:9], v7 offset1:1
	s_ashr_i32 s8, s12, 31
	v_bfe_u32 v25, v0, 3, 3
	s_waitcnt lgkmcnt(0)
	s_add_u32 s0, s0, s12
	v_lshlrev_b32_e32 v4, 4, v25
	s_addc_u32 s1, s1, s8
	v_mov_b32_e32 v5, 0
	v_lshl_add_u64 v[30:31], s[0:1], 0, v[4:5]
	ds_read2_b32 v[18:19], v7 offset0:2 offset1:3
	ds_read2_b32 v[22:23], v7 offset0:4 offset1:5
	ds_read_b32 v4, v7 offset:24
	v_mbcnt_hi_u32_b32 v7, -1, v3
	v_lshlrev_b32_e32 v13, 16, v9
	v_and_b32_e32 v14, 0xffff0000, v9
	v_and_b32_e32 v9, 64, v7
	v_lshlrev_b32_e32 v11, 16, v8
	v_and_b32_e32 v12, 0xffff0000, v8
	v_add_u32_e32 v8, 64, v9
	v_xor_b32_e32 v3, 4, v7
	v_cmp_lt_i32_e32 vcc, v3, v8
	s_load_dword s37, s[16:17], 0x0
	s_waitcnt lgkmcnt(0)
	v_lshlrev_b32_e32 v15, 16, v18
	v_cndmask_b32_e32 v3, v7, v3, vcc
	v_lshlrev_b32_e32 v26, 2, v3
	v_xor_b32_e32 v3, 2, v7
	v_cmp_lt_i32_e32 vcc, v3, v8
	v_and_b32_e32 v16, 0xffff0000, v18
	v_lshlrev_b32_e32 v17, 16, v19
	v_cndmask_b32_e32 v3, v7, v3, vcc
	v_lshlrev_b32_e32 v27, 2, v3
	v_xor_b32_e32 v3, 1, v7
	v_cmp_lt_i32_e32 vcc, v3, v8
	v_and_b32_e32 v18, 0xffff0000, v19
	v_lshlrev_b32_e32 v19, 16, v22
	v_and_b32_e32 v20, 0xffff0000, v22
	v_lshlrev_b32_e32 v21, 16, v23
	;; [unrolled: 2-line block ×3, first 2 shown]
	v_and_b32_e32 v24, 0xffff0000, v4
	v_cndmask_b32_e32 v3, v7, v3, vcc
	s_sub_i32 s38, 1, s21
	v_lshlrev_b32_e32 v4, 2, v25
	s_lshl_b64 s[8:9], s[28:29], 2
	v_lshlrev_b32_e32 v28, 2, v3
	v_mov_b32_e32 v3, v5
	v_lshl_or_b32 v4, v1, 5, v4
	s_add_u32 s8, s26, s8
	v_cmp_eq_u32_e32 vcc, 0, v2
	v_lshl_add_u64 v[2:3], v[30:31], 0, v[2:3]
	v_add_u32_e32 v30, 0xf0, v4
	v_and_b32_e32 v4, 60, v6
	s_addc_u32 s9, s27, s9
	s_mov_b32 s36, s13
	v_cmp_neq_f32_e64 s[0:1], s10, 0
	v_lshl_or_b32 v29, v1, 3, v25
	v_lshl_add_u64 v[4:5], s[8:9], 0, v[4:5]
	v_mov_b32_e32 v25, 0xff7fffff
	s_mov_b64 s[14:15], 0
	v_mov_b32_e32 v31, v1
	s_branch .LBB285_9
.LBB285_8:                              ;   in Loop: Header=BB285_9 Depth=1
	s_or_b64 exec, exec, s[16:17]
	v_add_u32_e32 v31, 2, v31
	v_cmp_le_i32_e64 s[8:9], s33, v31
	v_add_u32_e32 v29, 16, v29
	v_add_u32_e32 v30, 64, v30
	s_or_b64 s[14:15], s[8:9], s[14:15]
	v_lshl_add_u64 v[4:5], v[4:5], 0, 8
	s_andn2_b64 exec, exec, s[14:15]
	s_cbranch_execz .LBB285_11
.LBB285_9:                              ; =>This Inner Loop Header: Depth=1
	global_load_dword v32, v[4:5], off
	s_waitcnt vmcnt(0) lgkmcnt(0)
	v_mad_i64_i32 v[32:33], s[8:9], v32, s36, v[2:3]
	global_load_ubyte v34, v[32:33], off
	global_load_ubyte v35, v[32:33], off offset:8
	global_load_ubyte v36, v[32:33], off offset:128
	;; [unrolled: 1-line block ×13, first 2 shown]
	s_waitcnt vmcnt(13)
	v_cvt_f32_fp8_e32 v32, v34
	s_waitcnt vmcnt(12)
	v_cvt_f32_fp8_e32 v33, v35
	;; [unrolled: 2-line block ×5, first 2 shown]
	v_mul_f32_e32 v33, s37, v33
	s_waitcnt vmcnt(8)
	v_cvt_f32_fp8_e32 v37, v39
	v_mul_f32_e32 v32, s37, v32
	v_cvt_pk_bf16_f32 v33, v33, s0
	s_waitcnt vmcnt(7)
	v_cvt_f32_fp8_e32 v38, v40
	v_mul_f32_e32 v34, s37, v34
	v_cvt_pk_bf16_f32 v32, v32, s0
	v_lshlrev_b32_e32 v33, 16, v33
	s_waitcnt vmcnt(6)
	v_cvt_f32_fp8_e32 v39, v41
	v_mul_f32_e32 v35, s37, v35
	v_cvt_pk_bf16_f32 v34, v34, s0
	v_lshlrev_b32_e32 v32, 16, v32
	v_mul_f32_e32 v33, v12, v33
	s_waitcnt vmcnt(5)
	v_cvt_f32_fp8_e32 v40, v42
	v_mul_f32_e32 v36, s37, v36
	v_cvt_pk_bf16_f32 v35, v35, s0
	v_lshlrev_b32_e32 v34, 16, v34
	v_fmac_f32_e32 v33, v11, v32
	s_waitcnt vmcnt(4)
	v_cvt_f32_fp8_e32 v41, v43
	v_mul_f32_e32 v37, s37, v37
	v_cvt_pk_bf16_f32 v36, v36, s0
	v_lshlrev_b32_e32 v35, 16, v35
	v_fmac_f32_e32 v33, v13, v34
	;; [unrolled: 6-line block ×6, first 2 shown]
	v_mul_f32_e32 v42, s37, v42
	v_cvt_pk_bf16_f32 v41, v41, s0
	v_lshlrev_b32_e32 v40, 16, v40
	v_fmac_f32_e32 v33, v18, v39
	v_mul_f32_e32 v43, s37, v43
	v_cvt_pk_bf16_f32 v42, v42, s0
	v_lshlrev_b32_e32 v41, 16, v41
	v_fmac_f32_e32 v33, v19, v40
	v_mul_f32_e32 v44, s37, v44
	v_cvt_pk_bf16_f32 v43, v43, s0
	v_lshlrev_b32_e32 v42, 16, v42
	v_fmac_f32_e32 v33, v20, v41
	v_mul_f32_e32 v45, s37, v45
	v_cvt_pk_bf16_f32 v44, v44, s0
	v_lshlrev_b32_e32 v43, 16, v43
	v_fmac_f32_e32 v33, v21, v42
	v_cvt_pk_bf16_f32 v45, v45, s0
	v_lshlrev_b32_e32 v44, 16, v44
	v_fmac_f32_e32 v33, v22, v43
	v_fmac_f32_e32 v33, v23, v44
	v_lshlrev_b32_e32 v32, 16, v45
	v_fmac_f32_e32 v33, v24, v32
	ds_bpermute_b32 v32, v26, v33
	s_waitcnt lgkmcnt(0)
	v_add_f32_e32 v32, v33, v32
	ds_bpermute_b32 v33, v27, v32
	s_waitcnt lgkmcnt(0)
	v_add_f32_e32 v32, v32, v33
	ds_bpermute_b32 v33, v28, v32
	s_and_saveexec_b64 s[16:17], vcc
	s_cbranch_execz .LBB285_8
; %bb.10:                               ;   in Loop: Header=BB285_9 Depth=1
	v_add_u32_e32 v34, s38, v29
	v_cvt_f32_i32_e32 v34, v34
	s_waitcnt lgkmcnt(0)
	v_add_f32_e32 v32, v32, v33
	v_cmp_gt_i32_e64 s[8:9], s21, v29
	v_max_f32_e32 v33, v25, v25
	v_mul_f32_e32 v34, s10, v34
	v_cndmask_b32_e64 v34, 0, v34, s[0:1]
	v_fmac_f32_e32 v34, s11, v32
	v_cndmask_b32_e64 v32, 0, v34, s[8:9]
	ds_write_b32 v30, v32
	v_max_f32_e32 v32, v33, v34
	v_cndmask_b32_e64 v25, v25, v32, s[8:9]
	s_branch .LBB285_8
.LBB285_11:
	s_or_b64 exec, exec, s[14:15]
.LBB285_12:
	s_or_b64 exec, exec, s[34:35]
	v_xor_b32_e32 v2, 32, v7
	v_cmp_lt_i32_e32 vcc, v2, v8
	v_xor_b32_e32 v5, 16, v7
	v_max_f32_e32 v4, v25, v25
	v_cndmask_b32_e32 v2, v7, v2, vcc
	v_lshlrev_b32_e32 v3, 2, v2
	ds_bpermute_b32 v2, v3, v25
	v_cmp_lt_i32_e32 vcc, v5, v8
	v_xor_b32_e32 v11, 8, v7
	s_waitcnt lgkmcnt(0)
	v_max_f32_e32 v2, v2, v2
	v_max_f32_e32 v2, v4, v2
	v_cndmask_b32_e32 v4, v7, v5, vcc
	v_lshlrev_b32_e32 v5, 2, v4
	ds_bpermute_b32 v4, v5, v2
	v_cmp_lt_i32_e32 vcc, v11, v8
	s_waitcnt lgkmcnt(0)
	v_max_f32_e32 v4, v4, v4
	v_max_f32_e32 v4, v2, v4
	v_cndmask_b32_e32 v2, v7, v11, vcc
	v_lshlrev_b32_e32 v13, 2, v2
	ds_bpermute_b32 v12, v13, v4
	v_and_b32_e32 v11, 63, v0
	v_cmp_eq_u32_e32 vcc, 0, v11
	v_lshlrev_b32_e32 v2, 2, v1
	s_and_saveexec_b64 s[0:1], vcc
	s_cbranch_execz .LBB285_14
; %bb.13:
	s_waitcnt lgkmcnt(0)
	v_max_f32_e32 v12, v12, v12
	v_max_f32_e32 v4, v4, v4
	v_max_f32_e32 v4, v4, v12
	ds_write_b32 v2, v4 offset:224
.LBB285_14:
	s_or_b64 exec, exec, s[0:1]
	v_cmp_gt_u32_e64 s[0:1], 2, v11
	v_mov_b32_e32 v14, 0xff7fffff
	v_lshlrev_b32_e32 v4, 2, v11
	s_waitcnt lgkmcnt(0)
	s_barrier
	s_and_saveexec_b64 s[8:9], s[0:1]
; %bb.15:
	ds_read_b32 v14, v4 offset:224
; %bb.16:
	s_or_b64 exec, exec, s[8:9]
	v_xor_b32_e32 v12, 1, v7
	v_cmp_lt_i32_e64 s[8:9], v12, v8
	v_lshlrev_b32_e32 v9, 2, v9
	s_nop 0
	v_cndmask_b32_e64 v12, v7, v12, s[8:9]
	v_lshlrev_b32_e32 v12, 2, v12
	s_waitcnt lgkmcnt(0)
	ds_bpermute_b32 v15, v12, v14
	v_max_f32_e32 v14, v14, v14
	s_lshl_b32 s8, s33, 3
	s_min_i32 s34, s8, s21
	v_cmp_gt_i32_e64 s[8:9], s34, v0
	s_waitcnt lgkmcnt(0)
	v_max_f32_e32 v15, v15, v15
	v_max_f32_e32 v14, v14, v15
	ds_bpermute_b32 v14, v9, v14
	v_mov_b32_e32 v9, 0
	s_and_saveexec_b64 s[14:15], s[8:9]
	s_cbranch_execz .LBB285_20
; %bb.17:
	v_mov_b32_e32 v9, 0xf0
	v_lshl_add_u32 v15, v0, 2, v9
	v_mov_b32_e32 v9, 0
	s_mov_b64 s[16:17], 0
	v_mov_b32_e32 v16, v0
.LBB285_18:                             ; =>This Inner Loop Header: Depth=1
	ds_read_b32 v17, v15
	v_add_u32_e32 v16, 0x80, v16
	v_cmp_le_i32_e64 s[10:11], s34, v16
	s_or_b64 s[16:17], s[10:11], s[16:17]
	s_waitcnt lgkmcnt(0)
	v_sub_f32_e32 v17, v17, v14
	v_mul_f32_e32 v17, 0x3fb8aa3b, v17
	v_exp_f32_e32 v17, v17
	ds_write_b32 v15, v17
	v_add_f32_e32 v9, v9, v17
	v_add_u32_e32 v15, 0x200, v15
	s_andn2_b64 exec, exec, s[16:17]
	s_cbranch_execnz .LBB285_18
; %bb.19:
	s_or_b64 exec, exec, s[16:17]
.LBB285_20:
	s_or_b64 exec, exec, s[14:15]
	ds_bpermute_b32 v3, v3, v9
	s_waitcnt lgkmcnt(0)
	v_add_f32_e32 v3, v9, v3
	ds_bpermute_b32 v5, v5, v3
	v_xor_b32_e32 v9, 4, v7
	v_cmp_lt_i32_e64 s[10:11], v9, v8
	s_waitcnt lgkmcnt(0)
	v_add_f32_e32 v3, v3, v5
	ds_bpermute_b32 v5, v13, v3
	v_cndmask_b32_e64 v9, v7, v9, s[10:11]
	v_lshlrev_b32_e32 v9, 2, v9
	s_waitcnt lgkmcnt(0)
	v_add_f32_e32 v3, v3, v5
	ds_bpermute_b32 v5, v9, v3
	v_xor_b32_e32 v9, 2, v7
	v_cmp_lt_i32_e64 s[10:11], v9, v8
	s_waitcnt lgkmcnt(0)
	v_add_f32_e32 v3, v3, v5
	v_cndmask_b32_e64 v8, v7, v9, s[10:11]
	v_lshlrev_b32_e32 v5, 2, v8
	ds_bpermute_b32 v5, v5, v3
	s_waitcnt lgkmcnt(0)
	v_add_f32_e32 v3, v3, v5
	ds_bpermute_b32 v5, v12, v3
	s_waitcnt lgkmcnt(0)
	v_add_f32_e32 v3, v3, v5
	s_and_saveexec_b64 s[10:11], vcc
; %bb.21:
	ds_write_b32 v2, v3 offset:232
; %bb.22:
	s_or_b64 exec, exec, s[10:11]
	s_waitcnt lgkmcnt(0)
	s_barrier
	s_and_saveexec_b64 s[10:11], s[0:1]
; %bb.23:
	ds_read_b32 v3, v4 offset:232
; %bb.24:
	s_or_b64 exec, exec, s[10:11]
	s_waitcnt lgkmcnt(0)
	ds_bpermute_b32 v2, v12, v3
	v_lshlrev_b32_e32 v4, 2, v7
	s_waitcnt lgkmcnt(0)
	v_add_f32_e32 v2, v3, v2
	v_and_b32_e32 v3, 0xffffff00, v4
	ds_bpermute_b32 v2, v3, v2
	s_and_saveexec_b64 s[0:1], s[8:9]
	s_cbranch_execz .LBB285_37
; %bb.25:
	s_waitcnt lgkmcnt(0)
	v_add_f32_e32 v2, 0x358637bd, v2
	v_div_scale_f32 v3, s[8:9], v2, v2, 1.0
	v_rcp_f32_e32 v4, v3
	v_div_scale_f32 v5, vcc, 1.0, v2, 1.0
	s_movk_i32 s8, 0x7f
	v_fma_f32 v7, -v3, v4, 1.0
	v_fmac_f32_e32 v4, v7, v4
	v_mul_f32_e32 v7, v5, v4
	v_fma_f32 v8, -v3, v7, v5
	v_fmac_f32_e32 v7, v8, v4
	v_fma_f32 v3, -v3, v7, v5
	v_div_fmas_f32 v3, v3, v4, v7
	v_xad_u32 v4, v0, -1, s34
	v_div_fixup_f32 v2, v3, v2, 1.0
	v_cmp_lt_u32_e32 vcc, s8, v4
	s_mov_b64 s[10:11], -1
	v_mov_b32_e32 v3, v0
	s_and_saveexec_b64 s[8:9], vcc
	s_cbranch_execz .LBB285_34
; %bb.26:
	v_lshrrev_b32_e32 v4, 7, v4
	v_add_u32_e32 v7, -1, v4
	v_lshrrev_b32_e32 v5, 1, v7
	v_mov_b32_e32 v3, v2
	v_add_u32_e32 v5, 1, v5
	v_cmp_lt_u32_e32 vcc, 13, v7
	v_mov_b32_e32 v9, 0
	s_and_saveexec_b64 s[10:11], vcc
	s_cbranch_execz .LBB285_30
; %bb.27:
	v_mov_b32_e32 v8, 0xf0
	v_and_b32_e32 v7, -8, v5
	v_lshl_add_u32 v8, v0, 2, v8
	s_mov_b32 s16, 0
	s_mov_b64 s[14:15], 0
.LBB285_28:                             ; =>This Inner Loop Header: Depth=1
	ds_read2st64_b32 v[12:13], v8 offset1:2
	ds_read2st64_b32 v[14:15], v8 offset0:4 offset1:6
	ds_read2st64_b32 v[16:17], v8 offset0:8 offset1:10
	;; [unrolled: 1-line block ×3, first 2 shown]
	v_add_u32_e32 v7, -8, v7
	s_waitcnt lgkmcnt(3)
	v_pk_mul_f32 v[12:13], v[2:3], v[12:13]
	s_waitcnt lgkmcnt(2)
	v_pk_mul_f32 v[14:15], v[2:3], v[14:15]
	ds_write2st64_b32 v8, v12, v13 offset1:2
	ds_write2st64_b32 v8, v14, v15 offset0:4 offset1:6
	ds_read2st64_b32 v[14:15], v8 offset0:16 offset1:18
	s_waitcnt lgkmcnt(4)
	v_pk_mul_f32 v[12:13], v[2:3], v[16:17]
	ds_write2st64_b32 v8, v12, v13 offset0:8 offset1:10
	s_waitcnt lgkmcnt(4)
	v_pk_mul_f32 v[12:13], v[2:3], v[18:19]
	ds_write2st64_b32 v8, v12, v13 offset0:12 offset1:14
	ds_read2st64_b32 v[12:13], v8 offset0:20 offset1:22
	s_waitcnt lgkmcnt(3)
	v_pk_mul_f32 v[14:15], v[2:3], v[14:15]
	ds_read2st64_b32 v[16:17], v8 offset0:24 offset1:26
	ds_write2st64_b32 v8, v14, v15 offset0:16 offset1:18
	ds_read2st64_b32 v[14:15], v8 offset0:28 offset1:30
	s_waitcnt lgkmcnt(3)
	v_pk_mul_f32 v[12:13], v[2:3], v[12:13]
	ds_write2st64_b32 v8, v12, v13 offset0:20 offset1:22
	s_waitcnt lgkmcnt(3)
	v_pk_mul_f32 v[12:13], v[2:3], v[16:17]
	ds_write2st64_b32 v8, v12, v13 offset0:24 offset1:26
	s_waitcnt lgkmcnt(2)
	v_pk_mul_f32 v[12:13], v[2:3], v[14:15]
	s_add_i32 s16, s16, 16
	v_cmp_eq_u32_e32 vcc, 0, v7
	ds_write2st64_b32 v8, v12, v13 offset0:28 offset1:30
	v_add_u32_e32 v8, 0x2000, v8
	s_or_b64 s[14:15], vcc, s[14:15]
	v_mov_b32_e32 v9, s16
	s_andn2_b64 exec, exec, s[14:15]
	s_cbranch_execnz .LBB285_28
; %bb.29:
	s_or_b64 exec, exec, s[14:15]
.LBB285_30:
	s_or_b64 exec, exec, s[10:11]
	v_and_b32_e32 v5, 7, v5
	v_cmp_ne_u32_e32 vcc, 0, v5
	s_and_saveexec_b64 s[10:11], vcc
	s_cbranch_execz .LBB285_33
; %bb.31:
	v_lshlrev_b32_e32 v7, 9, v9
	v_lshlrev_b32_e32 v8, 2, v0
	s_movk_i32 s14, 0xf0
	v_add3_u32 v7, v7, v8, s14
	s_mov_b64 s[14:15], 0
.LBB285_32:                             ; =>This Inner Loop Header: Depth=1
	ds_read2st64_b32 v[8:9], v7 offset1:2
	v_add_u32_e32 v5, -1, v5
	v_cmp_eq_u32_e32 vcc, 0, v5
	s_or_b64 s[14:15], vcc, s[14:15]
	s_waitcnt lgkmcnt(0)
	v_pk_mul_f32 v[8:9], v[2:3], v[8:9]
	ds_write2st64_b32 v7, v8, v9 offset1:2
	v_add_u32_e32 v7, 0x400, v7
	s_andn2_b64 exec, exec, s[14:15]
	s_cbranch_execnz .LBB285_32
.LBB285_33:
	s_or_b64 exec, exec, s[10:11]
	v_add_u32_e32 v4, 1, v4
	v_and_b32_e32 v5, 0x3fffffe, v4
	v_cmp_ne_u32_e32 vcc, v4, v5
	v_lshl_add_u32 v3, v5, 7, v0
	s_orn2_b64 s[10:11], vcc, exec
.LBB285_34:
	s_or_b64 exec, exec, s[8:9]
	s_and_b64 exec, exec, s[10:11]
	s_cbranch_execz .LBB285_37
; %bb.35:
	v_mov_b32_e32 v4, 0xf0
	v_lshl_add_u32 v4, v3, 2, v4
	s_mov_b64 s[8:9], 0
.LBB285_36:                             ; =>This Inner Loop Header: Depth=1
	ds_read_b32 v5, v4
	v_add_u32_e32 v3, 0x80, v3
	v_cmp_le_i32_e32 vcc, s34, v3
	s_or_b64 s[8:9], vcc, s[8:9]
	s_waitcnt lgkmcnt(0)
	v_mul_f32_e32 v5, v2, v5
	ds_write_b32 v4, v5
	v_add_u32_e32 v4, 0x200, v4
	s_andn2_b64 exec, exec, s[8:9]
	s_cbranch_execnz .LBB285_36
.LBB285_37:
	s_or_b64 exec, exec, s[0:1]
	v_mov_b32_e32 v13, 0
	v_mov_b32_e32 v22, v13
	s_waitcnt lgkmcnt(0)
	s_barrier
	s_and_saveexec_b64 s[8:9], s[2:3]
	s_cbranch_execz .LBB285_47
; %bb.38:
	s_ashr_i32 s1, s12, 31
	s_add_u32 s0, s30, s12
	s_load_dword s18, s[18:19], 0x0
	v_or_b32_e32 v2, 64, v11
	s_movk_i32 s2, 0x70
	s_addc_u32 s1, s31, s1
	s_add_i32 s17, s33, -1
	v_cmp_gt_u32_e32 vcc, s2, v2
	s_lshl_b64 s[2:3], s[28:29], 2
	v_mov_b32_e32 v15, 0
	v_lshlrev_b32_e32 v16, 3, v2
	v_mov_b32_e32 v2, 0xf0
	s_add_u32 s2, s26, s2
	v_lshl_add_u32 v27, v1, 5, v2
	v_and_b32_e32 v2, 60, v6
	v_mov_b32_e32 v3, v15
	s_addc_u32 s3, s27, s3
	s_mov_b32 s16, s13
	v_lshlrev_b32_e32 v14, 3, v11
	v_mov_b32_e32 v17, v15
	v_lshl_or_b32 v26, v1, 3, 7
	v_lshl_add_u64 v[18:19], s[2:3], 0, v[2:3]
	s_mov_b64 s[10:11], 0
	v_mov_b64_e32 v[20:21], s[0:1]
	v_mov_b32_e32 v12, v15
	v_mov_b32_e32 v13, v15
	s_branch .LBB285_41
.LBB285_39:                             ;   in Loop: Header=BB285_41 Depth=1
	s_or_b64 exec, exec, s[14:15]
	v_cvt_pk_bf16_f32 v6, v6, v7
	v_cvt_pk_bf16_f32 v2, v2, v3
	;; [unrolled: 1-line block ×3, first 2 shown]
	v_lshlrev_b32_e32 v4, 16, v6
	v_lshlrev_b32_e32 v5, 16, v33
	v_cvt_pk_bf16_f32 v7, v8, v9
	v_mul_f32_e32 v4, v4, v5
	v_and_b32_e32 v5, 0xffff0000, v6
	v_lshlrev_b32_e32 v6, 16, v32
	v_mul_f32_e32 v5, v5, v6
	v_lshlrev_b32_e32 v6, 16, v7
	v_lshlrev_b32_e32 v8, 16, v31
	v_mul_f32_e32 v6, v6, v8
	v_and_b32_e32 v7, 0xffff0000, v7
	v_lshlrev_b32_e32 v8, 16, v30
	v_mul_f32_e32 v7, v7, v8
	v_lshlrev_b32_e32 v8, 16, v2
	v_lshlrev_b32_e32 v9, 16, v29
	v_mul_f32_e32 v8, v8, v9
	v_and_b32_e32 v2, 0xffff0000, v2
	v_lshlrev_b32_e32 v9, 16, v25
	v_mul_f32_e32 v2, v2, v9
	v_cvt_pk_bf16_f32 v9, v2, s0
	v_lshlrev_b32_e32 v2, 16, v3
	v_lshlrev_b32_e32 v24, 16, v24
	v_mul_f32_e32 v2, v2, v24
	v_cvt_pk_bf16_f32 v24, v2, s0
	v_and_b32_e32 v2, 0xffff0000, v3
	v_lshlrev_b32_e32 v3, 16, v23
	v_cvt_pk_bf16_f32 v4, v4, s0
	v_cvt_pk_bf16_f32 v5, v5, s0
	;; [unrolled: 1-line block ×4, first 2 shown]
	v_mul_f32_e32 v2, v2, v3
	v_cvt_pk_bf16_f32 v8, v8, s0
	v_cvt_pk_bf16_f32 v23, v2, s0
	v_lshlrev_b32_e32 v3, 16, v5
	v_lshlrev_b32_e32 v5, 16, v4
	;; [unrolled: 1-line block ×4, first 2 shown]
	v_pk_add_f32 v[2:3], v[4:5], v[2:3]
	v_lshlrev_b32_e32 v5, 16, v9
	v_lshlrev_b32_e32 v7, 16, v8
	;; [unrolled: 1-line block ×4, first 2 shown]
	v_pk_add_f32 v[4:5], v[6:7], v[4:5]
	v_add_f32_e32 v2, v2, v3
	v_add_f32_e32 v2, v5, v2
	;; [unrolled: 1-line block ×3, first 2 shown]
	v_pk_add_f32 v[12:13], v[12:13], v[2:3] op_sel_hi:[1,0]
.LBB285_40:                             ;   in Loop: Header=BB285_41 Depth=1
	s_or_b64 exec, exec, s[12:13]
	v_add_u32_e32 v1, 2, v1
	v_cmp_le_i32_e64 s[0:1], s33, v1
	v_add_u32_e32 v26, 16, v26
	v_add_u32_e32 v27, 64, v27
	v_lshl_add_u64 v[18:19], v[18:19], 0, 8
	s_or_b64 s[10:11], s[0:1], s[10:11]
	v_mov_b32_e32 v12, v22
	s_andn2_b64 exec, exec, s[10:11]
	s_cbranch_execz .LBB285_46
.LBB285_41:                             ; =>This Inner Loop Header: Depth=1
	global_load_dword v2, v[18:19], off
	v_add_u32_e32 v28, -7, v26
	v_cmp_eq_u32_e64 s[2:3], s17, v1
	s_waitcnt vmcnt(0)
	v_mad_i64_i32 v[24:25], s[0:1], v2, s16, v[20:21]
	v_lshl_add_u64 v[2:3], v[24:25], 0, v[14:15]
	global_load_dwordx2 v[22:23], v[2:3], off
	ds_read2_b64 v[6:9], v27 offset1:1
	ds_read2_b64 v[2:5], v27 offset0:2 offset1:3
	s_waitcnt vmcnt(0)
	v_and_b32_e32 v29, 0xff, v22
	v_bfe_u32 v30, v22, 8, 8
	v_bfe_u32 v31, v22, 16, 8
	v_lshrrev_b32_e32 v22, 24, v22
	v_and_b32_e32 v32, 0xff, v23
	v_bfe_u32 v33, v23, 8, 8
	v_bfe_u32 v34, v23, 16, 8
	v_lshrrev_b32_e32 v23, 24, v23
	v_cvt_f32_fp8_e32 v29, v29
	v_cvt_f32_fp8_e32 v30, v30
	;; [unrolled: 1-line block ×8, first 2 shown]
	s_waitcnt lgkmcnt(0)
	v_mul_f32_e32 v29, s18, v29
	v_mul_f32_e32 v30, s18, v30
	;; [unrolled: 1-line block ×8, first 2 shown]
	v_cvt_pk_bf16_f32 v34, v29, s0
	v_cvt_pk_bf16_f32 v33, v30, s0
	;; [unrolled: 1-line block ×8, first 2 shown]
	s_and_saveexec_b64 s[12:13], s[2:3]
	s_cbranch_execz .LBB285_43
; %bb.42:                               ;   in Loop: Header=BB285_41 Depth=1
	v_cmp_gt_i32_e64 s[0:1], s21, v28
	v_add_u32_e32 v35, -6, v26
	s_nop 0
	v_cndmask_b32_e64 v34, 0, v34, s[0:1]
	v_cmp_gt_i32_e64 s[0:1], s21, v35
	v_add_u32_e32 v35, -5, v26
	s_nop 0
	v_cndmask_b32_e64 v33, 0, v33, s[0:1]
	;; [unrolled: 4-line block ×6, first 2 shown]
	v_cmp_gt_i32_e64 s[0:1], s21, v35
	s_nop 1
	v_cndmask_b32_e64 v23, 0, v23, s[0:1]
	v_cmp_gt_i32_e64 s[0:1], s21, v26
	s_nop 1
	v_cndmask_b32_e64 v22, 0, v22, s[0:1]
.LBB285_43:                             ;   in Loop: Header=BB285_41 Depth=1
	s_or_b64 exec, exec, s[12:13]
	v_cvt_pk_bf16_f32 v35, v6, s0
	v_cvt_pk_bf16_f32 v36, v7, s0
	v_lshlrev_b32_e32 v35, 16, v35
	v_lshlrev_b32_e32 v34, 16, v34
	v_cvt_pk_bf16_f32 v37, v8, s0
	v_mul_f32_e32 v34, v35, v34
	v_lshlrev_b32_e32 v35, 16, v36
	v_lshlrev_b32_e32 v33, 16, v33
	v_cvt_pk_bf16_f32 v38, v9, s0
	v_mul_f32_e32 v33, v35, v33
	v_lshlrev_b32_e32 v35, 16, v37
	v_lshlrev_b32_e32 v32, 16, v32
	v_mul_f32_e32 v32, v35, v32
	v_lshlrev_b32_e32 v35, 16, v38
	v_lshlrev_b32_e32 v31, 16, v31
	v_cvt_pk_bf16_f32 v39, v2, s0
	v_mul_f32_e32 v31, v35, v31
	v_cvt_pk_bf16_f32 v35, v31, s0
	v_lshlrev_b32_e32 v31, 16, v39
	v_lshlrev_b32_e32 v30, 16, v30
	v_cvt_pk_bf16_f32 v40, v3, s0
	v_mul_f32_e32 v30, v31, v30
	v_cvt_pk_bf16_f32 v41, v4, s0
	v_cvt_pk_bf16_f32 v36, v30, s0
	v_lshlrev_b32_e32 v30, 16, v40
	v_lshlrev_b32_e32 v29, 16, v29
	v_mul_f32_e32 v29, v30, v29
	v_lshlrev_b32_e32 v30, 16, v41
	v_lshlrev_b32_e32 v23, 16, v23
	v_cvt_pk_bf16_f32 v42, v5, s0
	v_mul_f32_e32 v23, v30, v23
	v_cvt_pk_bf16_f32 v37, v23, s0
	v_lshlrev_b32_e32 v23, 16, v42
	v_lshlrev_b32_e32 v22, 16, v22
	v_cvt_pk_bf16_f32 v34, v34, s0
	v_cvt_pk_bf16_f32 v33, v33, s0
	;; [unrolled: 1-line block ×3, first 2 shown]
	v_mul_f32_e32 v22, v23, v22
	v_cvt_pk_bf16_f32 v29, v29, s0
	v_cvt_pk_bf16_f32 v38, v22, s0
	v_lshlrev_b32_e32 v23, 16, v33
	v_lshlrev_b32_e32 v31, 16, v34
	;; [unrolled: 1-line block ×4, first 2 shown]
	v_pk_add_f32 v[22:23], v[30:31], v[22:23]
	v_lshlrev_b32_e32 v31, 16, v29
	v_lshlrev_b32_e32 v33, 16, v36
	;; [unrolled: 1-line block ×4, first 2 shown]
	v_pk_add_f32 v[22:23], v[22:23], v[22:23] op_sel:[0,1] op_sel_hi:[1,0]
	v_pk_add_f32 v[30:31], v[32:33], v[30:31]
	s_nop 0
	v_pk_add_f32 v[22:23], v[30:31], v[22:23] op_sel:[1,0] op_sel_hi:[0,1]
	v_pk_add_f32 v[22:23], v[30:31], v[22:23]
	s_nop 0
	v_pk_add_f32 v[22:23], v[12:13], v[22:23]
	s_and_saveexec_b64 s[12:13], vcc
	s_cbranch_execz .LBB285_40
; %bb.44:                               ;   in Loop: Header=BB285_41 Depth=1
	v_lshl_add_u64 v[24:25], v[24:25], 0, v[16:17]
	global_load_dwordx2 v[24:25], v[24:25], off
	s_waitcnt vmcnt(0)
	v_and_b32_e32 v23, 0xff, v24
	v_bfe_u32 v29, v24, 8, 8
	v_bfe_u32 v30, v24, 16, 8
	v_lshrrev_b32_e32 v24, 24, v24
	v_and_b32_e32 v31, 0xff, v25
	v_bfe_u32 v32, v25, 8, 8
	v_bfe_u32 v33, v25, 16, 8
	v_lshrrev_b32_e32 v25, 24, v25
	v_cvt_f32_fp8_e32 v23, v23
	v_cvt_f32_fp8_e32 v29, v29
	;; [unrolled: 1-line block ×8, first 2 shown]
	v_mul_f32_e32 v23, s18, v23
	v_mul_f32_e32 v29, s18, v29
	v_mul_f32_e32 v30, s18, v30
	v_mul_f32_e32 v24, s18, v24
	v_mul_f32_e32 v34, s18, v31
	v_mul_f32_e32 v35, s18, v32
	v_mul_f32_e32 v36, s18, v33
	v_mul_f32_e32 v37, s18, v25
	v_cvt_pk_bf16_f32 v33, v23, s0
	v_cvt_pk_bf16_f32 v32, v29, s0
	;; [unrolled: 1-line block ×8, first 2 shown]
	s_and_saveexec_b64 s[14:15], s[2:3]
	s_cbranch_execz .LBB285_39
; %bb.45:                               ;   in Loop: Header=BB285_41 Depth=1
	v_cmp_gt_i32_e64 s[0:1], s21, v28
	v_add_u32_e32 v28, -6, v26
	s_nop 0
	v_cndmask_b32_e64 v33, 0, v33, s[0:1]
	v_cmp_gt_i32_e64 s[0:1], s21, v28
	v_add_u32_e32 v28, -5, v26
	s_nop 0
	v_cndmask_b32_e64 v32, 0, v32, s[0:1]
	;; [unrolled: 4-line block ×6, first 2 shown]
	v_cmp_gt_i32_e64 s[0:1], s21, v28
	s_nop 1
	v_cndmask_b32_e64 v24, 0, v24, s[0:1]
	v_cmp_gt_i32_e64 s[0:1], s21, v26
	s_nop 1
	v_cndmask_b32_e64 v23, 0, v23, s[0:1]
	s_branch .LBB285_39
.LBB285_46:
	s_or_b64 exec, exec, s[10:11]
.LBB285_47:
	s_or_b64 exec, exec, s[8:9]
	v_and_b32_e32 v1, 0x3c0, v0
	v_cmp_eq_u32_e32 vcc, 64, v1
	s_barrier
	s_and_saveexec_b64 s[0:1], vcc
	s_cbranch_execz .LBB285_50
; %bb.48:
	v_mov_b32_e32 v1, 0xf0
	v_lshl_add_u32 v2, v11, 2, v1
	ds_write_b32 v2, v22
	s_and_b64 exec, exec, s[6:7]
; %bb.49:
	v_lshl_add_u32 v1, v0, 2, v1
	ds_write_b32 v1, v13
.LBB285_50:
	s_or_b64 exec, exec, s[0:1]
	v_cmp_gt_u32_e32 vcc, 64, v0
	v_or_b32_e32 v1, 64, v0
	s_waitcnt lgkmcnt(0)
	s_barrier
	s_and_saveexec_b64 s[2:3], vcc
	s_cbranch_execz .LBB285_54
; %bb.51:
	v_mov_b32_e32 v2, 0xf0
	v_lshl_add_u32 v2, v0, 2, v2
	ds_read_b32 v0, v2
	s_movk_i32 s0, 0x70
	v_cmp_gt_u32_e64 s[0:1], s0, v1
	s_and_saveexec_b64 s[6:7], s[0:1]
	s_cbranch_execz .LBB285_53
; %bb.52:
	ds_read_b32 v2, v2 offset:256
	s_waitcnt lgkmcnt(0)
	v_add_f32_e32 v13, v13, v2
.LBB285_53:
	s_or_b64 exec, exec, s[6:7]
	s_waitcnt lgkmcnt(0)
	v_add_f32_e32 v22, v22, v0
.LBB285_54:
	s_or_b64 exec, exec, s[2:3]
	s_barrier
	s_and_saveexec_b64 s[0:1], vcc
	s_cbranch_execz .LBB285_57
; %bb.55:
	s_mul_i32 s0, s20, s23
	s_mul_i32 s0, s0, s5
	s_mulk_i32 s0, 0x70
	s_ashr_i32 s1, s0, 31
	s_lshl_b64 s[0:1], s[0:1], 1
	s_add_u32 s3, s24, s0
	s_mul_i32 s0, s23, s22
	s_addc_u32 s5, s25, s1
	s_ashr_i32 s1, s0, 31
	s_lshl_b64 s[0:1], s[0:1], 1
	s_add_u32 s3, s3, s0
	s_mul_i32 s0, s4, 0x70
	s_addc_u32 s5, s5, s1
	s_ashr_i32 s1, s0, 31
	s_lshl_b64 s[0:1], s[0:1], 1
	s_movk_i32 s2, 0x70
	s_add_u32 s0, s3, s0
	s_addc_u32 s1, s5, s1
	v_cvt_pk_bf16_f32 v0, v22, s0
	v_cmp_gt_u32_e32 vcc, s2, v1
	global_store_short v10, v0, s[0:1]
	s_and_b64 exec, exec, vcc
	s_cbranch_execz .LBB285_57
; %bb.56:
	v_mov_b32_e32 v11, 0
	v_lshl_add_u64 v[0:1], s[0:1], 0, v[10:11]
	v_cvt_pk_bf16_f32 v2, v13, s0
	global_store_short v[0:1], v2, off offset:128
.LBB285_57:
	s_endpgm
	.section	.rodata,"a",@progbits
	.p2align	6, 0x0
	.amdhsa_kernel _ZN4vllm25paged_attention_v1_kernelI14__hip_bfloat16hLi112ELi8ELi128ELNS_18Fp8KVCacheDataTypeE1ELb0EEEvPT_PKS3_PKT0_S9_ifPKiSB_iPKfiiiSD_SD_iiiii
		.amdhsa_group_segment_fixed_size 240
		.amdhsa_private_segment_fixed_size 0
		.amdhsa_kernarg_size 384
		.amdhsa_user_sgpr_count 2
		.amdhsa_user_sgpr_dispatch_ptr 0
		.amdhsa_user_sgpr_queue_ptr 0
		.amdhsa_user_sgpr_kernarg_segment_ptr 1
		.amdhsa_user_sgpr_dispatch_id 0
		.amdhsa_user_sgpr_kernarg_preload_length 0
		.amdhsa_user_sgpr_kernarg_preload_offset 0
		.amdhsa_user_sgpr_private_segment_size 0
		.amdhsa_uses_dynamic_stack 0
		.amdhsa_enable_private_segment 0
		.amdhsa_system_sgpr_workgroup_id_x 1
		.amdhsa_system_sgpr_workgroup_id_y 1
		.amdhsa_system_sgpr_workgroup_id_z 1
		.amdhsa_system_sgpr_workgroup_info 0
		.amdhsa_system_vgpr_workitem_id 0
		.amdhsa_next_free_vgpr 48
		.amdhsa_next_free_sgpr 39
		.amdhsa_accum_offset 48
		.amdhsa_reserve_vcc 1
		.amdhsa_float_round_mode_32 0
		.amdhsa_float_round_mode_16_64 0
		.amdhsa_float_denorm_mode_32 3
		.amdhsa_float_denorm_mode_16_64 3
		.amdhsa_dx10_clamp 1
		.amdhsa_ieee_mode 1
		.amdhsa_fp16_overflow 0
		.amdhsa_tg_split 0
		.amdhsa_exception_fp_ieee_invalid_op 0
		.amdhsa_exception_fp_denorm_src 0
		.amdhsa_exception_fp_ieee_div_zero 0
		.amdhsa_exception_fp_ieee_overflow 0
		.amdhsa_exception_fp_ieee_underflow 0
		.amdhsa_exception_fp_ieee_inexact 0
		.amdhsa_exception_int_div_zero 0
	.end_amdhsa_kernel
	.section	.text._ZN4vllm25paged_attention_v1_kernelI14__hip_bfloat16hLi112ELi8ELi128ELNS_18Fp8KVCacheDataTypeE1ELb0EEEvPT_PKS3_PKT0_S9_ifPKiSB_iPKfiiiSD_SD_iiiii,"axG",@progbits,_ZN4vllm25paged_attention_v1_kernelI14__hip_bfloat16hLi112ELi8ELi128ELNS_18Fp8KVCacheDataTypeE1ELb0EEEvPT_PKS3_PKT0_S9_ifPKiSB_iPKfiiiSD_SD_iiiii,comdat
.Lfunc_end285:
	.size	_ZN4vllm25paged_attention_v1_kernelI14__hip_bfloat16hLi112ELi8ELi128ELNS_18Fp8KVCacheDataTypeE1ELb0EEEvPT_PKS3_PKT0_S9_ifPKiSB_iPKfiiiSD_SD_iiiii, .Lfunc_end285-_ZN4vllm25paged_attention_v1_kernelI14__hip_bfloat16hLi112ELi8ELi128ELNS_18Fp8KVCacheDataTypeE1ELb0EEEvPT_PKS3_PKT0_S9_ifPKiSB_iPKfiiiSD_SD_iiiii
                                        ; -- End function
	.set _ZN4vllm25paged_attention_v1_kernelI14__hip_bfloat16hLi112ELi8ELi128ELNS_18Fp8KVCacheDataTypeE1ELb0EEEvPT_PKS3_PKT0_S9_ifPKiSB_iPKfiiiSD_SD_iiiii.num_vgpr, 48
	.set _ZN4vllm25paged_attention_v1_kernelI14__hip_bfloat16hLi112ELi8ELi128ELNS_18Fp8KVCacheDataTypeE1ELb0EEEvPT_PKS3_PKT0_S9_ifPKiSB_iPKfiiiSD_SD_iiiii.num_agpr, 0
	.set _ZN4vllm25paged_attention_v1_kernelI14__hip_bfloat16hLi112ELi8ELi128ELNS_18Fp8KVCacheDataTypeE1ELb0EEEvPT_PKS3_PKT0_S9_ifPKiSB_iPKfiiiSD_SD_iiiii.numbered_sgpr, 39
	.set _ZN4vllm25paged_attention_v1_kernelI14__hip_bfloat16hLi112ELi8ELi128ELNS_18Fp8KVCacheDataTypeE1ELb0EEEvPT_PKS3_PKT0_S9_ifPKiSB_iPKfiiiSD_SD_iiiii.num_named_barrier, 0
	.set _ZN4vllm25paged_attention_v1_kernelI14__hip_bfloat16hLi112ELi8ELi128ELNS_18Fp8KVCacheDataTypeE1ELb0EEEvPT_PKS3_PKT0_S9_ifPKiSB_iPKfiiiSD_SD_iiiii.private_seg_size, 0
	.set _ZN4vllm25paged_attention_v1_kernelI14__hip_bfloat16hLi112ELi8ELi128ELNS_18Fp8KVCacheDataTypeE1ELb0EEEvPT_PKS3_PKT0_S9_ifPKiSB_iPKfiiiSD_SD_iiiii.uses_vcc, 1
	.set _ZN4vllm25paged_attention_v1_kernelI14__hip_bfloat16hLi112ELi8ELi128ELNS_18Fp8KVCacheDataTypeE1ELb0EEEvPT_PKS3_PKT0_S9_ifPKiSB_iPKfiiiSD_SD_iiiii.uses_flat_scratch, 0
	.set _ZN4vllm25paged_attention_v1_kernelI14__hip_bfloat16hLi112ELi8ELi128ELNS_18Fp8KVCacheDataTypeE1ELb0EEEvPT_PKS3_PKT0_S9_ifPKiSB_iPKfiiiSD_SD_iiiii.has_dyn_sized_stack, 0
	.set _ZN4vllm25paged_attention_v1_kernelI14__hip_bfloat16hLi112ELi8ELi128ELNS_18Fp8KVCacheDataTypeE1ELb0EEEvPT_PKS3_PKT0_S9_ifPKiSB_iPKfiiiSD_SD_iiiii.has_recursion, 0
	.set _ZN4vllm25paged_attention_v1_kernelI14__hip_bfloat16hLi112ELi8ELi128ELNS_18Fp8KVCacheDataTypeE1ELb0EEEvPT_PKS3_PKT0_S9_ifPKiSB_iPKfiiiSD_SD_iiiii.has_indirect_call, 0
	.section	.AMDGPU.csdata,"",@progbits
; Kernel info:
; codeLenInByte = 4960
; TotalNumSgprs: 45
; NumVgprs: 48
; NumAgprs: 0
; TotalNumVgprs: 48
; ScratchSize: 0
; MemoryBound: 0
; FloatMode: 240
; IeeeMode: 1
; LDSByteSize: 240 bytes/workgroup (compile time only)
; SGPRBlocks: 5
; VGPRBlocks: 5
; NumSGPRsForWavesPerEU: 45
; NumVGPRsForWavesPerEU: 48
; AccumOffset: 48
; Occupancy: 8
; WaveLimiterHint : 1
; COMPUTE_PGM_RSRC2:SCRATCH_EN: 0
; COMPUTE_PGM_RSRC2:USER_SGPR: 2
; COMPUTE_PGM_RSRC2:TRAP_HANDLER: 0
; COMPUTE_PGM_RSRC2:TGID_X_EN: 1
; COMPUTE_PGM_RSRC2:TGID_Y_EN: 1
; COMPUTE_PGM_RSRC2:TGID_Z_EN: 1
; COMPUTE_PGM_RSRC2:TIDIG_COMP_CNT: 0
; COMPUTE_PGM_RSRC3_GFX90A:ACCUM_OFFSET: 11
; COMPUTE_PGM_RSRC3_GFX90A:TG_SPLIT: 0
	.section	.text._ZN4vllm25paged_attention_v1_kernelI14__hip_bfloat16hLi120ELi8ELi128ELNS_18Fp8KVCacheDataTypeE1ELb0EEEvPT_PKS3_PKT0_S9_ifPKiSB_iPKfiiiSD_SD_iiiii,"axG",@progbits,_ZN4vllm25paged_attention_v1_kernelI14__hip_bfloat16hLi120ELi8ELi128ELNS_18Fp8KVCacheDataTypeE1ELb0EEEvPT_PKS3_PKT0_S9_ifPKiSB_iPKfiiiSD_SD_iiiii,comdat
	.protected	_ZN4vllm25paged_attention_v1_kernelI14__hip_bfloat16hLi120ELi8ELi128ELNS_18Fp8KVCacheDataTypeE1ELb0EEEvPT_PKS3_PKT0_S9_ifPKiSB_iPKfiiiSD_SD_iiiii ; -- Begin function _ZN4vllm25paged_attention_v1_kernelI14__hip_bfloat16hLi120ELi8ELi128ELNS_18Fp8KVCacheDataTypeE1ELb0EEEvPT_PKS3_PKT0_S9_ifPKiSB_iPKfiiiSD_SD_iiiii
	.globl	_ZN4vllm25paged_attention_v1_kernelI14__hip_bfloat16hLi120ELi8ELi128ELNS_18Fp8KVCacheDataTypeE1ELb0EEEvPT_PKS3_PKT0_S9_ifPKiSB_iPKfiiiSD_SD_iiiii
	.p2align	8
	.type	_ZN4vllm25paged_attention_v1_kernelI14__hip_bfloat16hLi120ELi8ELi128ELNS_18Fp8KVCacheDataTypeE1ELb0EEEvPT_PKS3_PKT0_S9_ifPKiSB_iPKfiiiSD_SD_iiiii,@function
_ZN4vllm25paged_attention_v1_kernelI14__hip_bfloat16hLi120ELi8ELi128ELNS_18Fp8KVCacheDataTypeE1ELb0EEEvPT_PKS3_PKT0_S9_ifPKiSB_iPKfiiiSD_SD_iiiii: ; @_ZN4vllm25paged_attention_v1_kernelI14__hip_bfloat16hLi120ELi8ELi128ELNS_18Fp8KVCacheDataTypeE1ELb0EEEvPT_PKS3_PKT0_S9_ifPKiSB_iPKfiiiSD_SD_iiiii
; %bb.0:
	s_load_dword s5, s[0:1], 0x80
	s_load_dwordx2 s[6:7], s[0:1], 0x30
	s_load_dwordx2 s[10:11], s[0:1], 0x20
	s_mov_b32 s20, s3
	s_ashr_i32 s21, s3, 31
	s_lshl_b64 s[8:9], s[20:21], 2
	s_waitcnt lgkmcnt(0)
	s_add_u32 s6, s6, s8
	s_addc_u32 s7, s7, s9
	s_abs_i32 s3, s10
	v_cvt_f32_u32_e32 v1, s3
	s_xor_b32 s8, s5, s10
	s_sub_i32 s10, 0, s3
	s_abs_i32 s9, s5
	v_rcp_iflag_f32_e32 v1, v1
	s_ashr_i32 s8, s8, 31
	v_mul_f32_e32 v1, 0x4f7ffffe, v1
	v_cvt_u32_f32_e32 v1, v1
	s_nop 0
	v_readfirstlane_b32 s12, v1
	s_mul_i32 s10, s10, s12
	s_mul_hi_u32 s10, s12, s10
	s_add_i32 s12, s12, s10
	s_mul_hi_u32 s10, s9, s12
	s_mul_i32 s12, s10, s3
	s_sub_i32 s9, s9, s12
	s_add_i32 s12, s10, 1
	s_sub_i32 s13, s9, s3
	s_cmp_ge_u32 s9, s3
	s_cselect_b32 s10, s12, s10
	s_cselect_b32 s9, s13, s9
	s_add_i32 s12, s10, 1
	s_cmp_ge_u32 s9, s3
	s_cselect_b32 s3, s12, s10
	s_xor_b32 s3, s3, s8
	s_sub_i32 s12, s3, s8
	s_abs_i32 s16, s12
	v_cvt_f32_u32_e32 v1, s16
	s_load_dwordx2 s[8:9], s[0:1], 0x40
	s_sub_i32 s3, 0, s16
	s_abs_i32 s17, s2
	v_rcp_iflag_f32_e32 v1, v1
	s_mov_b32 s10, 0
	v_mul_f32_e32 v1, 0x4f7ffffe, v1
	v_cvt_u32_f32_e32 v1, v1
	s_nop 0
	v_readfirstlane_b32 s13, v1
	s_mul_i32 s3, s3, s13
	s_mul_hi_u32 s3, s13, s3
	s_add_i32 s13, s13, s3
	s_waitcnt lgkmcnt(0)
	s_cmp_eq_u64 s[8:9], 0
	s_mul_hi_u32 s18, s17, s13
	s_cbranch_scc1 .LBB286_2
; %bb.1:
	s_ashr_i32 s3, s2, 31
	s_lshl_b64 s[14:15], s[2:3], 2
	s_add_u32 s8, s8, s14
	s_addc_u32 s9, s9, s15
	s_load_dword s10, s[8:9], 0x0
.LBB286_2:
	s_load_dword s21, s[6:7], 0x0
	s_ashr_i32 s9, s12, 31
	s_load_dwordx4 s[12:15], s[0:1], 0x48
	s_movk_i32 s3, 0x78
	s_ashr_i32 s8, s2, 31
	v_and_b32_e32 v2, 7, v0
	s_mul_i32 s22, s2, 0x78
	v_cmp_gt_u32_e64 s[6:7], s3, v0
	v_lshlrev_b32_e32 v10, 1, v0
	s_and_saveexec_b64 s[2:3], s[6:7]
	s_cbranch_execz .LBB286_4
; %bb.3:
	s_load_dwordx2 s[24:25], s[0:1], 0x8
	s_waitcnt lgkmcnt(0)
	s_mul_i32 s26, s12, s20
	s_ashr_i32 s27, s26, 31
	s_lshl_b64 s[26:27], s[26:27], 1
	v_lshrrev_b32_e32 v3, 2, v0
	s_add_u32 s12, s24, s26
	s_addc_u32 s15, s25, s27
	s_ashr_i32 s23, s22, 31
	s_lshl_b64 s[24:25], s[22:23], 1
	s_add_u32 s24, s12, s24
	s_addc_u32 s25, s15, s25
	global_load_ushort v1, v10, s[24:25]
	v_and_b32_e32 v3, 0xfe, v3
	v_mad_u32_u24 v3, v2, 30, v3
	s_waitcnt vmcnt(0)
	ds_write_b16 v3, v1
.LBB286_4:
	s_or_b64 exec, exec, s[2:3]
	s_waitcnt lgkmcnt(0)
	s_add_i32 s3, s21, 7
	s_ashr_i32 s12, s3, 31
	s_lshr_b32 s12, s12, 29
	s_add_i32 s3, s3, s12
	s_ashr_i32 s33, s3, 3
	s_xor_b32 s3, s8, s9
	s_mul_i32 s8, s18, s16
	s_sub_i32 s8, s17, s8
	s_add_i32 s9, s18, 1
	s_sub_i32 s12, s8, s16
	s_load_dwordx2 s[26:27], s[0:1], 0x28
	s_load_dword s2, s[0:1], 0x38
	s_cmp_ge_u32 s8, s16
	s_cselect_b32 s9, s9, s18
	s_cselect_b32 s8, s12, s8
	s_add_i32 s12, s9, 1
	s_cmp_ge_u32 s8, s16
	s_cselect_b32 s8, s12, s9
	v_lshrrev_b32_e32 v1, 6, v0
	s_xor_b32 s8, s8, s3
	s_waitcnt lgkmcnt(0)
	s_mul_i32 s28, s2, s20
	s_sub_i32 s12, s8, s3
	s_ashr_i32 s29, s28, 31
	v_cmp_gt_i32_e64 s[2:3], s33, v1
	v_cmp_le_i32_e32 vcc, s33, v1
	v_mbcnt_lo_u32_b32 v3, -1, 0
	s_barrier
                                        ; implicit-def: $vgpr7
                                        ; implicit-def: $vgpr9
                                        ; implicit-def: $vgpr8
	s_and_saveexec_b64 s[8:9], vcc
	s_xor_b64 s[8:9], exec, s[8:9]
; %bb.5:
	v_mbcnt_hi_u32_b32 v7, -1, v3
	v_and_b32_e32 v9, 64, v7
	v_add_u32_e32 v8, 64, v9
                                        ; implicit-def: $vgpr2
                                        ; implicit-def: $vgpr3
; %bb.6:
	s_or_saveexec_b64 s[34:35], s[8:9]
	s_load_dwordx2 s[24:25], s[0:1], 0x0
	s_load_dwordx2 s[30:31], s[0:1], 0x18
	s_load_dword s23, s[0:1], 0x88
	s_load_dwordx4 s[16:19], s[0:1], 0x58
	v_mov_b32_e32 v26, 0xff7fffff
	s_mul_i32 s12, s12, s14
	v_lshrrev_b32_e32 v6, 4, v0
	s_xor_b64 exec, exec, s[34:35]
	s_cbranch_execz .LBB286_12
; %bb.7:
	s_load_dwordx2 s[0:1], s[0:1], 0x10
	s_ashr_i32 s8, s12, 31
	v_bfe_u32 v26, v0, 3, 3
	v_lshlrev_b32_e32 v4, 4, v26
	v_mul_u32_u24_e32 v7, 30, v2
	s_waitcnt lgkmcnt(0)
	s_add_u32 s0, s0, s12
	s_addc_u32 s1, s1, s8
	v_mov_b32_e32 v5, 0
	ds_read_b128 v[16:19], v7
	v_lshl_add_u64 v[30:31], s[0:1], 0, v[4:5]
	ds_read_b96 v[22:24], v7 offset:16
	ds_read_u16 v4, v7 offset:28
	v_mbcnt_hi_u32_b32 v7, -1, v3
	v_and_b32_e32 v9, 64, v7
	v_add_u32_e32 v8, 64, v9
	v_xor_b32_e32 v3, 4, v7
	v_cmp_lt_i32_e32 vcc, v3, v8
	s_load_dword s37, s[16:17], 0x0
	s_waitcnt lgkmcnt(0)
	v_lshlrev_b32_e32 v25, 16, v4
	v_cndmask_b32_e32 v3, v7, v3, vcc
	v_lshlrev_b32_e32 v27, 2, v3
	v_xor_b32_e32 v3, 2, v7
	v_cmp_lt_i32_e32 vcc, v3, v8
	s_sub_i32 s38, 1, s21
	v_lshlrev_b32_e32 v4, 2, v26
	v_cndmask_b32_e32 v3, v7, v3, vcc
	v_lshlrev_b32_e32 v28, 2, v3
	v_xor_b32_e32 v3, 1, v7
	v_cmp_lt_i32_e32 vcc, v3, v8
	s_lshl_b64 s[8:9], s[28:29], 2
	v_lshl_or_b32 v4, v1, 5, v4
	v_cndmask_b32_e32 v3, v7, v3, vcc
	v_lshlrev_b32_e32 v29, 2, v3
	v_mov_b32_e32 v3, v5
	s_add_u32 s8, s26, s8
	v_cmp_eq_u32_e32 vcc, 0, v2
	v_lshl_add_u64 v[2:3], v[30:31], 0, v[2:3]
	v_add_u32_e32 v31, 0x100, v4
	v_and_b32_e32 v4, 60, v6
	s_addc_u32 s9, s27, s9
	s_mov_b32 s36, s13
	v_lshlrev_b32_e32 v11, 16, v16
	v_and_b32_e32 v12, 0xffff0000, v16
	v_lshlrev_b32_e32 v13, 16, v17
	v_and_b32_e32 v14, 0xffff0000, v17
	v_lshlrev_b32_e32 v15, 16, v18
	v_and_b32_e32 v16, 0xffff0000, v18
	v_lshlrev_b32_e32 v17, 16, v19
	v_and_b32_e32 v18, 0xffff0000, v19
	v_lshlrev_b32_e32 v19, 16, v22
	v_and_b32_e32 v20, 0xffff0000, v22
	v_lshlrev_b32_e32 v21, 16, v23
	v_and_b32_e32 v22, 0xffff0000, v23
	v_lshlrev_b32_e32 v23, 16, v24
	v_and_b32_e32 v24, 0xffff0000, v24
	v_cmp_neq_f32_e64 s[0:1], s10, 0
	v_lshl_or_b32 v30, v1, 3, v26
	v_lshl_add_u64 v[4:5], s[8:9], 0, v[4:5]
	v_mov_b32_e32 v26, 0xff7fffff
	s_mov_b64 s[14:15], 0
	v_mov_b32_e32 v32, v1
	s_branch .LBB286_9
.LBB286_8:                              ;   in Loop: Header=BB286_9 Depth=1
	s_or_b64 exec, exec, s[16:17]
	v_add_u32_e32 v32, 2, v32
	v_cmp_le_i32_e64 s[8:9], s33, v32
	v_add_u32_e32 v30, 16, v30
	v_add_u32_e32 v31, 64, v31
	s_or_b64 s[14:15], s[8:9], s[14:15]
	v_lshl_add_u64 v[4:5], v[4:5], 0, 8
	s_andn2_b64 exec, exec, s[14:15]
	s_cbranch_execz .LBB286_11
.LBB286_9:                              ; =>This Inner Loop Header: Depth=1
	global_load_dword v33, v[4:5], off
	s_waitcnt vmcnt(0) lgkmcnt(0)
	v_mad_i64_i32 v[34:35], s[8:9], v33, s36, v[2:3]
	global_load_ubyte v33, v[34:35], off
	global_load_ubyte v36, v[34:35], off offset:8
	global_load_ubyte v37, v[34:35], off offset:128
	;; [unrolled: 1-line block ×14, first 2 shown]
	s_waitcnt vmcnt(14)
	v_cvt_f32_fp8_e32 v33, v33
	s_waitcnt vmcnt(13)
	v_cvt_f32_fp8_e32 v34, v36
	;; [unrolled: 2-line block ×5, first 2 shown]
	v_mul_f32_e32 v34, s37, v34
	s_waitcnt vmcnt(9)
	v_cvt_f32_fp8_e32 v38, v40
	v_mul_f32_e32 v33, s37, v33
	v_cvt_pk_bf16_f32 v34, v34, s0
	s_waitcnt vmcnt(8)
	v_cvt_f32_fp8_e32 v39, v41
	v_mul_f32_e32 v35, s37, v35
	v_cvt_pk_bf16_f32 v33, v33, s0
	v_lshlrev_b32_e32 v34, 16, v34
	s_waitcnt vmcnt(7)
	v_cvt_f32_fp8_e32 v40, v42
	v_mul_f32_e32 v36, s37, v36
	v_cvt_pk_bf16_f32 v35, v35, s0
	v_lshlrev_b32_e32 v33, 16, v33
	v_mul_f32_e32 v34, v12, v34
	s_waitcnt vmcnt(6)
	v_cvt_f32_fp8_e32 v41, v43
	v_mul_f32_e32 v37, s37, v37
	v_cvt_pk_bf16_f32 v36, v36, s0
	v_lshlrev_b32_e32 v35, 16, v35
	v_fmac_f32_e32 v34, v11, v33
	s_waitcnt vmcnt(5)
	v_cvt_f32_fp8_e32 v42, v44
	v_mul_f32_e32 v38, s37, v38
	v_cvt_pk_bf16_f32 v37, v37, s0
	v_lshlrev_b32_e32 v36, 16, v36
	v_fmac_f32_e32 v34, v13, v35
	;; [unrolled: 6-line block ×7, first 2 shown]
	v_mul_f32_e32 v44, s37, v44
	v_cvt_pk_bf16_f32 v43, v43, s0
	v_lshlrev_b32_e32 v42, 16, v42
	v_fmac_f32_e32 v34, v19, v41
	v_mul_f32_e32 v45, s37, v45
	v_cvt_pk_bf16_f32 v44, v44, s0
	v_lshlrev_b32_e32 v43, 16, v43
	v_fmac_f32_e32 v34, v20, v42
	v_mul_f32_e32 v46, s37, v46
	v_cvt_pk_bf16_f32 v45, v45, s0
	v_lshlrev_b32_e32 v44, 16, v44
	v_fmac_f32_e32 v34, v21, v43
	v_mul_f32_e32 v47, s37, v47
	v_cvt_pk_bf16_f32 v46, v46, s0
	v_lshlrev_b32_e32 v45, 16, v45
	v_fmac_f32_e32 v34, v22, v44
	v_cvt_pk_bf16_f32 v47, v47, s0
	v_lshlrev_b32_e32 v46, 16, v46
	v_fmac_f32_e32 v34, v23, v45
	v_fmac_f32_e32 v34, v24, v46
	v_lshlrev_b32_e32 v33, 16, v47
	v_fmac_f32_e32 v34, v25, v33
	ds_bpermute_b32 v33, v27, v34
	s_waitcnt lgkmcnt(0)
	v_add_f32_e32 v33, v34, v33
	ds_bpermute_b32 v34, v28, v33
	s_waitcnt lgkmcnt(0)
	v_add_f32_e32 v33, v33, v34
	ds_bpermute_b32 v34, v29, v33
	s_and_saveexec_b64 s[16:17], vcc
	s_cbranch_execz .LBB286_8
; %bb.10:                               ;   in Loop: Header=BB286_9 Depth=1
	v_add_u32_e32 v35, s38, v30
	v_cvt_f32_i32_e32 v35, v35
	s_waitcnt lgkmcnt(0)
	v_add_f32_e32 v33, v33, v34
	v_cmp_gt_i32_e64 s[8:9], s21, v30
	v_max_f32_e32 v34, v26, v26
	v_mul_f32_e32 v35, s10, v35
	v_cndmask_b32_e64 v35, 0, v35, s[0:1]
	v_fmac_f32_e32 v35, s11, v33
	v_cndmask_b32_e64 v33, 0, v35, s[8:9]
	ds_write_b32 v31, v33
	v_max_f32_e32 v33, v34, v35
	v_cndmask_b32_e64 v26, v26, v33, s[8:9]
	s_branch .LBB286_8
.LBB286_11:
	s_or_b64 exec, exec, s[14:15]
.LBB286_12:
	s_or_b64 exec, exec, s[34:35]
	v_xor_b32_e32 v2, 32, v7
	v_cmp_lt_i32_e32 vcc, v2, v8
	v_xor_b32_e32 v5, 16, v7
	v_max_f32_e32 v4, v26, v26
	v_cndmask_b32_e32 v2, v7, v2, vcc
	v_lshlrev_b32_e32 v3, 2, v2
	ds_bpermute_b32 v2, v3, v26
	v_cmp_lt_i32_e32 vcc, v5, v8
	v_xor_b32_e32 v11, 8, v7
	s_waitcnt lgkmcnt(0)
	v_max_f32_e32 v2, v2, v2
	v_max_f32_e32 v2, v4, v2
	v_cndmask_b32_e32 v4, v7, v5, vcc
	v_lshlrev_b32_e32 v5, 2, v4
	ds_bpermute_b32 v4, v5, v2
	v_cmp_lt_i32_e32 vcc, v11, v8
	s_waitcnt lgkmcnt(0)
	v_max_f32_e32 v4, v4, v4
	v_max_f32_e32 v4, v2, v4
	v_cndmask_b32_e32 v2, v7, v11, vcc
	v_lshlrev_b32_e32 v13, 2, v2
	ds_bpermute_b32 v12, v13, v4
	v_and_b32_e32 v11, 63, v0
	v_cmp_eq_u32_e32 vcc, 0, v11
	v_lshlrev_b32_e32 v2, 2, v1
	s_and_saveexec_b64 s[0:1], vcc
	s_cbranch_execz .LBB286_14
; %bb.13:
	s_waitcnt lgkmcnt(0)
	v_max_f32_e32 v12, v12, v12
	v_max_f32_e32 v4, v4, v4
	;; [unrolled: 1-line block ×3, first 2 shown]
	ds_write_b32 v2, v4 offset:240
.LBB286_14:
	s_or_b64 exec, exec, s[0:1]
	v_cmp_gt_u32_e64 s[0:1], 2, v11
	v_mov_b32_e32 v14, 0xff7fffff
	v_lshlrev_b32_e32 v4, 2, v11
	s_waitcnt lgkmcnt(0)
	s_barrier
	s_and_saveexec_b64 s[8:9], s[0:1]
; %bb.15:
	ds_read_b32 v14, v4 offset:240
; %bb.16:
	s_or_b64 exec, exec, s[8:9]
	v_xor_b32_e32 v12, 1, v7
	v_cmp_lt_i32_e64 s[8:9], v12, v8
	v_lshlrev_b32_e32 v9, 2, v9
	s_nop 0
	v_cndmask_b32_e64 v12, v7, v12, s[8:9]
	v_lshlrev_b32_e32 v12, 2, v12
	s_waitcnt lgkmcnt(0)
	ds_bpermute_b32 v15, v12, v14
	v_max_f32_e32 v14, v14, v14
	s_lshl_b32 s8, s33, 3
	s_min_i32 s34, s8, s21
	v_cmp_gt_i32_e64 s[8:9], s34, v0
	s_waitcnt lgkmcnt(0)
	v_max_f32_e32 v15, v15, v15
	v_max_f32_e32 v14, v14, v15
	ds_bpermute_b32 v14, v9, v14
	v_mov_b32_e32 v9, 0
	s_and_saveexec_b64 s[14:15], s[8:9]
	s_cbranch_execz .LBB286_20
; %bb.17:
	v_mov_b32_e32 v9, 0x100
	v_lshl_add_u32 v15, v0, 2, v9
	v_mov_b32_e32 v9, 0
	s_mov_b64 s[16:17], 0
	v_mov_b32_e32 v16, v0
.LBB286_18:                             ; =>This Inner Loop Header: Depth=1
	ds_read_b32 v17, v15
	v_add_u32_e32 v16, 0x80, v16
	v_cmp_le_i32_e64 s[10:11], s34, v16
	s_or_b64 s[16:17], s[10:11], s[16:17]
	s_waitcnt lgkmcnt(0)
	v_sub_f32_e32 v17, v17, v14
	v_mul_f32_e32 v17, 0x3fb8aa3b, v17
	v_exp_f32_e32 v17, v17
	ds_write_b32 v15, v17
	v_add_f32_e32 v9, v9, v17
	v_add_u32_e32 v15, 0x200, v15
	s_andn2_b64 exec, exec, s[16:17]
	s_cbranch_execnz .LBB286_18
; %bb.19:
	s_or_b64 exec, exec, s[16:17]
.LBB286_20:
	s_or_b64 exec, exec, s[14:15]
	ds_bpermute_b32 v3, v3, v9
	s_waitcnt lgkmcnt(0)
	v_add_f32_e32 v3, v9, v3
	ds_bpermute_b32 v5, v5, v3
	v_xor_b32_e32 v9, 4, v7
	v_cmp_lt_i32_e64 s[10:11], v9, v8
	s_waitcnt lgkmcnt(0)
	v_add_f32_e32 v3, v3, v5
	ds_bpermute_b32 v5, v13, v3
	v_cndmask_b32_e64 v9, v7, v9, s[10:11]
	v_lshlrev_b32_e32 v9, 2, v9
	s_waitcnt lgkmcnt(0)
	v_add_f32_e32 v3, v3, v5
	ds_bpermute_b32 v5, v9, v3
	v_xor_b32_e32 v9, 2, v7
	v_cmp_lt_i32_e64 s[10:11], v9, v8
	s_waitcnt lgkmcnt(0)
	v_add_f32_e32 v3, v3, v5
	v_cndmask_b32_e64 v8, v7, v9, s[10:11]
	v_lshlrev_b32_e32 v5, 2, v8
	ds_bpermute_b32 v5, v5, v3
	s_waitcnt lgkmcnt(0)
	v_add_f32_e32 v3, v3, v5
	ds_bpermute_b32 v5, v12, v3
	s_waitcnt lgkmcnt(0)
	v_add_f32_e32 v3, v3, v5
	s_and_saveexec_b64 s[10:11], vcc
; %bb.21:
	ds_write_b32 v2, v3 offset:248
; %bb.22:
	s_or_b64 exec, exec, s[10:11]
	s_waitcnt lgkmcnt(0)
	s_barrier
	s_and_saveexec_b64 s[10:11], s[0:1]
; %bb.23:
	ds_read_b32 v3, v4 offset:248
; %bb.24:
	s_or_b64 exec, exec, s[10:11]
	s_waitcnt lgkmcnt(0)
	ds_bpermute_b32 v2, v12, v3
	v_lshlrev_b32_e32 v4, 2, v7
	s_waitcnt lgkmcnt(0)
	v_add_f32_e32 v2, v3, v2
	v_and_b32_e32 v3, 0xffffff00, v4
	ds_bpermute_b32 v2, v3, v2
	s_and_saveexec_b64 s[0:1], s[8:9]
	s_cbranch_execz .LBB286_37
; %bb.25:
	s_waitcnt lgkmcnt(0)
	v_add_f32_e32 v2, 0x358637bd, v2
	v_div_scale_f32 v3, s[8:9], v2, v2, 1.0
	v_rcp_f32_e32 v4, v3
	v_div_scale_f32 v5, vcc, 1.0, v2, 1.0
	s_movk_i32 s8, 0x7f
	v_fma_f32 v7, -v3, v4, 1.0
	v_fmac_f32_e32 v4, v7, v4
	v_mul_f32_e32 v7, v5, v4
	v_fma_f32 v8, -v3, v7, v5
	v_fmac_f32_e32 v7, v8, v4
	v_fma_f32 v3, -v3, v7, v5
	v_div_fmas_f32 v3, v3, v4, v7
	v_xad_u32 v4, v0, -1, s34
	v_div_fixup_f32 v2, v3, v2, 1.0
	v_cmp_lt_u32_e32 vcc, s8, v4
	s_mov_b64 s[10:11], -1
	v_mov_b32_e32 v3, v0
	s_and_saveexec_b64 s[8:9], vcc
	s_cbranch_execz .LBB286_34
; %bb.26:
	v_lshrrev_b32_e32 v4, 7, v4
	v_add_u32_e32 v7, -1, v4
	v_lshrrev_b32_e32 v5, 1, v7
	v_mov_b32_e32 v3, v2
	v_add_u32_e32 v5, 1, v5
	v_cmp_lt_u32_e32 vcc, 13, v7
	v_mov_b32_e32 v9, 0
	s_and_saveexec_b64 s[10:11], vcc
	s_cbranch_execz .LBB286_30
; %bb.27:
	v_mov_b32_e32 v8, 0x100
	v_and_b32_e32 v7, -8, v5
	v_lshl_add_u32 v8, v0, 2, v8
	s_mov_b32 s16, 0
	s_mov_b64 s[14:15], 0
.LBB286_28:                             ; =>This Inner Loop Header: Depth=1
	ds_read2st64_b32 v[12:13], v8 offset1:2
	ds_read2st64_b32 v[14:15], v8 offset0:4 offset1:6
	ds_read2st64_b32 v[16:17], v8 offset0:8 offset1:10
	;; [unrolled: 1-line block ×3, first 2 shown]
	v_add_u32_e32 v7, -8, v7
	s_waitcnt lgkmcnt(3)
	v_pk_mul_f32 v[12:13], v[2:3], v[12:13]
	s_waitcnt lgkmcnt(2)
	v_pk_mul_f32 v[14:15], v[2:3], v[14:15]
	ds_write2st64_b32 v8, v12, v13 offset1:2
	ds_write2st64_b32 v8, v14, v15 offset0:4 offset1:6
	ds_read2st64_b32 v[14:15], v8 offset0:16 offset1:18
	s_waitcnt lgkmcnt(4)
	v_pk_mul_f32 v[12:13], v[2:3], v[16:17]
	ds_write2st64_b32 v8, v12, v13 offset0:8 offset1:10
	s_waitcnt lgkmcnt(4)
	v_pk_mul_f32 v[12:13], v[2:3], v[18:19]
	ds_write2st64_b32 v8, v12, v13 offset0:12 offset1:14
	ds_read2st64_b32 v[12:13], v8 offset0:20 offset1:22
	s_waitcnt lgkmcnt(3)
	v_pk_mul_f32 v[14:15], v[2:3], v[14:15]
	ds_read2st64_b32 v[16:17], v8 offset0:24 offset1:26
	ds_write2st64_b32 v8, v14, v15 offset0:16 offset1:18
	ds_read2st64_b32 v[14:15], v8 offset0:28 offset1:30
	s_waitcnt lgkmcnt(3)
	v_pk_mul_f32 v[12:13], v[2:3], v[12:13]
	ds_write2st64_b32 v8, v12, v13 offset0:20 offset1:22
	s_waitcnt lgkmcnt(3)
	v_pk_mul_f32 v[12:13], v[2:3], v[16:17]
	ds_write2st64_b32 v8, v12, v13 offset0:24 offset1:26
	s_waitcnt lgkmcnt(2)
	v_pk_mul_f32 v[12:13], v[2:3], v[14:15]
	s_add_i32 s16, s16, 16
	v_cmp_eq_u32_e32 vcc, 0, v7
	ds_write2st64_b32 v8, v12, v13 offset0:28 offset1:30
	v_add_u32_e32 v8, 0x2000, v8
	s_or_b64 s[14:15], vcc, s[14:15]
	v_mov_b32_e32 v9, s16
	s_andn2_b64 exec, exec, s[14:15]
	s_cbranch_execnz .LBB286_28
; %bb.29:
	s_or_b64 exec, exec, s[14:15]
.LBB286_30:
	s_or_b64 exec, exec, s[10:11]
	v_and_b32_e32 v5, 7, v5
	v_cmp_ne_u32_e32 vcc, 0, v5
	s_and_saveexec_b64 s[10:11], vcc
	s_cbranch_execz .LBB286_33
; %bb.31:
	v_lshlrev_b32_e32 v7, 9, v9
	v_lshlrev_b32_e32 v8, 2, v0
	s_movk_i32 s14, 0x100
	v_add3_u32 v7, v7, v8, s14
	s_mov_b64 s[14:15], 0
.LBB286_32:                             ; =>This Inner Loop Header: Depth=1
	ds_read2st64_b32 v[8:9], v7 offset1:2
	v_add_u32_e32 v5, -1, v5
	v_cmp_eq_u32_e32 vcc, 0, v5
	s_or_b64 s[14:15], vcc, s[14:15]
	s_waitcnt lgkmcnt(0)
	v_pk_mul_f32 v[8:9], v[2:3], v[8:9]
	ds_write2st64_b32 v7, v8, v9 offset1:2
	v_add_u32_e32 v7, 0x400, v7
	s_andn2_b64 exec, exec, s[14:15]
	s_cbranch_execnz .LBB286_32
.LBB286_33:
	s_or_b64 exec, exec, s[10:11]
	v_add_u32_e32 v4, 1, v4
	v_and_b32_e32 v5, 0x3fffffe, v4
	v_cmp_ne_u32_e32 vcc, v4, v5
	v_lshl_add_u32 v3, v5, 7, v0
	s_orn2_b64 s[10:11], vcc, exec
.LBB286_34:
	s_or_b64 exec, exec, s[8:9]
	s_and_b64 exec, exec, s[10:11]
	s_cbranch_execz .LBB286_37
; %bb.35:
	v_mov_b32_e32 v4, 0x100
	v_lshl_add_u32 v4, v3, 2, v4
	s_mov_b64 s[8:9], 0
.LBB286_36:                             ; =>This Inner Loop Header: Depth=1
	ds_read_b32 v5, v4
	v_add_u32_e32 v3, 0x80, v3
	v_cmp_le_i32_e32 vcc, s34, v3
	s_or_b64 s[8:9], vcc, s[8:9]
	s_waitcnt lgkmcnt(0)
	v_mul_f32_e32 v5, v2, v5
	ds_write_b32 v4, v5
	v_add_u32_e32 v4, 0x200, v4
	s_andn2_b64 exec, exec, s[8:9]
	s_cbranch_execnz .LBB286_36
.LBB286_37:
	s_or_b64 exec, exec, s[0:1]
	v_mov_b32_e32 v13, 0
	v_mov_b32_e32 v22, v13
	s_waitcnt lgkmcnt(0)
	s_barrier
	s_and_saveexec_b64 s[8:9], s[2:3]
	s_cbranch_execz .LBB286_47
; %bb.38:
	s_ashr_i32 s1, s12, 31
	s_add_u32 s0, s30, s12
	s_load_dword s18, s[18:19], 0x0
	v_or_b32_e32 v2, 64, v11
	s_movk_i32 s2, 0x78
	s_addc_u32 s1, s31, s1
	s_add_i32 s17, s33, -1
	v_cmp_gt_u32_e32 vcc, s2, v2
	s_lshl_b64 s[2:3], s[28:29], 2
	v_mov_b32_e32 v15, 0
	v_lshlrev_b32_e32 v16, 3, v2
	v_mov_b32_e32 v2, 0x100
	s_add_u32 s2, s26, s2
	v_lshl_add_u32 v27, v1, 5, v2
	v_and_b32_e32 v2, 60, v6
	v_mov_b32_e32 v3, v15
	s_addc_u32 s3, s27, s3
	s_mov_b32 s16, s13
	v_lshlrev_b32_e32 v14, 3, v11
	v_mov_b32_e32 v17, v15
	v_lshl_or_b32 v26, v1, 3, 7
	v_lshl_add_u64 v[18:19], s[2:3], 0, v[2:3]
	s_mov_b64 s[10:11], 0
	v_mov_b64_e32 v[20:21], s[0:1]
	v_mov_b32_e32 v12, v15
	v_mov_b32_e32 v13, v15
	s_branch .LBB286_41
.LBB286_39:                             ;   in Loop: Header=BB286_41 Depth=1
	s_or_b64 exec, exec, s[14:15]
	v_cvt_pk_bf16_f32 v6, v6, v7
	v_cvt_pk_bf16_f32 v2, v2, v3
	;; [unrolled: 1-line block ×3, first 2 shown]
	v_lshlrev_b32_e32 v4, 16, v6
	v_lshlrev_b32_e32 v5, 16, v33
	v_cvt_pk_bf16_f32 v7, v8, v9
	v_mul_f32_e32 v4, v4, v5
	v_and_b32_e32 v5, 0xffff0000, v6
	v_lshlrev_b32_e32 v6, 16, v32
	v_mul_f32_e32 v5, v5, v6
	v_lshlrev_b32_e32 v6, 16, v7
	v_lshlrev_b32_e32 v8, 16, v31
	v_mul_f32_e32 v6, v6, v8
	v_and_b32_e32 v7, 0xffff0000, v7
	v_lshlrev_b32_e32 v8, 16, v30
	v_mul_f32_e32 v7, v7, v8
	v_lshlrev_b32_e32 v8, 16, v2
	v_lshlrev_b32_e32 v9, 16, v29
	v_mul_f32_e32 v8, v8, v9
	v_and_b32_e32 v2, 0xffff0000, v2
	v_lshlrev_b32_e32 v9, 16, v25
	v_mul_f32_e32 v2, v2, v9
	v_cvt_pk_bf16_f32 v9, v2, s0
	v_lshlrev_b32_e32 v2, 16, v3
	v_lshlrev_b32_e32 v24, 16, v24
	v_mul_f32_e32 v2, v2, v24
	v_cvt_pk_bf16_f32 v24, v2, s0
	v_and_b32_e32 v2, 0xffff0000, v3
	v_lshlrev_b32_e32 v3, 16, v23
	v_cvt_pk_bf16_f32 v4, v4, s0
	v_cvt_pk_bf16_f32 v5, v5, s0
	;; [unrolled: 1-line block ×4, first 2 shown]
	v_mul_f32_e32 v2, v2, v3
	v_cvt_pk_bf16_f32 v8, v8, s0
	v_cvt_pk_bf16_f32 v23, v2, s0
	v_lshlrev_b32_e32 v3, 16, v5
	v_lshlrev_b32_e32 v5, 16, v4
	;; [unrolled: 1-line block ×4, first 2 shown]
	v_pk_add_f32 v[2:3], v[4:5], v[2:3]
	v_lshlrev_b32_e32 v5, 16, v9
	v_lshlrev_b32_e32 v7, 16, v8
	;; [unrolled: 1-line block ×4, first 2 shown]
	v_pk_add_f32 v[4:5], v[6:7], v[4:5]
	v_add_f32_e32 v2, v2, v3
	v_add_f32_e32 v2, v5, v2
	v_add_f32_e32 v2, v4, v2
	v_pk_add_f32 v[12:13], v[12:13], v[2:3] op_sel_hi:[1,0]
.LBB286_40:                             ;   in Loop: Header=BB286_41 Depth=1
	s_or_b64 exec, exec, s[12:13]
	v_add_u32_e32 v1, 2, v1
	v_cmp_le_i32_e64 s[0:1], s33, v1
	v_add_u32_e32 v26, 16, v26
	v_add_u32_e32 v27, 64, v27
	v_lshl_add_u64 v[18:19], v[18:19], 0, 8
	s_or_b64 s[10:11], s[0:1], s[10:11]
	v_mov_b32_e32 v12, v22
	s_andn2_b64 exec, exec, s[10:11]
	s_cbranch_execz .LBB286_46
.LBB286_41:                             ; =>This Inner Loop Header: Depth=1
	global_load_dword v2, v[18:19], off
	v_add_u32_e32 v28, -7, v26
	v_cmp_eq_u32_e64 s[2:3], s17, v1
	s_waitcnt vmcnt(0)
	v_mad_i64_i32 v[24:25], s[0:1], v2, s16, v[20:21]
	v_lshl_add_u64 v[2:3], v[24:25], 0, v[14:15]
	global_load_dwordx2 v[22:23], v[2:3], off
	ds_read2_b64 v[6:9], v27 offset1:1
	ds_read2_b64 v[2:5], v27 offset0:2 offset1:3
	s_waitcnt vmcnt(0)
	v_and_b32_e32 v29, 0xff, v22
	v_bfe_u32 v30, v22, 8, 8
	v_bfe_u32 v31, v22, 16, 8
	v_lshrrev_b32_e32 v22, 24, v22
	v_and_b32_e32 v32, 0xff, v23
	v_bfe_u32 v33, v23, 8, 8
	v_bfe_u32 v34, v23, 16, 8
	v_lshrrev_b32_e32 v23, 24, v23
	v_cvt_f32_fp8_e32 v29, v29
	v_cvt_f32_fp8_e32 v30, v30
	;; [unrolled: 1-line block ×8, first 2 shown]
	s_waitcnt lgkmcnt(0)
	v_mul_f32_e32 v29, s18, v29
	v_mul_f32_e32 v30, s18, v30
	;; [unrolled: 1-line block ×8, first 2 shown]
	v_cvt_pk_bf16_f32 v34, v29, s0
	v_cvt_pk_bf16_f32 v33, v30, s0
	;; [unrolled: 1-line block ×8, first 2 shown]
	s_and_saveexec_b64 s[12:13], s[2:3]
	s_cbranch_execz .LBB286_43
; %bb.42:                               ;   in Loop: Header=BB286_41 Depth=1
	v_cmp_gt_i32_e64 s[0:1], s21, v28
	v_add_u32_e32 v35, -6, v26
	s_nop 0
	v_cndmask_b32_e64 v34, 0, v34, s[0:1]
	v_cmp_gt_i32_e64 s[0:1], s21, v35
	v_add_u32_e32 v35, -5, v26
	s_nop 0
	v_cndmask_b32_e64 v33, 0, v33, s[0:1]
	v_cmp_gt_i32_e64 s[0:1], s21, v35
	v_add_u32_e32 v35, -4, v26
	s_nop 0
	v_cndmask_b32_e64 v32, 0, v32, s[0:1]
	v_cmp_gt_i32_e64 s[0:1], s21, v35
	v_add_u32_e32 v35, -3, v26
	s_nop 0
	v_cndmask_b32_e64 v31, 0, v31, s[0:1]
	v_cmp_gt_i32_e64 s[0:1], s21, v35
	v_add_u32_e32 v35, -2, v26
	s_nop 0
	v_cndmask_b32_e64 v30, 0, v30, s[0:1]
	v_cmp_gt_i32_e64 s[0:1], s21, v35
	v_add_u32_e32 v35, -1, v26
	s_nop 0
	v_cndmask_b32_e64 v29, 0, v29, s[0:1]
	v_cmp_gt_i32_e64 s[0:1], s21, v35
	s_nop 1
	v_cndmask_b32_e64 v23, 0, v23, s[0:1]
	v_cmp_gt_i32_e64 s[0:1], s21, v26
	s_nop 1
	v_cndmask_b32_e64 v22, 0, v22, s[0:1]
.LBB286_43:                             ;   in Loop: Header=BB286_41 Depth=1
	s_or_b64 exec, exec, s[12:13]
	v_cvt_pk_bf16_f32 v35, v6, s0
	v_cvt_pk_bf16_f32 v36, v7, s0
	v_lshlrev_b32_e32 v35, 16, v35
	v_lshlrev_b32_e32 v34, 16, v34
	v_cvt_pk_bf16_f32 v37, v8, s0
	v_mul_f32_e32 v34, v35, v34
	v_lshlrev_b32_e32 v35, 16, v36
	v_lshlrev_b32_e32 v33, 16, v33
	v_cvt_pk_bf16_f32 v38, v9, s0
	v_mul_f32_e32 v33, v35, v33
	v_lshlrev_b32_e32 v35, 16, v37
	v_lshlrev_b32_e32 v32, 16, v32
	v_mul_f32_e32 v32, v35, v32
	v_lshlrev_b32_e32 v35, 16, v38
	v_lshlrev_b32_e32 v31, 16, v31
	v_cvt_pk_bf16_f32 v39, v2, s0
	v_mul_f32_e32 v31, v35, v31
	v_cvt_pk_bf16_f32 v35, v31, s0
	v_lshlrev_b32_e32 v31, 16, v39
	v_lshlrev_b32_e32 v30, 16, v30
	v_cvt_pk_bf16_f32 v40, v3, s0
	v_mul_f32_e32 v30, v31, v30
	v_cvt_pk_bf16_f32 v41, v4, s0
	v_cvt_pk_bf16_f32 v36, v30, s0
	v_lshlrev_b32_e32 v30, 16, v40
	v_lshlrev_b32_e32 v29, 16, v29
	v_mul_f32_e32 v29, v30, v29
	v_lshlrev_b32_e32 v30, 16, v41
	v_lshlrev_b32_e32 v23, 16, v23
	v_cvt_pk_bf16_f32 v42, v5, s0
	v_mul_f32_e32 v23, v30, v23
	v_cvt_pk_bf16_f32 v37, v23, s0
	v_lshlrev_b32_e32 v23, 16, v42
	v_lshlrev_b32_e32 v22, 16, v22
	v_cvt_pk_bf16_f32 v34, v34, s0
	v_cvt_pk_bf16_f32 v33, v33, s0
	;; [unrolled: 1-line block ×3, first 2 shown]
	v_mul_f32_e32 v22, v23, v22
	v_cvt_pk_bf16_f32 v29, v29, s0
	v_cvt_pk_bf16_f32 v38, v22, s0
	v_lshlrev_b32_e32 v23, 16, v33
	v_lshlrev_b32_e32 v31, 16, v34
	;; [unrolled: 1-line block ×4, first 2 shown]
	v_pk_add_f32 v[22:23], v[30:31], v[22:23]
	v_lshlrev_b32_e32 v31, 16, v29
	v_lshlrev_b32_e32 v33, 16, v36
	;; [unrolled: 1-line block ×4, first 2 shown]
	v_pk_add_f32 v[22:23], v[22:23], v[22:23] op_sel:[0,1] op_sel_hi:[1,0]
	v_pk_add_f32 v[30:31], v[32:33], v[30:31]
	s_nop 0
	v_pk_add_f32 v[22:23], v[30:31], v[22:23] op_sel:[1,0] op_sel_hi:[0,1]
	v_pk_add_f32 v[22:23], v[30:31], v[22:23]
	s_nop 0
	v_pk_add_f32 v[22:23], v[12:13], v[22:23]
	s_and_saveexec_b64 s[12:13], vcc
	s_cbranch_execz .LBB286_40
; %bb.44:                               ;   in Loop: Header=BB286_41 Depth=1
	v_lshl_add_u64 v[24:25], v[24:25], 0, v[16:17]
	global_load_dwordx2 v[24:25], v[24:25], off
	s_waitcnt vmcnt(0)
	v_and_b32_e32 v23, 0xff, v24
	v_bfe_u32 v29, v24, 8, 8
	v_bfe_u32 v30, v24, 16, 8
	v_lshrrev_b32_e32 v24, 24, v24
	v_and_b32_e32 v31, 0xff, v25
	v_bfe_u32 v32, v25, 8, 8
	v_bfe_u32 v33, v25, 16, 8
	v_lshrrev_b32_e32 v25, 24, v25
	v_cvt_f32_fp8_e32 v23, v23
	v_cvt_f32_fp8_e32 v29, v29
	;; [unrolled: 1-line block ×8, first 2 shown]
	v_mul_f32_e32 v23, s18, v23
	v_mul_f32_e32 v29, s18, v29
	v_mul_f32_e32 v30, s18, v30
	v_mul_f32_e32 v24, s18, v24
	v_mul_f32_e32 v34, s18, v31
	v_mul_f32_e32 v35, s18, v32
	v_mul_f32_e32 v36, s18, v33
	v_mul_f32_e32 v37, s18, v25
	v_cvt_pk_bf16_f32 v33, v23, s0
	v_cvt_pk_bf16_f32 v32, v29, s0
	;; [unrolled: 1-line block ×8, first 2 shown]
	s_and_saveexec_b64 s[14:15], s[2:3]
	s_cbranch_execz .LBB286_39
; %bb.45:                               ;   in Loop: Header=BB286_41 Depth=1
	v_cmp_gt_i32_e64 s[0:1], s21, v28
	v_add_u32_e32 v28, -6, v26
	s_nop 0
	v_cndmask_b32_e64 v33, 0, v33, s[0:1]
	v_cmp_gt_i32_e64 s[0:1], s21, v28
	v_add_u32_e32 v28, -5, v26
	s_nop 0
	v_cndmask_b32_e64 v32, 0, v32, s[0:1]
	;; [unrolled: 4-line block ×6, first 2 shown]
	v_cmp_gt_i32_e64 s[0:1], s21, v28
	s_nop 1
	v_cndmask_b32_e64 v24, 0, v24, s[0:1]
	v_cmp_gt_i32_e64 s[0:1], s21, v26
	s_nop 1
	v_cndmask_b32_e64 v23, 0, v23, s[0:1]
	s_branch .LBB286_39
.LBB286_46:
	s_or_b64 exec, exec, s[10:11]
.LBB286_47:
	s_or_b64 exec, exec, s[8:9]
	v_and_b32_e32 v1, 0x3c0, v0
	v_cmp_eq_u32_e32 vcc, 64, v1
	s_barrier
	s_and_saveexec_b64 s[0:1], vcc
	s_cbranch_execz .LBB286_50
; %bb.48:
	v_mov_b32_e32 v1, 0x100
	v_lshl_add_u32 v2, v11, 2, v1
	ds_write_b32 v2, v22
	s_and_b64 exec, exec, s[6:7]
; %bb.49:
	v_lshl_add_u32 v1, v0, 2, v1
	ds_write_b32 v1, v13
.LBB286_50:
	s_or_b64 exec, exec, s[0:1]
	v_cmp_gt_u32_e32 vcc, 64, v0
	v_or_b32_e32 v1, 64, v0
	s_waitcnt lgkmcnt(0)
	s_barrier
	s_and_saveexec_b64 s[2:3], vcc
	s_cbranch_execz .LBB286_54
; %bb.51:
	v_mov_b32_e32 v2, 0x100
	v_lshl_add_u32 v2, v0, 2, v2
	ds_read_b32 v0, v2
	s_movk_i32 s0, 0x78
	v_cmp_gt_u32_e64 s[0:1], s0, v1
	s_and_saveexec_b64 s[6:7], s[0:1]
	s_cbranch_execz .LBB286_53
; %bb.52:
	ds_read_b32 v2, v2 offset:256
	s_waitcnt lgkmcnt(0)
	v_add_f32_e32 v13, v13, v2
.LBB286_53:
	s_or_b64 exec, exec, s[6:7]
	s_waitcnt lgkmcnt(0)
	v_add_f32_e32 v22, v22, v0
.LBB286_54:
	s_or_b64 exec, exec, s[2:3]
	s_barrier
	s_and_saveexec_b64 s[0:1], vcc
	s_cbranch_execz .LBB286_57
; %bb.55:
	s_mul_i32 s0, s20, s23
	s_mul_i32 s0, s0, s5
	s_mulk_i32 s0, 0x78
	s_ashr_i32 s1, s0, 31
	s_lshl_b64 s[0:1], s[0:1], 1
	s_add_u32 s3, s24, s0
	s_mul_i32 s0, s23, s22
	s_addc_u32 s5, s25, s1
	s_ashr_i32 s1, s0, 31
	s_lshl_b64 s[0:1], s[0:1], 1
	s_add_u32 s3, s3, s0
	s_mul_i32 s0, s4, 0x78
	s_addc_u32 s5, s5, s1
	s_ashr_i32 s1, s0, 31
	s_lshl_b64 s[0:1], s[0:1], 1
	s_movk_i32 s2, 0x78
	s_add_u32 s0, s3, s0
	s_addc_u32 s1, s5, s1
	v_cvt_pk_bf16_f32 v0, v22, s0
	v_cmp_gt_u32_e32 vcc, s2, v1
	global_store_short v10, v0, s[0:1]
	s_and_b64 exec, exec, vcc
	s_cbranch_execz .LBB286_57
; %bb.56:
	v_mov_b32_e32 v11, 0
	v_lshl_add_u64 v[0:1], s[0:1], 0, v[10:11]
	v_cvt_pk_bf16_f32 v2, v13, s0
	global_store_short v[0:1], v2, off offset:128
.LBB286_57:
	s_endpgm
	.section	.rodata,"a",@progbits
	.p2align	6, 0x0
	.amdhsa_kernel _ZN4vllm25paged_attention_v1_kernelI14__hip_bfloat16hLi120ELi8ELi128ELNS_18Fp8KVCacheDataTypeE1ELb0EEEvPT_PKS3_PKT0_S9_ifPKiSB_iPKfiiiSD_SD_iiiii
		.amdhsa_group_segment_fixed_size 256
		.amdhsa_private_segment_fixed_size 0
		.amdhsa_kernarg_size 384
		.amdhsa_user_sgpr_count 2
		.amdhsa_user_sgpr_dispatch_ptr 0
		.amdhsa_user_sgpr_queue_ptr 0
		.amdhsa_user_sgpr_kernarg_segment_ptr 1
		.amdhsa_user_sgpr_dispatch_id 0
		.amdhsa_user_sgpr_kernarg_preload_length 0
		.amdhsa_user_sgpr_kernarg_preload_offset 0
		.amdhsa_user_sgpr_private_segment_size 0
		.amdhsa_uses_dynamic_stack 0
		.amdhsa_enable_private_segment 0
		.amdhsa_system_sgpr_workgroup_id_x 1
		.amdhsa_system_sgpr_workgroup_id_y 1
		.amdhsa_system_sgpr_workgroup_id_z 1
		.amdhsa_system_sgpr_workgroup_info 0
		.amdhsa_system_vgpr_workitem_id 0
		.amdhsa_next_free_vgpr 50
		.amdhsa_next_free_sgpr 39
		.amdhsa_accum_offset 52
		.amdhsa_reserve_vcc 1
		.amdhsa_float_round_mode_32 0
		.amdhsa_float_round_mode_16_64 0
		.amdhsa_float_denorm_mode_32 3
		.amdhsa_float_denorm_mode_16_64 3
		.amdhsa_dx10_clamp 1
		.amdhsa_ieee_mode 1
		.amdhsa_fp16_overflow 0
		.amdhsa_tg_split 0
		.amdhsa_exception_fp_ieee_invalid_op 0
		.amdhsa_exception_fp_denorm_src 0
		.amdhsa_exception_fp_ieee_div_zero 0
		.amdhsa_exception_fp_ieee_overflow 0
		.amdhsa_exception_fp_ieee_underflow 0
		.amdhsa_exception_fp_ieee_inexact 0
		.amdhsa_exception_int_div_zero 0
	.end_amdhsa_kernel
	.section	.text._ZN4vllm25paged_attention_v1_kernelI14__hip_bfloat16hLi120ELi8ELi128ELNS_18Fp8KVCacheDataTypeE1ELb0EEEvPT_PKS3_PKT0_S9_ifPKiSB_iPKfiiiSD_SD_iiiii,"axG",@progbits,_ZN4vllm25paged_attention_v1_kernelI14__hip_bfloat16hLi120ELi8ELi128ELNS_18Fp8KVCacheDataTypeE1ELb0EEEvPT_PKS3_PKT0_S9_ifPKiSB_iPKfiiiSD_SD_iiiii,comdat
.Lfunc_end286:
	.size	_ZN4vllm25paged_attention_v1_kernelI14__hip_bfloat16hLi120ELi8ELi128ELNS_18Fp8KVCacheDataTypeE1ELb0EEEvPT_PKS3_PKT0_S9_ifPKiSB_iPKfiiiSD_SD_iiiii, .Lfunc_end286-_ZN4vllm25paged_attention_v1_kernelI14__hip_bfloat16hLi120ELi8ELi128ELNS_18Fp8KVCacheDataTypeE1ELb0EEEvPT_PKS3_PKT0_S9_ifPKiSB_iPKfiiiSD_SD_iiiii
                                        ; -- End function
	.set _ZN4vllm25paged_attention_v1_kernelI14__hip_bfloat16hLi120ELi8ELi128ELNS_18Fp8KVCacheDataTypeE1ELb0EEEvPT_PKS3_PKT0_S9_ifPKiSB_iPKfiiiSD_SD_iiiii.num_vgpr, 50
	.set _ZN4vllm25paged_attention_v1_kernelI14__hip_bfloat16hLi120ELi8ELi128ELNS_18Fp8KVCacheDataTypeE1ELb0EEEvPT_PKS3_PKT0_S9_ifPKiSB_iPKfiiiSD_SD_iiiii.num_agpr, 0
	.set _ZN4vllm25paged_attention_v1_kernelI14__hip_bfloat16hLi120ELi8ELi128ELNS_18Fp8KVCacheDataTypeE1ELb0EEEvPT_PKS3_PKT0_S9_ifPKiSB_iPKfiiiSD_SD_iiiii.numbered_sgpr, 39
	.set _ZN4vllm25paged_attention_v1_kernelI14__hip_bfloat16hLi120ELi8ELi128ELNS_18Fp8KVCacheDataTypeE1ELb0EEEvPT_PKS3_PKT0_S9_ifPKiSB_iPKfiiiSD_SD_iiiii.num_named_barrier, 0
	.set _ZN4vllm25paged_attention_v1_kernelI14__hip_bfloat16hLi120ELi8ELi128ELNS_18Fp8KVCacheDataTypeE1ELb0EEEvPT_PKS3_PKT0_S9_ifPKiSB_iPKfiiiSD_SD_iiiii.private_seg_size, 0
	.set _ZN4vllm25paged_attention_v1_kernelI14__hip_bfloat16hLi120ELi8ELi128ELNS_18Fp8KVCacheDataTypeE1ELb0EEEvPT_PKS3_PKT0_S9_ifPKiSB_iPKfiiiSD_SD_iiiii.uses_vcc, 1
	.set _ZN4vllm25paged_attention_v1_kernelI14__hip_bfloat16hLi120ELi8ELi128ELNS_18Fp8KVCacheDataTypeE1ELb0EEEvPT_PKS3_PKT0_S9_ifPKiSB_iPKfiiiSD_SD_iiiii.uses_flat_scratch, 0
	.set _ZN4vllm25paged_attention_v1_kernelI14__hip_bfloat16hLi120ELi8ELi128ELNS_18Fp8KVCacheDataTypeE1ELb0EEEvPT_PKS3_PKT0_S9_ifPKiSB_iPKfiiiSD_SD_iiiii.has_dyn_sized_stack, 0
	.set _ZN4vllm25paged_attention_v1_kernelI14__hip_bfloat16hLi120ELi8ELi128ELNS_18Fp8KVCacheDataTypeE1ELb0EEEvPT_PKS3_PKT0_S9_ifPKiSB_iPKfiiiSD_SD_iiiii.has_recursion, 0
	.set _ZN4vllm25paged_attention_v1_kernelI14__hip_bfloat16hLi120ELi8ELi128ELNS_18Fp8KVCacheDataTypeE1ELb0EEEvPT_PKS3_PKT0_S9_ifPKiSB_iPKfiiiSD_SD_iiiii.has_indirect_call, 0
	.section	.AMDGPU.csdata,"",@progbits
; Kernel info:
; codeLenInByte = 4992
; TotalNumSgprs: 45
; NumVgprs: 50
; NumAgprs: 0
; TotalNumVgprs: 50
; ScratchSize: 0
; MemoryBound: 0
; FloatMode: 240
; IeeeMode: 1
; LDSByteSize: 256 bytes/workgroup (compile time only)
; SGPRBlocks: 5
; VGPRBlocks: 6
; NumSGPRsForWavesPerEU: 45
; NumVGPRsForWavesPerEU: 50
; AccumOffset: 52
; Occupancy: 8
; WaveLimiterHint : 1
; COMPUTE_PGM_RSRC2:SCRATCH_EN: 0
; COMPUTE_PGM_RSRC2:USER_SGPR: 2
; COMPUTE_PGM_RSRC2:TRAP_HANDLER: 0
; COMPUTE_PGM_RSRC2:TGID_X_EN: 1
; COMPUTE_PGM_RSRC2:TGID_Y_EN: 1
; COMPUTE_PGM_RSRC2:TGID_Z_EN: 1
; COMPUTE_PGM_RSRC2:TIDIG_COMP_CNT: 0
; COMPUTE_PGM_RSRC3_GFX90A:ACCUM_OFFSET: 12
; COMPUTE_PGM_RSRC3_GFX90A:TG_SPLIT: 0
	.section	.text._ZN4vllm25paged_attention_v1_kernelI14__hip_bfloat16hLi128ELi8ELi128ELNS_18Fp8KVCacheDataTypeE1ELb0EEEvPT_PKS3_PKT0_S9_ifPKiSB_iPKfiiiSD_SD_iiiii,"axG",@progbits,_ZN4vllm25paged_attention_v1_kernelI14__hip_bfloat16hLi128ELi8ELi128ELNS_18Fp8KVCacheDataTypeE1ELb0EEEvPT_PKS3_PKT0_S9_ifPKiSB_iPKfiiiSD_SD_iiiii,comdat
	.protected	_ZN4vllm25paged_attention_v1_kernelI14__hip_bfloat16hLi128ELi8ELi128ELNS_18Fp8KVCacheDataTypeE1ELb0EEEvPT_PKS3_PKT0_S9_ifPKiSB_iPKfiiiSD_SD_iiiii ; -- Begin function _ZN4vllm25paged_attention_v1_kernelI14__hip_bfloat16hLi128ELi8ELi128ELNS_18Fp8KVCacheDataTypeE1ELb0EEEvPT_PKS3_PKT0_S9_ifPKiSB_iPKfiiiSD_SD_iiiii
	.globl	_ZN4vllm25paged_attention_v1_kernelI14__hip_bfloat16hLi128ELi8ELi128ELNS_18Fp8KVCacheDataTypeE1ELb0EEEvPT_PKS3_PKT0_S9_ifPKiSB_iPKfiiiSD_SD_iiiii
	.p2align	8
	.type	_ZN4vllm25paged_attention_v1_kernelI14__hip_bfloat16hLi128ELi8ELi128ELNS_18Fp8KVCacheDataTypeE1ELb0EEEvPT_PKS3_PKT0_S9_ifPKiSB_iPKfiiiSD_SD_iiiii,@function
_ZN4vllm25paged_attention_v1_kernelI14__hip_bfloat16hLi128ELi8ELi128ELNS_18Fp8KVCacheDataTypeE1ELb0EEEvPT_PKS3_PKT0_S9_ifPKiSB_iPKfiiiSD_SD_iiiii: ; @_ZN4vllm25paged_attention_v1_kernelI14__hip_bfloat16hLi128ELi8ELi128ELNS_18Fp8KVCacheDataTypeE1ELb0EEEvPT_PKS3_PKT0_S9_ifPKiSB_iPKfiiiSD_SD_iiiii
; %bb.0:
	s_load_dword s5, s[0:1], 0x80
	s_load_dwordx2 s[6:7], s[0:1], 0x30
	s_load_dwordx2 s[28:29], s[0:1], 0x20
	s_mov_b32 s16, s3
	s_ashr_i32 s17, s3, 31
	s_lshl_b64 s[8:9], s[16:17], 2
	s_waitcnt lgkmcnt(0)
	s_add_u32 s6, s6, s8
	s_addc_u32 s7, s7, s9
	s_abs_i32 s3, s28
	v_cvt_f32_u32_e32 v1, s3
	s_sub_i32 s10, 0, s3
	s_abs_i32 s9, s5
	s_xor_b32 s8, s5, s28
	v_rcp_iflag_f32_e32 v1, v1
	s_ashr_i32 s8, s8, 31
	s_mov_b32 s28, 0
	v_mul_f32_e32 v1, 0x4f7ffffe, v1
	v_cvt_u32_f32_e32 v1, v1
	s_nop 0
	v_readfirstlane_b32 s11, v1
	s_mul_i32 s10, s10, s11
	s_mul_hi_u32 s10, s11, s10
	s_add_i32 s11, s11, s10
	s_mul_hi_u32 s10, s9, s11
	s_mul_i32 s11, s10, s3
	s_sub_i32 s9, s9, s11
	s_add_i32 s11, s10, 1
	s_sub_i32 s12, s9, s3
	s_cmp_ge_u32 s9, s3
	s_cselect_b32 s10, s11, s10
	s_cselect_b32 s9, s12, s9
	s_add_i32 s11, s10, 1
	s_cmp_ge_u32 s9, s3
	s_cselect_b32 s3, s11, s10
	s_xor_b32 s3, s3, s8
	s_sub_i32 s12, s3, s8
	s_abs_i32 s10, s12
	v_cvt_f32_u32_e32 v1, s10
	s_load_dwordx2 s[8:9], s[0:1], 0x40
	s_sub_i32 s3, 0, s10
	s_abs_i32 s11, s2
	v_rcp_iflag_f32_e32 v1, v1
	s_nop 0
	v_mul_f32_e32 v1, 0x4f7ffffe, v1
	v_cvt_u32_f32_e32 v1, v1
	s_nop 0
	v_readfirstlane_b32 s13, v1
	s_mul_i32 s3, s3, s13
	s_mul_hi_u32 s3, s13, s3
	s_add_i32 s13, s13, s3
	s_waitcnt lgkmcnt(0)
	s_cmp_eq_u64 s[8:9], 0
	s_mul_hi_u32 s20, s11, s13
	s_cbranch_scc1 .LBB287_2
; %bb.1:
	s_ashr_i32 s3, s2, 31
	s_lshl_b64 s[14:15], s[2:3], 2
	s_add_u32 s8, s8, s14
	s_addc_u32 s9, s9, s15
	s_load_dword s28, s[8:9], 0x0
.LBB287_2:
	s_load_dword s17, s[6:7], 0x0
	s_ashr_i32 s7, s12, 31
	s_load_dwordx4 s[12:15], s[0:1], 0x48
	s_ashr_i32 s6, s2, 31
	s_lshl_b32 s18, s2, 7
	s_movk_i32 s2, 0x80
	v_and_b32_e32 v2, 7, v0
	v_cmp_gt_u32_e32 vcc, s2, v0
	v_lshlrev_b32_e32 v1, 1, v0
	s_and_saveexec_b64 s[2:3], vcc
	s_cbranch_execz .LBB287_4
; %bb.3:
	s_load_dwordx2 s[8:9], s[0:1], 0x8
	s_waitcnt lgkmcnt(0)
	s_mul_i32 s22, s12, s16
	s_ashr_i32 s23, s22, 31
	s_lshl_b64 s[22:23], s[22:23], 1
	v_lshrrev_b32_e32 v4, 2, v0
	s_add_u32 s12, s8, s22
	s_addc_u32 s15, s9, s23
	s_ashr_i32 s19, s18, 31
	s_lshl_b64 s[8:9], s[18:19], 1
	s_add_u32 s8, s12, s8
	s_addc_u32 s9, s15, s9
	global_load_ushort v3, v1, s[8:9]
	v_and_b32_e32 v4, 0xfe, v4
	v_lshl_add_u32 v4, v2, 5, v4
	s_waitcnt vmcnt(0)
	ds_write_b16 v4, v3
.LBB287_4:
	s_or_b64 exec, exec, s[2:3]
	s_waitcnt lgkmcnt(0)
	s_add_i32 s3, s17, 7
	s_ashr_i32 s8, s3, 31
	s_lshr_b32 s8, s8, 29
	s_add_i32 s3, s3, s8
	s_ashr_i32 s19, s3, 3
	s_xor_b32 s3, s6, s7
	s_mul_i32 s6, s20, s10
	s_sub_i32 s6, s11, s6
	s_add_i32 s7, s20, 1
	s_sub_i32 s8, s6, s10
	s_load_dwordx2 s[22:23], s[0:1], 0x28
	s_load_dword s2, s[0:1], 0x38
	s_cmp_ge_u32 s6, s10
	s_cselect_b32 s7, s7, s20
	s_cselect_b32 s6, s8, s6
	s_add_i32 s8, s7, 1
	s_cmp_ge_u32 s6, s10
	s_cselect_b32 s6, s8, s7
	v_lshrrev_b32_e32 v18, 6, v0
	s_xor_b32 s6, s6, s3
	s_waitcnt lgkmcnt(0)
	s_mul_i32 s24, s2, s16
	s_sub_i32 s33, s6, s3
	s_ashr_i32 s25, s24, 31
	v_cmp_gt_i32_e64 s[6:7], s19, v18
	v_cmp_le_i32_e32 vcc, s19, v18
	v_mbcnt_lo_u32_b32 v3, -1, 0
	s_barrier
                                        ; implicit-def: $vgpr7
                                        ; implicit-def: $vgpr9
                                        ; implicit-def: $vgpr8
	s_and_saveexec_b64 s[2:3], vcc
	s_xor_b64 s[2:3], exec, s[2:3]
; %bb.5:
	v_mbcnt_hi_u32_b32 v7, -1, v3
	v_and_b32_e32 v9, 64, v7
	v_add_u32_e32 v8, 64, v9
                                        ; implicit-def: $vgpr2
                                        ; implicit-def: $vgpr3
; %bb.6:
	s_or_saveexec_b64 s[30:31], s[2:3]
	s_load_dwordx2 s[20:21], s[0:1], 0x0
	s_load_dwordx2 s[26:27], s[0:1], 0x18
	s_load_dword s12, s[0:1], 0x88
	s_load_dwordx4 s[8:11], s[0:1], 0x58
	v_mov_b32_e32 v27, 0xff7fffff
	s_mul_i32 s33, s33, s14
	v_lshrrev_b32_e32 v6, 4, v0
	s_xor_b64 exec, exec, s[30:31]
	s_cbranch_execz .LBB287_12
; %bb.7:
	v_lshlrev_b32_e32 v7, 5, v2
	ds_read_b128 v[14:17], v7
	ds_read_b128 v[24:27], v7 offset:16
	v_mbcnt_hi_u32_b32 v7, -1, v3
	v_and_b32_e32 v9, 64, v7
	v_add_u32_e32 v8, 64, v9
	v_xor_b32_e32 v3, 4, v7
	s_load_dwordx2 s[0:1], s[0:1], 0x10
	v_cmp_lt_i32_e32 vcc, v3, v8
	s_ashr_i32 s2, s33, 31
	v_bfe_u32 v34, v0, 3, 3
	v_cndmask_b32_e32 v3, v7, v3, vcc
	v_lshlrev_b32_e32 v28, 2, v3
	v_xor_b32_e32 v3, 2, v7
	v_cmp_lt_i32_e32 vcc, v3, v8
	s_waitcnt lgkmcnt(0)
	s_add_u32 s0, s0, s33
	s_addc_u32 s1, s1, s2
	v_cndmask_b32_e32 v3, v7, v3, vcc
	v_lshlrev_b32_e32 v29, 2, v3
	v_xor_b32_e32 v3, 1, v7
	v_lshlrev_b32_e32 v4, 4, v34
	v_mov_b32_e32 v5, 0
	v_cmp_lt_i32_e32 vcc, v3, v8
	s_load_dword s35, s[8:9], 0x0
	v_lshl_add_u64 v[32:33], s[0:1], 0, v[4:5]
	v_cndmask_b32_e32 v3, v7, v3, vcc
	s_sub_i32 s36, 1, s17
	v_lshlrev_b32_e32 v4, 2, v34
	s_lshl_b64 s[0:1], s[24:25], 2
	v_lshlrev_b32_e32 v30, 2, v3
	v_mov_b32_e32 v3, v5
	v_lshl_or_b32 v4, v18, 5, v4
	s_add_u32 s0, s22, s0
	v_cmp_eq_u32_e32 vcc, 0, v2
	v_lshl_add_u64 v[2:3], v[32:33], 0, v[2:3]
	v_add_u32_e32 v32, 0x110, v4
	v_and_b32_e32 v4, 60, v6
	s_addc_u32 s1, s23, s1
	s_mov_b32 s34, s13
	v_lshlrev_b32_e32 v10, 16, v14
	v_and_b32_e32 v11, 0xffff0000, v14
	v_lshlrev_b32_e32 v12, 16, v15
	v_and_b32_e32 v13, 0xffff0000, v15
	;; [unrolled: 2-line block ×8, first 2 shown]
	v_cmp_neq_f32_e64 s[2:3], s28, 0
	v_lshl_or_b32 v31, v18, 3, v34
	v_lshl_add_u64 v[4:5], s[0:1], 0, v[4:5]
	v_mov_b32_e32 v27, 0xff7fffff
	s_mov_b64 s[8:9], 0
	v_mov_b32_e32 v33, v18
	s_branch .LBB287_9
.LBB287_8:                              ;   in Loop: Header=BB287_9 Depth=1
	s_or_b64 exec, exec, s[14:15]
	v_add_u32_e32 v33, 2, v33
	v_cmp_le_i32_e64 s[0:1], s19, v33
	v_add_u32_e32 v31, 16, v31
	v_add_u32_e32 v32, 64, v32
	s_or_b64 s[8:9], s[0:1], s[8:9]
	v_lshl_add_u64 v[4:5], v[4:5], 0, 8
	s_andn2_b64 exec, exec, s[8:9]
	s_cbranch_execz .LBB287_11
.LBB287_9:                              ; =>This Inner Loop Header: Depth=1
	global_load_dword v34, v[4:5], off
	s_waitcnt vmcnt(0) lgkmcnt(0)
	v_mad_i64_i32 v[34:35], s[0:1], v34, s34, v[2:3]
	global_load_ubyte v36, v[34:35], off
	global_load_ubyte v37, v[34:35], off offset:8
	global_load_ubyte v38, v[34:35], off offset:128
	;; [unrolled: 1-line block ×14, first 2 shown]
	s_nop 0
	global_load_ubyte v34, v[34:35], off offset:904
	s_waitcnt vmcnt(15)
	v_cvt_f32_fp8_e32 v35, v36
	s_waitcnt vmcnt(14)
	v_cvt_f32_fp8_e32 v36, v37
	;; [unrolled: 2-line block ×5, first 2 shown]
	s_waitcnt lgkmcnt(0)
	v_mul_f32_e32 v36, s35, v36
	s_waitcnt vmcnt(10)
	v_cvt_f32_fp8_e32 v40, v41
	v_mul_f32_e32 v35, s35, v35
	v_cvt_pk_bf16_f32 v36, v36, s0
	s_waitcnt vmcnt(9)
	v_cvt_f32_fp8_e32 v41, v42
	v_mul_f32_e32 v37, s35, v37
	v_cvt_pk_bf16_f32 v35, v35, s0
	v_lshlrev_b32_e32 v36, 16, v36
	s_waitcnt vmcnt(8)
	v_cvt_f32_fp8_e32 v42, v43
	v_mul_f32_e32 v38, s35, v38
	v_cvt_pk_bf16_f32 v37, v37, s0
	v_lshlrev_b32_e32 v35, 16, v35
	v_mul_f32_e32 v36, v11, v36
	s_waitcnt vmcnt(7)
	v_cvt_f32_fp8_e32 v43, v44
	v_mul_f32_e32 v39, s35, v39
	v_cvt_pk_bf16_f32 v38, v38, s0
	v_lshlrev_b32_e32 v37, 16, v37
	v_fmac_f32_e32 v36, v10, v35
	s_waitcnt vmcnt(6)
	v_cvt_f32_fp8_e32 v44, v45
	v_mul_f32_e32 v40, s35, v40
	v_cvt_pk_bf16_f32 v39, v39, s0
	v_lshlrev_b32_e32 v38, 16, v38
	v_fmac_f32_e32 v36, v12, v37
	s_waitcnt vmcnt(5)
	v_cvt_f32_fp8_e32 v45, v46
	v_mul_f32_e32 v41, s35, v41
	v_cvt_pk_bf16_f32 v40, v40, s0
	v_lshlrev_b32_e32 v39, 16, v39
	v_fmac_f32_e32 v36, v13, v38
	s_waitcnt vmcnt(4)
	v_cvt_f32_fp8_e32 v46, v47
	v_mul_f32_e32 v42, s35, v42
	v_cvt_pk_bf16_f32 v41, v41, s0
	v_lshlrev_b32_e32 v40, 16, v40
	v_fmac_f32_e32 v36, v14, v39
	s_waitcnt vmcnt(3)
	v_cvt_f32_fp8_e32 v47, v48
	v_mul_f32_e32 v43, s35, v43
	v_cvt_pk_bf16_f32 v42, v42, s0
	v_lshlrev_b32_e32 v41, 16, v41
	v_fmac_f32_e32 v36, v15, v40
	s_waitcnt vmcnt(2)
	v_cvt_f32_fp8_e32 v48, v49
	v_mul_f32_e32 v44, s35, v44
	v_cvt_pk_bf16_f32 v43, v43, s0
	v_lshlrev_b32_e32 v42, 16, v42
	v_fmac_f32_e32 v36, v16, v41
	s_waitcnt vmcnt(1)
	v_cvt_f32_fp8_e32 v49, v50
	v_mul_f32_e32 v45, s35, v45
	v_cvt_pk_bf16_f32 v44, v44, s0
	v_lshlrev_b32_e32 v43, 16, v43
	v_fmac_f32_e32 v36, v17, v42
	s_waitcnt vmcnt(0)
	v_cvt_f32_fp8_e32 v34, v34
	v_mul_f32_e32 v46, s35, v46
	v_cvt_pk_bf16_f32 v45, v45, s0
	v_lshlrev_b32_e32 v44, 16, v44
	v_fmac_f32_e32 v36, v19, v43
	v_mul_f32_e32 v47, s35, v47
	v_cvt_pk_bf16_f32 v46, v46, s0
	v_lshlrev_b32_e32 v45, 16, v45
	v_fmac_f32_e32 v36, v20, v44
	v_mul_f32_e32 v48, s35, v48
	v_cvt_pk_bf16_f32 v47, v47, s0
	v_lshlrev_b32_e32 v46, 16, v46
	v_fmac_f32_e32 v36, v21, v45
	;; [unrolled: 4-line block ×4, first 2 shown]
	v_cvt_pk_bf16_f32 v34, v34, s0
	v_lshlrev_b32_e32 v49, 16, v49
	v_fmac_f32_e32 v36, v24, v48
	v_fmac_f32_e32 v36, v25, v49
	v_lshlrev_b32_e32 v34, 16, v34
	v_fmac_f32_e32 v36, v26, v34
	ds_bpermute_b32 v34, v28, v36
	s_waitcnt lgkmcnt(0)
	v_add_f32_e32 v34, v36, v34
	ds_bpermute_b32 v35, v29, v34
	s_waitcnt lgkmcnt(0)
	v_add_f32_e32 v34, v34, v35
	ds_bpermute_b32 v35, v30, v34
	s_and_saveexec_b64 s[14:15], vcc
	s_cbranch_execz .LBB287_8
; %bb.10:                               ;   in Loop: Header=BB287_9 Depth=1
	v_add_u32_e32 v36, s36, v31
	v_cvt_f32_i32_e32 v36, v36
	s_waitcnt lgkmcnt(0)
	v_add_f32_e32 v34, v34, v35
	v_cmp_gt_i32_e64 s[0:1], s17, v31
	v_max_f32_e32 v35, v27, v27
	v_mul_f32_e32 v36, s28, v36
	v_cndmask_b32_e64 v36, 0, v36, s[2:3]
	v_fmac_f32_e32 v36, s29, v34
	v_cndmask_b32_e64 v34, 0, v36, s[0:1]
	ds_write_b32 v32, v34
	v_max_f32_e32 v34, v35, v36
	v_cndmask_b32_e64 v27, v27, v34, s[0:1]
	s_branch .LBB287_8
.LBB287_11:
	s_or_b64 exec, exec, s[8:9]
.LBB287_12:
	s_or_b64 exec, exec, s[30:31]
	v_xor_b32_e32 v2, 32, v7
	v_cmp_lt_i32_e32 vcc, v2, v8
	v_xor_b32_e32 v5, 16, v7
	v_max_f32_e32 v4, v27, v27
	v_cndmask_b32_e32 v2, v7, v2, vcc
	v_lshlrev_b32_e32 v3, 2, v2
	ds_bpermute_b32 v2, v3, v27
	v_cmp_lt_i32_e32 vcc, v5, v8
	v_xor_b32_e32 v10, 8, v7
	v_and_b32_e32 v19, 63, v0
	s_waitcnt lgkmcnt(0)
	v_max_f32_e32 v2, v2, v2
	v_max_f32_e32 v2, v4, v2
	v_cndmask_b32_e32 v4, v7, v5, vcc
	v_lshlrev_b32_e32 v5, 2, v4
	ds_bpermute_b32 v4, v5, v2
	v_cmp_lt_i32_e32 vcc, v10, v8
	s_waitcnt lgkmcnt(0)
	v_max_f32_e32 v4, v4, v4
	v_max_f32_e32 v4, v2, v4
	v_cndmask_b32_e32 v2, v7, v10, vcc
	v_lshlrev_b32_e32 v11, 2, v2
	ds_bpermute_b32 v10, v11, v4
	v_cmp_eq_u32_e32 vcc, 0, v19
	v_lshlrev_b32_e32 v2, 2, v18
	s_and_saveexec_b64 s[0:1], vcc
	s_cbranch_execz .LBB287_14
; %bb.13:
	s_waitcnt lgkmcnt(0)
	v_max_f32_e32 v10, v10, v10
	v_max_f32_e32 v4, v4, v4
	;; [unrolled: 1-line block ×3, first 2 shown]
	ds_write_b32 v2, v4 offset:256
.LBB287_14:
	s_or_b64 exec, exec, s[0:1]
	v_cmp_gt_u32_e64 s[0:1], 2, v19
	v_mov_b32_e32 v12, 0xff7fffff
	v_lshlrev_b32_e32 v4, 2, v19
	s_waitcnt lgkmcnt(0)
	s_barrier
	s_and_saveexec_b64 s[2:3], s[0:1]
; %bb.15:
	ds_read_b32 v12, v4 offset:256
; %bb.16:
	s_or_b64 exec, exec, s[2:3]
	v_xor_b32_e32 v10, 1, v7
	v_cmp_lt_i32_e64 s[2:3], v10, v8
	v_lshlrev_b32_e32 v9, 2, v9
	s_nop 0
	v_cndmask_b32_e64 v10, v7, v10, s[2:3]
	v_lshlrev_b32_e32 v10, 2, v10
	s_waitcnt lgkmcnt(0)
	ds_bpermute_b32 v13, v10, v12
	v_max_f32_e32 v12, v12, v12
	s_lshl_b32 s2, s19, 3
	s_min_i32 s30, s2, s17
	v_cmp_gt_i32_e64 s[2:3], s30, v0
	s_waitcnt lgkmcnt(0)
	v_max_f32_e32 v13, v13, v13
	v_max_f32_e32 v12, v12, v13
	ds_bpermute_b32 v12, v9, v12
	v_mov_b32_e32 v9, 0
	s_and_saveexec_b64 s[14:15], s[2:3]
	s_cbranch_execz .LBB287_20
; %bb.17:
	v_mov_b32_e32 v9, 0x110
	v_lshl_add_u32 v13, v0, 2, v9
	v_mov_b32_e32 v9, 0
	s_mov_b64 s[28:29], 0
	v_mov_b32_e32 v14, v0
.LBB287_18:                             ; =>This Inner Loop Header: Depth=1
	ds_read_b32 v15, v13
	v_add_u32_e32 v14, 0x80, v14
	v_cmp_le_i32_e64 s[8:9], s30, v14
	s_or_b64 s[28:29], s[8:9], s[28:29]
	s_waitcnt lgkmcnt(0)
	v_sub_f32_e32 v15, v15, v12
	v_mul_f32_e32 v15, 0x3fb8aa3b, v15
	v_exp_f32_e32 v15, v15
	ds_write_b32 v13, v15
	v_add_f32_e32 v9, v9, v15
	v_add_u32_e32 v13, 0x200, v13
	s_andn2_b64 exec, exec, s[28:29]
	s_cbranch_execnz .LBB287_18
; %bb.19:
	s_or_b64 exec, exec, s[28:29]
.LBB287_20:
	s_or_b64 exec, exec, s[14:15]
	ds_bpermute_b32 v3, v3, v9
	s_waitcnt lgkmcnt(0)
	v_add_f32_e32 v3, v9, v3
	ds_bpermute_b32 v5, v5, v3
	v_xor_b32_e32 v9, 4, v7
	v_cmp_lt_i32_e64 s[8:9], v9, v8
	s_waitcnt lgkmcnt(0)
	v_add_f32_e32 v3, v3, v5
	ds_bpermute_b32 v5, v11, v3
	v_cndmask_b32_e64 v9, v7, v9, s[8:9]
	v_lshlrev_b32_e32 v9, 2, v9
	s_waitcnt lgkmcnt(0)
	v_add_f32_e32 v3, v3, v5
	ds_bpermute_b32 v5, v9, v3
	v_xor_b32_e32 v9, 2, v7
	v_cmp_lt_i32_e64 s[8:9], v9, v8
	s_waitcnt lgkmcnt(0)
	v_add_f32_e32 v3, v3, v5
	v_cndmask_b32_e64 v8, v7, v9, s[8:9]
	v_lshlrev_b32_e32 v5, 2, v8
	ds_bpermute_b32 v5, v5, v3
	s_waitcnt lgkmcnt(0)
	v_add_f32_e32 v3, v3, v5
	ds_bpermute_b32 v5, v10, v3
	s_waitcnt lgkmcnt(0)
	v_add_f32_e32 v3, v3, v5
	s_and_saveexec_b64 s[8:9], vcc
; %bb.21:
	ds_write_b32 v2, v3 offset:264
; %bb.22:
	s_or_b64 exec, exec, s[8:9]
	s_waitcnt lgkmcnt(0)
	s_barrier
	s_and_saveexec_b64 s[8:9], s[0:1]
; %bb.23:
	ds_read_b32 v3, v4 offset:264
; %bb.24:
	s_or_b64 exec, exec, s[8:9]
	s_waitcnt lgkmcnt(0)
	ds_bpermute_b32 v2, v10, v3
	v_lshlrev_b32_e32 v4, 2, v7
	s_waitcnt lgkmcnt(0)
	v_add_f32_e32 v2, v3, v2
	v_and_b32_e32 v3, 0xffffff00, v4
	ds_bpermute_b32 v2, v3, v2
	s_and_saveexec_b64 s[0:1], s[2:3]
	s_cbranch_execz .LBB287_37
; %bb.25:
	s_waitcnt lgkmcnt(0)
	v_add_f32_e32 v2, 0x358637bd, v2
	v_div_scale_f32 v3, s[2:3], v2, v2, 1.0
	v_rcp_f32_e32 v4, v3
	v_div_scale_f32 v5, vcc, 1.0, v2, 1.0
	s_movk_i32 s2, 0x7f
	v_fma_f32 v7, -v3, v4, 1.0
	v_fmac_f32_e32 v4, v7, v4
	v_mul_f32_e32 v7, v5, v4
	v_fma_f32 v8, -v3, v7, v5
	v_fmac_f32_e32 v7, v8, v4
	v_fma_f32 v3, -v3, v7, v5
	v_div_fmas_f32 v3, v3, v4, v7
	v_xad_u32 v4, v0, -1, s30
	v_div_fixup_f32 v2, v3, v2, 1.0
	v_cmp_lt_u32_e32 vcc, s2, v4
	s_mov_b64 s[8:9], -1
	v_mov_b32_e32 v3, v0
	s_and_saveexec_b64 s[2:3], vcc
	s_cbranch_execz .LBB287_34
; %bb.26:
	v_lshrrev_b32_e32 v4, 7, v4
	v_add_u32_e32 v7, -1, v4
	v_lshrrev_b32_e32 v5, 1, v7
	v_mov_b32_e32 v3, v2
	v_add_u32_e32 v5, 1, v5
	v_cmp_lt_u32_e32 vcc, 13, v7
	v_mov_b32_e32 v9, 0
	s_and_saveexec_b64 s[8:9], vcc
	s_cbranch_execz .LBB287_30
; %bb.27:
	v_mov_b32_e32 v8, 0x110
	v_and_b32_e32 v7, -8, v5
	v_lshl_add_u32 v8, v0, 2, v8
	s_mov_b32 s28, 0
	s_mov_b64 s[14:15], 0
.LBB287_28:                             ; =>This Inner Loop Header: Depth=1
	ds_read2st64_b32 v[10:11], v8 offset1:2
	ds_read2st64_b32 v[12:13], v8 offset0:4 offset1:6
	ds_read2st64_b32 v[14:15], v8 offset0:8 offset1:10
	;; [unrolled: 1-line block ×3, first 2 shown]
	v_add_u32_e32 v7, -8, v7
	s_waitcnt lgkmcnt(3)
	v_pk_mul_f32 v[10:11], v[2:3], v[10:11]
	s_waitcnt lgkmcnt(2)
	v_pk_mul_f32 v[12:13], v[2:3], v[12:13]
	ds_write2st64_b32 v8, v10, v11 offset1:2
	ds_write2st64_b32 v8, v12, v13 offset0:4 offset1:6
	ds_read2st64_b32 v[12:13], v8 offset0:16 offset1:18
	s_waitcnt lgkmcnt(4)
	v_pk_mul_f32 v[10:11], v[2:3], v[14:15]
	ds_write2st64_b32 v8, v10, v11 offset0:8 offset1:10
	s_waitcnt lgkmcnt(4)
	v_pk_mul_f32 v[10:11], v[2:3], v[16:17]
	ds_write2st64_b32 v8, v10, v11 offset0:12 offset1:14
	ds_read2st64_b32 v[10:11], v8 offset0:20 offset1:22
	s_waitcnt lgkmcnt(3)
	v_pk_mul_f32 v[12:13], v[2:3], v[12:13]
	ds_read2st64_b32 v[14:15], v8 offset0:24 offset1:26
	ds_write2st64_b32 v8, v12, v13 offset0:16 offset1:18
	ds_read2st64_b32 v[12:13], v8 offset0:28 offset1:30
	s_waitcnt lgkmcnt(3)
	v_pk_mul_f32 v[10:11], v[2:3], v[10:11]
	ds_write2st64_b32 v8, v10, v11 offset0:20 offset1:22
	s_waitcnt lgkmcnt(3)
	v_pk_mul_f32 v[10:11], v[2:3], v[14:15]
	ds_write2st64_b32 v8, v10, v11 offset0:24 offset1:26
	s_waitcnt lgkmcnt(2)
	v_pk_mul_f32 v[10:11], v[2:3], v[12:13]
	s_add_i32 s28, s28, 16
	v_cmp_eq_u32_e32 vcc, 0, v7
	ds_write2st64_b32 v8, v10, v11 offset0:28 offset1:30
	v_add_u32_e32 v8, 0x2000, v8
	s_or_b64 s[14:15], vcc, s[14:15]
	v_mov_b32_e32 v9, s28
	s_andn2_b64 exec, exec, s[14:15]
	s_cbranch_execnz .LBB287_28
; %bb.29:
	s_or_b64 exec, exec, s[14:15]
.LBB287_30:
	s_or_b64 exec, exec, s[8:9]
	v_and_b32_e32 v5, 7, v5
	v_cmp_ne_u32_e32 vcc, 0, v5
	s_and_saveexec_b64 s[8:9], vcc
	s_cbranch_execz .LBB287_33
; %bb.31:
	v_lshlrev_b32_e32 v7, 9, v9
	v_lshlrev_b32_e32 v8, 2, v0
	s_movk_i32 s14, 0x110
	v_add3_u32 v7, v7, v8, s14
	s_mov_b64 s[14:15], 0
.LBB287_32:                             ; =>This Inner Loop Header: Depth=1
	ds_read2st64_b32 v[8:9], v7 offset1:2
	v_add_u32_e32 v5, -1, v5
	v_cmp_eq_u32_e32 vcc, 0, v5
	s_or_b64 s[14:15], vcc, s[14:15]
	s_waitcnt lgkmcnt(0)
	v_pk_mul_f32 v[8:9], v[2:3], v[8:9]
	ds_write2st64_b32 v7, v8, v9 offset1:2
	v_add_u32_e32 v7, 0x400, v7
	s_andn2_b64 exec, exec, s[14:15]
	s_cbranch_execnz .LBB287_32
.LBB287_33:
	s_or_b64 exec, exec, s[8:9]
	v_add_u32_e32 v4, 1, v4
	v_and_b32_e32 v5, 0x3fffffe, v4
	v_cmp_ne_u32_e32 vcc, v4, v5
	v_lshl_add_u32 v3, v5, 7, v0
	s_orn2_b64 s[8:9], vcc, exec
.LBB287_34:
	s_or_b64 exec, exec, s[2:3]
	s_and_b64 exec, exec, s[8:9]
	s_cbranch_execz .LBB287_37
; %bb.35:
	v_mov_b32_e32 v4, 0x110
	v_lshl_add_u32 v4, v3, 2, v4
	s_mov_b64 s[2:3], 0
.LBB287_36:                             ; =>This Inner Loop Header: Depth=1
	ds_read_b32 v5, v4
	v_add_u32_e32 v3, 0x80, v3
	v_cmp_le_i32_e32 vcc, s30, v3
	s_or_b64 s[2:3], vcc, s[2:3]
	s_waitcnt lgkmcnt(0)
	v_mul_f32_e32 v5, v2, v5
	ds_write_b32 v4, v5
	v_add_u32_e32 v4, 0x200, v4
	s_andn2_b64 exec, exec, s[2:3]
	s_cbranch_execnz .LBB287_36
.LBB287_37:
	s_or_b64 exec, exec, s[0:1]
	v_mov_b32_e32 v10, 0
	v_mov_b32_e32 v11, v10
	s_waitcnt lgkmcnt(0)
	s_barrier
	s_and_saveexec_b64 s[2:3], s[6:7]
	s_cbranch_execz .LBB287_45
; %bb.38:
	s_ashr_i32 s1, s33, 31
	s_add_u32 s0, s26, s33
	s_addc_u32 s1, s27, s1
	v_lshlrev_b32_e32 v2, 3, v19
	s_load_dword s10, s[10:11], 0x0
	v_mov_b32_e32 v3, v10
	s_add_i32 s11, s19, -1
	v_lshl_add_u64 v[12:13], s[0:1], 0, v[2:3]
	s_lshl_b64 s[0:1], s[24:25], 2
	v_mov_b32_e32 v2, 0x110
	s_add_u32 s0, s22, s0
	v_lshl_add_u32 v21, v18, 5, v2
	v_and_b32_e32 v2, 60, v6
	s_addc_u32 s1, s23, s1
	v_lshl_or_b32 v20, v18, 3, 7
	v_lshl_add_u64 v[14:15], s[0:1], 0, v[2:3]
	s_mov_b64 s[6:7], 0
	v_mov_b32_e32 v11, v10
	s_branch .LBB287_40
.LBB287_39:                             ;   in Loop: Header=BB287_40 Depth=1
	s_or_b64 exec, exec, s[0:1]
	v_cvt_pk_bf16_f32 v6, v6, s0
	v_cvt_pk_bf16_f32 v8, v8, s0
	;; [unrolled: 1-line block ×3, first 2 shown]
	v_lshlrev_b32_e32 v22, 16, v30
	v_lshlrev_b32_e32 v30, 16, v6
	;; [unrolled: 1-line block ×7, first 2 shown]
	v_cvt_pk_bf16_f32 v5, v5, s0
	v_mul_f32_e32 v2, v27, v2
	v_cvt_pk_bf16_f32 v7, v7, s0
	v_cvt_pk_bf16_f32 v25, v2, s0
	v_lshlrev_b32_e32 v5, 16, v5
	v_lshlrev_b32_e32 v2, 16, v24
	v_cvt_pk_bf16_f32 v9, v9, s0
	v_cvt_pk_bf16_f32 v4, v4, s0
	v_lshlrev_b32_e32 v7, 16, v7
	v_mul_f32_e32 v2, v5, v2
	v_cvt_pk_bf16_f32 v3, v3, s0
	v_mul_f32_e32 v22, v7, v22
	v_mul_f32_e32 v6, v30, v6
	v_lshlrev_b32_e32 v9, 16, v9
	v_lshlrev_b32_e32 v28, 16, v28
	v_cvt_pk_bf16_f32 v24, v2, s0
	v_lshlrev_b32_e32 v31, 16, v4
	v_lshlrev_b32_e32 v2, 16, v23
	v_cvt_pk_bf16_f32 v22, v22, s0
	v_cvt_pk_bf16_f32 v6, v6, s0
	v_mul_f32_e32 v28, v9, v28
	v_mul_f32_e32 v8, v29, v8
	v_lshlrev_b32_e32 v3, 16, v3
	v_lshlrev_b32_e32 v26, 16, v26
	v_mul_f32_e32 v2, v31, v2
	v_cvt_pk_bf16_f32 v28, v28, s0
	v_cvt_pk_bf16_f32 v8, v8, s0
	v_mul_f32_e32 v26, v3, v26
	v_cvt_pk_bf16_f32 v23, v2, s0
	v_lshlrev_b32_e32 v2, 16, v6
	v_lshlrev_b32_e32 v4, 16, v22
	v_cvt_pk_bf16_f32 v26, v26, s0
	v_add_f32_e32 v2, v4, v2
	v_lshlrev_b32_e32 v4, 16, v8
	v_lshlrev_b32_e32 v6, 16, v28
	v_add_f32_e32 v4, v6, v4
	v_lshlrev_b32_e32 v6, 16, v25
	v_lshlrev_b32_e32 v8, 16, v26
	;; [unrolled: 3-line block ×3, first 2 shown]
	v_mul_f32_e32 v7, v7, v23
	v_lshlrev_b32_e32 v23, 16, v40
	v_mul_f32_e32 v23, v29, v23
	v_lshlrev_b32_e32 v22, 16, v24
	v_cvt_pk_bf16_f32 v24, v23, s0
	v_lshlrev_b32_e32 v23, 16, v39
	v_mul_f32_e32 v9, v9, v23
	v_lshlrev_b32_e32 v23, 16, v38
	v_add_f32_e32 v8, v22, v8
	v_lshlrev_b32_e32 v22, 16, v42
	v_mul_f32_e32 v23, v27, v23
	v_mul_f32_e32 v22, v30, v22
	v_cvt_pk_bf16_f32 v25, v23, s0
	v_lshlrev_b32_e32 v23, 16, v37
	v_lshlrev_b32_e32 v17, 16, v17
	;; [unrolled: 1-line block ×3, first 2 shown]
	v_cvt_pk_bf16_f32 v22, v22, s0
	v_cvt_pk_bf16_f32 v7, v7, s0
	;; [unrolled: 1-line block ×3, first 2 shown]
	v_mul_f32_e32 v3, v3, v23
	v_mul_f32_e32 v17, v31, v17
	;; [unrolled: 1-line block ×3, first 2 shown]
	v_cvt_pk_bf16_f32 v3, v3, s0
	v_cvt_pk_bf16_f32 v26, v17, s0
	;; [unrolled: 1-line block ×3, first 2 shown]
	v_lshlrev_b32_e32 v17, 16, v7
	v_lshlrev_b32_e32 v23, 16, v22
	;; [unrolled: 1-line block ×4, first 2 shown]
	v_pk_add_f32 v[16:17], v[22:23], v[16:17]
	v_lshlrev_b32_e32 v23, 16, v3
	v_lshlrev_b32_e32 v25, 16, v25
	;; [unrolled: 1-line block ×4, first 2 shown]
	v_pk_add_f32 v[22:23], v[24:25], v[22:23]
	v_mov_b32_e32 v5, v16
	v_mov_b32_e32 v3, v17
	;; [unrolled: 1-line block ×3, first 2 shown]
	v_pk_add_f32 v[2:3], v[4:5], v[2:3]
	v_mov_b32_e32 v9, v22
	v_pk_add_f32 v[2:3], v[6:7], v[2:3]
	v_add_u32_e32 v18, 2, v18
	v_pk_add_f32 v[2:3], v[8:9], v[2:3]
	v_cmp_le_i32_e32 vcc, s19, v18
	v_pk_add_f32 v[10:11], v[10:11], v[2:3]
	v_add_u32_e32 v20, 16, v20
	v_add_u32_e32 v21, 64, v21
	s_or_b64 s[6:7], vcc, s[6:7]
	v_lshl_add_u64 v[14:15], v[14:15], 0, 8
	s_andn2_b64 exec, exec, s[6:7]
	s_cbranch_execz .LBB287_44
.LBB287_40:                             ; =>This Inner Loop Header: Depth=1
	global_load_dword v2, v[14:15], off
	v_add_u32_e32 v22, -7, v20
	v_cmp_eq_u32_e32 vcc, s11, v18
	v_add_u32_e32 v35, -6, v20
	v_add_u32_e32 v34, -5, v20
	;; [unrolled: 1-line block ×5, first 2 shown]
	s_waitcnt vmcnt(0)
	v_mad_i64_i32 v[16:17], s[0:1], v2, s13, v[12:13]
	global_load_dwordx2 v[24:25], v[16:17], off
	ds_read2_b64 v[6:9], v21 offset1:1
	ds_read2_b64 v[2:5], v21 offset0:2 offset1:3
	s_waitcnt vmcnt(0)
	v_and_b32_e32 v23, 0xff, v24
	v_bfe_u32 v26, v24, 8, 8
	v_bfe_u32 v27, v24, 16, 8
	v_lshrrev_b32_e32 v24, 24, v24
	v_and_b32_e32 v28, 0xff, v25
	v_bfe_u32 v29, v25, 8, 8
	v_bfe_u32 v30, v25, 16, 8
	v_lshrrev_b32_e32 v25, 24, v25
	v_cvt_f32_fp8_e32 v23, v23
	v_cvt_f32_fp8_e32 v26, v26
	;; [unrolled: 1-line block ×8, first 2 shown]
	s_waitcnt lgkmcnt(0)
	v_mul_f32_e32 v23, s10, v23
	v_mul_f32_e32 v26, s10, v26
	;; [unrolled: 1-line block ×8, first 2 shown]
	v_cvt_pk_bf16_f32 v29, v23, s0
	v_cvt_pk_bf16_f32 v30, v26, s0
	;; [unrolled: 1-line block ×8, first 2 shown]
	v_add_u32_e32 v36, -1, v20
	s_and_saveexec_b64 s[8:9], vcc
	s_cbranch_execz .LBB287_42
; %bb.41:                               ;   in Loop: Header=BB287_40 Depth=1
	v_cmp_gt_i32_e64 s[0:1], s17, v22
	s_nop 1
	v_cndmask_b32_e64 v29, 0, v29, s[0:1]
	v_cmp_gt_i32_e64 s[0:1], s17, v35
	s_nop 1
	v_cndmask_b32_e64 v30, 0, v30, s[0:1]
	;; [unrolled: 3-line block ×8, first 2 shown]
.LBB287_42:                             ;   in Loop: Header=BB287_40 Depth=1
	s_or_b64 exec, exec, s[8:9]
	global_load_dwordx2 v[16:17], v[16:17], off offset:512
	s_waitcnt vmcnt(0)
	v_and_b32_e32 v37, 0xff, v16
	v_bfe_u32 v38, v16, 8, 8
	v_bfe_u32 v39, v16, 16, 8
	v_lshrrev_b32_e32 v16, 24, v16
	v_and_b32_e32 v40, 0xff, v17
	v_bfe_u32 v41, v17, 8, 8
	v_bfe_u32 v42, v17, 16, 8
	v_lshrrev_b32_e32 v17, 24, v17
	v_cvt_f32_fp8_e32 v37, v37
	v_cvt_f32_fp8_e32 v38, v38
	;; [unrolled: 1-line block ×8, first 2 shown]
	v_mul_f32_e32 v37, s10, v37
	v_mul_f32_e32 v38, s10, v38
	;; [unrolled: 1-line block ×8, first 2 shown]
	v_cvt_pk_bf16_f32 v42, v37, s0
	v_cvt_pk_bf16_f32 v41, v38, s0
	;; [unrolled: 1-line block ×8, first 2 shown]
	s_and_saveexec_b64 s[0:1], vcc
	s_cbranch_execz .LBB287_39
; %bb.43:                               ;   in Loop: Header=BB287_40 Depth=1
	v_cmp_gt_i32_e32 vcc, s17, v22
	s_nop 1
	v_cndmask_b32_e32 v42, 0, v42, vcc
	v_cmp_gt_i32_e32 vcc, s17, v35
	s_nop 1
	v_cndmask_b32_e32 v41, 0, v41, vcc
	;; [unrolled: 3-line block ×8, first 2 shown]
	s_branch .LBB287_39
.LBB287_44:
	s_or_b64 exec, exec, s[6:7]
.LBB287_45:
	s_or_b64 exec, exec, s[2:3]
	v_and_b32_e32 v2, 0x3c0, v0
	v_cmp_eq_u32_e32 vcc, 64, v2
	s_barrier
	s_and_saveexec_b64 s[0:1], vcc
; %bb.46:
	v_mov_b32_e32 v2, 0x110
	v_lshl_add_u32 v2, v19, 2, v2
	ds_write2st64_b32 v2, v10, v11 offset1:1
; %bb.47:
	s_or_b64 exec, exec, s[0:1]
	v_cmp_gt_u32_e32 vcc, 64, v0
	s_waitcnt lgkmcnt(0)
	s_barrier
	s_and_saveexec_b64 s[0:1], vcc
	s_cbranch_execz .LBB287_49
; %bb.48:
	v_mov_b32_e32 v2, 0x110
	v_lshl_add_u32 v0, v0, 2, v2
	ds_read2st64_b32 v[2:3], v0 offset1:1
	s_waitcnt lgkmcnt(0)
	v_pk_add_f32 v[10:11], v[10:11], v[2:3]
.LBB287_49:
	s_or_b64 exec, exec, s[0:1]
	s_barrier
	s_and_saveexec_b64 s[0:1], vcc
	s_cbranch_execz .LBB287_51
; %bb.50:
	s_mul_i32 s0, s16, s12
	s_mul_i32 s0, s0, s5
	s_lshl_b32 s0, s0, 7
	s_ashr_i32 s1, s0, 31
	s_lshl_b64 s[0:1], s[0:1], 1
	s_add_u32 s2, s20, s0
	s_mul_i32 s0, s12, s18
	s_addc_u32 s3, s21, s1
	s_ashr_i32 s1, s0, 31
	s_lshl_b64 s[0:1], s[0:1], 1
	s_add_u32 s2, s2, s0
	s_addc_u32 s3, s3, s1
	s_lshl_b32 s0, s4, 7
	s_ashr_i32 s1, s0, 31
	s_lshl_b64 s[0:1], s[0:1], 1
	s_add_u32 s0, s2, s0
	s_addc_u32 s1, s3, s1
	v_cvt_pk_bf16_f32 v0, v10, s0
	global_store_short v1, v0, s[0:1]
	v_cvt_pk_bf16_f32 v0, v11, s0
	global_store_short v1, v0, s[0:1] offset:128
.LBB287_51:
	s_endpgm
	.section	.rodata,"a",@progbits
	.p2align	6, 0x0
	.amdhsa_kernel _ZN4vllm25paged_attention_v1_kernelI14__hip_bfloat16hLi128ELi8ELi128ELNS_18Fp8KVCacheDataTypeE1ELb0EEEvPT_PKS3_PKT0_S9_ifPKiSB_iPKfiiiSD_SD_iiiii
		.amdhsa_group_segment_fixed_size 272
		.amdhsa_private_segment_fixed_size 0
		.amdhsa_kernarg_size 384
		.amdhsa_user_sgpr_count 2
		.amdhsa_user_sgpr_dispatch_ptr 0
		.amdhsa_user_sgpr_queue_ptr 0
		.amdhsa_user_sgpr_kernarg_segment_ptr 1
		.amdhsa_user_sgpr_dispatch_id 0
		.amdhsa_user_sgpr_kernarg_preload_length 0
		.amdhsa_user_sgpr_kernarg_preload_offset 0
		.amdhsa_user_sgpr_private_segment_size 0
		.amdhsa_uses_dynamic_stack 0
		.amdhsa_enable_private_segment 0
		.amdhsa_system_sgpr_workgroup_id_x 1
		.amdhsa_system_sgpr_workgroup_id_y 1
		.amdhsa_system_sgpr_workgroup_id_z 1
		.amdhsa_system_sgpr_workgroup_info 0
		.amdhsa_system_vgpr_workitem_id 0
		.amdhsa_next_free_vgpr 51
		.amdhsa_next_free_sgpr 37
		.amdhsa_accum_offset 52
		.amdhsa_reserve_vcc 1
		.amdhsa_float_round_mode_32 0
		.amdhsa_float_round_mode_16_64 0
		.amdhsa_float_denorm_mode_32 3
		.amdhsa_float_denorm_mode_16_64 3
		.amdhsa_dx10_clamp 1
		.amdhsa_ieee_mode 1
		.amdhsa_fp16_overflow 0
		.amdhsa_tg_split 0
		.amdhsa_exception_fp_ieee_invalid_op 0
		.amdhsa_exception_fp_denorm_src 0
		.amdhsa_exception_fp_ieee_div_zero 0
		.amdhsa_exception_fp_ieee_overflow 0
		.amdhsa_exception_fp_ieee_underflow 0
		.amdhsa_exception_fp_ieee_inexact 0
		.amdhsa_exception_int_div_zero 0
	.end_amdhsa_kernel
	.section	.text._ZN4vllm25paged_attention_v1_kernelI14__hip_bfloat16hLi128ELi8ELi128ELNS_18Fp8KVCacheDataTypeE1ELb0EEEvPT_PKS3_PKT0_S9_ifPKiSB_iPKfiiiSD_SD_iiiii,"axG",@progbits,_ZN4vllm25paged_attention_v1_kernelI14__hip_bfloat16hLi128ELi8ELi128ELNS_18Fp8KVCacheDataTypeE1ELb0EEEvPT_PKS3_PKT0_S9_ifPKiSB_iPKfiiiSD_SD_iiiii,comdat
.Lfunc_end287:
	.size	_ZN4vllm25paged_attention_v1_kernelI14__hip_bfloat16hLi128ELi8ELi128ELNS_18Fp8KVCacheDataTypeE1ELb0EEEvPT_PKS3_PKT0_S9_ifPKiSB_iPKfiiiSD_SD_iiiii, .Lfunc_end287-_ZN4vllm25paged_attention_v1_kernelI14__hip_bfloat16hLi128ELi8ELi128ELNS_18Fp8KVCacheDataTypeE1ELb0EEEvPT_PKS3_PKT0_S9_ifPKiSB_iPKfiiiSD_SD_iiiii
                                        ; -- End function
	.set _ZN4vllm25paged_attention_v1_kernelI14__hip_bfloat16hLi128ELi8ELi128ELNS_18Fp8KVCacheDataTypeE1ELb0EEEvPT_PKS3_PKT0_S9_ifPKiSB_iPKfiiiSD_SD_iiiii.num_vgpr, 51
	.set _ZN4vllm25paged_attention_v1_kernelI14__hip_bfloat16hLi128ELi8ELi128ELNS_18Fp8KVCacheDataTypeE1ELb0EEEvPT_PKS3_PKT0_S9_ifPKiSB_iPKfiiiSD_SD_iiiii.num_agpr, 0
	.set _ZN4vllm25paged_attention_v1_kernelI14__hip_bfloat16hLi128ELi8ELi128ELNS_18Fp8KVCacheDataTypeE1ELb0EEEvPT_PKS3_PKT0_S9_ifPKiSB_iPKfiiiSD_SD_iiiii.numbered_sgpr, 37
	.set _ZN4vllm25paged_attention_v1_kernelI14__hip_bfloat16hLi128ELi8ELi128ELNS_18Fp8KVCacheDataTypeE1ELb0EEEvPT_PKS3_PKT0_S9_ifPKiSB_iPKfiiiSD_SD_iiiii.num_named_barrier, 0
	.set _ZN4vllm25paged_attention_v1_kernelI14__hip_bfloat16hLi128ELi8ELi128ELNS_18Fp8KVCacheDataTypeE1ELb0EEEvPT_PKS3_PKT0_S9_ifPKiSB_iPKfiiiSD_SD_iiiii.private_seg_size, 0
	.set _ZN4vllm25paged_attention_v1_kernelI14__hip_bfloat16hLi128ELi8ELi128ELNS_18Fp8KVCacheDataTypeE1ELb0EEEvPT_PKS3_PKT0_S9_ifPKiSB_iPKfiiiSD_SD_iiiii.uses_vcc, 1
	.set _ZN4vllm25paged_attention_v1_kernelI14__hip_bfloat16hLi128ELi8ELi128ELNS_18Fp8KVCacheDataTypeE1ELb0EEEvPT_PKS3_PKT0_S9_ifPKiSB_iPKfiiiSD_SD_iiiii.uses_flat_scratch, 0
	.set _ZN4vllm25paged_attention_v1_kernelI14__hip_bfloat16hLi128ELi8ELi128ELNS_18Fp8KVCacheDataTypeE1ELb0EEEvPT_PKS3_PKT0_S9_ifPKiSB_iPKfiiiSD_SD_iiiii.has_dyn_sized_stack, 0
	.set _ZN4vllm25paged_attention_v1_kernelI14__hip_bfloat16hLi128ELi8ELi128ELNS_18Fp8KVCacheDataTypeE1ELb0EEEvPT_PKS3_PKT0_S9_ifPKiSB_iPKfiiiSD_SD_iiiii.has_recursion, 0
	.set _ZN4vllm25paged_attention_v1_kernelI14__hip_bfloat16hLi128ELi8ELi128ELNS_18Fp8KVCacheDataTypeE1ELb0EEEvPT_PKS3_PKT0_S9_ifPKiSB_iPKfiiiSD_SD_iiiii.has_indirect_call, 0
	.section	.AMDGPU.csdata,"",@progbits
; Kernel info:
; codeLenInByte = 4684
; TotalNumSgprs: 43
; NumVgprs: 51
; NumAgprs: 0
; TotalNumVgprs: 51
; ScratchSize: 0
; MemoryBound: 0
; FloatMode: 240
; IeeeMode: 1
; LDSByteSize: 272 bytes/workgroup (compile time only)
; SGPRBlocks: 5
; VGPRBlocks: 6
; NumSGPRsForWavesPerEU: 43
; NumVGPRsForWavesPerEU: 51
; AccumOffset: 52
; Occupancy: 8
; WaveLimiterHint : 1
; COMPUTE_PGM_RSRC2:SCRATCH_EN: 0
; COMPUTE_PGM_RSRC2:USER_SGPR: 2
; COMPUTE_PGM_RSRC2:TRAP_HANDLER: 0
; COMPUTE_PGM_RSRC2:TGID_X_EN: 1
; COMPUTE_PGM_RSRC2:TGID_Y_EN: 1
; COMPUTE_PGM_RSRC2:TGID_Z_EN: 1
; COMPUTE_PGM_RSRC2:TIDIG_COMP_CNT: 0
; COMPUTE_PGM_RSRC3_GFX90A:ACCUM_OFFSET: 12
; COMPUTE_PGM_RSRC3_GFX90A:TG_SPLIT: 0
	.section	.text._ZN4vllm25paged_attention_v1_kernelI14__hip_bfloat16hLi192ELi8ELi128ELNS_18Fp8KVCacheDataTypeE1ELb0EEEvPT_PKS3_PKT0_S9_ifPKiSB_iPKfiiiSD_SD_iiiii,"axG",@progbits,_ZN4vllm25paged_attention_v1_kernelI14__hip_bfloat16hLi192ELi8ELi128ELNS_18Fp8KVCacheDataTypeE1ELb0EEEvPT_PKS3_PKT0_S9_ifPKiSB_iPKfiiiSD_SD_iiiii,comdat
	.protected	_ZN4vllm25paged_attention_v1_kernelI14__hip_bfloat16hLi192ELi8ELi128ELNS_18Fp8KVCacheDataTypeE1ELb0EEEvPT_PKS3_PKT0_S9_ifPKiSB_iPKfiiiSD_SD_iiiii ; -- Begin function _ZN4vllm25paged_attention_v1_kernelI14__hip_bfloat16hLi192ELi8ELi128ELNS_18Fp8KVCacheDataTypeE1ELb0EEEvPT_PKS3_PKT0_S9_ifPKiSB_iPKfiiiSD_SD_iiiii
	.globl	_ZN4vllm25paged_attention_v1_kernelI14__hip_bfloat16hLi192ELi8ELi128ELNS_18Fp8KVCacheDataTypeE1ELb0EEEvPT_PKS3_PKT0_S9_ifPKiSB_iPKfiiiSD_SD_iiiii
	.p2align	8
	.type	_ZN4vllm25paged_attention_v1_kernelI14__hip_bfloat16hLi192ELi8ELi128ELNS_18Fp8KVCacheDataTypeE1ELb0EEEvPT_PKS3_PKT0_S9_ifPKiSB_iPKfiiiSD_SD_iiiii,@function
_ZN4vllm25paged_attention_v1_kernelI14__hip_bfloat16hLi192ELi8ELi128ELNS_18Fp8KVCacheDataTypeE1ELb0EEEvPT_PKS3_PKT0_S9_ifPKiSB_iPKfiiiSD_SD_iiiii: ; @_ZN4vllm25paged_attention_v1_kernelI14__hip_bfloat16hLi192ELi8ELi128ELNS_18Fp8KVCacheDataTypeE1ELb0EEEvPT_PKS3_PKT0_S9_ifPKiSB_iPKfiiiSD_SD_iiiii
; %bb.0:
	s_load_dword s5, s[0:1], 0x80
	s_load_dwordx2 s[6:7], s[0:1], 0x30
	s_load_dwordx2 s[28:29], s[0:1], 0x20
	s_mov_b32 s16, s3
	s_ashr_i32 s17, s3, 31
	s_lshl_b64 s[8:9], s[16:17], 2
	s_waitcnt lgkmcnt(0)
	s_add_u32 s6, s6, s8
	s_addc_u32 s7, s7, s9
	s_abs_i32 s3, s28
	v_cvt_f32_u32_e32 v1, s3
	s_sub_i32 s10, 0, s3
	s_abs_i32 s9, s5
	s_xor_b32 s8, s5, s28
	v_rcp_iflag_f32_e32 v1, v1
	s_ashr_i32 s8, s8, 31
	s_mov_b32 s28, 0
	v_mul_f32_e32 v1, 0x4f7ffffe, v1
	v_cvt_u32_f32_e32 v1, v1
	s_nop 0
	v_readfirstlane_b32 s11, v1
	s_mul_i32 s10, s10, s11
	s_mul_hi_u32 s10, s11, s10
	s_add_i32 s11, s11, s10
	s_mul_hi_u32 s10, s9, s11
	s_mul_i32 s11, s10, s3
	s_sub_i32 s9, s9, s11
	s_add_i32 s11, s10, 1
	s_sub_i32 s12, s9, s3
	s_cmp_ge_u32 s9, s3
	s_cselect_b32 s10, s11, s10
	s_cselect_b32 s9, s12, s9
	s_add_i32 s11, s10, 1
	s_cmp_ge_u32 s9, s3
	s_cselect_b32 s3, s11, s10
	s_xor_b32 s3, s3, s8
	s_sub_i32 s12, s3, s8
	s_abs_i32 s10, s12
	v_cvt_f32_u32_e32 v1, s10
	s_load_dwordx2 s[8:9], s[0:1], 0x40
	s_sub_i32 s3, 0, s10
	s_abs_i32 s11, s2
	v_rcp_iflag_f32_e32 v1, v1
	s_nop 0
	v_mul_f32_e32 v1, 0x4f7ffffe, v1
	v_cvt_u32_f32_e32 v1, v1
	s_nop 0
	v_readfirstlane_b32 s13, v1
	s_mul_i32 s3, s3, s13
	s_mul_hi_u32 s3, s13, s3
	s_add_i32 s13, s13, s3
	s_waitcnt lgkmcnt(0)
	s_cmp_eq_u64 s[8:9], 0
	s_mul_hi_u32 s20, s11, s13
	s_cbranch_scc1 .LBB288_2
; %bb.1:
	s_ashr_i32 s3, s2, 31
	s_lshl_b64 s[14:15], s[2:3], 2
	s_add_u32 s8, s8, s14
	s_addc_u32 s9, s9, s15
	s_load_dword s28, s[8:9], 0x0
.LBB288_2:
	s_load_dword s33, s[6:7], 0x0
	s_ashr_i32 s9, s12, 31
	s_load_dword s17, s[0:1], 0x88
	s_load_dwordx4 s[12:15], s[0:1], 0x48
	s_movk_i32 s3, 0xc0
	s_ashr_i32 s8, s2, 31
	v_and_b32_e32 v2, 7, v0
	s_mul_i32 s18, s2, 0xc0
	v_cmp_gt_u32_e32 vcc, s3, v0
	v_lshlrev_b32_e32 v1, 1, v0
	s_and_saveexec_b64 s[2:3], vcc
	s_cbranch_execz .LBB288_5
; %bb.3:
	s_load_dwordx2 s[6:7], s[0:1], 0x8
	s_waitcnt lgkmcnt(0)
	s_mul_i32 s22, s12, s16
	s_ashr_i32 s23, s22, 31
	s_lshl_b64 s[22:23], s[22:23], 1
	v_lshrrev_b32_e32 v4, 3, v0
	s_add_u32 s12, s6, s22
	s_addc_u32 s15, s7, s23
	s_ashr_i32 s19, s18, 31
	s_lshl_b64 s[6:7], s[18:19], 1
	s_add_u32 s6, s12, s6
	s_addc_u32 s7, s15, s7
	global_load_ushort v5, v1, s[6:7]
	v_lshlrev_b32_e32 v3, 1, v4
	v_mad_u32_u24 v3, v2, 48, v3
	v_cmp_gt_u32_e32 vcc, 64, v0
	s_waitcnt vmcnt(0)
	ds_write_b16 v3, v5
	s_and_b64 exec, exec, vcc
	s_cbranch_execz .LBB288_5
; %bb.4:
	v_lshlrev_b32_e32 v4, 4, v4
	v_lshlrev_b32_e32 v5, 1, v2
	s_movk_i32 s12, 0x100
	v_or3_b32 v4, v4, v5, s12
	global_load_ushort v4, v4, s[6:7]
	s_waitcnt vmcnt(0)
	ds_write_b16 v3, v4 offset:32
.LBB288_5:
	s_or_b64 exec, exec, s[2:3]
	s_waitcnt lgkmcnt(0)
	s_add_i32 s3, s33, 7
	s_ashr_i32 s6, s3, 31
	s_lshr_b32 s6, s6, 29
	s_add_i32 s3, s3, s6
	s_mul_i32 s6, s20, s10
	s_sub_i32 s6, s11, s6
	s_ashr_i32 s12, s3, 3
	s_xor_b32 s3, s8, s9
	s_add_i32 s7, s20, 1
	s_sub_i32 s8, s6, s10
	s_load_dwordx2 s[22:23], s[0:1], 0x28
	s_load_dword s2, s[0:1], 0x38
	s_cmp_ge_u32 s6, s10
	s_cselect_b32 s7, s7, s20
	s_cselect_b32 s6, s8, s6
	s_add_i32 s8, s7, 1
	s_cmp_ge_u32 s6, s10
	s_cselect_b32 s6, s8, s7
	v_lshrrev_b32_e32 v20, 6, v0
	s_xor_b32 s6, s6, s3
	s_waitcnt lgkmcnt(0)
	s_mul_i32 s24, s2, s16
	s_sub_i32 s19, s6, s3
	s_ashr_i32 s25, s24, 31
	v_cmp_gt_i32_e64 s[6:7], s12, v20
	v_cmp_le_i32_e32 vcc, s12, v20
	v_mbcnt_lo_u32_b32 v3, -1, 0
	s_barrier
                                        ; implicit-def: $vgpr7
                                        ; implicit-def: $vgpr9
                                        ; implicit-def: $vgpr8
	s_and_saveexec_b64 s[2:3], vcc
	s_xor_b64 s[2:3], exec, s[2:3]
; %bb.6:
	v_mbcnt_hi_u32_b32 v7, -1, v3
	v_and_b32_e32 v9, 64, v7
	v_add_u32_e32 v8, 64, v9
                                        ; implicit-def: $vgpr2
                                        ; implicit-def: $vgpr3
; %bb.7:
	s_or_saveexec_b64 s[30:31], s[2:3]
	s_load_dwordx2 s[20:21], s[0:1], 0x0
	s_load_dwordx2 s[26:27], s[0:1], 0x18
	s_load_dwordx4 s[8:11], s[0:1], 0x58
	v_mov_b32_e32 v35, 0xff7fffff
	s_mul_i32 s19, s19, s14
	v_lshrrev_b32_e32 v6, 4, v0
	s_xor_b64 exec, exec, s[30:31]
	s_cbranch_execz .LBB288_13
; %bb.8:
	v_mul_u32_u24_e32 v7, 48, v2
	ds_read_b128 v[14:17], v7
	ds_read_b128 v[24:27], v7 offset:16
	ds_read_b128 v[32:35], v7 offset:32
	v_mbcnt_hi_u32_b32 v7, -1, v3
	v_and_b32_e32 v9, 64, v7
	v_add_u32_e32 v8, 64, v9
	v_xor_b32_e32 v3, 4, v7
	s_load_dwordx2 s[0:1], s[0:1], 0x10
	v_cmp_lt_i32_e32 vcc, v3, v8
	s_ashr_i32 s2, s19, 31
	v_bfe_u32 v42, v0, 3, 3
	v_cndmask_b32_e32 v3, v7, v3, vcc
	v_lshlrev_b32_e32 v36, 2, v3
	v_xor_b32_e32 v3, 2, v7
	v_cmp_lt_i32_e32 vcc, v3, v8
	s_waitcnt lgkmcnt(0)
	s_add_u32 s0, s0, s19
	v_lshlrev_b32_e32 v4, 4, v42
	v_cndmask_b32_e32 v3, v7, v3, vcc
	v_lshlrev_b32_e32 v37, 2, v3
	v_xor_b32_e32 v3, 1, v7
	s_addc_u32 s1, s1, s2
	v_mov_b32_e32 v5, 0
	v_cmp_lt_i32_e32 vcc, v3, v8
	s_load_dword s35, s[8:9], 0x0
	v_lshl_add_u64 v[40:41], s[0:1], 0, v[4:5]
	v_cndmask_b32_e32 v3, v7, v3, vcc
	s_sub_i32 s36, 1, s33
	v_lshlrev_b32_e32 v4, 2, v42
	s_lshl_b64 s[0:1], s[24:25], 2
	v_lshlrev_b32_e32 v38, 2, v3
	v_mov_b32_e32 v3, v5
	v_lshl_or_b32 v4, v20, 5, v4
	s_add_u32 s0, s22, s0
	v_cmp_eq_u32_e32 vcc, 0, v2
	v_lshl_add_u64 v[2:3], v[40:41], 0, v[2:3]
	v_add_u32_e32 v40, 0x190, v4
	v_and_b32_e32 v4, 60, v6
	s_addc_u32 s1, s23, s1
	s_mov_b32 s34, s13
	v_lshlrev_b32_e32 v10, 16, v14
	v_and_b32_e32 v11, 0xffff0000, v14
	v_lshlrev_b32_e32 v12, 16, v15
	v_and_b32_e32 v13, 0xffff0000, v15
	;; [unrolled: 2-line block ×12, first 2 shown]
	v_cmp_neq_f32_e64 s[2:3], s28, 0
	v_lshl_or_b32 v39, v20, 3, v42
	v_lshl_add_u64 v[4:5], s[0:1], 0, v[4:5]
	v_mov_b32_e32 v35, 0xff7fffff
	s_mov_b64 s[8:9], 0
	v_mov_b32_e32 v41, v20
	s_branch .LBB288_10
.LBB288_9:                              ;   in Loop: Header=BB288_10 Depth=1
	s_or_b64 exec, exec, s[14:15]
	v_add_u32_e32 v41, 2, v41
	v_cmp_le_i32_e64 s[0:1], s12, v41
	v_add_u32_e32 v39, 16, v39
	v_add_u32_e32 v40, 64, v40
	s_or_b64 s[8:9], s[0:1], s[8:9]
	v_lshl_add_u64 v[4:5], v[4:5], 0, 8
	s_andn2_b64 exec, exec, s[8:9]
	s_cbranch_execz .LBB288_12
.LBB288_10:                             ; =>This Inner Loop Header: Depth=1
	global_load_dword v42, v[4:5], off
	s_waitcnt vmcnt(0) lgkmcnt(0)
	v_mad_i64_i32 v[42:43], s[0:1], v42, s34, v[2:3]
	global_load_ubyte v44, v[42:43], off
	global_load_ubyte v45, v[42:43], off offset:8
	global_load_ubyte v46, v[42:43], off offset:128
	;; [unrolled: 1-line block ×22, first 2 shown]
	s_nop 0
	global_load_ubyte v42, v[42:43], off offset:1416
	s_waitcnt vmcnt(23)
	v_cvt_f32_fp8_e32 v43, v44
	s_waitcnt vmcnt(22)
	v_cvt_f32_fp8_e32 v44, v45
	;; [unrolled: 2-line block ×5, first 2 shown]
	s_waitcnt lgkmcnt(0)
	v_mul_f32_e32 v44, s35, v44
	s_waitcnt vmcnt(18)
	v_cvt_f32_fp8_e32 v48, v49
	v_mul_f32_e32 v43, s35, v43
	v_cvt_pk_bf16_f32 v44, v44, s0
	s_waitcnt vmcnt(17)
	v_cvt_f32_fp8_e32 v49, v50
	v_mul_f32_e32 v45, s35, v45
	v_cvt_pk_bf16_f32 v43, v43, s0
	v_lshlrev_b32_e32 v44, 16, v44
	s_waitcnt vmcnt(16)
	v_cvt_f32_fp8_e32 v50, v51
	v_mul_f32_e32 v46, s35, v46
	v_cvt_pk_bf16_f32 v45, v45, s0
	v_lshlrev_b32_e32 v43, 16, v43
	v_mul_f32_e32 v44, v11, v44
	s_waitcnt vmcnt(15)
	v_cvt_f32_fp8_e32 v51, v52
	v_mul_f32_e32 v47, s35, v47
	v_cvt_pk_bf16_f32 v46, v46, s0
	v_lshlrev_b32_e32 v45, 16, v45
	v_fmac_f32_e32 v44, v10, v43
	s_waitcnt vmcnt(14)
	v_cvt_f32_fp8_e32 v52, v53
	v_mul_f32_e32 v48, s35, v48
	v_cvt_pk_bf16_f32 v47, v47, s0
	v_lshlrev_b32_e32 v46, 16, v46
	v_fmac_f32_e32 v44, v12, v45
	;; [unrolled: 6-line block ×16, first 2 shown]
	v_mul_f32_e32 v63, s35, v63
	v_cvt_pk_bf16_f32 v62, v62, s0
	v_lshlrev_b32_e32 v61, 16, v61
	v_fmac_f32_e32 v44, v28, v60
	v_mul_f32_e32 v64, s35, v64
	v_cvt_pk_bf16_f32 v63, v63, s0
	v_lshlrev_b32_e32 v62, 16, v62
	v_fmac_f32_e32 v44, v29, v61
	;; [unrolled: 4-line block ×4, first 2 shown]
	v_cvt_pk_bf16_f32 v42, v42, s0
	v_lshlrev_b32_e32 v65, 16, v65
	v_fmac_f32_e32 v44, v32, v64
	v_fmac_f32_e32 v44, v33, v65
	v_lshlrev_b32_e32 v42, 16, v42
	v_fmac_f32_e32 v44, v34, v42
	ds_bpermute_b32 v42, v36, v44
	s_waitcnt lgkmcnt(0)
	v_add_f32_e32 v42, v44, v42
	ds_bpermute_b32 v43, v37, v42
	s_waitcnt lgkmcnt(0)
	v_add_f32_e32 v42, v42, v43
	ds_bpermute_b32 v43, v38, v42
	s_and_saveexec_b64 s[14:15], vcc
	s_cbranch_execz .LBB288_9
; %bb.11:                               ;   in Loop: Header=BB288_10 Depth=1
	v_add_u32_e32 v44, s36, v39
	v_cvt_f32_i32_e32 v44, v44
	s_waitcnt lgkmcnt(0)
	v_add_f32_e32 v42, v42, v43
	v_cmp_gt_i32_e64 s[0:1], s33, v39
	v_max_f32_e32 v43, v35, v35
	v_mul_f32_e32 v44, s28, v44
	v_cndmask_b32_e64 v44, 0, v44, s[2:3]
	v_fmac_f32_e32 v44, s29, v42
	v_cndmask_b32_e64 v42, 0, v44, s[0:1]
	ds_write_b32 v40, v42
	v_max_f32_e32 v42, v43, v44
	v_cndmask_b32_e64 v35, v35, v42, s[0:1]
	s_branch .LBB288_9
.LBB288_12:
	s_or_b64 exec, exec, s[8:9]
.LBB288_13:
	s_or_b64 exec, exec, s[30:31]
	v_xor_b32_e32 v2, 32, v7
	v_cmp_lt_i32_e32 vcc, v2, v8
	v_xor_b32_e32 v5, 16, v7
	v_max_f32_e32 v4, v35, v35
	v_cndmask_b32_e32 v2, v7, v2, vcc
	v_lshlrev_b32_e32 v3, 2, v2
	ds_bpermute_b32 v2, v3, v35
	v_cmp_lt_i32_e32 vcc, v5, v8
	v_xor_b32_e32 v10, 8, v7
	v_and_b32_e32 v21, 63, v0
	s_waitcnt lgkmcnt(0)
	v_max_f32_e32 v2, v2, v2
	v_max_f32_e32 v2, v4, v2
	v_cndmask_b32_e32 v4, v7, v5, vcc
	v_lshlrev_b32_e32 v5, 2, v4
	ds_bpermute_b32 v4, v5, v2
	v_cmp_lt_i32_e32 vcc, v10, v8
	s_waitcnt lgkmcnt(0)
	v_max_f32_e32 v4, v4, v4
	v_max_f32_e32 v4, v2, v4
	v_cndmask_b32_e32 v2, v7, v10, vcc
	v_lshlrev_b32_e32 v11, 2, v2
	ds_bpermute_b32 v10, v11, v4
	v_cmp_eq_u32_e32 vcc, 0, v21
	v_lshlrev_b32_e32 v2, 2, v20
	s_and_saveexec_b64 s[0:1], vcc
	s_cbranch_execz .LBB288_15
; %bb.14:
	s_waitcnt lgkmcnt(0)
	v_max_f32_e32 v10, v10, v10
	v_max_f32_e32 v4, v4, v4
	;; [unrolled: 1-line block ×3, first 2 shown]
	ds_write_b32 v2, v4 offset:384
.LBB288_15:
	s_or_b64 exec, exec, s[0:1]
	v_cmp_gt_u32_e64 s[0:1], 2, v21
	v_mov_b32_e32 v12, 0xff7fffff
	v_lshlrev_b32_e32 v4, 2, v21
	s_waitcnt lgkmcnt(0)
	s_barrier
	s_and_saveexec_b64 s[2:3], s[0:1]
; %bb.16:
	ds_read_b32 v12, v4 offset:384
; %bb.17:
	s_or_b64 exec, exec, s[2:3]
	v_xor_b32_e32 v10, 1, v7
	v_cmp_lt_i32_e64 s[2:3], v10, v8
	v_lshlrev_b32_e32 v9, 2, v9
	s_nop 0
	v_cndmask_b32_e64 v10, v7, v10, s[2:3]
	v_lshlrev_b32_e32 v10, 2, v10
	s_waitcnt lgkmcnt(0)
	ds_bpermute_b32 v13, v10, v12
	v_max_f32_e32 v12, v12, v12
	s_lshl_b32 s2, s12, 3
	s_min_i32 s30, s2, s33
	v_cmp_gt_i32_e64 s[2:3], s30, v0
	s_waitcnt lgkmcnt(0)
	v_max_f32_e32 v13, v13, v13
	v_max_f32_e32 v12, v12, v13
	ds_bpermute_b32 v12, v9, v12
	v_mov_b32_e32 v9, 0
	s_and_saveexec_b64 s[14:15], s[2:3]
	s_cbranch_execz .LBB288_21
; %bb.18:
	v_mov_b32_e32 v9, 0x190
	v_lshl_add_u32 v13, v0, 2, v9
	v_mov_b32_e32 v9, 0
	s_mov_b64 s[28:29], 0
	v_mov_b32_e32 v14, v0
.LBB288_19:                             ; =>This Inner Loop Header: Depth=1
	ds_read_b32 v15, v13
	v_add_u32_e32 v14, 0x80, v14
	v_cmp_le_i32_e64 s[8:9], s30, v14
	s_or_b64 s[28:29], s[8:9], s[28:29]
	s_waitcnt lgkmcnt(0)
	v_sub_f32_e32 v15, v15, v12
	v_mul_f32_e32 v15, 0x3fb8aa3b, v15
	v_exp_f32_e32 v15, v15
	ds_write_b32 v13, v15
	v_add_f32_e32 v9, v9, v15
	v_add_u32_e32 v13, 0x200, v13
	s_andn2_b64 exec, exec, s[28:29]
	s_cbranch_execnz .LBB288_19
; %bb.20:
	s_or_b64 exec, exec, s[28:29]
.LBB288_21:
	s_or_b64 exec, exec, s[14:15]
	ds_bpermute_b32 v3, v3, v9
	s_waitcnt lgkmcnt(0)
	v_add_f32_e32 v3, v9, v3
	ds_bpermute_b32 v5, v5, v3
	v_xor_b32_e32 v9, 4, v7
	v_cmp_lt_i32_e64 s[8:9], v9, v8
	s_waitcnt lgkmcnt(0)
	v_add_f32_e32 v3, v3, v5
	ds_bpermute_b32 v5, v11, v3
	v_cndmask_b32_e64 v9, v7, v9, s[8:9]
	v_lshlrev_b32_e32 v9, 2, v9
	s_waitcnt lgkmcnt(0)
	v_add_f32_e32 v3, v3, v5
	ds_bpermute_b32 v5, v9, v3
	v_xor_b32_e32 v9, 2, v7
	v_cmp_lt_i32_e64 s[8:9], v9, v8
	s_waitcnt lgkmcnt(0)
	v_add_f32_e32 v3, v3, v5
	v_cndmask_b32_e64 v8, v7, v9, s[8:9]
	v_lshlrev_b32_e32 v5, 2, v8
	ds_bpermute_b32 v5, v5, v3
	s_waitcnt lgkmcnt(0)
	v_add_f32_e32 v3, v3, v5
	ds_bpermute_b32 v5, v10, v3
	s_waitcnt lgkmcnt(0)
	v_add_f32_e32 v3, v3, v5
	s_and_saveexec_b64 s[8:9], vcc
; %bb.22:
	ds_write_b32 v2, v3 offset:392
; %bb.23:
	s_or_b64 exec, exec, s[8:9]
	s_waitcnt lgkmcnt(0)
	s_barrier
	s_and_saveexec_b64 s[8:9], s[0:1]
; %bb.24:
	ds_read_b32 v3, v4 offset:392
; %bb.25:
	s_or_b64 exec, exec, s[8:9]
	s_waitcnt lgkmcnt(0)
	ds_bpermute_b32 v2, v10, v3
	v_lshlrev_b32_e32 v4, 2, v7
	s_waitcnt lgkmcnt(0)
	v_add_f32_e32 v2, v3, v2
	v_and_b32_e32 v3, 0xffffff00, v4
	ds_bpermute_b32 v2, v3, v2
	s_and_saveexec_b64 s[0:1], s[2:3]
	s_cbranch_execz .LBB288_38
; %bb.26:
	s_waitcnt lgkmcnt(0)
	v_add_f32_e32 v2, 0x358637bd, v2
	v_div_scale_f32 v3, s[2:3], v2, v2, 1.0
	v_rcp_f32_e32 v4, v3
	v_div_scale_f32 v5, vcc, 1.0, v2, 1.0
	s_movk_i32 s2, 0x7f
	v_fma_f32 v7, -v3, v4, 1.0
	v_fmac_f32_e32 v4, v7, v4
	v_mul_f32_e32 v7, v5, v4
	v_fma_f32 v8, -v3, v7, v5
	v_fmac_f32_e32 v7, v8, v4
	v_fma_f32 v3, -v3, v7, v5
	v_div_fmas_f32 v3, v3, v4, v7
	v_xad_u32 v4, v0, -1, s30
	v_div_fixup_f32 v2, v3, v2, 1.0
	v_cmp_lt_u32_e32 vcc, s2, v4
	s_mov_b64 s[8:9], -1
	v_mov_b32_e32 v3, v0
	s_and_saveexec_b64 s[2:3], vcc
	s_cbranch_execz .LBB288_35
; %bb.27:
	v_lshrrev_b32_e32 v4, 7, v4
	v_add_u32_e32 v7, -1, v4
	v_lshrrev_b32_e32 v5, 1, v7
	v_mov_b32_e32 v3, v2
	v_add_u32_e32 v5, 1, v5
	v_cmp_lt_u32_e32 vcc, 13, v7
	v_mov_b32_e32 v9, 0
	s_and_saveexec_b64 s[8:9], vcc
	s_cbranch_execz .LBB288_31
; %bb.28:
	v_mov_b32_e32 v8, 0x190
	v_and_b32_e32 v7, -8, v5
	v_lshl_add_u32 v8, v0, 2, v8
	s_mov_b32 s28, 0
	s_mov_b64 s[14:15], 0
.LBB288_29:                             ; =>This Inner Loop Header: Depth=1
	ds_read2st64_b32 v[10:11], v8 offset1:2
	ds_read2st64_b32 v[12:13], v8 offset0:4 offset1:6
	ds_read2st64_b32 v[14:15], v8 offset0:8 offset1:10
	;; [unrolled: 1-line block ×3, first 2 shown]
	v_add_u32_e32 v7, -8, v7
	s_waitcnt lgkmcnt(3)
	v_pk_mul_f32 v[10:11], v[2:3], v[10:11]
	s_waitcnt lgkmcnt(2)
	v_pk_mul_f32 v[12:13], v[2:3], v[12:13]
	ds_write2st64_b32 v8, v10, v11 offset1:2
	ds_write2st64_b32 v8, v12, v13 offset0:4 offset1:6
	ds_read2st64_b32 v[12:13], v8 offset0:16 offset1:18
	s_waitcnt lgkmcnt(4)
	v_pk_mul_f32 v[10:11], v[2:3], v[14:15]
	ds_write2st64_b32 v8, v10, v11 offset0:8 offset1:10
	s_waitcnt lgkmcnt(4)
	v_pk_mul_f32 v[10:11], v[2:3], v[16:17]
	ds_write2st64_b32 v8, v10, v11 offset0:12 offset1:14
	ds_read2st64_b32 v[10:11], v8 offset0:20 offset1:22
	s_waitcnt lgkmcnt(3)
	v_pk_mul_f32 v[12:13], v[2:3], v[12:13]
	ds_read2st64_b32 v[14:15], v8 offset0:24 offset1:26
	ds_write2st64_b32 v8, v12, v13 offset0:16 offset1:18
	ds_read2st64_b32 v[12:13], v8 offset0:28 offset1:30
	s_waitcnt lgkmcnt(3)
	v_pk_mul_f32 v[10:11], v[2:3], v[10:11]
	ds_write2st64_b32 v8, v10, v11 offset0:20 offset1:22
	s_waitcnt lgkmcnt(3)
	v_pk_mul_f32 v[10:11], v[2:3], v[14:15]
	ds_write2st64_b32 v8, v10, v11 offset0:24 offset1:26
	s_waitcnt lgkmcnt(2)
	v_pk_mul_f32 v[10:11], v[2:3], v[12:13]
	s_add_i32 s28, s28, 16
	v_cmp_eq_u32_e32 vcc, 0, v7
	ds_write2st64_b32 v8, v10, v11 offset0:28 offset1:30
	v_add_u32_e32 v8, 0x2000, v8
	s_or_b64 s[14:15], vcc, s[14:15]
	v_mov_b32_e32 v9, s28
	s_andn2_b64 exec, exec, s[14:15]
	s_cbranch_execnz .LBB288_29
; %bb.30:
	s_or_b64 exec, exec, s[14:15]
.LBB288_31:
	s_or_b64 exec, exec, s[8:9]
	v_and_b32_e32 v5, 7, v5
	v_cmp_ne_u32_e32 vcc, 0, v5
	s_and_saveexec_b64 s[8:9], vcc
	s_cbranch_execz .LBB288_34
; %bb.32:
	v_lshlrev_b32_e32 v7, 9, v9
	v_lshlrev_b32_e32 v8, 2, v0
	s_movk_i32 s14, 0x190
	v_add3_u32 v7, v7, v8, s14
	s_mov_b64 s[14:15], 0
.LBB288_33:                             ; =>This Inner Loop Header: Depth=1
	ds_read2st64_b32 v[8:9], v7 offset1:2
	v_add_u32_e32 v5, -1, v5
	v_cmp_eq_u32_e32 vcc, 0, v5
	s_or_b64 s[14:15], vcc, s[14:15]
	s_waitcnt lgkmcnt(0)
	v_pk_mul_f32 v[8:9], v[2:3], v[8:9]
	ds_write2st64_b32 v7, v8, v9 offset1:2
	v_add_u32_e32 v7, 0x400, v7
	s_andn2_b64 exec, exec, s[14:15]
	s_cbranch_execnz .LBB288_33
.LBB288_34:
	s_or_b64 exec, exec, s[8:9]
	v_add_u32_e32 v4, 1, v4
	v_and_b32_e32 v5, 0x3fffffe, v4
	v_cmp_ne_u32_e32 vcc, v4, v5
	v_lshl_add_u32 v3, v5, 7, v0
	s_orn2_b64 s[8:9], vcc, exec
.LBB288_35:
	s_or_b64 exec, exec, s[2:3]
	s_and_b64 exec, exec, s[8:9]
	s_cbranch_execz .LBB288_38
; %bb.36:
	v_mov_b32_e32 v4, 0x190
	v_lshl_add_u32 v4, v3, 2, v4
	s_mov_b64 s[2:3], 0
.LBB288_37:                             ; =>This Inner Loop Header: Depth=1
	ds_read_b32 v5, v4
	v_add_u32_e32 v3, 0x80, v3
	v_cmp_le_i32_e32 vcc, s30, v3
	s_or_b64 s[2:3], vcc, s[2:3]
	s_waitcnt lgkmcnt(0)
	v_mul_f32_e32 v5, v2, v5
	ds_write_b32 v4, v5
	v_add_u32_e32 v4, 0x200, v4
	s_andn2_b64 exec, exec, s[2:3]
	s_cbranch_execnz .LBB288_37
.LBB288_38:
	s_or_b64 exec, exec, s[0:1]
	v_mov_b32_e32 v12, 0
	v_mov_b32_e32 v13, v12
	;; [unrolled: 1-line block ×3, first 2 shown]
	s_waitcnt lgkmcnt(0)
	s_barrier
	s_and_saveexec_b64 s[2:3], s[6:7]
	s_cbranch_execz .LBB288_48
; %bb.39:
	s_ashr_i32 s1, s19, 31
	s_add_u32 s0, s26, s19
	s_addc_u32 s1, s27, s1
	v_lshlrev_b32_e32 v10, 3, v21
	s_load_dword s10, s[10:11], 0x0
	v_mov_b32_e32 v11, 0
	s_add_i32 s11, s12, -1
	v_lshl_add_u64 v[14:15], s[0:1], 0, v[10:11]
	s_lshl_b64 s[0:1], s[24:25], 2
	s_add_u32 s0, s22, s0
	v_mov_b32_e32 v2, 0x190
	v_and_b32_e32 v10, 60, v6
	s_addc_u32 s1, s23, s1
	v_lshl_or_b32 v22, v20, 3, 7
	v_lshl_add_u32 v23, v20, 5, v2
	v_lshl_add_u64 v[16:17], s[0:1], 0, v[10:11]
	s_mov_b64 s[6:7], 0
	v_mov_b32_e32 v13, v11
	v_mov_b32_e32 v12, v11
	s_branch .LBB288_41
.LBB288_40:                             ;   in Loop: Header=BB288_41 Depth=1
	s_or_b64 exec, exec, s[0:1]
	v_cvt_pk_bf16_f32 v6, v6, s0
	v_cvt_pk_bf16_f32 v7, v7, s0
	;; [unrolled: 1-line block ×6, first 2 shown]
	v_lshlrev_b32_e32 v7, 16, v7
	v_lshlrev_b32_e32 v6, 16, v6
	;; [unrolled: 1-line block ×8, first 2 shown]
	v_cvt_pk_bf16_f32 v4, v4, s0
	v_cvt_pk_bf16_f32 v5, v5, s0
	v_lshlrev_b32_e32 v3, 16, v3
	v_lshlrev_b32_e32 v2, 16, v2
	v_mul_f32_e32 v30, v7, v30
	v_mul_f32_e32 v29, v6, v29
	;; [unrolled: 1-line block ×4, first 2 shown]
	v_lshlrev_b32_e32 v26, 16, v26
	v_lshlrev_b32_e32 v25, 16, v25
	v_lshlrev_b32_e32 v5, 16, v5
	v_lshlrev_b32_e32 v4, 16, v4
	v_cvt_pk_bf16_f32 v30, v30, s0
	v_cvt_pk_bf16_f32 v29, v29, s0
	;; [unrolled: 1-line block ×4, first 2 shown]
	v_mul_f32_e32 v26, v3, v26
	v_mul_f32_e32 v25, v2, v25
	v_lshlrev_b32_e32 v24, 16, v24
	v_lshlrev_b32_e32 v10, 16, v10
	v_cvt_pk_bf16_f32 v26, v26, s0
	v_cvt_pk_bf16_f32 v25, v25, s0
	v_mul_f32_e32 v24, v5, v24
	v_mul_f32_e32 v10, v4, v10
	v_lshlrev_b32_e32 v29, 16, v29
	v_lshlrev_b32_e32 v30, 16, v30
	;; [unrolled: 1-line block ×4, first 2 shown]
	v_cvt_pk_bf16_f32 v24, v24, s0
	v_cvt_pk_bf16_f32 v10, v10, s0
	v_add_f32_e32 v29, v29, v30
	v_add_f32_e32 v27, v27, v28
	v_lshlrev_b32_e32 v25, 16, v25
	v_lshlrev_b32_e32 v26, 16, v26
	v_add_f32_e32 v27, v27, v29
	v_add_f32_e32 v25, v25, v26
	v_lshlrev_b32_e32 v10, 16, v10
	v_lshlrev_b32_e32 v24, 16, v24
	v_add_f32_e32 v25, v25, v27
	v_add_f32_e32 v10, v10, v24
	;; [unrolled: 1-line block ×3, first 2 shown]
	v_lshlrev_b32_e32 v32, 16, v44
	v_add_f32_e32 v12, v12, v10
	v_lshlrev_b32_e32 v10, 16, v51
	v_lshlrev_b32_e32 v31, 16, v45
	v_mul_f32_e32 v32, v6, v32
	v_mul_f32_e32 v6, v6, v10
	v_lshlrev_b32_e32 v10, 16, v50
	v_mul_f32_e32 v31, v7, v31
	v_lshlrev_b32_e32 v34, 16, v42
	;; [unrolled: 2-line block ×3, first 2 shown]
	v_lshlrev_b32_e32 v33, 16, v43
	v_mul_f32_e32 v34, v8, v34
	v_mul_f32_e32 v8, v8, v10
	v_lshlrev_b32_e32 v10, 16, v48
	v_mul_f32_e32 v33, v9, v33
	v_lshlrev_b32_e32 v36, 16, v40
	;; [unrolled: 2-line block ×3, first 2 shown]
	v_mul_f32_e32 v36, v2, v36
	v_mul_f32_e32 v2, v2, v10
	v_cvt_pk_bf16_f32 v10, v2, s0
	v_lshlrev_b32_e32 v2, 16, v46
	v_mul_f32_e32 v2, v3, v2
	v_cvt_pk_bf16_f32 v31, v31, s0
	v_cvt_pk_bf16_f32 v32, v32, s0
	;; [unrolled: 1-line block ×3, first 2 shown]
	v_lshlrev_b32_e32 v2, 16, v19
	v_cvt_pk_bf16_f32 v33, v33, s0
	v_cvt_pk_bf16_f32 v34, v34, s0
	v_lshlrev_b32_e32 v35, 16, v41
	v_lshlrev_b32_e32 v32, 16, v32
	;; [unrolled: 1-line block ×3, first 2 shown]
	v_mul_f32_e32 v2, v4, v2
	v_mul_f32_e32 v35, v3, v35
	v_add_f32_e32 v31, v32, v31
	v_lshlrev_b32_e32 v32, 16, v34
	v_lshlrev_b32_e32 v33, 16, v33
	v_cvt_pk_bf16_f32 v19, v2, s0
	v_lshlrev_b32_e32 v2, 16, v18
	v_cvt_pk_bf16_f32 v35, v35, s0
	v_cvt_pk_bf16_f32 v36, v36, s0
	v_lshlrev_b32_e32 v37, 16, v39
	v_lshlrev_b32_e32 v38, 16, v38
	v_add_f32_e32 v32, v32, v33
	v_cvt_pk_bf16_f32 v6, v6, s0
	v_cvt_pk_bf16_f32 v7, v7, s0
	;; [unrolled: 1-line block ×4, first 2 shown]
	v_mul_f32_e32 v2, v5, v2
	v_mul_f32_e32 v37, v5, v37
	;; [unrolled: 1-line block ×3, first 2 shown]
	v_add_f32_e32 v31, v32, v31
	v_lshlrev_b32_e32 v32, 16, v36
	v_lshlrev_b32_e32 v33, 16, v35
	v_cvt_pk_bf16_f32 v18, v2, s0
	v_lshlrev_b32_e32 v3, 16, v7
	v_lshlrev_b32_e32 v5, 16, v6
	;; [unrolled: 1-line block ×4, first 2 shown]
	v_cvt_pk_bf16_f32 v37, v37, s0
	v_cvt_pk_bf16_f32 v38, v38, s0
	v_add_f32_e32 v32, v32, v33
	v_pk_add_f32 v[2:3], v[4:5], v[2:3]
	v_lshlrev_b32_e32 v5, 16, v24
	v_lshlrev_b32_e32 v7, 16, v10
	;; [unrolled: 1-line block ×4, first 2 shown]
	v_add_f32_e32 v31, v32, v31
	v_lshlrev_b32_e32 v32, 16, v38
	v_lshlrev_b32_e32 v33, 16, v37
	v_pk_add_f32 v[4:5], v[6:7], v[4:5]
	v_add_f32_e32 v2, v2, v3
	v_add_f32_e32 v32, v32, v33
	;; [unrolled: 1-line block ×3, first 2 shown]
	v_add_u32_e32 v20, 2, v20
	v_add_f32_e32 v31, v32, v31
	v_add_f32_e32 v2, v4, v2
	v_cmp_le_i32_e32 vcc, s12, v20
	v_add_f32_e32 v13, v13, v31
	v_add_f32_e32 v11, v11, v2
	v_add_u32_e32 v22, 16, v22
	v_add_u32_e32 v23, 64, v23
	s_or_b64 s[6:7], vcc, s[6:7]
	v_lshl_add_u64 v[16:17], v[16:17], 0, 8
	s_andn2_b64 exec, exec, s[6:7]
	s_cbranch_execz .LBB288_47
.LBB288_41:                             ; =>This Inner Loop Header: Depth=1
	global_load_dword v2, v[16:17], off
	v_add_u32_e32 v31, -7, v22
	v_cmp_eq_u32_e32 vcc, s11, v20
	v_add_u32_e32 v36, -6, v22
	v_add_u32_e32 v35, -5, v22
	;; [unrolled: 1-line block ×5, first 2 shown]
	s_waitcnt vmcnt(0)
	v_mad_i64_i32 v[18:19], s[0:1], v2, s13, v[14:15]
	global_load_dwordx2 v[24:25], v[18:19], off
	ds_read2_b64 v[6:9], v23 offset1:1
	ds_read2_b64 v[2:5], v23 offset0:2 offset1:3
	s_waitcnt vmcnt(0)
	v_and_b32_e32 v10, 0xff, v24
	v_bfe_u32 v26, v24, 8, 8
	v_bfe_u32 v27, v24, 16, 8
	v_lshrrev_b32_e32 v24, 24, v24
	v_and_b32_e32 v28, 0xff, v25
	v_bfe_u32 v29, v25, 8, 8
	v_bfe_u32 v30, v25, 16, 8
	v_lshrrev_b32_e32 v25, 24, v25
	v_cvt_f32_fp8_e32 v10, v10
	v_cvt_f32_fp8_e32 v26, v26
	;; [unrolled: 1-line block ×8, first 2 shown]
	s_waitcnt lgkmcnt(0)
	v_mul_f32_e32 v10, s10, v10
	v_mul_f32_e32 v26, s10, v26
	;; [unrolled: 1-line block ×8, first 2 shown]
	v_cvt_pk_bf16_f32 v29, v10, s0
	v_cvt_pk_bf16_f32 v30, v26, s0
	v_cvt_pk_bf16_f32 v27, v27, s0
	v_cvt_pk_bf16_f32 v28, v24, s0
	v_cvt_pk_bf16_f32 v25, v37, s0
	v_cvt_pk_bf16_f32 v26, v38, s0
	v_cvt_pk_bf16_f32 v10, v39, s0
	v_cvt_pk_bf16_f32 v24, v40, s0
	v_add_u32_e32 v37, -1, v22
	s_and_saveexec_b64 s[8:9], vcc
	s_cbranch_execz .LBB288_43
; %bb.42:                               ;   in Loop: Header=BB288_41 Depth=1
	v_cmp_gt_i32_e64 s[0:1], s33, v31
	s_nop 1
	v_cndmask_b32_e64 v29, 0, v29, s[0:1]
	v_cmp_gt_i32_e64 s[0:1], s33, v36
	s_nop 1
	v_cndmask_b32_e64 v30, 0, v30, s[0:1]
	v_cmp_gt_i32_e64 s[0:1], s33, v35
	s_nop 1
	v_cndmask_b32_e64 v27, 0, v27, s[0:1]
	v_cmp_gt_i32_e64 s[0:1], s33, v34
	s_nop 1
	v_cndmask_b32_e64 v28, 0, v28, s[0:1]
	v_cmp_gt_i32_e64 s[0:1], s33, v33
	s_nop 1
	v_cndmask_b32_e64 v25, 0, v25, s[0:1]
	v_cmp_gt_i32_e64 s[0:1], s33, v32
	s_nop 1
	v_cndmask_b32_e64 v26, 0, v26, s[0:1]
	v_cmp_gt_i32_e64 s[0:1], s33, v37
	s_nop 1
	v_cndmask_b32_e64 v10, 0, v10, s[0:1]
	v_cmp_gt_i32_e64 s[0:1], s33, v22
	s_nop 1
	v_cndmask_b32_e64 v24, 0, v24, s[0:1]
.LBB288_43:                             ;   in Loop: Header=BB288_41 Depth=1
	s_or_b64 exec, exec, s[8:9]
	global_load_dwordx2 v[38:39], v[18:19], off offset:512
	s_waitcnt vmcnt(0)
	v_and_b32_e32 v40, 0xff, v38
	v_bfe_u32 v41, v38, 8, 8
	v_bfe_u32 v42, v38, 16, 8
	v_lshrrev_b32_e32 v38, 24, v38
	v_and_b32_e32 v43, 0xff, v39
	v_bfe_u32 v44, v39, 8, 8
	v_bfe_u32 v45, v39, 16, 8
	v_lshrrev_b32_e32 v39, 24, v39
	v_cvt_f32_fp8_e32 v40, v40
	v_cvt_f32_fp8_e32 v41, v41
	;; [unrolled: 1-line block ×8, first 2 shown]
	v_mul_f32_e32 v40, s10, v40
	v_mul_f32_e32 v41, s10, v41
	;; [unrolled: 1-line block ×8, first 2 shown]
	v_cvt_pk_bf16_f32 v44, v40, s0
	v_cvt_pk_bf16_f32 v45, v41, s0
	;; [unrolled: 1-line block ×8, first 2 shown]
	s_and_saveexec_b64 s[8:9], vcc
	s_cbranch_execz .LBB288_45
; %bb.44:                               ;   in Loop: Header=BB288_41 Depth=1
	v_cmp_gt_i32_e64 s[0:1], s33, v31
	s_nop 1
	v_cndmask_b32_e64 v44, 0, v44, s[0:1]
	v_cmp_gt_i32_e64 s[0:1], s33, v36
	s_nop 1
	v_cndmask_b32_e64 v45, 0, v45, s[0:1]
	;; [unrolled: 3-line block ×8, first 2 shown]
.LBB288_45:                             ;   in Loop: Header=BB288_41 Depth=1
	s_or_b64 exec, exec, s[8:9]
	global_load_dwordx2 v[18:19], v[18:19], off offset:1024
	s_waitcnt vmcnt(0)
	v_and_b32_e32 v46, 0xff, v18
	v_bfe_u32 v47, v18, 8, 8
	v_bfe_u32 v48, v18, 16, 8
	v_lshrrev_b32_e32 v18, 24, v18
	v_and_b32_e32 v49, 0xff, v19
	v_bfe_u32 v50, v19, 8, 8
	v_bfe_u32 v51, v19, 16, 8
	v_lshrrev_b32_e32 v19, 24, v19
	v_cvt_f32_fp8_e32 v46, v46
	v_cvt_f32_fp8_e32 v47, v47
	;; [unrolled: 1-line block ×8, first 2 shown]
	v_mul_f32_e32 v46, s10, v46
	v_mul_f32_e32 v47, s10, v47
	;; [unrolled: 1-line block ×8, first 2 shown]
	v_cvt_pk_bf16_f32 v51, v46, s0
	v_cvt_pk_bf16_f32 v50, v47, s0
	;; [unrolled: 1-line block ×8, first 2 shown]
	s_and_saveexec_b64 s[0:1], vcc
	s_cbranch_execz .LBB288_40
; %bb.46:                               ;   in Loop: Header=BB288_41 Depth=1
	v_cmp_gt_i32_e32 vcc, s33, v31
	s_nop 1
	v_cndmask_b32_e32 v51, 0, v51, vcc
	v_cmp_gt_i32_e32 vcc, s33, v36
	s_nop 1
	v_cndmask_b32_e32 v50, 0, v50, vcc
	;; [unrolled: 3-line block ×8, first 2 shown]
	s_branch .LBB288_40
.LBB288_47:
	s_or_b64 exec, exec, s[6:7]
.LBB288_48:
	s_or_b64 exec, exec, s[2:3]
	v_and_b32_e32 v2, 0x3c0, v0
	v_cmp_eq_u32_e32 vcc, 64, v2
	s_barrier
	s_and_saveexec_b64 s[0:1], vcc
	s_cbranch_execz .LBB288_50
; %bb.49:
	v_mov_b32_e32 v2, 0x190
	v_lshl_add_u32 v2, v21, 2, v2
	ds_write2st64_b32 v2, v12, v13 offset1:1
	ds_write_b32 v2, v11 offset:512
.LBB288_50:
	s_or_b64 exec, exec, s[0:1]
	v_cmp_gt_u32_e32 vcc, 64, v0
	s_waitcnt lgkmcnt(0)
	s_barrier
	s_and_saveexec_b64 s[0:1], vcc
	s_cbranch_execz .LBB288_52
; %bb.51:
	v_mov_b32_e32 v2, 0x190
	v_lshl_add_u32 v0, v0, 2, v2
	ds_read2st64_b32 v[2:3], v0 offset1:1
	ds_read_b32 v0, v0 offset:512
	s_waitcnt lgkmcnt(1)
	v_pk_add_f32 v[12:13], v[12:13], v[2:3]
	s_waitcnt lgkmcnt(0)
	v_add_f32_e32 v11, v11, v0
.LBB288_52:
	s_or_b64 exec, exec, s[0:1]
	s_barrier
	s_and_saveexec_b64 s[0:1], vcc
	s_cbranch_execz .LBB288_54
; %bb.53:
	s_mul_i32 s0, s16, s17
	s_mul_i32 s0, s0, s5
	s_mulk_i32 s0, 0xc0
	s_ashr_i32 s1, s0, 31
	s_lshl_b64 s[0:1], s[0:1], 1
	s_add_u32 s2, s20, s0
	s_mul_i32 s0, s17, s18
	s_addc_u32 s3, s21, s1
	s_ashr_i32 s1, s0, 31
	s_lshl_b64 s[0:1], s[0:1], 1
	s_add_u32 s2, s2, s0
	s_mul_i32 s0, s4, 0xc0
	s_addc_u32 s3, s3, s1
	s_ashr_i32 s1, s0, 31
	s_lshl_b64 s[0:1], s[0:1], 1
	s_add_u32 s0, s2, s0
	s_addc_u32 s1, s3, s1
	v_cvt_pk_bf16_f32 v0, v12, s0
	global_store_short v1, v0, s[0:1]
	v_cvt_pk_bf16_f32 v0, v13, s0
	global_store_short v1, v0, s[0:1] offset:128
	v_cvt_pk_bf16_f32 v0, v11, s0
	global_store_short v1, v0, s[0:1] offset:256
.LBB288_54:
	s_endpgm
	.section	.rodata,"a",@progbits
	.p2align	6, 0x0
	.amdhsa_kernel _ZN4vllm25paged_attention_v1_kernelI14__hip_bfloat16hLi192ELi8ELi128ELNS_18Fp8KVCacheDataTypeE1ELb0EEEvPT_PKS3_PKT0_S9_ifPKiSB_iPKfiiiSD_SD_iiiii
		.amdhsa_group_segment_fixed_size 400
		.amdhsa_private_segment_fixed_size 0
		.amdhsa_kernarg_size 384
		.amdhsa_user_sgpr_count 2
		.amdhsa_user_sgpr_dispatch_ptr 0
		.amdhsa_user_sgpr_queue_ptr 0
		.amdhsa_user_sgpr_kernarg_segment_ptr 1
		.amdhsa_user_sgpr_dispatch_id 0
		.amdhsa_user_sgpr_kernarg_preload_length 0
		.amdhsa_user_sgpr_kernarg_preload_offset 0
		.amdhsa_user_sgpr_private_segment_size 0
		.amdhsa_uses_dynamic_stack 0
		.amdhsa_enable_private_segment 0
		.amdhsa_system_sgpr_workgroup_id_x 1
		.amdhsa_system_sgpr_workgroup_id_y 1
		.amdhsa_system_sgpr_workgroup_id_z 1
		.amdhsa_system_sgpr_workgroup_info 0
		.amdhsa_system_vgpr_workitem_id 0
		.amdhsa_next_free_vgpr 67
		.amdhsa_next_free_sgpr 37
		.amdhsa_accum_offset 68
		.amdhsa_reserve_vcc 1
		.amdhsa_float_round_mode_32 0
		.amdhsa_float_round_mode_16_64 0
		.amdhsa_float_denorm_mode_32 3
		.amdhsa_float_denorm_mode_16_64 3
		.amdhsa_dx10_clamp 1
		.amdhsa_ieee_mode 1
		.amdhsa_fp16_overflow 0
		.amdhsa_tg_split 0
		.amdhsa_exception_fp_ieee_invalid_op 0
		.amdhsa_exception_fp_denorm_src 0
		.amdhsa_exception_fp_ieee_div_zero 0
		.amdhsa_exception_fp_ieee_overflow 0
		.amdhsa_exception_fp_ieee_underflow 0
		.amdhsa_exception_fp_ieee_inexact 0
		.amdhsa_exception_int_div_zero 0
	.end_amdhsa_kernel
	.section	.text._ZN4vllm25paged_attention_v1_kernelI14__hip_bfloat16hLi192ELi8ELi128ELNS_18Fp8KVCacheDataTypeE1ELb0EEEvPT_PKS3_PKT0_S9_ifPKiSB_iPKfiiiSD_SD_iiiii,"axG",@progbits,_ZN4vllm25paged_attention_v1_kernelI14__hip_bfloat16hLi192ELi8ELi128ELNS_18Fp8KVCacheDataTypeE1ELb0EEEvPT_PKS3_PKT0_S9_ifPKiSB_iPKfiiiSD_SD_iiiii,comdat
.Lfunc_end288:
	.size	_ZN4vllm25paged_attention_v1_kernelI14__hip_bfloat16hLi192ELi8ELi128ELNS_18Fp8KVCacheDataTypeE1ELb0EEEvPT_PKS3_PKT0_S9_ifPKiSB_iPKfiiiSD_SD_iiiii, .Lfunc_end288-_ZN4vllm25paged_attention_v1_kernelI14__hip_bfloat16hLi192ELi8ELi128ELNS_18Fp8KVCacheDataTypeE1ELb0EEEvPT_PKS3_PKT0_S9_ifPKiSB_iPKfiiiSD_SD_iiiii
                                        ; -- End function
	.set _ZN4vllm25paged_attention_v1_kernelI14__hip_bfloat16hLi192ELi8ELi128ELNS_18Fp8KVCacheDataTypeE1ELb0EEEvPT_PKS3_PKT0_S9_ifPKiSB_iPKfiiiSD_SD_iiiii.num_vgpr, 67
	.set _ZN4vllm25paged_attention_v1_kernelI14__hip_bfloat16hLi192ELi8ELi128ELNS_18Fp8KVCacheDataTypeE1ELb0EEEvPT_PKS3_PKT0_S9_ifPKiSB_iPKfiiiSD_SD_iiiii.num_agpr, 0
	.set _ZN4vllm25paged_attention_v1_kernelI14__hip_bfloat16hLi192ELi8ELi128ELNS_18Fp8KVCacheDataTypeE1ELb0EEEvPT_PKS3_PKT0_S9_ifPKiSB_iPKfiiiSD_SD_iiiii.numbered_sgpr, 37
	.set _ZN4vllm25paged_attention_v1_kernelI14__hip_bfloat16hLi192ELi8ELi128ELNS_18Fp8KVCacheDataTypeE1ELb0EEEvPT_PKS3_PKT0_S9_ifPKiSB_iPKfiiiSD_SD_iiiii.num_named_barrier, 0
	.set _ZN4vllm25paged_attention_v1_kernelI14__hip_bfloat16hLi192ELi8ELi128ELNS_18Fp8KVCacheDataTypeE1ELb0EEEvPT_PKS3_PKT0_S9_ifPKiSB_iPKfiiiSD_SD_iiiii.private_seg_size, 0
	.set _ZN4vllm25paged_attention_v1_kernelI14__hip_bfloat16hLi192ELi8ELi128ELNS_18Fp8KVCacheDataTypeE1ELb0EEEvPT_PKS3_PKT0_S9_ifPKiSB_iPKfiiiSD_SD_iiiii.uses_vcc, 1
	.set _ZN4vllm25paged_attention_v1_kernelI14__hip_bfloat16hLi192ELi8ELi128ELNS_18Fp8KVCacheDataTypeE1ELb0EEEvPT_PKS3_PKT0_S9_ifPKiSB_iPKfiiiSD_SD_iiiii.uses_flat_scratch, 0
	.set _ZN4vllm25paged_attention_v1_kernelI14__hip_bfloat16hLi192ELi8ELi128ELNS_18Fp8KVCacheDataTypeE1ELb0EEEvPT_PKS3_PKT0_S9_ifPKiSB_iPKfiiiSD_SD_iiiii.has_dyn_sized_stack, 0
	.set _ZN4vllm25paged_attention_v1_kernelI14__hip_bfloat16hLi192ELi8ELi128ELNS_18Fp8KVCacheDataTypeE1ELb0EEEvPT_PKS3_PKT0_S9_ifPKiSB_iPKfiiiSD_SD_iiiii.has_recursion, 0
	.set _ZN4vllm25paged_attention_v1_kernelI14__hip_bfloat16hLi192ELi8ELi128ELNS_18Fp8KVCacheDataTypeE1ELb0EEEvPT_PKS3_PKT0_S9_ifPKiSB_iPKfiiiSD_SD_iiiii.has_indirect_call, 0
	.section	.AMDGPU.csdata,"",@progbits
; Kernel info:
; codeLenInByte = 5680
; TotalNumSgprs: 43
; NumVgprs: 67
; NumAgprs: 0
; TotalNumVgprs: 67
; ScratchSize: 0
; MemoryBound: 0
; FloatMode: 240
; IeeeMode: 1
; LDSByteSize: 400 bytes/workgroup (compile time only)
; SGPRBlocks: 5
; VGPRBlocks: 8
; NumSGPRsForWavesPerEU: 43
; NumVGPRsForWavesPerEU: 67
; AccumOffset: 68
; Occupancy: 7
; WaveLimiterHint : 1
; COMPUTE_PGM_RSRC2:SCRATCH_EN: 0
; COMPUTE_PGM_RSRC2:USER_SGPR: 2
; COMPUTE_PGM_RSRC2:TRAP_HANDLER: 0
; COMPUTE_PGM_RSRC2:TGID_X_EN: 1
; COMPUTE_PGM_RSRC2:TGID_Y_EN: 1
; COMPUTE_PGM_RSRC2:TGID_Z_EN: 1
; COMPUTE_PGM_RSRC2:TIDIG_COMP_CNT: 0
; COMPUTE_PGM_RSRC3_GFX90A:ACCUM_OFFSET: 16
; COMPUTE_PGM_RSRC3_GFX90A:TG_SPLIT: 0
	.section	.text._ZN4vllm25paged_attention_v1_kernelI14__hip_bfloat16hLi256ELi8ELi128ELNS_18Fp8KVCacheDataTypeE1ELb0EEEvPT_PKS3_PKT0_S9_ifPKiSB_iPKfiiiSD_SD_iiiii,"axG",@progbits,_ZN4vllm25paged_attention_v1_kernelI14__hip_bfloat16hLi256ELi8ELi128ELNS_18Fp8KVCacheDataTypeE1ELb0EEEvPT_PKS3_PKT0_S9_ifPKiSB_iPKfiiiSD_SD_iiiii,comdat
	.protected	_ZN4vllm25paged_attention_v1_kernelI14__hip_bfloat16hLi256ELi8ELi128ELNS_18Fp8KVCacheDataTypeE1ELb0EEEvPT_PKS3_PKT0_S9_ifPKiSB_iPKfiiiSD_SD_iiiii ; -- Begin function _ZN4vllm25paged_attention_v1_kernelI14__hip_bfloat16hLi256ELi8ELi128ELNS_18Fp8KVCacheDataTypeE1ELb0EEEvPT_PKS3_PKT0_S9_ifPKiSB_iPKfiiiSD_SD_iiiii
	.globl	_ZN4vllm25paged_attention_v1_kernelI14__hip_bfloat16hLi256ELi8ELi128ELNS_18Fp8KVCacheDataTypeE1ELb0EEEvPT_PKS3_PKT0_S9_ifPKiSB_iPKfiiiSD_SD_iiiii
	.p2align	8
	.type	_ZN4vllm25paged_attention_v1_kernelI14__hip_bfloat16hLi256ELi8ELi128ELNS_18Fp8KVCacheDataTypeE1ELb0EEEvPT_PKS3_PKT0_S9_ifPKiSB_iPKfiiiSD_SD_iiiii,@function
_ZN4vllm25paged_attention_v1_kernelI14__hip_bfloat16hLi256ELi8ELi128ELNS_18Fp8KVCacheDataTypeE1ELb0EEEvPT_PKS3_PKT0_S9_ifPKiSB_iPKfiiiSD_SD_iiiii: ; @_ZN4vllm25paged_attention_v1_kernelI14__hip_bfloat16hLi256ELi8ELi128ELNS_18Fp8KVCacheDataTypeE1ELb0EEEvPT_PKS3_PKT0_S9_ifPKiSB_iPKfiiiSD_SD_iiiii
; %bb.0:
	s_load_dword s5, s[0:1], 0x80
	s_load_dwordx2 s[6:7], s[0:1], 0x30
	s_load_dwordx2 s[28:29], s[0:1], 0x20
	s_mov_b32 s16, s3
	s_ashr_i32 s17, s3, 31
	s_lshl_b64 s[8:9], s[16:17], 2
	s_waitcnt lgkmcnt(0)
	s_add_u32 s6, s6, s8
	s_addc_u32 s7, s7, s9
	s_abs_i32 s3, s28
	v_cvt_f32_u32_e32 v1, s3
	s_sub_i32 s10, 0, s3
	s_abs_i32 s9, s5
	s_xor_b32 s8, s5, s28
	v_rcp_iflag_f32_e32 v1, v1
	s_ashr_i32 s8, s8, 31
	s_mov_b32 s28, 0
	v_mul_f32_e32 v1, 0x4f7ffffe, v1
	v_cvt_u32_f32_e32 v1, v1
	s_nop 0
	v_readfirstlane_b32 s11, v1
	s_mul_i32 s10, s10, s11
	s_mul_hi_u32 s10, s11, s10
	s_add_i32 s11, s11, s10
	s_mul_hi_u32 s10, s9, s11
	s_mul_i32 s11, s10, s3
	s_sub_i32 s9, s9, s11
	s_add_i32 s11, s10, 1
	s_sub_i32 s12, s9, s3
	s_cmp_ge_u32 s9, s3
	s_cselect_b32 s10, s11, s10
	s_cselect_b32 s9, s12, s9
	s_add_i32 s11, s10, 1
	s_cmp_ge_u32 s9, s3
	s_cselect_b32 s3, s11, s10
	s_xor_b32 s3, s3, s8
	s_sub_i32 s12, s3, s8
	s_abs_i32 s10, s12
	v_cvt_f32_u32_e32 v1, s10
	s_load_dwordx2 s[8:9], s[0:1], 0x40
	s_sub_i32 s3, 0, s10
	s_abs_i32 s11, s2
	v_rcp_iflag_f32_e32 v1, v1
	s_nop 0
	v_mul_f32_e32 v1, 0x4f7ffffe, v1
	v_cvt_u32_f32_e32 v1, v1
	s_nop 0
	v_readfirstlane_b32 s13, v1
	s_mul_i32 s3, s3, s13
	s_mul_hi_u32 s3, s13, s3
	s_add_i32 s13, s13, s3
	s_waitcnt lgkmcnt(0)
	s_cmp_eq_u64 s[8:9], 0
	s_mul_hi_u32 s20, s11, s13
	s_cbranch_scc1 .LBB289_2
; %bb.1:
	s_ashr_i32 s3, s2, 31
	s_lshl_b64 s[14:15], s[2:3], 2
	s_add_u32 s8, s8, s14
	s_addc_u32 s9, s9, s15
	s_load_dword s28, s[8:9], 0x0
.LBB289_2:
	s_load_dword s33, s[6:7], 0x0
	s_ashr_i32 s9, s12, 31
	s_load_dword s17, s[0:1], 0x88
	s_load_dwordx4 s[12:15], s[0:1], 0x48
	s_ashr_i32 s8, s2, 31
	s_lshl_b32 s18, s2, 8
	s_movk_i32 s2, 0x100
	v_and_b32_e32 v2, 7, v0
	v_cmp_gt_u32_e32 vcc, s2, v0
	v_lshlrev_b32_e32 v1, 1, v0
	s_and_saveexec_b64 s[2:3], vcc
	s_cbranch_execz .LBB289_5
; %bb.3:
	s_load_dwordx2 s[6:7], s[0:1], 0x8
	s_waitcnt lgkmcnt(0)
	s_mul_i32 s22, s12, s16
	s_ashr_i32 s23, s22, 31
	s_lshl_b64 s[22:23], s[22:23], 1
	v_lshrrev_b32_e32 v4, 3, v0
	s_add_u32 s12, s6, s22
	s_addc_u32 s15, s7, s23
	s_ashr_i32 s19, s18, 31
	s_lshl_b64 s[6:7], s[18:19], 1
	s_add_u32 s6, s12, s6
	s_addc_u32 s7, s15, s7
	global_load_ushort v5, v1, s[6:7]
	s_movk_i32 s12, 0x80
	v_lshlrev_b32_e32 v3, 1, v4
	v_lshl_add_u32 v3, v2, 6, v3
	v_cmp_gt_u32_e32 vcc, s12, v0
	s_waitcnt vmcnt(0)
	ds_write_b16 v3, v5
	s_and_b64 exec, exec, vcc
	s_cbranch_execz .LBB289_5
; %bb.4:
	v_lshlrev_b32_e32 v4, 4, v4
	v_lshlrev_b32_e32 v5, 1, v2
	s_movk_i32 s12, 0x100
	v_or3_b32 v4, v4, v5, s12
	global_load_ushort v4, v4, s[6:7]
	s_waitcnt vmcnt(0)
	ds_write_b16 v3, v4 offset:32
.LBB289_5:
	s_or_b64 exec, exec, s[2:3]
	s_waitcnt lgkmcnt(0)
	s_add_i32 s3, s33, 7
	s_ashr_i32 s6, s3, 31
	s_lshr_b32 s6, s6, 29
	s_add_i32 s3, s3, s6
	s_mul_i32 s6, s20, s10
	s_sub_i32 s6, s11, s6
	s_ashr_i32 s12, s3, 3
	s_xor_b32 s3, s8, s9
	s_add_i32 s7, s20, 1
	s_sub_i32 s8, s6, s10
	s_load_dwordx2 s[22:23], s[0:1], 0x28
	s_load_dword s2, s[0:1], 0x38
	s_cmp_ge_u32 s6, s10
	s_cselect_b32 s7, s7, s20
	s_cselect_b32 s6, s8, s6
	s_add_i32 s8, s7, 1
	s_cmp_ge_u32 s6, s10
	s_cselect_b32 s6, s8, s7
	v_lshrrev_b32_e32 v17, 6, v0
	s_xor_b32 s6, s6, s3
	s_waitcnt lgkmcnt(0)
	s_mul_i32 s24, s2, s16
	s_sub_i32 s19, s6, s3
	s_ashr_i32 s25, s24, 31
	v_cmp_gt_i32_e64 s[6:7], s12, v17
	v_cmp_le_i32_e32 vcc, s12, v17
	v_mbcnt_lo_u32_b32 v3, -1, 0
	s_barrier
                                        ; implicit-def: $vgpr7
                                        ; implicit-def: $vgpr9
                                        ; implicit-def: $vgpr8
	s_and_saveexec_b64 s[2:3], vcc
	s_xor_b64 s[2:3], exec, s[2:3]
; %bb.6:
	v_mbcnt_hi_u32_b32 v7, -1, v3
	v_and_b32_e32 v9, 64, v7
	v_add_u32_e32 v8, 64, v9
                                        ; implicit-def: $vgpr2
                                        ; implicit-def: $vgpr3
; %bb.7:
	s_or_saveexec_b64 s[30:31], s[2:3]
	s_load_dwordx2 s[20:21], s[0:1], 0x0
	s_load_dwordx2 s[26:27], s[0:1], 0x18
	s_load_dwordx4 s[8:11], s[0:1], 0x58
	v_mov_b32_e32 v43, 0xff7fffff
	s_mul_i32 s19, s19, s14
	v_lshrrev_b32_e32 v6, 4, v0
	s_xor_b64 exec, exec, s[30:31]
	s_cbranch_execz .LBB289_13
; %bb.8:
	v_lshlrev_b32_e32 v7, 6, v2
	ds_read_b128 v[18:21], v7
	ds_read_b128 v[24:27], v7 offset:16
	ds_read_b128 v[32:35], v7 offset:32
	;; [unrolled: 1-line block ×3, first 2 shown]
	v_mbcnt_hi_u32_b32 v7, -1, v3
	v_and_b32_e32 v9, 64, v7
	v_add_u32_e32 v8, 64, v9
	v_xor_b32_e32 v3, 4, v7
	s_load_dwordx2 s[0:1], s[0:1], 0x10
	v_cmp_lt_i32_e32 vcc, v3, v8
	s_ashr_i32 s2, s19, 31
	v_bfe_u32 v50, v0, 3, 3
	v_cndmask_b32_e32 v3, v7, v3, vcc
	v_lshlrev_b32_e32 v44, 2, v3
	v_xor_b32_e32 v3, 2, v7
	v_cmp_lt_i32_e32 vcc, v3, v8
	s_waitcnt lgkmcnt(0)
	s_add_u32 s0, s0, s19
	v_lshlrev_b32_e32 v4, 4, v50
	v_cndmask_b32_e32 v3, v7, v3, vcc
	v_lshlrev_b32_e32 v45, 2, v3
	v_xor_b32_e32 v3, 1, v7
	s_addc_u32 s1, s1, s2
	v_mov_b32_e32 v5, 0
	v_cmp_lt_i32_e32 vcc, v3, v8
	s_load_dword s35, s[8:9], 0x0
	v_lshl_add_u64 v[48:49], s[0:1], 0, v[4:5]
	v_cndmask_b32_e32 v3, v7, v3, vcc
	s_sub_i32 s36, 1, s33
	v_lshlrev_b32_e32 v4, 2, v50
	s_lshl_b64 s[0:1], s[24:25], 2
	v_lshlrev_b32_e32 v46, 2, v3
	v_mov_b32_e32 v3, v5
	v_lshl_or_b32 v4, v17, 5, v4
	s_add_u32 s0, s22, s0
	v_cmp_eq_u32_e32 vcc, 0, v2
	v_lshl_add_u64 v[2:3], v[48:49], 0, v[2:3]
	v_add_u32_e32 v48, 0x210, v4
	v_and_b32_e32 v4, 60, v6
	s_addc_u32 s1, s23, s1
	s_mov_b32 s34, s13
	v_lshlrev_b32_e32 v10, 16, v18
	v_and_b32_e32 v11, 0xffff0000, v18
	v_lshlrev_b32_e32 v12, 16, v19
	v_and_b32_e32 v13, 0xffff0000, v19
	;; [unrolled: 2-line block ×16, first 2 shown]
	v_cmp_neq_f32_e64 s[2:3], s28, 0
	v_lshl_or_b32 v47, v17, 3, v50
	v_lshl_add_u64 v[4:5], s[0:1], 0, v[4:5]
	v_mov_b32_e32 v43, 0xff7fffff
	s_mov_b64 s[8:9], 0
	v_mov_b32_e32 v49, v17
	s_branch .LBB289_10
.LBB289_9:                              ;   in Loop: Header=BB289_10 Depth=1
	s_or_b64 exec, exec, s[14:15]
	v_add_u32_e32 v49, 2, v49
	v_cmp_le_i32_e64 s[0:1], s12, v49
	v_add_u32_e32 v47, 16, v47
	v_add_u32_e32 v48, 64, v48
	s_or_b64 s[8:9], s[0:1], s[8:9]
	v_lshl_add_u64 v[4:5], v[4:5], 0, 8
	s_andn2_b64 exec, exec, s[8:9]
	s_cbranch_execz .LBB289_12
.LBB289_10:                             ; =>This Inner Loop Header: Depth=1
	global_load_dword v50, v[4:5], off
	s_waitcnt vmcnt(0) lgkmcnt(0)
	v_mad_i64_i32 v[50:51], s[0:1], v50, s34, v[2:3]
	global_load_ubyte v52, v[50:51], off
	global_load_ubyte v53, v[50:51], off offset:8
	global_load_ubyte v54, v[50:51], off offset:128
	;; [unrolled: 1-line block ×30, first 2 shown]
	s_nop 0
	global_load_ubyte v50, v[50:51], off offset:1928
	s_waitcnt vmcnt(31)
	v_cvt_f32_fp8_e32 v51, v52
	s_waitcnt vmcnt(30)
	v_cvt_f32_fp8_e32 v52, v53
	;; [unrolled: 2-line block ×5, first 2 shown]
	s_waitcnt lgkmcnt(0)
	v_mul_f32_e32 v52, s35, v52
	s_waitcnt vmcnt(26)
	v_cvt_f32_fp8_e32 v56, v57
	v_mul_f32_e32 v51, s35, v51
	v_cvt_pk_bf16_f32 v52, v52, s0
	s_waitcnt vmcnt(25)
	v_cvt_f32_fp8_e32 v57, v58
	v_mul_f32_e32 v53, s35, v53
	v_cvt_pk_bf16_f32 v51, v51, s0
	v_lshlrev_b32_e32 v52, 16, v52
	s_waitcnt vmcnt(24)
	v_cvt_f32_fp8_e32 v58, v59
	v_mul_f32_e32 v54, s35, v54
	v_cvt_pk_bf16_f32 v53, v53, s0
	v_lshlrev_b32_e32 v51, 16, v51
	v_mul_f32_e32 v52, v11, v52
	s_waitcnt vmcnt(23)
	v_cvt_f32_fp8_e32 v59, v60
	v_mul_f32_e32 v55, s35, v55
	v_cvt_pk_bf16_f32 v54, v54, s0
	v_lshlrev_b32_e32 v53, 16, v53
	v_fmac_f32_e32 v52, v10, v51
	s_waitcnt vmcnt(22)
	v_cvt_f32_fp8_e32 v60, v61
	v_mul_f32_e32 v56, s35, v56
	v_cvt_pk_bf16_f32 v55, v55, s0
	v_lshlrev_b32_e32 v54, 16, v54
	v_fmac_f32_e32 v52, v12, v53
	s_waitcnt vmcnt(21)
	v_cvt_f32_fp8_e32 v61, v62
	v_mul_f32_e32 v57, s35, v57
	v_cvt_pk_bf16_f32 v56, v56, s0
	v_lshlrev_b32_e32 v55, 16, v55
	v_fmac_f32_e32 v52, v13, v54
	s_waitcnt vmcnt(20)
	v_cvt_f32_fp8_e32 v62, v63
	v_mul_f32_e32 v58, s35, v58
	v_cvt_pk_bf16_f32 v57, v57, s0
	v_lshlrev_b32_e32 v56, 16, v56
	v_fmac_f32_e32 v52, v14, v55
	s_waitcnt vmcnt(19)
	v_cvt_f32_fp8_e32 v63, v64
	v_mul_f32_e32 v59, s35, v59
	v_cvt_pk_bf16_f32 v58, v58, s0
	v_lshlrev_b32_e32 v57, 16, v57
	v_fmac_f32_e32 v52, v15, v56
	s_waitcnt vmcnt(18)
	v_cvt_f32_fp8_e32 v64, v65
	v_mul_f32_e32 v60, s35, v60
	v_cvt_pk_bf16_f32 v59, v59, s0
	v_lshlrev_b32_e32 v58, 16, v58
	v_fmac_f32_e32 v52, v16, v57
	s_waitcnt vmcnt(17)
	v_cvt_f32_fp8_e32 v65, v66
	v_mul_f32_e32 v61, s35, v61
	v_cvt_pk_bf16_f32 v60, v60, s0
	v_lshlrev_b32_e32 v59, 16, v59
	v_fmac_f32_e32 v52, v18, v58
	s_waitcnt vmcnt(16)
	v_cvt_f32_fp8_e32 v66, v67
	v_mul_f32_e32 v62, s35, v62
	v_cvt_pk_bf16_f32 v61, v61, s0
	v_lshlrev_b32_e32 v60, 16, v60
	v_fmac_f32_e32 v52, v19, v59
	s_waitcnt vmcnt(15)
	v_cvt_f32_fp8_e32 v67, v68
	v_mul_f32_e32 v63, s35, v63
	v_cvt_pk_bf16_f32 v62, v62, s0
	v_lshlrev_b32_e32 v61, 16, v61
	v_fmac_f32_e32 v52, v20, v60
	s_waitcnt vmcnt(14)
	v_cvt_f32_fp8_e32 v68, v69
	v_mul_f32_e32 v64, s35, v64
	v_cvt_pk_bf16_f32 v63, v63, s0
	v_lshlrev_b32_e32 v62, 16, v62
	v_fmac_f32_e32 v52, v21, v61
	s_waitcnt vmcnt(13)
	v_cvt_f32_fp8_e32 v69, v70
	v_mul_f32_e32 v65, s35, v65
	v_cvt_pk_bf16_f32 v64, v64, s0
	v_lshlrev_b32_e32 v63, 16, v63
	v_fmac_f32_e32 v52, v22, v62
	s_waitcnt vmcnt(12)
	v_cvt_f32_fp8_e32 v70, v71
	v_mul_f32_e32 v66, s35, v66
	v_cvt_pk_bf16_f32 v65, v65, s0
	v_lshlrev_b32_e32 v64, 16, v64
	v_fmac_f32_e32 v52, v23, v63
	s_waitcnt vmcnt(11)
	v_cvt_f32_fp8_e32 v71, v72
	v_mul_f32_e32 v67, s35, v67
	v_cvt_pk_bf16_f32 v66, v66, s0
	v_lshlrev_b32_e32 v65, 16, v65
	v_fmac_f32_e32 v52, v24, v64
	s_waitcnt vmcnt(10)
	v_cvt_f32_fp8_e32 v72, v73
	v_mul_f32_e32 v68, s35, v68
	v_cvt_pk_bf16_f32 v67, v67, s0
	v_lshlrev_b32_e32 v66, 16, v66
	v_fmac_f32_e32 v52, v25, v65
	s_waitcnt vmcnt(9)
	v_cvt_f32_fp8_e32 v73, v74
	v_mul_f32_e32 v69, s35, v69
	v_cvt_pk_bf16_f32 v68, v68, s0
	v_lshlrev_b32_e32 v67, 16, v67
	v_fmac_f32_e32 v52, v26, v66
	s_waitcnt vmcnt(8)
	v_cvt_f32_fp8_e32 v74, v75
	v_mul_f32_e32 v70, s35, v70
	v_cvt_pk_bf16_f32 v69, v69, s0
	v_lshlrev_b32_e32 v68, 16, v68
	v_fmac_f32_e32 v52, v27, v67
	s_waitcnt vmcnt(7)
	v_cvt_f32_fp8_e32 v75, v76
	v_mul_f32_e32 v71, s35, v71
	v_cvt_pk_bf16_f32 v70, v70, s0
	v_lshlrev_b32_e32 v69, 16, v69
	v_fmac_f32_e32 v52, v28, v68
	s_waitcnt vmcnt(6)
	v_cvt_f32_fp8_e32 v76, v77
	v_mul_f32_e32 v72, s35, v72
	v_cvt_pk_bf16_f32 v71, v71, s0
	v_lshlrev_b32_e32 v70, 16, v70
	v_fmac_f32_e32 v52, v29, v69
	s_waitcnt vmcnt(5)
	v_cvt_f32_fp8_e32 v77, v78
	v_mul_f32_e32 v73, s35, v73
	v_cvt_pk_bf16_f32 v72, v72, s0
	v_lshlrev_b32_e32 v71, 16, v71
	v_fmac_f32_e32 v52, v30, v70
	s_waitcnt vmcnt(4)
	v_cvt_f32_fp8_e32 v78, v79
	v_mul_f32_e32 v74, s35, v74
	v_cvt_pk_bf16_f32 v73, v73, s0
	v_lshlrev_b32_e32 v72, 16, v72
	v_fmac_f32_e32 v52, v31, v71
	s_waitcnt vmcnt(3)
	v_cvt_f32_fp8_e32 v79, v80
	v_mul_f32_e32 v75, s35, v75
	v_cvt_pk_bf16_f32 v74, v74, s0
	v_lshlrev_b32_e32 v73, 16, v73
	v_fmac_f32_e32 v52, v32, v72
	s_waitcnt vmcnt(2)
	v_cvt_f32_fp8_e32 v80, v81
	v_mul_f32_e32 v76, s35, v76
	v_cvt_pk_bf16_f32 v75, v75, s0
	v_lshlrev_b32_e32 v74, 16, v74
	v_fmac_f32_e32 v52, v33, v73
	s_waitcnt vmcnt(1)
	v_cvt_f32_fp8_e32 v81, v82
	v_mul_f32_e32 v77, s35, v77
	v_cvt_pk_bf16_f32 v76, v76, s0
	v_lshlrev_b32_e32 v75, 16, v75
	v_fmac_f32_e32 v52, v34, v74
	s_waitcnt vmcnt(0)
	v_cvt_f32_fp8_e32 v50, v50
	v_mul_f32_e32 v78, s35, v78
	v_cvt_pk_bf16_f32 v77, v77, s0
	v_lshlrev_b32_e32 v76, 16, v76
	v_fmac_f32_e32 v52, v35, v75
	v_mul_f32_e32 v79, s35, v79
	v_cvt_pk_bf16_f32 v78, v78, s0
	v_lshlrev_b32_e32 v77, 16, v77
	v_fmac_f32_e32 v52, v36, v76
	v_mul_f32_e32 v80, s35, v80
	v_cvt_pk_bf16_f32 v79, v79, s0
	v_lshlrev_b32_e32 v78, 16, v78
	v_fmac_f32_e32 v52, v37, v77
	;; [unrolled: 4-line block ×4, first 2 shown]
	v_cvt_pk_bf16_f32 v50, v50, s0
	v_lshlrev_b32_e32 v81, 16, v81
	v_fmac_f32_e32 v52, v40, v80
	v_fmac_f32_e32 v52, v41, v81
	v_lshlrev_b32_e32 v50, 16, v50
	v_fmac_f32_e32 v52, v42, v50
	ds_bpermute_b32 v50, v44, v52
	s_waitcnt lgkmcnt(0)
	v_add_f32_e32 v50, v52, v50
	ds_bpermute_b32 v51, v45, v50
	s_waitcnt lgkmcnt(0)
	v_add_f32_e32 v50, v50, v51
	ds_bpermute_b32 v51, v46, v50
	s_and_saveexec_b64 s[14:15], vcc
	s_cbranch_execz .LBB289_9
; %bb.11:                               ;   in Loop: Header=BB289_10 Depth=1
	v_add_u32_e32 v52, s36, v47
	v_cvt_f32_i32_e32 v52, v52
	s_waitcnt lgkmcnt(0)
	v_add_f32_e32 v50, v50, v51
	v_cmp_gt_i32_e64 s[0:1], s33, v47
	v_max_f32_e32 v51, v43, v43
	v_mul_f32_e32 v52, s28, v52
	v_cndmask_b32_e64 v52, 0, v52, s[2:3]
	v_fmac_f32_e32 v52, s29, v50
	v_cndmask_b32_e64 v50, 0, v52, s[0:1]
	ds_write_b32 v48, v50
	v_max_f32_e32 v50, v51, v52
	v_cndmask_b32_e64 v43, v43, v50, s[0:1]
	s_branch .LBB289_9
.LBB289_12:
	s_or_b64 exec, exec, s[8:9]
.LBB289_13:
	s_or_b64 exec, exec, s[30:31]
	v_xor_b32_e32 v2, 32, v7
	v_cmp_lt_i32_e32 vcc, v2, v8
	v_xor_b32_e32 v5, 16, v7
	v_max_f32_e32 v4, v43, v43
	v_cndmask_b32_e32 v2, v7, v2, vcc
	v_lshlrev_b32_e32 v3, 2, v2
	ds_bpermute_b32 v2, v3, v43
	v_cmp_lt_i32_e32 vcc, v5, v8
	v_xor_b32_e32 v10, 8, v7
	v_and_b32_e32 v22, 63, v0
	s_waitcnt lgkmcnt(0)
	v_max_f32_e32 v2, v2, v2
	v_max_f32_e32 v2, v4, v2
	v_cndmask_b32_e32 v4, v7, v5, vcc
	v_lshlrev_b32_e32 v5, 2, v4
	ds_bpermute_b32 v4, v5, v2
	v_cmp_lt_i32_e32 vcc, v10, v8
	s_waitcnt lgkmcnt(0)
	v_max_f32_e32 v4, v4, v4
	v_max_f32_e32 v4, v2, v4
	v_cndmask_b32_e32 v2, v7, v10, vcc
	v_lshlrev_b32_e32 v11, 2, v2
	ds_bpermute_b32 v10, v11, v4
	v_cmp_eq_u32_e32 vcc, 0, v22
	v_lshlrev_b32_e32 v2, 2, v17
	s_and_saveexec_b64 s[0:1], vcc
	s_cbranch_execz .LBB289_15
; %bb.14:
	s_waitcnt lgkmcnt(0)
	v_max_f32_e32 v10, v10, v10
	v_max_f32_e32 v4, v4, v4
	;; [unrolled: 1-line block ×3, first 2 shown]
	ds_write_b32 v2, v4 offset:512
.LBB289_15:
	s_or_b64 exec, exec, s[0:1]
	v_cmp_gt_u32_e64 s[0:1], 2, v22
	v_mov_b32_e32 v12, 0xff7fffff
	v_lshlrev_b32_e32 v4, 2, v22
	s_waitcnt lgkmcnt(0)
	s_barrier
	s_and_saveexec_b64 s[2:3], s[0:1]
; %bb.16:
	ds_read_b32 v12, v4 offset:512
; %bb.17:
	s_or_b64 exec, exec, s[2:3]
	v_xor_b32_e32 v10, 1, v7
	v_cmp_lt_i32_e64 s[2:3], v10, v8
	v_lshlrev_b32_e32 v9, 2, v9
	s_nop 0
	v_cndmask_b32_e64 v10, v7, v10, s[2:3]
	v_lshlrev_b32_e32 v10, 2, v10
	s_waitcnt lgkmcnt(0)
	ds_bpermute_b32 v13, v10, v12
	v_max_f32_e32 v12, v12, v12
	s_lshl_b32 s2, s12, 3
	s_min_i32 s30, s2, s33
	v_cmp_gt_i32_e64 s[2:3], s30, v0
	s_waitcnt lgkmcnt(0)
	v_max_f32_e32 v13, v13, v13
	v_max_f32_e32 v12, v12, v13
	ds_bpermute_b32 v12, v9, v12
	v_mov_b32_e32 v9, 0
	s_and_saveexec_b64 s[14:15], s[2:3]
	s_cbranch_execz .LBB289_21
; %bb.18:
	v_mov_b32_e32 v9, 0x210
	v_lshl_add_u32 v13, v0, 2, v9
	v_mov_b32_e32 v9, 0
	s_mov_b64 s[28:29], 0
	v_mov_b32_e32 v14, v0
.LBB289_19:                             ; =>This Inner Loop Header: Depth=1
	ds_read_b32 v15, v13
	v_add_u32_e32 v14, 0x80, v14
	v_cmp_le_i32_e64 s[8:9], s30, v14
	s_or_b64 s[28:29], s[8:9], s[28:29]
	s_waitcnt lgkmcnt(0)
	v_sub_f32_e32 v15, v15, v12
	v_mul_f32_e32 v15, 0x3fb8aa3b, v15
	v_exp_f32_e32 v15, v15
	ds_write_b32 v13, v15
	v_add_f32_e32 v9, v9, v15
	v_add_u32_e32 v13, 0x200, v13
	s_andn2_b64 exec, exec, s[28:29]
	s_cbranch_execnz .LBB289_19
; %bb.20:
	s_or_b64 exec, exec, s[28:29]
.LBB289_21:
	s_or_b64 exec, exec, s[14:15]
	ds_bpermute_b32 v3, v3, v9
	s_waitcnt lgkmcnt(0)
	v_add_f32_e32 v3, v9, v3
	ds_bpermute_b32 v5, v5, v3
	v_xor_b32_e32 v9, 4, v7
	v_cmp_lt_i32_e64 s[8:9], v9, v8
	s_waitcnt lgkmcnt(0)
	v_add_f32_e32 v3, v3, v5
	ds_bpermute_b32 v5, v11, v3
	v_cndmask_b32_e64 v9, v7, v9, s[8:9]
	v_lshlrev_b32_e32 v9, 2, v9
	s_waitcnt lgkmcnt(0)
	v_add_f32_e32 v3, v3, v5
	ds_bpermute_b32 v5, v9, v3
	v_xor_b32_e32 v9, 2, v7
	v_cmp_lt_i32_e64 s[8:9], v9, v8
	s_waitcnt lgkmcnt(0)
	v_add_f32_e32 v3, v3, v5
	v_cndmask_b32_e64 v8, v7, v9, s[8:9]
	v_lshlrev_b32_e32 v5, 2, v8
	ds_bpermute_b32 v5, v5, v3
	s_waitcnt lgkmcnt(0)
	v_add_f32_e32 v3, v3, v5
	ds_bpermute_b32 v5, v10, v3
	s_waitcnt lgkmcnt(0)
	v_add_f32_e32 v3, v3, v5
	s_and_saveexec_b64 s[8:9], vcc
; %bb.22:
	ds_write_b32 v2, v3 offset:520
; %bb.23:
	s_or_b64 exec, exec, s[8:9]
	s_waitcnt lgkmcnt(0)
	s_barrier
	s_and_saveexec_b64 s[8:9], s[0:1]
; %bb.24:
	ds_read_b32 v3, v4 offset:520
; %bb.25:
	s_or_b64 exec, exec, s[8:9]
	s_waitcnt lgkmcnt(0)
	ds_bpermute_b32 v2, v10, v3
	v_lshlrev_b32_e32 v4, 2, v7
	s_waitcnt lgkmcnt(0)
	v_add_f32_e32 v2, v3, v2
	v_and_b32_e32 v3, 0xffffff00, v4
	ds_bpermute_b32 v2, v3, v2
	s_and_saveexec_b64 s[0:1], s[2:3]
	s_cbranch_execz .LBB289_38
; %bb.26:
	s_waitcnt lgkmcnt(0)
	v_add_f32_e32 v2, 0x358637bd, v2
	v_div_scale_f32 v3, s[2:3], v2, v2, 1.0
	v_rcp_f32_e32 v4, v3
	v_div_scale_f32 v5, vcc, 1.0, v2, 1.0
	s_movk_i32 s2, 0x7f
	v_fma_f32 v7, -v3, v4, 1.0
	v_fmac_f32_e32 v4, v7, v4
	v_mul_f32_e32 v7, v5, v4
	v_fma_f32 v8, -v3, v7, v5
	v_fmac_f32_e32 v7, v8, v4
	v_fma_f32 v3, -v3, v7, v5
	v_div_fmas_f32 v3, v3, v4, v7
	v_xad_u32 v4, v0, -1, s30
	v_div_fixup_f32 v2, v3, v2, 1.0
	v_cmp_lt_u32_e32 vcc, s2, v4
	s_mov_b64 s[8:9], -1
	v_mov_b32_e32 v3, v0
	s_and_saveexec_b64 s[2:3], vcc
	s_cbranch_execz .LBB289_35
; %bb.27:
	v_lshrrev_b32_e32 v4, 7, v4
	v_add_u32_e32 v7, -1, v4
	v_lshrrev_b32_e32 v5, 1, v7
	v_mov_b32_e32 v3, v2
	v_add_u32_e32 v5, 1, v5
	v_cmp_lt_u32_e32 vcc, 13, v7
	v_mov_b32_e32 v9, 0
	s_and_saveexec_b64 s[8:9], vcc
	s_cbranch_execz .LBB289_31
; %bb.28:
	v_mov_b32_e32 v8, 0x210
	v_and_b32_e32 v7, -8, v5
	v_lshl_add_u32 v8, v0, 2, v8
	s_mov_b32 s28, 0
	s_mov_b64 s[14:15], 0
.LBB289_29:                             ; =>This Inner Loop Header: Depth=1
	ds_read2st64_b32 v[10:11], v8 offset1:2
	ds_read2st64_b32 v[12:13], v8 offset0:4 offset1:6
	ds_read2st64_b32 v[14:15], v8 offset0:8 offset1:10
	;; [unrolled: 1-line block ×3, first 2 shown]
	v_add_u32_e32 v7, -8, v7
	s_waitcnt lgkmcnt(3)
	v_pk_mul_f32 v[10:11], v[2:3], v[10:11]
	s_waitcnt lgkmcnt(2)
	v_pk_mul_f32 v[12:13], v[2:3], v[12:13]
	ds_write2st64_b32 v8, v10, v11 offset1:2
	ds_write2st64_b32 v8, v12, v13 offset0:4 offset1:6
	ds_read2st64_b32 v[12:13], v8 offset0:16 offset1:18
	s_waitcnt lgkmcnt(4)
	v_pk_mul_f32 v[10:11], v[2:3], v[14:15]
	ds_write2st64_b32 v8, v10, v11 offset0:8 offset1:10
	s_waitcnt lgkmcnt(4)
	v_pk_mul_f32 v[10:11], v[2:3], v[18:19]
	ds_write2st64_b32 v8, v10, v11 offset0:12 offset1:14
	ds_read2st64_b32 v[10:11], v8 offset0:20 offset1:22
	s_waitcnt lgkmcnt(3)
	v_pk_mul_f32 v[12:13], v[2:3], v[12:13]
	ds_read2st64_b32 v[14:15], v8 offset0:24 offset1:26
	ds_write2st64_b32 v8, v12, v13 offset0:16 offset1:18
	ds_read2st64_b32 v[12:13], v8 offset0:28 offset1:30
	s_waitcnt lgkmcnt(3)
	v_pk_mul_f32 v[10:11], v[2:3], v[10:11]
	ds_write2st64_b32 v8, v10, v11 offset0:20 offset1:22
	s_waitcnt lgkmcnt(3)
	v_pk_mul_f32 v[10:11], v[2:3], v[14:15]
	ds_write2st64_b32 v8, v10, v11 offset0:24 offset1:26
	s_waitcnt lgkmcnt(2)
	v_pk_mul_f32 v[10:11], v[2:3], v[12:13]
	s_add_i32 s28, s28, 16
	v_cmp_eq_u32_e32 vcc, 0, v7
	ds_write2st64_b32 v8, v10, v11 offset0:28 offset1:30
	v_add_u32_e32 v8, 0x2000, v8
	s_or_b64 s[14:15], vcc, s[14:15]
	v_mov_b32_e32 v9, s28
	s_andn2_b64 exec, exec, s[14:15]
	s_cbranch_execnz .LBB289_29
; %bb.30:
	s_or_b64 exec, exec, s[14:15]
.LBB289_31:
	s_or_b64 exec, exec, s[8:9]
	v_and_b32_e32 v5, 7, v5
	v_cmp_ne_u32_e32 vcc, 0, v5
	s_and_saveexec_b64 s[8:9], vcc
	s_cbranch_execz .LBB289_34
; %bb.32:
	v_lshlrev_b32_e32 v7, 9, v9
	v_lshlrev_b32_e32 v8, 2, v0
	s_movk_i32 s14, 0x210
	v_add3_u32 v7, v7, v8, s14
	s_mov_b64 s[14:15], 0
.LBB289_33:                             ; =>This Inner Loop Header: Depth=1
	ds_read2st64_b32 v[8:9], v7 offset1:2
	v_add_u32_e32 v5, -1, v5
	v_cmp_eq_u32_e32 vcc, 0, v5
	s_or_b64 s[14:15], vcc, s[14:15]
	s_waitcnt lgkmcnt(0)
	v_pk_mul_f32 v[8:9], v[2:3], v[8:9]
	ds_write2st64_b32 v7, v8, v9 offset1:2
	v_add_u32_e32 v7, 0x400, v7
	s_andn2_b64 exec, exec, s[14:15]
	s_cbranch_execnz .LBB289_33
.LBB289_34:
	s_or_b64 exec, exec, s[8:9]
	v_add_u32_e32 v4, 1, v4
	v_and_b32_e32 v5, 0x3fffffe, v4
	v_cmp_ne_u32_e32 vcc, v4, v5
	v_lshl_add_u32 v3, v5, 7, v0
	s_orn2_b64 s[8:9], vcc, exec
.LBB289_35:
	s_or_b64 exec, exec, s[2:3]
	s_and_b64 exec, exec, s[8:9]
	s_cbranch_execz .LBB289_38
; %bb.36:
	v_mov_b32_e32 v4, 0x210
	v_lshl_add_u32 v4, v3, 2, v4
	s_mov_b64 s[2:3], 0
.LBB289_37:                             ; =>This Inner Loop Header: Depth=1
	ds_read_b32 v5, v4
	v_add_u32_e32 v3, 0x80, v3
	v_cmp_le_i32_e32 vcc, s30, v3
	s_or_b64 s[2:3], vcc, s[2:3]
	s_waitcnt lgkmcnt(0)
	v_mul_f32_e32 v5, v2, v5
	ds_write_b32 v4, v5
	v_add_u32_e32 v4, 0x200, v4
	s_andn2_b64 exec, exec, s[2:3]
	s_cbranch_execnz .LBB289_37
.LBB289_38:
	s_or_b64 exec, exec, s[0:1]
	v_mov_b32_e32 v10, 0
	v_mov_b32_e32 v11, v10
	v_mov_b64_e32 v[12:13], v[10:11]
	s_waitcnt lgkmcnt(0)
	s_barrier
	s_and_saveexec_b64 s[2:3], s[6:7]
	s_cbranch_execz .LBB289_50
; %bb.39:
	s_ashr_i32 s1, s19, 31
	s_add_u32 s0, s26, s19
	s_addc_u32 s1, s27, s1
	v_lshlrev_b32_e32 v2, 3, v22
	s_load_dword s10, s[10:11], 0x0
	v_mov_b32_e32 v3, v10
	s_add_i32 s11, s12, -1
	v_lshl_add_u64 v[14:15], s[0:1], 0, v[2:3]
	s_lshl_b64 s[0:1], s[24:25], 2
	v_mov_b32_e32 v2, 0x210
	s_add_u32 s0, s22, s0
	v_lshl_add_u32 v23, v17, 5, v2
	v_and_b32_e32 v2, 60, v6
	s_addc_u32 s1, s23, s1
	v_lshl_or_b32 v11, v17, 3, 7
	v_lshl_add_u64 v[18:19], s[0:1], 0, v[2:3]
	s_mov_b64 s[6:7], 0
	v_mov_b32_e32 v16, 0
	v_mov_b32_e32 v13, 0
	;; [unrolled: 1-line block ×3, first 2 shown]
	s_branch .LBB289_41
.LBB289_40:                             ;   in Loop: Header=BB289_41 Depth=1
	s_or_b64 exec, exec, s[0:1]
	v_cvt_pk_bf16_f32 v6, v6, s0
	v_cvt_pk_bf16_f32 v7, v7, s0
	;; [unrolled: 1-line block ×4, first 2 shown]
	v_lshlrev_b32_e32 v7, 16, v7
	v_lshlrev_b32_e32 v32, 16, v60
	;; [unrolled: 1-line block ×4, first 2 shown]
	v_mul_f32_e32 v32, v7, v32
	v_mul_f32_e32 v33, v6, v33
	v_lshlrev_b32_e32 v9, 16, v9
	v_lshlrev_b32_e32 v34, 16, v58
	;; [unrolled: 1-line block ×4, first 2 shown]
	v_cvt_pk_bf16_f32 v2, v2, s0
	v_cvt_pk_bf16_f32 v3, v3, s0
	;; [unrolled: 1-line block ×4, first 2 shown]
	v_mul_f32_e32 v34, v9, v34
	v_mul_f32_e32 v35, v8, v35
	v_lshlrev_b32_e32 v31, 16, v31
	v_lshlrev_b32_e32 v30, 16, v30
	;; [unrolled: 1-line block ×4, first 2 shown]
	v_cvt_pk_bf16_f32 v4, v4, s0
	v_cvt_pk_bf16_f32 v5, v5, s0
	;; [unrolled: 1-line block ×4, first 2 shown]
	v_lshlrev_b32_e32 v3, 16, v3
	v_lshlrev_b32_e32 v36, 16, v56
	;; [unrolled: 1-line block ×6, first 2 shown]
	v_mul_f32_e32 v31, v7, v31
	v_mul_f32_e32 v30, v6, v30
	;; [unrolled: 1-line block ×4, first 2 shown]
	v_lshlrev_b32_e32 v27, 16, v27
	v_lshlrev_b32_e32 v26, 16, v26
	v_mul_f32_e32 v36, v3, v36
	v_mul_f32_e32 v37, v2, v37
	v_lshlrev_b32_e32 v5, 16, v5
	v_lshlrev_b32_e32 v4, 16, v4
	v_add_f32_e32 v32, v33, v32
	v_lshlrev_b32_e32 v33, 16, v35
	v_lshlrev_b32_e32 v34, 16, v34
	v_cvt_pk_bf16_f32 v31, v31, s0
	v_cvt_pk_bf16_f32 v30, v30, s0
	;; [unrolled: 1-line block ×4, first 2 shown]
	v_mul_f32_e32 v27, v3, v27
	v_mul_f32_e32 v26, v2, v26
	v_lshlrev_b32_e32 v25, 16, v25
	v_lshlrev_b32_e32 v24, 16, v24
	v_cvt_pk_bf16_f32 v36, v36, s0
	v_cvt_pk_bf16_f32 v37, v37, s0
	v_lshlrev_b32_e32 v38, 16, v54
	v_lshlrev_b32_e32 v53, 16, v53
	v_add_f32_e32 v33, v33, v34
	v_cvt_pk_bf16_f32 v27, v27, s0
	v_cvt_pk_bf16_f32 v26, v26, s0
	v_mul_f32_e32 v25, v5, v25
	v_mul_f32_e32 v24, v4, v24
	v_lshlrev_b32_e32 v30, 16, v30
	v_lshlrev_b32_e32 v31, 16, v31
	;; [unrolled: 1-line block ×4, first 2 shown]
	v_mul_f32_e32 v38, v5, v38
	v_mul_f32_e32 v53, v4, v53
	v_add_f32_e32 v32, v33, v32
	v_lshlrev_b32_e32 v33, 16, v37
	v_lshlrev_b32_e32 v34, 16, v36
	v_cvt_pk_bf16_f32 v25, v25, s0
	v_cvt_pk_bf16_f32 v24, v24, s0
	v_add_f32_e32 v30, v30, v31
	v_add_f32_e32 v28, v28, v29
	v_lshlrev_b32_e32 v26, 16, v26
	v_lshlrev_b32_e32 v27, 16, v27
	v_cvt_pk_bf16_f32 v38, v38, s0
	v_cvt_pk_bf16_f32 v53, v53, s0
	v_add_f32_e32 v33, v33, v34
	v_add_f32_e32 v28, v28, v30
	;; [unrolled: 1-line block ×3, first 2 shown]
	v_lshlrev_b32_e32 v24, 16, v24
	v_lshlrev_b32_e32 v25, 16, v25
	v_add_f32_e32 v32, v33, v32
	v_lshlrev_b32_e32 v33, 16, v53
	v_lshlrev_b32_e32 v34, 16, v38
	v_add_f32_e32 v26, v26, v28
	v_add_f32_e32 v24, v24, v25
	;; [unrolled: 1-line block ×5, first 2 shown]
	v_lshlrev_b32_e32 v33, 16, v45
	v_add_f32_e32 v12, v12, v24
	v_lshlrev_b32_e32 v24, 16, v52
	v_add_f32_e32 v16, v16, v32
	v_lshlrev_b32_e32 v32, 16, v46
	v_mul_f32_e32 v33, v6, v33
	v_mul_f32_e32 v6, v6, v24
	v_lshlrev_b32_e32 v24, 16, v51
	v_mul_f32_e32 v32, v7, v32
	v_lshlrev_b32_e32 v35, 16, v43
	;; [unrolled: 2-line block ×3, first 2 shown]
	v_lshlrev_b32_e32 v34, 16, v44
	v_mul_f32_e32 v35, v8, v35
	v_mul_f32_e32 v8, v8, v24
	v_lshlrev_b32_e32 v24, 16, v49
	v_mul_f32_e32 v34, v9, v34
	v_lshlrev_b32_e32 v37, 16, v41
	;; [unrolled: 2-line block ×3, first 2 shown]
	v_mul_f32_e32 v37, v2, v37
	v_mul_f32_e32 v2, v2, v24
	v_cvt_pk_bf16_f32 v24, v2, s0
	v_lshlrev_b32_e32 v2, 16, v47
	v_mul_f32_e32 v2, v3, v2
	v_cvt_pk_bf16_f32 v32, v32, s0
	v_cvt_pk_bf16_f32 v33, v33, s0
	;; [unrolled: 1-line block ×3, first 2 shown]
	v_lshlrev_b32_e32 v2, 16, v21
	v_cvt_pk_bf16_f32 v34, v34, s0
	v_cvt_pk_bf16_f32 v35, v35, s0
	v_lshlrev_b32_e32 v36, 16, v42
	v_lshlrev_b32_e32 v33, 16, v33
	;; [unrolled: 1-line block ×3, first 2 shown]
	v_mul_f32_e32 v2, v4, v2
	v_mul_f32_e32 v36, v3, v36
	v_add_f32_e32 v32, v33, v32
	v_lshlrev_b32_e32 v33, 16, v35
	v_lshlrev_b32_e32 v34, 16, v34
	v_cvt_pk_bf16_f32 v21, v2, s0
	v_lshlrev_b32_e32 v2, 16, v20
	v_cvt_pk_bf16_f32 v36, v36, s0
	v_cvt_pk_bf16_f32 v37, v37, s0
	v_lshlrev_b32_e32 v38, 16, v40
	v_lshlrev_b32_e32 v39, 16, v39
	v_add_f32_e32 v33, v33, v34
	v_cvt_pk_bf16_f32 v6, v6, s0
	v_cvt_pk_bf16_f32 v7, v7, s0
	;; [unrolled: 1-line block ×4, first 2 shown]
	v_mul_f32_e32 v2, v5, v2
	v_mul_f32_e32 v38, v5, v38
	;; [unrolled: 1-line block ×3, first 2 shown]
	v_add_f32_e32 v32, v33, v32
	v_lshlrev_b32_e32 v33, 16, v37
	v_lshlrev_b32_e32 v34, 16, v36
	v_cvt_pk_bf16_f32 v20, v2, s0
	v_lshlrev_b32_e32 v3, 16, v7
	v_lshlrev_b32_e32 v5, 16, v6
	;; [unrolled: 1-line block ×4, first 2 shown]
	v_cvt_pk_bf16_f32 v38, v38, s0
	v_cvt_pk_bf16_f32 v39, v39, s0
	v_add_f32_e32 v33, v33, v34
	v_pk_add_f32 v[2:3], v[4:5], v[2:3]
	v_lshlrev_b32_e32 v5, 16, v25
	v_lshlrev_b32_e32 v7, 16, v24
	;; [unrolled: 1-line block ×4, first 2 shown]
	v_add_f32_e32 v32, v33, v32
	v_lshlrev_b32_e32 v33, 16, v39
	v_lshlrev_b32_e32 v34, 16, v38
	v_pk_add_f32 v[4:5], v[6:7], v[4:5]
	v_add_f32_e32 v2, v2, v3
	v_add_f32_e32 v33, v33, v34
	;; [unrolled: 1-line block ×3, first 2 shown]
	v_add_u32_e32 v17, 2, v17
	v_add_f32_e32 v32, v33, v32
	v_add_f32_e32 v2, v4, v2
	v_cmp_le_i32_e32 vcc, s12, v17
	v_add_f32_e32 v13, v13, v32
	v_add_f32_e32 v10, v10, v2
	v_add_u32_e32 v11, 16, v11
	v_add_u32_e32 v23, 64, v23
	s_or_b64 s[6:7], vcc, s[6:7]
	v_lshl_add_u64 v[18:19], v[18:19], 0, 8
	s_andn2_b64 exec, exec, s[6:7]
	s_cbranch_execz .LBB289_49
.LBB289_41:                             ; =>This Inner Loop Header: Depth=1
	global_load_dword v2, v[18:19], off
	v_add_u32_e32 v32, -7, v11
	v_cmp_eq_u32_e32 vcc, s11, v17
	v_add_u32_e32 v37, -6, v11
	v_add_u32_e32 v36, -5, v11
	;; [unrolled: 1-line block ×5, first 2 shown]
	s_waitcnt vmcnt(0)
	v_mad_i64_i32 v[20:21], s[0:1], v2, s13, v[14:15]
	global_load_dwordx2 v[24:25], v[20:21], off
	ds_read2_b64 v[6:9], v23 offset1:1
	ds_read2_b64 v[2:5], v23 offset0:2 offset1:3
	s_waitcnt vmcnt(0)
	v_and_b32_e32 v26, 0xff, v24
	v_bfe_u32 v27, v24, 8, 8
	v_bfe_u32 v28, v24, 16, 8
	v_lshrrev_b32_e32 v24, 24, v24
	v_and_b32_e32 v29, 0xff, v25
	v_bfe_u32 v30, v25, 8, 8
	v_bfe_u32 v31, v25, 16, 8
	v_lshrrev_b32_e32 v25, 24, v25
	v_cvt_f32_fp8_e32 v26, v26
	v_cvt_f32_fp8_e32 v27, v27
	;; [unrolled: 1-line block ×8, first 2 shown]
	s_waitcnt lgkmcnt(0)
	v_mul_f32_e32 v26, s10, v26
	v_mul_f32_e32 v27, s10, v27
	;; [unrolled: 1-line block ×8, first 2 shown]
	v_cvt_pk_bf16_f32 v30, v26, s0
	v_cvt_pk_bf16_f32 v31, v27, s0
	;; [unrolled: 1-line block ×8, first 2 shown]
	v_add_u32_e32 v38, -1, v11
	s_and_saveexec_b64 s[8:9], vcc
	s_cbranch_execz .LBB289_43
; %bb.42:                               ;   in Loop: Header=BB289_41 Depth=1
	v_cmp_gt_i32_e64 s[0:1], s33, v32
	s_nop 1
	v_cndmask_b32_e64 v30, 0, v30, s[0:1]
	v_cmp_gt_i32_e64 s[0:1], s33, v37
	s_nop 1
	v_cndmask_b32_e64 v31, 0, v31, s[0:1]
	v_cmp_gt_i32_e64 s[0:1], s33, v36
	s_nop 1
	v_cndmask_b32_e64 v28, 0, v28, s[0:1]
	v_cmp_gt_i32_e64 s[0:1], s33, v35
	s_nop 1
	v_cndmask_b32_e64 v29, 0, v29, s[0:1]
	v_cmp_gt_i32_e64 s[0:1], s33, v34
	s_nop 1
	v_cndmask_b32_e64 v26, 0, v26, s[0:1]
	v_cmp_gt_i32_e64 s[0:1], s33, v33
	s_nop 1
	v_cndmask_b32_e64 v27, 0, v27, s[0:1]
	v_cmp_gt_i32_e64 s[0:1], s33, v38
	s_nop 1
	v_cndmask_b32_e64 v24, 0, v24, s[0:1]
	v_cmp_gt_i32_e64 s[0:1], s33, v11
	s_nop 1
	v_cndmask_b32_e64 v25, 0, v25, s[0:1]
.LBB289_43:                             ;   in Loop: Header=BB289_41 Depth=1
	s_or_b64 exec, exec, s[8:9]
	global_load_dwordx2 v[40:41], v[20:21], off offset:512
	s_waitcnt vmcnt(0)
	v_and_b32_e32 v39, 0xff, v40
	v_bfe_u32 v42, v40, 8, 8
	v_bfe_u32 v43, v40, 16, 8
	v_lshrrev_b32_e32 v40, 24, v40
	v_and_b32_e32 v44, 0xff, v41
	v_bfe_u32 v45, v41, 8, 8
	v_bfe_u32 v46, v41, 16, 8
	v_lshrrev_b32_e32 v41, 24, v41
	v_cvt_f32_fp8_e32 v39, v39
	v_cvt_f32_fp8_e32 v42, v42
	v_cvt_f32_fp8_e32 v43, v43
	v_cvt_f32_fp8_e32 v40, v40
	v_cvt_f32_fp8_e32 v44, v44
	v_cvt_f32_fp8_e32 v45, v45
	v_cvt_f32_fp8_e32 v46, v46
	v_cvt_f32_fp8_e32 v41, v41
	v_mul_f32_e32 v39, s10, v39
	v_mul_f32_e32 v42, s10, v42
	v_mul_f32_e32 v43, s10, v43
	v_mul_f32_e32 v40, s10, v40
	v_mul_f32_e32 v47, s10, v44
	v_mul_f32_e32 v48, s10, v45
	v_mul_f32_e32 v49, s10, v46
	v_mul_f32_e32 v50, s10, v41
	v_cvt_pk_bf16_f32 v45, v39, s0
	v_cvt_pk_bf16_f32 v46, v42, s0
	v_cvt_pk_bf16_f32 v43, v43, s0
	v_cvt_pk_bf16_f32 v44, v40, s0
	v_cvt_pk_bf16_f32 v41, v47, s0
	v_cvt_pk_bf16_f32 v42, v48, s0
	v_cvt_pk_bf16_f32 v39, v49, s0
	v_cvt_pk_bf16_f32 v40, v50, s0
	s_and_saveexec_b64 s[8:9], vcc
	s_cbranch_execz .LBB289_45
; %bb.44:                               ;   in Loop: Header=BB289_41 Depth=1
	v_cmp_gt_i32_e64 s[0:1], s33, v32
	s_nop 1
	v_cndmask_b32_e64 v45, 0, v45, s[0:1]
	v_cmp_gt_i32_e64 s[0:1], s33, v37
	s_nop 1
	v_cndmask_b32_e64 v46, 0, v46, s[0:1]
	v_cmp_gt_i32_e64 s[0:1], s33, v36
	s_nop 1
	v_cndmask_b32_e64 v43, 0, v43, s[0:1]
	v_cmp_gt_i32_e64 s[0:1], s33, v35
	s_nop 1
	v_cndmask_b32_e64 v44, 0, v44, s[0:1]
	v_cmp_gt_i32_e64 s[0:1], s33, v34
	s_nop 1
	v_cndmask_b32_e64 v41, 0, v41, s[0:1]
	v_cmp_gt_i32_e64 s[0:1], s33, v33
	s_nop 1
	v_cndmask_b32_e64 v42, 0, v42, s[0:1]
	v_cmp_gt_i32_e64 s[0:1], s33, v38
	s_nop 1
	v_cndmask_b32_e64 v39, 0, v39, s[0:1]
	v_cmp_gt_i32_e64 s[0:1], s33, v11
	s_nop 1
	v_cndmask_b32_e64 v40, 0, v40, s[0:1]
.LBB289_45:                             ;   in Loop: Header=BB289_41 Depth=1
	s_or_b64 exec, exec, s[8:9]
	global_load_dwordx2 v[48:49], v[20:21], off offset:1024
	s_waitcnt vmcnt(0)
	v_and_b32_e32 v47, 0xff, v48
	v_bfe_u32 v50, v48, 8, 8
	v_bfe_u32 v51, v48, 16, 8
	v_lshrrev_b32_e32 v48, 24, v48
	v_and_b32_e32 v52, 0xff, v49
	v_bfe_u32 v53, v49, 8, 8
	v_bfe_u32 v54, v49, 16, 8
	v_lshrrev_b32_e32 v49, 24, v49
	v_cvt_f32_fp8_e32 v47, v47
	v_cvt_f32_fp8_e32 v50, v50
	v_cvt_f32_fp8_e32 v51, v51
	v_cvt_f32_fp8_e32 v48, v48
	v_cvt_f32_fp8_e32 v52, v52
	v_cvt_f32_fp8_e32 v53, v53
	v_cvt_f32_fp8_e32 v54, v54
	v_cvt_f32_fp8_e32 v49, v49
	v_mul_f32_e32 v47, s10, v47
	v_mul_f32_e32 v50, s10, v50
	v_mul_f32_e32 v51, s10, v51
	v_mul_f32_e32 v48, s10, v48
	v_mul_f32_e32 v52, s10, v52
	v_mul_f32_e32 v53, s10, v53
	v_mul_f32_e32 v54, s10, v54
	v_mul_f32_e32 v49, s10, v49
	v_cvt_pk_bf16_f32 v59, v47, s0
	v_cvt_pk_bf16_f32 v60, v50, s0
	v_cvt_pk_bf16_f32 v57, v51, s0
	v_cvt_pk_bf16_f32 v58, v48, s0
	v_cvt_pk_bf16_f32 v55, v52, s0
	v_cvt_pk_bf16_f32 v56, v53, s0
	v_cvt_pk_bf16_f32 v53, v54, s0
	v_cvt_pk_bf16_f32 v54, v49, s0
	;; [unrolled: 63-line block ×3, first 2 shown]
	s_and_saveexec_b64 s[0:1], vcc
	s_cbranch_execz .LBB289_40
; %bb.48:                               ;   in Loop: Header=BB289_41 Depth=1
	v_cmp_gt_i32_e32 vcc, s33, v32
	s_nop 1
	v_cndmask_b32_e32 v52, 0, v52, vcc
	v_cmp_gt_i32_e32 vcc, s33, v37
	s_nop 1
	v_cndmask_b32_e32 v51, 0, v51, vcc
	;; [unrolled: 3-line block ×8, first 2 shown]
	s_branch .LBB289_40
.LBB289_49:
	s_or_b64 exec, exec, s[6:7]
	v_mov_b32_e32 v17, v10
	v_mov_b64_e32 v[10:11], v[16:17]
.LBB289_50:
	s_or_b64 exec, exec, s[2:3]
	v_and_b32_e32 v2, 0x3c0, v0
	v_cmp_eq_u32_e32 vcc, 64, v2
	s_barrier
	s_and_saveexec_b64 s[0:1], vcc
	s_cbranch_execz .LBB289_52
; %bb.51:
	v_mov_b32_e32 v2, 0x210
	v_lshl_add_u32 v2, v22, 2, v2
	ds_write2st64_b32 v2, v12, v13 offset1:1
	ds_write2st64_b32 v2, v10, v11 offset0:2 offset1:3
.LBB289_52:
	s_or_b64 exec, exec, s[0:1]
	v_cmp_gt_u32_e32 vcc, 64, v0
	s_waitcnt lgkmcnt(0)
	s_barrier
	s_and_saveexec_b64 s[0:1], vcc
	s_cbranch_execz .LBB289_54
; %bb.53:
	v_mov_b32_e32 v2, 0x210
	v_lshl_add_u32 v0, v0, 2, v2
	ds_read2st64_b32 v[2:3], v0 offset1:1
	ds_read2st64_b32 v[4:5], v0 offset0:2 offset1:3
	s_waitcnt lgkmcnt(1)
	v_pk_add_f32 v[12:13], v[12:13], v[2:3]
	s_waitcnt lgkmcnt(0)
	v_pk_add_f32 v[10:11], v[10:11], v[4:5]
.LBB289_54:
	s_or_b64 exec, exec, s[0:1]
	s_barrier
	s_and_saveexec_b64 s[0:1], vcc
	s_cbranch_execz .LBB289_56
; %bb.55:
	s_mul_i32 s0, s16, s17
	s_mul_i32 s0, s0, s5
	s_lshl_b32 s0, s0, 8
	s_ashr_i32 s1, s0, 31
	s_lshl_b64 s[0:1], s[0:1], 1
	s_add_u32 s2, s20, s0
	s_mul_i32 s0, s17, s18
	s_addc_u32 s3, s21, s1
	s_ashr_i32 s1, s0, 31
	s_lshl_b64 s[0:1], s[0:1], 1
	s_add_u32 s2, s2, s0
	s_addc_u32 s3, s3, s1
	s_lshl_b32 s0, s4, 8
	s_ashr_i32 s1, s0, 31
	s_lshl_b64 s[0:1], s[0:1], 1
	s_add_u32 s0, s2, s0
	s_addc_u32 s1, s3, s1
	v_cvt_pk_bf16_f32 v0, v12, s0
	global_store_short v1, v0, s[0:1]
	v_cvt_pk_bf16_f32 v0, v13, s0
	global_store_short v1, v0, s[0:1] offset:128
	v_cvt_pk_bf16_f32 v0, v10, s0
	global_store_short v1, v0, s[0:1] offset:256
	;; [unrolled: 2-line block ×3, first 2 shown]
.LBB289_56:
	s_endpgm
	.section	.rodata,"a",@progbits
	.p2align	6, 0x0
	.amdhsa_kernel _ZN4vllm25paged_attention_v1_kernelI14__hip_bfloat16hLi256ELi8ELi128ELNS_18Fp8KVCacheDataTypeE1ELb0EEEvPT_PKS3_PKT0_S9_ifPKiSB_iPKfiiiSD_SD_iiiii
		.amdhsa_group_segment_fixed_size 528
		.amdhsa_private_segment_fixed_size 0
		.amdhsa_kernarg_size 384
		.amdhsa_user_sgpr_count 2
		.amdhsa_user_sgpr_dispatch_ptr 0
		.amdhsa_user_sgpr_queue_ptr 0
		.amdhsa_user_sgpr_kernarg_segment_ptr 1
		.amdhsa_user_sgpr_dispatch_id 0
		.amdhsa_user_sgpr_kernarg_preload_length 0
		.amdhsa_user_sgpr_kernarg_preload_offset 0
		.amdhsa_user_sgpr_private_segment_size 0
		.amdhsa_uses_dynamic_stack 0
		.amdhsa_enable_private_segment 0
		.amdhsa_system_sgpr_workgroup_id_x 1
		.amdhsa_system_sgpr_workgroup_id_y 1
		.amdhsa_system_sgpr_workgroup_id_z 1
		.amdhsa_system_sgpr_workgroup_info 0
		.amdhsa_system_vgpr_workitem_id 0
		.amdhsa_next_free_vgpr 83
		.amdhsa_next_free_sgpr 37
		.amdhsa_accum_offset 84
		.amdhsa_reserve_vcc 1
		.amdhsa_float_round_mode_32 0
		.amdhsa_float_round_mode_16_64 0
		.amdhsa_float_denorm_mode_32 3
		.amdhsa_float_denorm_mode_16_64 3
		.amdhsa_dx10_clamp 1
		.amdhsa_ieee_mode 1
		.amdhsa_fp16_overflow 0
		.amdhsa_tg_split 0
		.amdhsa_exception_fp_ieee_invalid_op 0
		.amdhsa_exception_fp_denorm_src 0
		.amdhsa_exception_fp_ieee_div_zero 0
		.amdhsa_exception_fp_ieee_overflow 0
		.amdhsa_exception_fp_ieee_underflow 0
		.amdhsa_exception_fp_ieee_inexact 0
		.amdhsa_exception_int_div_zero 0
	.end_amdhsa_kernel
	.section	.text._ZN4vllm25paged_attention_v1_kernelI14__hip_bfloat16hLi256ELi8ELi128ELNS_18Fp8KVCacheDataTypeE1ELb0EEEvPT_PKS3_PKT0_S9_ifPKiSB_iPKfiiiSD_SD_iiiii,"axG",@progbits,_ZN4vllm25paged_attention_v1_kernelI14__hip_bfloat16hLi256ELi8ELi128ELNS_18Fp8KVCacheDataTypeE1ELb0EEEvPT_PKS3_PKT0_S9_ifPKiSB_iPKfiiiSD_SD_iiiii,comdat
.Lfunc_end289:
	.size	_ZN4vllm25paged_attention_v1_kernelI14__hip_bfloat16hLi256ELi8ELi128ELNS_18Fp8KVCacheDataTypeE1ELb0EEEvPT_PKS3_PKT0_S9_ifPKiSB_iPKfiiiSD_SD_iiiii, .Lfunc_end289-_ZN4vllm25paged_attention_v1_kernelI14__hip_bfloat16hLi256ELi8ELi128ELNS_18Fp8KVCacheDataTypeE1ELb0EEEvPT_PKS3_PKT0_S9_ifPKiSB_iPKfiiiSD_SD_iiiii
                                        ; -- End function
	.set _ZN4vllm25paged_attention_v1_kernelI14__hip_bfloat16hLi256ELi8ELi128ELNS_18Fp8KVCacheDataTypeE1ELb0EEEvPT_PKS3_PKT0_S9_ifPKiSB_iPKfiiiSD_SD_iiiii.num_vgpr, 83
	.set _ZN4vllm25paged_attention_v1_kernelI14__hip_bfloat16hLi256ELi8ELi128ELNS_18Fp8KVCacheDataTypeE1ELb0EEEvPT_PKS3_PKT0_S9_ifPKiSB_iPKfiiiSD_SD_iiiii.num_agpr, 0
	.set _ZN4vllm25paged_attention_v1_kernelI14__hip_bfloat16hLi256ELi8ELi128ELNS_18Fp8KVCacheDataTypeE1ELb0EEEvPT_PKS3_PKT0_S9_ifPKiSB_iPKfiiiSD_SD_iiiii.numbered_sgpr, 37
	.set _ZN4vllm25paged_attention_v1_kernelI14__hip_bfloat16hLi256ELi8ELi128ELNS_18Fp8KVCacheDataTypeE1ELb0EEEvPT_PKS3_PKT0_S9_ifPKiSB_iPKfiiiSD_SD_iiiii.num_named_barrier, 0
	.set _ZN4vllm25paged_attention_v1_kernelI14__hip_bfloat16hLi256ELi8ELi128ELNS_18Fp8KVCacheDataTypeE1ELb0EEEvPT_PKS3_PKT0_S9_ifPKiSB_iPKfiiiSD_SD_iiiii.private_seg_size, 0
	.set _ZN4vllm25paged_attention_v1_kernelI14__hip_bfloat16hLi256ELi8ELi128ELNS_18Fp8KVCacheDataTypeE1ELb0EEEvPT_PKS3_PKT0_S9_ifPKiSB_iPKfiiiSD_SD_iiiii.uses_vcc, 1
	.set _ZN4vllm25paged_attention_v1_kernelI14__hip_bfloat16hLi256ELi8ELi128ELNS_18Fp8KVCacheDataTypeE1ELb0EEEvPT_PKS3_PKT0_S9_ifPKiSB_iPKfiiiSD_SD_iiiii.uses_flat_scratch, 0
	.set _ZN4vllm25paged_attention_v1_kernelI14__hip_bfloat16hLi256ELi8ELi128ELNS_18Fp8KVCacheDataTypeE1ELb0EEEvPT_PKS3_PKT0_S9_ifPKiSB_iPKfiiiSD_SD_iiiii.has_dyn_sized_stack, 0
	.set _ZN4vllm25paged_attention_v1_kernelI14__hip_bfloat16hLi256ELi8ELi128ELNS_18Fp8KVCacheDataTypeE1ELb0EEEvPT_PKS3_PKT0_S9_ifPKiSB_iPKfiiiSD_SD_iiiii.has_recursion, 0
	.set _ZN4vllm25paged_attention_v1_kernelI14__hip_bfloat16hLi256ELi8ELi128ELNS_18Fp8KVCacheDataTypeE1ELb0EEEvPT_PKS3_PKT0_S9_ifPKiSB_iPKfiiiSD_SD_iiiii.has_indirect_call, 0
	.section	.AMDGPU.csdata,"",@progbits
; Kernel info:
; codeLenInByte = 6612
; TotalNumSgprs: 43
; NumVgprs: 83
; NumAgprs: 0
; TotalNumVgprs: 83
; ScratchSize: 0
; MemoryBound: 0
; FloatMode: 240
; IeeeMode: 1
; LDSByteSize: 528 bytes/workgroup (compile time only)
; SGPRBlocks: 5
; VGPRBlocks: 10
; NumSGPRsForWavesPerEU: 43
; NumVGPRsForWavesPerEU: 83
; AccumOffset: 84
; Occupancy: 5
; WaveLimiterHint : 1
; COMPUTE_PGM_RSRC2:SCRATCH_EN: 0
; COMPUTE_PGM_RSRC2:USER_SGPR: 2
; COMPUTE_PGM_RSRC2:TRAP_HANDLER: 0
; COMPUTE_PGM_RSRC2:TGID_X_EN: 1
; COMPUTE_PGM_RSRC2:TGID_Y_EN: 1
; COMPUTE_PGM_RSRC2:TGID_Z_EN: 1
; COMPUTE_PGM_RSRC2:TIDIG_COMP_CNT: 0
; COMPUTE_PGM_RSRC3_GFX90A:ACCUM_OFFSET: 20
; COMPUTE_PGM_RSRC3_GFX90A:TG_SPLIT: 0
	.section	.text._ZN4vllm25paged_attention_v1_kernelI14__hip_bfloat16hLi32ELi16ELi128ELNS_18Fp8KVCacheDataTypeE1ELb1EEEvPT_PKS3_PKT0_S9_ifPKiSB_iPKfiiiSD_SD_iiiii,"axG",@progbits,_ZN4vllm25paged_attention_v1_kernelI14__hip_bfloat16hLi32ELi16ELi128ELNS_18Fp8KVCacheDataTypeE1ELb1EEEvPT_PKS3_PKT0_S9_ifPKiSB_iPKfiiiSD_SD_iiiii,comdat
	.protected	_ZN4vllm25paged_attention_v1_kernelI14__hip_bfloat16hLi32ELi16ELi128ELNS_18Fp8KVCacheDataTypeE1ELb1EEEvPT_PKS3_PKT0_S9_ifPKiSB_iPKfiiiSD_SD_iiiii ; -- Begin function _ZN4vllm25paged_attention_v1_kernelI14__hip_bfloat16hLi32ELi16ELi128ELNS_18Fp8KVCacheDataTypeE1ELb1EEEvPT_PKS3_PKT0_S9_ifPKiSB_iPKfiiiSD_SD_iiiii
	.globl	_ZN4vllm25paged_attention_v1_kernelI14__hip_bfloat16hLi32ELi16ELi128ELNS_18Fp8KVCacheDataTypeE1ELb1EEEvPT_PKS3_PKT0_S9_ifPKiSB_iPKfiiiSD_SD_iiiii
	.p2align	8
	.type	_ZN4vllm25paged_attention_v1_kernelI14__hip_bfloat16hLi32ELi16ELi128ELNS_18Fp8KVCacheDataTypeE1ELb1EEEvPT_PKS3_PKT0_S9_ifPKiSB_iPKfiiiSD_SD_iiiii,@function
_ZN4vllm25paged_attention_v1_kernelI14__hip_bfloat16hLi32ELi16ELi128ELNS_18Fp8KVCacheDataTypeE1ELb1EEEvPT_PKS3_PKT0_S9_ifPKiSB_iPKfiiiSD_SD_iiiii: ; @_ZN4vllm25paged_attention_v1_kernelI14__hip_bfloat16hLi32ELi16ELi128ELNS_18Fp8KVCacheDataTypeE1ELb1EEEvPT_PKS3_PKT0_S9_ifPKiSB_iPKfiiiSD_SD_iiiii
; %bb.0:
	s_load_dword s5, s[0:1], 0x80
	s_load_dwordx2 s[6:7], s[0:1], 0x30
	s_load_dwordx2 s[36:37], s[0:1], 0x20
	s_mov_b32 s10, s3
	s_ashr_i32 s11, s3, 31
	s_lshl_b64 s[8:9], s[10:11], 2
	s_waitcnt lgkmcnt(0)
	s_add_u32 s6, s6, s8
	s_addc_u32 s7, s7, s9
	s_abs_i32 s3, s36
	v_cvt_f32_u32_e32 v1, s3
	s_sub_i32 s11, 0, s3
	s_abs_i32 s9, s5
	s_xor_b32 s8, s5, s36
	v_rcp_iflag_f32_e32 v1, v1
	s_ashr_i32 s8, s8, 31
	s_mov_b32 s44, 0
	v_mul_f32_e32 v1, 0x4f7ffffe, v1
	v_cvt_u32_f32_e32 v1, v1
	s_nop 0
	v_readfirstlane_b32 s12, v1
	s_mul_i32 s11, s11, s12
	s_mul_hi_u32 s11, s12, s11
	s_add_i32 s12, s12, s11
	s_mul_hi_u32 s11, s9, s12
	s_mul_i32 s12, s11, s3
	s_sub_i32 s9, s9, s12
	s_add_i32 s12, s11, 1
	s_sub_i32 s13, s9, s3
	s_cmp_ge_u32 s9, s3
	s_cselect_b32 s11, s12, s11
	s_cselect_b32 s9, s13, s9
	s_add_i32 s12, s11, 1
	s_cmp_ge_u32 s9, s3
	s_cselect_b32 s3, s12, s11
	s_xor_b32 s3, s3, s8
	s_sub_i32 s15, s3, s8
	s_abs_i32 s12, s15
	v_cvt_f32_u32_e32 v1, s12
	s_load_dwordx2 s[8:9], s[0:1], 0x40
	s_sub_i32 s3, 0, s12
	s_abs_i32 s13, s2
	v_rcp_iflag_f32_e32 v1, v1
	s_nop 0
	v_mul_f32_e32 v1, 0x4f7ffffe, v1
	v_cvt_u32_f32_e32 v1, v1
	s_nop 0
	v_readfirstlane_b32 s11, v1
	s_mul_i32 s3, s3, s11
	s_mul_hi_u32 s3, s11, s3
	s_add_i32 s11, s11, s3
	s_waitcnt lgkmcnt(0)
	s_cmp_eq_u64 s[8:9], 0
	s_mul_hi_u32 s14, s13, s11
	s_cbranch_scc1 .LBB290_2
; %bb.1:
	s_ashr_i32 s3, s2, 31
	s_lshl_b64 s[16:17], s[2:3], 2
	s_add_u32 s8, s8, s16
	s_addc_u32 s9, s9, s17
	s_load_dword s44, s[8:9], 0x0
.LBB290_2:
	s_load_dword s11, s[6:7], 0x0
	s_load_dwordx4 s[16:19], s[0:1], 0x48
	s_ashr_i32 s8, s2, 31
	s_ashr_i32 s9, s15, 31
	v_and_b32_e32 v2, 3, v0
	s_lshl_b32 s24, s2, 5
	v_cmp_gt_u32_e32 vcc, 16, v0
	s_and_saveexec_b64 s[6:7], vcc
	s_cbranch_execz .LBB290_4
; %bb.3:
	s_load_dwordx2 s[20:21], s[0:1], 0x8
	s_waitcnt lgkmcnt(0)
	s_mul_i32 s22, s16, s10
	s_ashr_i32 s23, s22, 31
	s_lshl_b64 s[22:23], s[22:23], 1
	v_lshlrev_b32_e32 v1, 2, v0
	s_add_u32 s3, s20, s22
	s_addc_u32 s15, s21, s23
	s_ashr_i32 s25, s24, 31
	s_lshl_b64 s[20:21], s[24:25], 1
	s_add_u32 s20, s3, s20
	s_addc_u32 s21, s15, s21
	global_load_dword v1, v1, s[20:21]
	v_and_b32_e32 v3, 0x3fc, v0
	v_lshl_add_u32 v3, v2, 4, v3
	s_waitcnt vmcnt(0)
	ds_write_b32 v3, v1
.LBB290_4:
	s_or_b64 exec, exec, s[6:7]
	s_mul_i32 s7, s14, s12
	s_sub_i32 s7, s13, s7
	s_xor_b32 s6, s8, s9
	s_add_i32 s8, s14, 1
	s_sub_i32 s9, s7, s12
	s_load_dwordx4 s[20:23], s[0:1], 0x68
	s_load_dword s3, s[0:1], 0x78
	s_cmp_ge_u32 s7, s12
	s_cselect_b32 s8, s8, s14
	s_cselect_b32 s7, s9, s7
	s_add_i32 s9, s8, 1
	s_cmp_ge_u32 s7, s12
	s_cselect_b32 s7, s9, s8
	s_waitcnt lgkmcnt(0)
	s_abs_i32 s25, s23
	v_cvt_f32_u32_e32 v1, s25
	s_xor_b32 s7, s7, s6
	s_sub_i32 s43, s7, s6
	s_sub_i32 s6, 0, s25
	v_rcp_iflag_f32_e32 v1, v1
	s_add_i32 s12, s11, -1
	s_abs_i32 s8, s12
	v_mul_f32_e32 v1, 0x4f7ffffe, v1
	v_cvt_u32_f32_e32 v1, v1
	s_barrier
	v_readfirstlane_b32 s33, v1
	s_mul_i32 s6, s6, s33
	s_mul_hi_u32 s6, s33, s6
	s_add_i32 s33, s33, s6
	s_cmp_lt_i32 s3, 0
	s_mul_hi_u32 s9, s8, s33
	s_cbranch_scc0 .LBB290_6
; %bb.5:
	s_mul_i32 s6, s20, s36
	s_add_i32 s6, s43, s6
	s_mul_i32 s6, s6, s3
	s_sub_i32 s36, 1, s6
	s_mov_b64 s[6:7], 0
	s_branch .LBB290_7
.LBB290_6:
	s_mov_b64 s[6:7], -1
                                        ; implicit-def: $sgpr36
.LBB290_7:
	s_load_dwordx2 s[28:29], s[0:1], 0x28
	s_ashr_i32 s19, s12, 31
	s_andn2_b64 vcc, exec, s[6:7]
	s_ashr_i32 s23, s23, 31
	s_cbranch_vccnz .LBB290_9
; %bb.8:
	s_mul_i32 s6, s5, s20
	s_add_i32 s2, s6, s2
	s_mul_i32 s2, s2, s3
	s_add_i32 s36, s2, 1
.LBB290_9:
	s_load_dword s2, s[0:1], 0x38
	s_load_dwordx2 s[26:27], s[0:1], 0x0
	s_load_dwordx2 s[34:35], s[0:1], 0x18
	s_load_dword s16, s[0:1], 0x88
	s_load_dwordx4 s[12:15], s[0:1], 0x58
	s_mul_i32 s3, s9, s25
	s_waitcnt lgkmcnt(0)
	s_mul_i32 s30, s2, s10
	s_sub_i32 s3, s8, s3
	s_ashr_i32 s31, s30, 31
	s_xor_b32 s2, s19, s23
	s_add_i32 s6, s9, 1
	s_sub_i32 s7, s3, s25
	s_cmp_ge_u32 s3, s25
	s_cselect_b32 s6, s6, s9
	s_cselect_b32 s3, s7, s3
	s_add_i32 s7, s6, 1
	s_cmp_ge_u32 s3, s25
	s_cselect_b32 s3, s7, s6
	s_xor_b32 s3, s3, s2
	s_sub_i32 s42, s3, s2
	s_add_i32 s2, s11, 15
	s_ashr_i32 s3, s2, 31
	s_lshr_b32 s3, s3, 28
	s_add_i32 s2, s2, s3
	s_ashr_i32 s20, s2, 4
	v_lshrrev_b32_e32 v1, 6, v0
	v_cmp_gt_i32_e64 s[6:7], s20, v1
	v_mov_b32_e32 v10, 0xff7fffff
	s_mul_i32 s43, s43, s18
	v_lshrrev_b32_e32 v6, 4, v0
	v_lshlrev_b32_e32 v16, 4, v1
	v_mbcnt_lo_u32_b32 v7, -1, 0
	s_and_saveexec_b64 s[18:19], s[6:7]
	s_cbranch_execz .LBB290_21
; %bb.10:
	s_load_dwordx2 s[0:1], s[0:1], 0x10
	s_sub_i32 s45, s42, s21
	s_ashr_i32 s2, s43, 31
	v_bfe_u32 v8, v0, 2, 4
	v_mov_b32_e32 v5, 0
	s_waitcnt lgkmcnt(0)
	s_add_u32 s0, s0, s43
	s_addc_u32 s1, s1, s2
	s_abs_i32 s46, s22
	v_cvt_f32_u32_e32 v3, s46
	v_lshlrev_b32_e32 v4, 4, v8
	v_lshl_add_u64 v[12:13], s[0:1], 0, v[4:5]
	s_sub_i32 s0, 0, s46
	v_rcp_iflag_f32_e32 v3, v3
	v_cmp_eq_u32_e32 vcc, 0, v2
	v_lshlrev_b32_e32 v9, 4, v2
	v_lshlrev_b32_e32 v4, 1, v2
	v_mul_f32_e32 v3, 0x4f7ffffe, v3
	v_cvt_u32_f32_e32 v3, v3
	v_subrev_u32_e32 v10, s11, v8
	v_mbcnt_hi_u32_b32 v17, -1, v7
	s_mov_b32 s47, s17
	v_mul_lo_u32 v2, s0, v3
	v_mul_hi_u32 v2, v3, v2
	v_add_u32_e32 v11, v3, v2
	v_lshl_add_u64 v[2:3], v[12:13], 0, v[4:5]
	s_lshl_b64 s[0:1], s[30:31], 2
	v_add_u32_e32 v13, 1, v10
	v_lshlrev_b32_e32 v10, 2, v8
	s_add_u32 s0, s28, s0
	v_lshl_or_b32 v10, v1, 6, v10
	v_and_b32_e32 v4, 60, v6
	s_addc_u32 s1, s29, s1
	v_add_u32_e32 v14, 0x50, v10
	v_and_b32_e32 v10, 64, v17
	v_cmp_neq_f32_e64 s[2:3], s44, 0
	v_lshl_add_u64 v[4:5], s[0:1], 0, v[4:5]
	v_lshlrev_b32_e32 v12, 4, v1
	v_mov_b32_e32 v15, 0xff7fffff
	s_mov_b64 s[38:39], 0
	s_mov_b32 s48, 0xffff
	v_add_u32_e32 v18, 64, v10
	v_xor_b32_e32 v19, 2, v17
	v_xor_b32_e32 v20, 1, v17
	v_mov_b32_e32 v10, 0xff7fffff
	v_mov_b32_e32 v21, v1
	s_branch .LBB290_13
.LBB290_11:                             ;   in Loop: Header=BB290_13 Depth=1
	s_or_b64 exec, exec, s[40:41]
.LBB290_12:                             ;   in Loop: Header=BB290_13 Depth=1
	s_or_b64 exec, exec, s[8:9]
	v_add_u32_e32 v21, 2, v21
	v_cmp_le_i32_e64 s[0:1], s20, v21
	v_lshl_add_u64 v[4:5], v[4:5], 0, 8
	v_add_u32_e32 v12, 32, v12
	s_or_b64 s[38:39], s[0:1], s[38:39]
	v_add_u32_e32 v14, 0x80, v14
	s_andn2_b64 exec, exec, s[38:39]
	s_cbranch_execz .LBB290_20
.LBB290_13:                             ; =>This Inner Loop Header: Depth=1
	v_mul_hi_u32 v22, v12, s33
	s_waitcnt lgkmcnt(0)
	v_mul_lo_u32 v23, v22, s25
	v_sub_u32_e32 v23, v12, v23
	v_add_u32_e32 v24, 1, v22
	v_cmp_le_u32_e64 s[0:1], s25, v23
	s_nop 1
	v_cndmask_b32_e64 v22, v22, v24, s[0:1]
	v_subrev_u32_e32 v24, s25, v23
	v_cndmask_b32_e64 v23, v23, v24, s[0:1]
	v_add_u32_e32 v24, 1, v22
	v_cmp_le_u32_e64 s[0:1], s25, v23
	s_nop 1
	v_cndmask_b32_e64 v22, v22, v24, s[0:1]
	v_xor_b32_e32 v22, s23, v22
	v_subrev_u32_e32 v22, s23, v22
	v_add_u32_e32 v23, s36, v22
	v_sub_u32_e32 v25, 0, v23
	v_ashrrev_i32_e32 v24, 31, v23
	v_max_i32_e32 v23, v23, v25
	v_mul_hi_u32 v25, v23, v11
	v_mul_lo_u32 v25, v25, s46
	v_sub_u32_e32 v23, v23, v25
	v_subrev_u32_e32 v25, s46, v23
	v_cmp_le_u32_e64 s[0:1], s46, v23
	v_cmp_ge_i32_e64 s[8:9], s45, v22
	s_nop 0
	v_cndmask_b32_e64 v23, v23, v25, s[0:1]
	v_subrev_u32_e32 v25, s46, v23
	v_cmp_le_u32_e64 s[0:1], s46, v23
	s_nop 1
	v_cndmask_b32_e64 v23, v23, v25, s[0:1]
	v_xor_b32_e32 v23, v23, v24
	v_sub_u32_e32 v23, v23, v24
	v_cmp_ne_u32_e64 s[0:1], 0, v23
	s_and_b64 s[0:1], s[0:1], s[8:9]
	s_and_saveexec_b64 s[8:9], s[0:1]
	s_xor_b64 s[0:1], exec, s[8:9]
	s_cbranch_execz .LBB290_17
; %bb.14:                               ;   in Loop: Header=BB290_13 Depth=1
	s_and_saveexec_b64 s[8:9], vcc
; %bb.15:                               ;   in Loop: Header=BB290_13 Depth=1
	ds_write_b32 v14, v15
; %bb.16:                               ;   in Loop: Header=BB290_13 Depth=1
	s_or_b64 exec, exec, s[8:9]
.LBB290_17:                             ;   in Loop: Header=BB290_13 Depth=1
	s_andn2_saveexec_b64 s[8:9], s[0:1]
	s_cbranch_execz .LBB290_12
; %bb.18:                               ;   in Loop: Header=BB290_13 Depth=1
	global_load_dword v22, v[4:5], off
	s_waitcnt vmcnt(0)
	v_mad_i64_i32 v[22:23], s[0:1], v22, s47, v[2:3]
	global_load_ushort v26, v[22:23], off
	global_load_ushort v27, v[22:23], off offset:8
	global_load_ushort v28, v[22:23], off offset:256
	global_load_ushort v29, v[22:23], off offset:264
	v_cmp_lt_i32_e64 s[0:1], v19, v18
	ds_read_b128 v[22:25], v9
	s_waitcnt lgkmcnt(0)
	v_lshlrev_b32_e32 v32, 16, v23
	v_cndmask_b32_e64 v30, v17, v19, s[0:1]
	s_load_dword s0, s[12:13], 0x0
	v_and_b32_e32 v23, 0xffff0000, v23
	v_lshlrev_b32_e32 v31, 16, v22
	v_and_b32_e32 v22, 0xffff0000, v22
	v_lshlrev_b32_e32 v33, 16, v24
	;; [unrolled: 2-line block ×4, first 2 shown]
	s_waitcnt vmcnt(3)
	v_and_b32_sdwa v35, s48, v26 dst_sel:DWORD dst_unused:UNUSED_PAD src0_sel:DWORD src1_sel:BYTE_0
	s_waitcnt vmcnt(2)
	v_and_b32_sdwa v36, s48, v27 dst_sel:DWORD dst_unused:UNUSED_PAD src0_sel:DWORD src1_sel:BYTE_0
	v_lshrrev_b16_e32 v27, 8, v27
	v_lshrrev_b16_e32 v26, 8, v26
	v_cvt_f32_fp8_e32 v36, v36
	v_cvt_f32_fp8_e32 v27, v27
	s_waitcnt vmcnt(1)
	v_and_b32_sdwa v37, s48, v28 dst_sel:DWORD dst_unused:UNUSED_PAD src0_sel:DWORD src1_sel:BYTE_0
	v_lshrrev_b16_e32 v28, 8, v28
	v_cvt_f32_fp8_e32 v35, v35
	v_cvt_f32_fp8_e32 v26, v26
	s_waitcnt vmcnt(0)
	v_and_b32_sdwa v38, s48, v29 dst_sel:DWORD dst_unused:UNUSED_PAD src0_sel:DWORD src1_sel:BYTE_0
	v_lshrrev_b16_e32 v29, 8, v29
	v_cvt_f32_fp8_e32 v37, v37
	v_cvt_f32_fp8_e32 v28, v28
	;; [unrolled: 1-line block ×4, first 2 shown]
	s_waitcnt lgkmcnt(0)
	v_mul_f32_e32 v36, s0, v36
	v_mul_f32_e32 v27, s0, v27
	;; [unrolled: 1-line block ×4, first 2 shown]
	v_cvt_pk_bf16_f32 v36, v36, s0
	v_cvt_pk_bf16_f32 v27, v27, s0
	v_mul_f32_e32 v37, s0, v37
	v_mul_f32_e32 v28, s0, v28
	v_cvt_pk_bf16_f32 v35, v35, s0
	v_cvt_pk_bf16_f32 v26, v26, s0
	v_lshlrev_b32_e32 v36, 16, v36
	v_lshlrev_b32_e32 v27, 16, v27
	v_mul_f32_e32 v38, s0, v38
	v_mul_f32_e32 v29, s0, v29
	v_cvt_pk_bf16_f32 v37, v37, s0
	v_cvt_pk_bf16_f32 v28, v28, s0
	v_lshlrev_b32_e32 v35, 16, v35
	v_lshlrev_b32_e32 v26, 16, v26
	;; [unrolled: 6-line block ×3, first 2 shown]
	v_fmac_f32_e32 v32, v31, v35
	v_fmac_f32_e32 v23, v22, v26
	v_lshlrev_b32_e32 v38, 16, v38
	v_lshlrev_b32_e32 v29, 16, v29
	v_fmac_f32_e32 v32, v33, v37
	v_fmac_f32_e32 v23, v24, v28
	;; [unrolled: 1-line block ×4, first 2 shown]
	v_add_f32_e32 v22, v32, v23
	ds_bpermute_b32 v23, v30, v22
	v_cmp_lt_i32_e64 s[0:1], v20, v18
	s_waitcnt lgkmcnt(0)
	v_add_f32_e32 v22, v22, v23
	v_cndmask_b32_e64 v24, v17, v20, s[0:1]
	v_lshlrev_b32_e32 v24, 2, v24
	ds_bpermute_b32 v23, v24, v22
	s_and_saveexec_b64 s[40:41], vcc
	s_cbranch_execz .LBB290_11
; %bb.19:                               ;   in Loop: Header=BB290_13 Depth=1
	v_add_u32_e32 v24, v13, v12
	v_cvt_f32_i32_e32 v24, v24
	s_waitcnt lgkmcnt(0)
	v_add_f32_e32 v22, v22, v23
	v_add_u32_e32 v25, v8, v12
	v_cmp_gt_i32_e64 s[0:1], s11, v25
	v_mul_f32_e32 v23, s44, v24
	v_cndmask_b32_e64 v23, 0, v23, s[2:3]
	v_fmac_f32_e32 v23, s37, v22
	v_cndmask_b32_e64 v22, 0, v23, s[0:1]
	ds_write_b32 v14, v22
	v_max_f32_e32 v22, v10, v10
	v_max_f32_e32 v22, v22, v23
	v_cndmask_b32_e64 v10, v10, v22, s[0:1]
	s_branch .LBB290_11
.LBB290_20:
	s_or_b64 exec, exec, s[38:39]
.LBB290_21:
	s_or_b64 exec, exec, s[18:19]
	v_mbcnt_hi_u32_b32 v2, -1, v7
	v_and_b32_e32 v11, 64, v2
	v_add_u32_e32 v3, 64, v11
	v_xor_b32_e32 v4, 32, v2
	v_cmp_lt_i32_e32 vcc, v4, v3
	v_xor_b32_e32 v8, 16, v2
	v_max_f32_e32 v7, v10, v10
	v_cndmask_b32_e32 v4, v2, v4, vcc
	v_lshlrev_b32_e32 v4, 2, v4
	ds_bpermute_b32 v5, v4, v10
	v_cmp_lt_i32_e32 vcc, v8, v3
	v_xor_b32_e32 v9, 8, v2
	v_xor_b32_e32 v10, 4, v2
	v_and_b32_e32 v17, 63, v0
	s_waitcnt lgkmcnt(0)
	v_max_f32_e32 v5, v5, v5
	v_max_f32_e32 v7, v7, v5
	v_cndmask_b32_e32 v5, v2, v8, vcc
	v_lshlrev_b32_e32 v5, 2, v5
	ds_bpermute_b32 v8, v5, v7
	v_cmp_lt_i32_e32 vcc, v9, v3
	s_waitcnt lgkmcnt(0)
	v_max_f32_e32 v8, v8, v8
	v_max_f32_e32 v7, v7, v8
	v_cndmask_b32_e32 v8, v2, v9, vcc
	v_lshlrev_b32_e32 v9, 2, v8
	ds_bpermute_b32 v8, v9, v7
	v_cmp_lt_i32_e32 vcc, v10, v3
	s_waitcnt lgkmcnt(0)
	v_max_f32_e32 v8, v8, v8
	v_max_f32_e32 v8, v7, v8
	v_cndmask_b32_e32 v7, v2, v10, vcc
	v_lshlrev_b32_e32 v10, 2, v7
	ds_bpermute_b32 v12, v10, v8
	v_cmp_eq_u32_e32 vcc, 0, v17
	v_lshlrev_b32_e32 v7, 2, v1
	s_and_saveexec_b64 s[0:1], vcc
	s_cbranch_execz .LBB290_23
; %bb.22:
	s_waitcnt lgkmcnt(0)
	v_max_f32_e32 v12, v12, v12
	v_max_f32_e32 v8, v8, v8
	;; [unrolled: 1-line block ×3, first 2 shown]
	ds_write_b32 v7, v8 offset:64
.LBB290_23:
	s_or_b64 exec, exec, s[0:1]
	v_cmp_gt_u32_e64 s[0:1], 2, v17
	s_waitcnt lgkmcnt(0)
	v_mov_b32_e32 v12, 0xff7fffff
	v_lshlrev_b32_e32 v8, 2, v17
	s_barrier
	s_and_saveexec_b64 s[2:3], s[0:1]
; %bb.24:
	ds_read_b32 v12, v8 offset:64
; %bb.25:
	s_or_b64 exec, exec, s[2:3]
	v_xor_b32_e32 v13, 1, v2
	v_cmp_lt_i32_e64 s[2:3], v13, v3
	v_lshlrev_b32_e32 v11, 2, v11
	s_nop 0
	v_cndmask_b32_e64 v13, v2, v13, s[2:3]
	v_lshlrev_b32_e32 v18, 2, v13
	s_waitcnt lgkmcnt(0)
	ds_bpermute_b32 v13, v18, v12
	v_max_f32_e32 v12, v12, v12
	s_lshl_b32 s2, s20, 4
	s_min_i32 s37, s2, s11
	v_cmp_gt_i32_e64 s[2:3], s37, v0
	s_waitcnt lgkmcnt(0)
	v_max_f32_e32 v13, v13, v13
	v_max_f32_e32 v12, v12, v13
	ds_bpermute_b32 v12, v11, v12
	v_mov_b32_e32 v11, 0
	s_and_saveexec_b64 s[12:13], s[2:3]
	s_cbranch_execz .LBB290_29
; %bb.26:
	v_mov_b32_e32 v11, 0x50
	v_lshl_add_u32 v13, v0, 2, v11
	v_mov_b32_e32 v11, 0
	s_mov_b64 s[18:19], 0
	v_mov_b32_e32 v14, v0
.LBB290_27:                             ; =>This Inner Loop Header: Depth=1
	ds_read_b32 v15, v13
	v_add_u32_e32 v14, 0x80, v14
	v_cmp_le_i32_e64 s[8:9], s37, v14
	s_or_b64 s[18:19], s[8:9], s[18:19]
	s_waitcnt lgkmcnt(0)
	v_sub_f32_e32 v15, v15, v12
	v_mul_f32_e32 v15, 0x3fb8aa3b, v15
	v_exp_f32_e32 v15, v15
	ds_write_b32 v13, v15
	v_add_f32_e32 v11, v11, v15
	v_add_u32_e32 v13, 0x200, v13
	s_andn2_b64 exec, exec, s[18:19]
	s_cbranch_execnz .LBB290_27
; %bb.28:
	s_or_b64 exec, exec, s[18:19]
.LBB290_29:
	s_or_b64 exec, exec, s[12:13]
	ds_bpermute_b32 v4, v4, v11
	s_waitcnt lgkmcnt(0)
	v_add_f32_e32 v4, v11, v4
	ds_bpermute_b32 v5, v5, v4
	s_waitcnt lgkmcnt(0)
	v_add_f32_e32 v4, v4, v5
	ds_bpermute_b32 v5, v9, v4
	v_xor_b32_e32 v9, 2, v2
	v_cmp_lt_i32_e64 s[8:9], v9, v3
	s_waitcnt lgkmcnt(0)
	v_add_f32_e32 v4, v4, v5
	ds_bpermute_b32 v5, v10, v4
	v_cndmask_b32_e64 v3, v2, v9, s[8:9]
	v_lshlrev_b32_e32 v3, 2, v3
	s_waitcnt lgkmcnt(0)
	v_add_f32_e32 v4, v4, v5
	ds_bpermute_b32 v3, v3, v4
	s_waitcnt lgkmcnt(0)
	v_add_f32_e32 v3, v4, v3
	ds_bpermute_b32 v4, v18, v3
	s_waitcnt lgkmcnt(0)
	v_add_f32_e32 v3, v3, v4
	s_and_saveexec_b64 s[8:9], vcc
; %bb.30:
	ds_write_b32 v7, v3 offset:72
; %bb.31:
	s_or_b64 exec, exec, s[8:9]
	s_waitcnt lgkmcnt(0)
	s_barrier
	s_and_saveexec_b64 s[8:9], s[0:1]
; %bb.32:
	ds_read_b32 v3, v8 offset:72
; %bb.33:
	s_or_b64 exec, exec, s[8:9]
	s_waitcnt lgkmcnt(0)
	ds_bpermute_b32 v4, v18, v3
	v_lshlrev_b32_e32 v2, 2, v2
	v_and_b32_e32 v2, 0x100, v2
	s_waitcnt lgkmcnt(0)
	v_add_f32_e32 v3, v3, v4
	ds_bpermute_b32 v2, v2, v3
	s_and_saveexec_b64 s[0:1], s[2:3]
	s_cbranch_execz .LBB290_46
; %bb.34:
	s_waitcnt lgkmcnt(0)
	v_add_f32_e32 v2, 0x358637bd, v2
	v_div_scale_f32 v3, s[2:3], v2, v2, 1.0
	v_rcp_f32_e32 v4, v3
	v_div_scale_f32 v5, vcc, 1.0, v2, 1.0
	s_movk_i32 s2, 0x7f
	v_fma_f32 v7, -v3, v4, 1.0
	v_fmac_f32_e32 v4, v7, v4
	v_mul_f32_e32 v7, v5, v4
	v_fma_f32 v8, -v3, v7, v5
	v_fmac_f32_e32 v7, v8, v4
	v_fma_f32 v3, -v3, v7, v5
	v_div_fmas_f32 v3, v3, v4, v7
	v_xad_u32 v4, v0, -1, s37
	v_div_fixup_f32 v2, v3, v2, 1.0
	v_cmp_lt_u32_e32 vcc, s2, v4
	s_mov_b64 s[8:9], -1
	v_mov_b32_e32 v3, v0
	s_and_saveexec_b64 s[2:3], vcc
	s_cbranch_execz .LBB290_43
; %bb.35:
	v_lshrrev_b32_e32 v4, 7, v4
	v_add_u32_e32 v7, -1, v4
	v_lshrrev_b32_e32 v5, 1, v7
	v_mov_b32_e32 v3, v2
	v_add_u32_e32 v5, 1, v5
	v_cmp_lt_u32_e32 vcc, 13, v7
	v_mov_b32_e32 v9, 0
	s_and_saveexec_b64 s[8:9], vcc
	s_cbranch_execz .LBB290_39
; %bb.36:
	v_mov_b32_e32 v8, 0x50
	v_and_b32_e32 v7, -8, v5
	v_lshl_add_u32 v8, v0, 2, v8
	s_mov_b32 s18, 0
	s_mov_b64 s[12:13], 0
.LBB290_37:                             ; =>This Inner Loop Header: Depth=1
	ds_read2st64_b32 v[10:11], v8 offset1:2
	ds_read2st64_b32 v[12:13], v8 offset0:4 offset1:6
	ds_read2st64_b32 v[14:15], v8 offset0:8 offset1:10
	;; [unrolled: 1-line block ×3, first 2 shown]
	v_add_u32_e32 v7, -8, v7
	s_waitcnt lgkmcnt(3)
	v_pk_mul_f32 v[10:11], v[2:3], v[10:11]
	s_waitcnt lgkmcnt(2)
	v_pk_mul_f32 v[12:13], v[2:3], v[12:13]
	ds_write2st64_b32 v8, v10, v11 offset1:2
	ds_write2st64_b32 v8, v12, v13 offset0:4 offset1:6
	ds_read2st64_b32 v[12:13], v8 offset0:16 offset1:18
	s_waitcnt lgkmcnt(4)
	v_pk_mul_f32 v[10:11], v[2:3], v[14:15]
	ds_write2st64_b32 v8, v10, v11 offset0:8 offset1:10
	s_waitcnt lgkmcnt(4)
	v_pk_mul_f32 v[10:11], v[2:3], v[20:21]
	ds_write2st64_b32 v8, v10, v11 offset0:12 offset1:14
	ds_read2st64_b32 v[10:11], v8 offset0:20 offset1:22
	s_waitcnt lgkmcnt(3)
	v_pk_mul_f32 v[12:13], v[2:3], v[12:13]
	ds_read2st64_b32 v[14:15], v8 offset0:24 offset1:26
	ds_write2st64_b32 v8, v12, v13 offset0:16 offset1:18
	ds_read2st64_b32 v[12:13], v8 offset0:28 offset1:30
	s_waitcnt lgkmcnt(3)
	v_pk_mul_f32 v[10:11], v[2:3], v[10:11]
	ds_write2st64_b32 v8, v10, v11 offset0:20 offset1:22
	s_waitcnt lgkmcnt(3)
	v_pk_mul_f32 v[10:11], v[2:3], v[14:15]
	ds_write2st64_b32 v8, v10, v11 offset0:24 offset1:26
	s_waitcnt lgkmcnt(2)
	v_pk_mul_f32 v[10:11], v[2:3], v[12:13]
	s_add_i32 s18, s18, 16
	v_cmp_eq_u32_e32 vcc, 0, v7
	ds_write2st64_b32 v8, v10, v11 offset0:28 offset1:30
	v_add_u32_e32 v8, 0x2000, v8
	s_or_b64 s[12:13], vcc, s[12:13]
	v_mov_b32_e32 v9, s18
	s_andn2_b64 exec, exec, s[12:13]
	s_cbranch_execnz .LBB290_37
; %bb.38:
	s_or_b64 exec, exec, s[12:13]
.LBB290_39:
	s_or_b64 exec, exec, s[8:9]
	v_and_b32_e32 v5, 7, v5
	v_cmp_ne_u32_e32 vcc, 0, v5
	s_and_saveexec_b64 s[8:9], vcc
	s_cbranch_execz .LBB290_42
; %bb.40:
	v_lshlrev_b32_e32 v7, 9, v9
	v_lshlrev_b32_e32 v8, 2, v0
	s_movk_i32 s12, 0x50
	v_add3_u32 v7, v7, v8, s12
	s_mov_b64 s[12:13], 0
.LBB290_41:                             ; =>This Inner Loop Header: Depth=1
	ds_read2st64_b32 v[8:9], v7 offset1:2
	v_add_u32_e32 v5, -1, v5
	v_cmp_eq_u32_e32 vcc, 0, v5
	s_or_b64 s[12:13], vcc, s[12:13]
	s_waitcnt lgkmcnt(0)
	v_pk_mul_f32 v[8:9], v[2:3], v[8:9]
	ds_write2st64_b32 v7, v8, v9 offset1:2
	v_add_u32_e32 v7, 0x400, v7
	s_andn2_b64 exec, exec, s[12:13]
	s_cbranch_execnz .LBB290_41
.LBB290_42:
	s_or_b64 exec, exec, s[8:9]
	v_add_u32_e32 v4, 1, v4
	v_and_b32_e32 v5, 0x3fffffe, v4
	v_cmp_ne_u32_e32 vcc, v4, v5
	v_lshl_add_u32 v3, v5, 7, v0
	s_orn2_b64 s[8:9], vcc, exec
.LBB290_43:
	s_or_b64 exec, exec, s[2:3]
	s_and_b64 exec, exec, s[8:9]
	s_cbranch_execz .LBB290_46
; %bb.44:
	v_mov_b32_e32 v4, 0x50
	v_lshl_add_u32 v4, v3, 2, v4
	s_mov_b64 s[2:3], 0
.LBB290_45:                             ; =>This Inner Loop Header: Depth=1
	ds_read_b32 v5, v4
	v_add_u32_e32 v3, 0x80, v3
	v_cmp_le_i32_e32 vcc, s37, v3
	s_or_b64 s[2:3], vcc, s[2:3]
	s_waitcnt lgkmcnt(0)
	v_mul_f32_e32 v5, v2, v5
	ds_write_b32 v4, v5
	v_add_u32_e32 v4, 0x200, v4
	s_andn2_b64 exec, exec, s[2:3]
	s_cbranch_execnz .LBB290_45
.LBB290_46:
	s_or_b64 exec, exec, s[0:1]
	v_mov_b32_e32 v11, 0
	s_waitcnt lgkmcnt(0)
	s_barrier
	s_and_saveexec_b64 s[2:3], s[6:7]
	s_cbranch_execz .LBB290_54
; %bb.47:
	s_sub_i32 s12, s42, s21
	s_ashr_i32 s1, s43, 31
	s_add_u32 s0, s34, s43
	s_addc_u32 s1, s35, s1
	s_abs_i32 s13, s22
	v_cvt_f32_u32_e32 v2, s13
	v_lshlrev_b32_e32 v3, 3, v0
	v_and_b32_e32 v10, 0x1f8, v3
	v_mov_b32_e32 v11, 0
	v_rcp_iflag_f32_e32 v2, v2
	v_lshl_add_u64 v[12:13], s[0:1], 0, v[10:11]
	s_sub_i32 s0, 0, s13
	v_and_b32_e32 v19, 8, v3
	v_mul_f32_e32 v2, 0x4f7ffffe, v2
	v_cvt_u32_f32_e32 v2, v2
	s_add_i32 s18, s20, -1
	v_and_b32_e32 v10, 60, v6
	s_mov_b64 s[6:7], 0
	v_mul_lo_u32 v3, s0, v2
	v_mul_hi_u32 v3, v2, v3
	v_add_u32_e32 v20, v2, v3
	s_lshl_b64 s[0:1], s[30:31], 2
	v_and_b32_e32 v2, 1, v0
	s_add_u32 s0, s28, s0
	v_lshlrev_b32_e32 v2, 5, v2
	s_addc_u32 s1, s29, s1
	v_lshl_or_b32 v2, v1, 6, v2
	v_lshl_add_u64 v[14:15], s[0:1], 0, v[10:11]
	v_add_u32_e32 v10, 0x50, v2
	s_branch .LBB290_50
.LBB290_48:                             ;   in Loop: Header=BB290_50 Depth=1
	s_or_b64 exec, exec, s[8:9]
	v_cvt_pk_bf16_f32 v6, v6, s0
	v_cvt_pk_bf16_f32 v7, v7, s0
	v_cvt_pk_bf16_f32 v8, v8, s0
	v_cvt_pk_bf16_f32 v9, v9, s0
	v_cvt_pk_bf16_f32 v2, v2, s0
	v_cvt_pk_bf16_f32 v3, v3, s0
	v_lshlrev_b32_e32 v7, 16, v7
	v_lshlrev_b32_e32 v28, 16, v28
	;; [unrolled: 1-line block ×8, first 2 shown]
	v_cvt_pk_bf16_f32 v4, v4, s0
	v_cvt_pk_bf16_f32 v5, v5, s0
	v_mul_f32_e32 v7, v7, v28
	v_mul_f32_e32 v6, v6, v27
	;; [unrolled: 1-line block ×4, first 2 shown]
	v_lshlrev_b32_e32 v3, 16, v3
	v_lshlrev_b32_e32 v24, 16, v24
	v_lshlrev_b32_e32 v2, 16, v2
	v_lshlrev_b32_e32 v23, 16, v23
	v_cvt_pk_bf16_f32 v7, v7, s0
	v_cvt_pk_bf16_f32 v6, v6, s0
	;; [unrolled: 1-line block ×4, first 2 shown]
	v_mul_f32_e32 v3, v3, v24
	v_mul_f32_e32 v2, v2, v23
	v_lshlrev_b32_e32 v5, 16, v5
	v_lshlrev_b32_e32 v22, 16, v22
	;; [unrolled: 1-line block ×4, first 2 shown]
	v_cvt_pk_bf16_f32 v3, v3, s0
	v_cvt_pk_bf16_f32 v2, v2, s0
	v_mul_f32_e32 v5, v5, v22
	v_mul_f32_e32 v4, v4, v21
	v_lshlrev_b32_e32 v6, 16, v6
	v_lshlrev_b32_e32 v7, 16, v7
	;; [unrolled: 1-line block ×4, first 2 shown]
	v_cvt_pk_bf16_f32 v5, v5, s0
	v_cvt_pk_bf16_f32 v4, v4, s0
	v_lshlrev_b32_e32 v2, 16, v2
	v_lshlrev_b32_e32 v3, 16, v3
	v_add_f32_e32 v6, v7, v6
	v_add_f32_e32 v7, v9, v8
	v_lshlrev_b32_e32 v4, 16, v4
	v_lshlrev_b32_e32 v5, 16, v5
	v_add_f32_e32 v6, v7, v6
	v_add_f32_e32 v2, v3, v2
	;; [unrolled: 1-line block ×6, first 2 shown]
.LBB290_49:                             ;   in Loop: Header=BB290_50 Depth=1
	s_or_b64 exec, exec, s[0:1]
	v_add_u32_e32 v1, 2, v1
	v_cmp_le_i32_e32 vcc, s20, v1
	v_lshl_add_u64 v[14:15], v[14:15], 0, 8
	v_add_u32_e32 v16, 32, v16
	s_or_b64 s[6:7], vcc, s[6:7]
	v_add_u32_e32 v10, 0x80, v10
	s_andn2_b64 exec, exec, s[6:7]
	s_cbranch_execz .LBB290_53
.LBB290_50:                             ; =>This Inner Loop Header: Depth=1
	v_mul_hi_u32 v2, v16, s33
	v_mul_lo_u32 v3, v2, s25
	v_sub_u32_e32 v3, v16, v3
	v_add_u32_e32 v4, 1, v2
	v_cmp_le_u32_e32 vcc, s25, v3
	s_nop 1
	v_cndmask_b32_e32 v2, v2, v4, vcc
	v_subrev_u32_e32 v4, s25, v3
	v_cndmask_b32_e32 v3, v3, v4, vcc
	v_add_u32_e32 v4, 1, v2
	v_cmp_le_u32_e32 vcc, s25, v3
	s_nop 1
	v_cndmask_b32_e32 v2, v2, v4, vcc
	v_xor_b32_e32 v2, s23, v2
	v_subrev_u32_e32 v2, s23, v2
	v_add_u32_e32 v3, s36, v2
	v_sub_u32_e32 v5, 0, v3
	v_ashrrev_i32_e32 v4, 31, v3
	v_max_i32_e32 v3, v3, v5
	v_mul_hi_u32 v5, v3, v20
	v_mul_lo_u32 v5, v5, s13
	v_sub_u32_e32 v3, v3, v5
	v_subrev_u32_e32 v5, s13, v3
	v_cmp_le_u32_e32 vcc, s13, v3
	v_cmp_lt_i32_e64 s[0:1], s12, v2
	s_nop 0
	v_cndmask_b32_e32 v3, v3, v5, vcc
	v_subrev_u32_e32 v5, s13, v3
	v_cmp_le_u32_e32 vcc, s13, v3
	s_nop 1
	v_cndmask_b32_e32 v3, v3, v5, vcc
	v_xor_b32_e32 v3, v3, v4
	v_sub_u32_e32 v3, v3, v4
	v_cmp_eq_u32_e32 vcc, 0, v3
	s_or_b64 s[8:9], vcc, s[0:1]
	s_and_saveexec_b64 s[0:1], s[8:9]
	s_cbranch_execz .LBB290_49
; %bb.51:                               ;   in Loop: Header=BB290_50 Depth=1
	global_load_dword v2, v[14:15], off
	v_cmp_eq_u32_e32 vcc, s18, v1
	s_waitcnt vmcnt(0)
	v_mad_i64_i32 v[2:3], s[8:9], v2, s17, v[12:13]
	global_load_dwordx2 v[22:23], v[2:3], off
	ds_read2_b64 v[6:9], v10 offset1:1
	ds_read2_b64 v[2:5], v10 offset0:2 offset1:3
	s_load_dword s8, s[14:15], 0x0
	s_waitcnt vmcnt(0)
	v_and_b32_e32 v21, 0xff, v22
	v_bfe_u32 v24, v22, 8, 8
	v_bfe_u32 v25, v22, 16, 8
	v_lshrrev_b32_e32 v22, 24, v22
	v_and_b32_e32 v26, 0xff, v23
	v_bfe_u32 v27, v23, 8, 8
	v_bfe_u32 v28, v23, 16, 8
	v_lshrrev_b32_e32 v23, 24, v23
	v_cvt_f32_fp8_e32 v21, v21
	v_cvt_f32_fp8_e32 v24, v24
	;; [unrolled: 1-line block ×8, first 2 shown]
	s_waitcnt lgkmcnt(0)
	v_mul_f32_e32 v21, s8, v21
	v_mul_f32_e32 v24, s8, v24
	;; [unrolled: 1-line block ×8, first 2 shown]
	v_cvt_pk_bf16_f32 v27, v21, s0
	v_cvt_pk_bf16_f32 v28, v24, s0
	;; [unrolled: 1-line block ×8, first 2 shown]
	s_and_saveexec_b64 s[8:9], vcc
	s_cbranch_execz .LBB290_48
; %bb.52:                               ;   in Loop: Header=BB290_50 Depth=1
	v_add_u32_e32 v29, v19, v16
	v_cmp_gt_i32_e32 vcc, s11, v29
	v_add_u32_e32 v30, 1, v29
	s_nop 0
	v_cndmask_b32_e32 v27, 0, v27, vcc
	v_cmp_gt_i32_e32 vcc, s11, v30
	v_add_u32_e32 v30, 2, v29
	s_nop 0
	v_cndmask_b32_e32 v28, 0, v28, vcc
	;; [unrolled: 4-line block ×5, first 2 shown]
	v_cmp_gt_i32_e32 vcc, s11, v30
	v_add_u32_e32 v30, 6, v29
	v_add_u32_e32 v29, 7, v29
	v_cndmask_b32_e32 v24, 0, v24, vcc
	v_cmp_gt_i32_e32 vcc, s11, v30
	s_nop 1
	v_cndmask_b32_e32 v21, 0, v21, vcc
	v_cmp_gt_i32_e32 vcc, s11, v29
	s_nop 1
	v_cndmask_b32_e32 v22, 0, v22, vcc
	s_branch .LBB290_48
.LBB290_53:
	s_or_b64 exec, exec, s[6:7]
.LBB290_54:
	s_or_b64 exec, exec, s[2:3]
	ds_bpermute_b32 v1, v18, v11
	v_and_b32_e32 v2, 0x3c1, v0
	v_cmp_eq_u32_e32 vcc, 64, v2
	s_waitcnt lgkmcnt(0)
	s_barrier
	v_add_f32_e32 v1, v11, v1
	s_and_saveexec_b64 s[0:1], vcc
; %bb.55:
	v_mov_b32_e32 v3, 0x50
	v_lshl_add_u32 v3, v17, 1, v3
	ds_write_b32 v3, v1
; %bb.56:
	s_or_b64 exec, exec, s[0:1]
	v_lshrrev_b32_e32 v0, 1, v0
	v_cmp_eq_u32_e32 vcc, 0, v2
	s_waitcnt lgkmcnt(0)
	s_barrier
	s_and_saveexec_b64 s[0:1], vcc
	s_cbranch_execz .LBB290_58
; %bb.57:
	v_mov_b32_e32 v2, 0x50
	v_lshl_add_u32 v2, v0, 2, v2
	ds_read_b32 v2, v2
	s_waitcnt lgkmcnt(0)
	v_add_f32_e32 v1, v1, v2
.LBB290_58:
	s_or_b64 exec, exec, s[0:1]
	s_barrier
	s_and_saveexec_b64 s[0:1], vcc
	s_cbranch_execz .LBB290_60
; %bb.59:
	s_mul_i32 s0, s10, s16
	s_mul_i32 s0, s0, s5
	s_lshl_b32 s0, s0, 5
	s_ashr_i32 s1, s0, 31
	s_lshl_b64 s[0:1], s[0:1], 1
	s_add_u32 s2, s26, s0
	s_mul_i32 s0, s16, s24
	s_addc_u32 s3, s27, s1
	s_ashr_i32 s1, s0, 31
	s_lshl_b64 s[0:1], s[0:1], 1
	s_add_u32 s2, s2, s0
	s_addc_u32 s3, s3, s1
	s_lshl_b32 s0, s4, 5
	s_ashr_i32 s1, s0, 31
	s_lshl_b64 s[0:1], s[0:1], 1
	s_add_u32 s0, s2, s0
	s_addc_u32 s1, s3, s1
	v_lshlrev_b32_e32 v0, 1, v0
	v_cvt_pk_bf16_f32 v1, v1, s0
	global_store_short v0, v1, s[0:1]
.LBB290_60:
	s_endpgm
	.section	.rodata,"a",@progbits
	.p2align	6, 0x0
	.amdhsa_kernel _ZN4vllm25paged_attention_v1_kernelI14__hip_bfloat16hLi32ELi16ELi128ELNS_18Fp8KVCacheDataTypeE1ELb1EEEvPT_PKS3_PKT0_S9_ifPKiSB_iPKfiiiSD_SD_iiiii
		.amdhsa_group_segment_fixed_size 80
		.amdhsa_private_segment_fixed_size 0
		.amdhsa_kernarg_size 384
		.amdhsa_user_sgpr_count 2
		.amdhsa_user_sgpr_dispatch_ptr 0
		.amdhsa_user_sgpr_queue_ptr 0
		.amdhsa_user_sgpr_kernarg_segment_ptr 1
		.amdhsa_user_sgpr_dispatch_id 0
		.amdhsa_user_sgpr_kernarg_preload_length 0
		.amdhsa_user_sgpr_kernarg_preload_offset 0
		.amdhsa_user_sgpr_private_segment_size 0
		.amdhsa_uses_dynamic_stack 0
		.amdhsa_enable_private_segment 0
		.amdhsa_system_sgpr_workgroup_id_x 1
		.amdhsa_system_sgpr_workgroup_id_y 1
		.amdhsa_system_sgpr_workgroup_id_z 1
		.amdhsa_system_sgpr_workgroup_info 0
		.amdhsa_system_vgpr_workitem_id 0
		.amdhsa_next_free_vgpr 39
		.amdhsa_next_free_sgpr 49
		.amdhsa_accum_offset 40
		.amdhsa_reserve_vcc 1
		.amdhsa_float_round_mode_32 0
		.amdhsa_float_round_mode_16_64 0
		.amdhsa_float_denorm_mode_32 3
		.amdhsa_float_denorm_mode_16_64 3
		.amdhsa_dx10_clamp 1
		.amdhsa_ieee_mode 1
		.amdhsa_fp16_overflow 0
		.amdhsa_tg_split 0
		.amdhsa_exception_fp_ieee_invalid_op 0
		.amdhsa_exception_fp_denorm_src 0
		.amdhsa_exception_fp_ieee_div_zero 0
		.amdhsa_exception_fp_ieee_overflow 0
		.amdhsa_exception_fp_ieee_underflow 0
		.amdhsa_exception_fp_ieee_inexact 0
		.amdhsa_exception_int_div_zero 0
	.end_amdhsa_kernel
	.section	.text._ZN4vllm25paged_attention_v1_kernelI14__hip_bfloat16hLi32ELi16ELi128ELNS_18Fp8KVCacheDataTypeE1ELb1EEEvPT_PKS3_PKT0_S9_ifPKiSB_iPKfiiiSD_SD_iiiii,"axG",@progbits,_ZN4vllm25paged_attention_v1_kernelI14__hip_bfloat16hLi32ELi16ELi128ELNS_18Fp8KVCacheDataTypeE1ELb1EEEvPT_PKS3_PKT0_S9_ifPKiSB_iPKfiiiSD_SD_iiiii,comdat
.Lfunc_end290:
	.size	_ZN4vllm25paged_attention_v1_kernelI14__hip_bfloat16hLi32ELi16ELi128ELNS_18Fp8KVCacheDataTypeE1ELb1EEEvPT_PKS3_PKT0_S9_ifPKiSB_iPKfiiiSD_SD_iiiii, .Lfunc_end290-_ZN4vllm25paged_attention_v1_kernelI14__hip_bfloat16hLi32ELi16ELi128ELNS_18Fp8KVCacheDataTypeE1ELb1EEEvPT_PKS3_PKT0_S9_ifPKiSB_iPKfiiiSD_SD_iiiii
                                        ; -- End function
	.set _ZN4vllm25paged_attention_v1_kernelI14__hip_bfloat16hLi32ELi16ELi128ELNS_18Fp8KVCacheDataTypeE1ELb1EEEvPT_PKS3_PKT0_S9_ifPKiSB_iPKfiiiSD_SD_iiiii.num_vgpr, 39
	.set _ZN4vllm25paged_attention_v1_kernelI14__hip_bfloat16hLi32ELi16ELi128ELNS_18Fp8KVCacheDataTypeE1ELb1EEEvPT_PKS3_PKT0_S9_ifPKiSB_iPKfiiiSD_SD_iiiii.num_agpr, 0
	.set _ZN4vllm25paged_attention_v1_kernelI14__hip_bfloat16hLi32ELi16ELi128ELNS_18Fp8KVCacheDataTypeE1ELb1EEEvPT_PKS3_PKT0_S9_ifPKiSB_iPKfiiiSD_SD_iiiii.numbered_sgpr, 49
	.set _ZN4vllm25paged_attention_v1_kernelI14__hip_bfloat16hLi32ELi16ELi128ELNS_18Fp8KVCacheDataTypeE1ELb1EEEvPT_PKS3_PKT0_S9_ifPKiSB_iPKfiiiSD_SD_iiiii.num_named_barrier, 0
	.set _ZN4vllm25paged_attention_v1_kernelI14__hip_bfloat16hLi32ELi16ELi128ELNS_18Fp8KVCacheDataTypeE1ELb1EEEvPT_PKS3_PKT0_S9_ifPKiSB_iPKfiiiSD_SD_iiiii.private_seg_size, 0
	.set _ZN4vllm25paged_attention_v1_kernelI14__hip_bfloat16hLi32ELi16ELi128ELNS_18Fp8KVCacheDataTypeE1ELb1EEEvPT_PKS3_PKT0_S9_ifPKiSB_iPKfiiiSD_SD_iiiii.uses_vcc, 1
	.set _ZN4vllm25paged_attention_v1_kernelI14__hip_bfloat16hLi32ELi16ELi128ELNS_18Fp8KVCacheDataTypeE1ELb1EEEvPT_PKS3_PKT0_S9_ifPKiSB_iPKfiiiSD_SD_iiiii.uses_flat_scratch, 0
	.set _ZN4vllm25paged_attention_v1_kernelI14__hip_bfloat16hLi32ELi16ELi128ELNS_18Fp8KVCacheDataTypeE1ELb1EEEvPT_PKS3_PKT0_S9_ifPKiSB_iPKfiiiSD_SD_iiiii.has_dyn_sized_stack, 0
	.set _ZN4vllm25paged_attention_v1_kernelI14__hip_bfloat16hLi32ELi16ELi128ELNS_18Fp8KVCacheDataTypeE1ELb1EEEvPT_PKS3_PKT0_S9_ifPKiSB_iPKfiiiSD_SD_iiiii.has_recursion, 0
	.set _ZN4vllm25paged_attention_v1_kernelI14__hip_bfloat16hLi32ELi16ELi128ELNS_18Fp8KVCacheDataTypeE1ELb1EEEvPT_PKS3_PKT0_S9_ifPKiSB_iPKfiiiSD_SD_iiiii.has_indirect_call, 0
	.section	.AMDGPU.csdata,"",@progbits
; Kernel info:
; codeLenInByte = 4492
; TotalNumSgprs: 55
; NumVgprs: 39
; NumAgprs: 0
; TotalNumVgprs: 39
; ScratchSize: 0
; MemoryBound: 0
; FloatMode: 240
; IeeeMode: 1
; LDSByteSize: 80 bytes/workgroup (compile time only)
; SGPRBlocks: 6
; VGPRBlocks: 4
; NumSGPRsForWavesPerEU: 55
; NumVGPRsForWavesPerEU: 39
; AccumOffset: 40
; Occupancy: 8
; WaveLimiterHint : 1
; COMPUTE_PGM_RSRC2:SCRATCH_EN: 0
; COMPUTE_PGM_RSRC2:USER_SGPR: 2
; COMPUTE_PGM_RSRC2:TRAP_HANDLER: 0
; COMPUTE_PGM_RSRC2:TGID_X_EN: 1
; COMPUTE_PGM_RSRC2:TGID_Y_EN: 1
; COMPUTE_PGM_RSRC2:TGID_Z_EN: 1
; COMPUTE_PGM_RSRC2:TIDIG_COMP_CNT: 0
; COMPUTE_PGM_RSRC3_GFX90A:ACCUM_OFFSET: 9
; COMPUTE_PGM_RSRC3_GFX90A:TG_SPLIT: 0
	.section	.text._ZN4vllm25paged_attention_v1_kernelI14__hip_bfloat16hLi64ELi16ELi128ELNS_18Fp8KVCacheDataTypeE1ELb1EEEvPT_PKS3_PKT0_S9_ifPKiSB_iPKfiiiSD_SD_iiiii,"axG",@progbits,_ZN4vllm25paged_attention_v1_kernelI14__hip_bfloat16hLi64ELi16ELi128ELNS_18Fp8KVCacheDataTypeE1ELb1EEEvPT_PKS3_PKT0_S9_ifPKiSB_iPKfiiiSD_SD_iiiii,comdat
	.protected	_ZN4vllm25paged_attention_v1_kernelI14__hip_bfloat16hLi64ELi16ELi128ELNS_18Fp8KVCacheDataTypeE1ELb1EEEvPT_PKS3_PKT0_S9_ifPKiSB_iPKfiiiSD_SD_iiiii ; -- Begin function _ZN4vllm25paged_attention_v1_kernelI14__hip_bfloat16hLi64ELi16ELi128ELNS_18Fp8KVCacheDataTypeE1ELb1EEEvPT_PKS3_PKT0_S9_ifPKiSB_iPKfiiiSD_SD_iiiii
	.globl	_ZN4vllm25paged_attention_v1_kernelI14__hip_bfloat16hLi64ELi16ELi128ELNS_18Fp8KVCacheDataTypeE1ELb1EEEvPT_PKS3_PKT0_S9_ifPKiSB_iPKfiiiSD_SD_iiiii
	.p2align	8
	.type	_ZN4vllm25paged_attention_v1_kernelI14__hip_bfloat16hLi64ELi16ELi128ELNS_18Fp8KVCacheDataTypeE1ELb1EEEvPT_PKS3_PKT0_S9_ifPKiSB_iPKfiiiSD_SD_iiiii,@function
_ZN4vllm25paged_attention_v1_kernelI14__hip_bfloat16hLi64ELi16ELi128ELNS_18Fp8KVCacheDataTypeE1ELb1EEEvPT_PKS3_PKT0_S9_ifPKiSB_iPKfiiiSD_SD_iiiii: ; @_ZN4vllm25paged_attention_v1_kernelI14__hip_bfloat16hLi64ELi16ELi128ELNS_18Fp8KVCacheDataTypeE1ELb1EEEvPT_PKS3_PKT0_S9_ifPKiSB_iPKfiiiSD_SD_iiiii
; %bb.0:
	s_load_dword s5, s[0:1], 0x80
	s_load_dwordx2 s[6:7], s[0:1], 0x30
	s_load_dwordx2 s[36:37], s[0:1], 0x20
	s_mov_b32 s10, s3
	s_ashr_i32 s11, s3, 31
	s_lshl_b64 s[8:9], s[10:11], 2
	s_waitcnt lgkmcnt(0)
	s_add_u32 s6, s6, s8
	s_addc_u32 s7, s7, s9
	s_abs_i32 s3, s36
	v_cvt_f32_u32_e32 v1, s3
	s_sub_i32 s11, 0, s3
	s_abs_i32 s9, s5
	s_xor_b32 s8, s5, s36
	v_rcp_iflag_f32_e32 v1, v1
	s_ashr_i32 s8, s8, 31
	s_mov_b32 s44, 0
	v_mul_f32_e32 v1, 0x4f7ffffe, v1
	v_cvt_u32_f32_e32 v1, v1
	s_nop 0
	v_readfirstlane_b32 s12, v1
	s_mul_i32 s11, s11, s12
	s_mul_hi_u32 s11, s12, s11
	s_add_i32 s12, s12, s11
	s_mul_hi_u32 s11, s9, s12
	s_mul_i32 s12, s11, s3
	s_sub_i32 s9, s9, s12
	s_add_i32 s12, s11, 1
	s_sub_i32 s13, s9, s3
	s_cmp_ge_u32 s9, s3
	s_cselect_b32 s11, s12, s11
	s_cselect_b32 s9, s13, s9
	s_add_i32 s12, s11, 1
	s_cmp_ge_u32 s9, s3
	s_cselect_b32 s3, s12, s11
	s_xor_b32 s3, s3, s8
	s_sub_i32 s15, s3, s8
	s_abs_i32 s12, s15
	v_cvt_f32_u32_e32 v1, s12
	s_load_dwordx2 s[8:9], s[0:1], 0x40
	s_sub_i32 s3, 0, s12
	s_abs_i32 s13, s2
	v_rcp_iflag_f32_e32 v1, v1
	s_nop 0
	v_mul_f32_e32 v1, 0x4f7ffffe, v1
	v_cvt_u32_f32_e32 v1, v1
	s_nop 0
	v_readfirstlane_b32 s11, v1
	s_mul_i32 s3, s3, s11
	s_mul_hi_u32 s3, s11, s3
	s_add_i32 s11, s11, s3
	s_waitcnt lgkmcnt(0)
	s_cmp_eq_u64 s[8:9], 0
	s_mul_hi_u32 s14, s13, s11
	s_cbranch_scc1 .LBB291_2
; %bb.1:
	s_ashr_i32 s3, s2, 31
	s_lshl_b64 s[16:17], s[2:3], 2
	s_add_u32 s8, s8, s16
	s_addc_u32 s9, s9, s17
	s_load_dword s44, s[8:9], 0x0
.LBB291_2:
	s_load_dword s11, s[6:7], 0x0
	s_load_dwordx4 s[16:19], s[0:1], 0x48
	s_ashr_i32 s8, s2, 31
	s_ashr_i32 s9, s15, 31
	v_and_b32_e32 v2, 3, v0
	s_lshl_b32 s24, s2, 6
	v_cmp_gt_u32_e32 vcc, 32, v0
	s_and_saveexec_b64 s[6:7], vcc
	s_cbranch_execz .LBB291_4
; %bb.3:
	s_load_dwordx2 s[20:21], s[0:1], 0x8
	s_waitcnt lgkmcnt(0)
	s_mul_i32 s22, s16, s10
	s_ashr_i32 s23, s22, 31
	s_lshl_b64 s[22:23], s[22:23], 1
	v_lshlrev_b32_e32 v1, 2, v0
	s_add_u32 s3, s20, s22
	s_addc_u32 s15, s21, s23
	s_ashr_i32 s25, s24, 31
	s_lshl_b64 s[20:21], s[24:25], 1
	s_add_u32 s20, s3, s20
	s_addc_u32 s21, s15, s21
	global_load_dword v1, v1, s[20:21]
	v_and_b32_e32 v3, 0x3fc, v0
	v_lshl_add_u32 v3, v2, 5, v3
	s_waitcnt vmcnt(0)
	ds_write_b32 v3, v1
.LBB291_4:
	s_or_b64 exec, exec, s[6:7]
	s_mul_i32 s7, s14, s12
	s_sub_i32 s7, s13, s7
	s_xor_b32 s6, s8, s9
	s_add_i32 s8, s14, 1
	s_sub_i32 s9, s7, s12
	s_load_dwordx4 s[20:23], s[0:1], 0x68
	s_load_dword s3, s[0:1], 0x78
	s_cmp_ge_u32 s7, s12
	s_cselect_b32 s8, s8, s14
	s_cselect_b32 s7, s9, s7
	s_add_i32 s9, s8, 1
	s_cmp_ge_u32 s7, s12
	s_cselect_b32 s7, s9, s8
	s_waitcnt lgkmcnt(0)
	s_abs_i32 s25, s23
	v_cvt_f32_u32_e32 v1, s25
	s_xor_b32 s7, s7, s6
	s_sub_i32 s43, s7, s6
	s_sub_i32 s6, 0, s25
	v_rcp_iflag_f32_e32 v1, v1
	s_add_i32 s12, s11, -1
	s_abs_i32 s8, s12
	v_mul_f32_e32 v1, 0x4f7ffffe, v1
	v_cvt_u32_f32_e32 v1, v1
	s_barrier
	v_readfirstlane_b32 s33, v1
	s_mul_i32 s6, s6, s33
	s_mul_hi_u32 s6, s33, s6
	s_add_i32 s33, s33, s6
	s_cmp_lt_i32 s3, 0
	s_mul_hi_u32 s9, s8, s33
	s_cbranch_scc0 .LBB291_6
; %bb.5:
	s_mul_i32 s6, s20, s36
	s_add_i32 s6, s43, s6
	s_mul_i32 s6, s6, s3
	s_sub_i32 s36, 1, s6
	s_mov_b64 s[6:7], 0
	s_branch .LBB291_7
.LBB291_6:
	s_mov_b64 s[6:7], -1
                                        ; implicit-def: $sgpr36
.LBB291_7:
	s_load_dwordx2 s[28:29], s[0:1], 0x28
	s_ashr_i32 s19, s12, 31
	s_andn2_b64 vcc, exec, s[6:7]
	s_ashr_i32 s23, s23, 31
	s_cbranch_vccnz .LBB291_9
; %bb.8:
	s_mul_i32 s6, s5, s20
	s_add_i32 s2, s6, s2
	s_mul_i32 s2, s2, s3
	s_add_i32 s36, s2, 1
.LBB291_9:
	s_load_dword s2, s[0:1], 0x38
	s_load_dwordx2 s[26:27], s[0:1], 0x0
	s_load_dwordx2 s[34:35], s[0:1], 0x18
	s_load_dword s16, s[0:1], 0x88
	s_load_dwordx4 s[12:15], s[0:1], 0x58
	s_mul_i32 s3, s9, s25
	s_waitcnt lgkmcnt(0)
	s_mul_i32 s30, s2, s10
	s_sub_i32 s3, s8, s3
	s_ashr_i32 s31, s30, 31
	s_xor_b32 s2, s19, s23
	s_add_i32 s6, s9, 1
	s_sub_i32 s7, s3, s25
	s_cmp_ge_u32 s3, s25
	s_cselect_b32 s6, s6, s9
	s_cselect_b32 s3, s7, s3
	s_add_i32 s7, s6, 1
	s_cmp_ge_u32 s3, s25
	s_cselect_b32 s3, s7, s6
	s_xor_b32 s3, s3, s2
	s_sub_i32 s42, s3, s2
	s_add_i32 s2, s11, 15
	s_ashr_i32 s3, s2, 31
	s_lshr_b32 s3, s3, 28
	s_add_i32 s2, s2, s3
	s_ashr_i32 s20, s2, 4
	v_lshrrev_b32_e32 v1, 6, v0
	v_cmp_gt_i32_e64 s[6:7], s20, v1
	v_mov_b32_e32 v10, 0xff7fffff
	s_mul_i32 s43, s43, s18
	v_lshrrev_b32_e32 v6, 4, v0
	v_lshlrev_b32_e32 v18, 4, v1
	v_mbcnt_lo_u32_b32 v7, -1, 0
	s_and_saveexec_b64 s[18:19], s[6:7]
	s_cbranch_execz .LBB291_21
; %bb.10:
	s_load_dwordx2 s[0:1], s[0:1], 0x10
	s_sub_i32 s45, s42, s21
	s_ashr_i32 s2, s43, 31
	v_bfe_u32 v8, v0, 2, 4
	v_mov_b32_e32 v5, 0
	s_waitcnt lgkmcnt(0)
	s_add_u32 s0, s0, s43
	s_addc_u32 s1, s1, s2
	s_abs_i32 s46, s22
	v_cvt_f32_u32_e32 v3, s46
	v_lshlrev_b32_e32 v4, 4, v8
	v_lshl_add_u64 v[12:13], s[0:1], 0, v[4:5]
	s_sub_i32 s0, 0, s46
	v_rcp_iflag_f32_e32 v3, v3
	v_cmp_eq_u32_e32 vcc, 0, v2
	v_lshlrev_b32_e32 v9, 5, v2
	v_lshlrev_b32_e32 v4, 1, v2
	v_mul_f32_e32 v3, 0x4f7ffffe, v3
	v_cvt_u32_f32_e32 v3, v3
	v_subrev_u32_e32 v10, s11, v8
	v_mbcnt_hi_u32_b32 v16, -1, v7
	s_mov_b32 s47, s17
	v_mul_lo_u32 v2, s0, v3
	v_mul_hi_u32 v2, v3, v2
	v_add_u32_e32 v11, v3, v2
	v_lshl_add_u64 v[2:3], v[12:13], 0, v[4:5]
	s_lshl_b64 s[0:1], s[30:31], 2
	v_add_u32_e32 v13, 1, v10
	v_lshlrev_b32_e32 v10, 2, v8
	s_add_u32 s0, s28, s0
	v_lshl_or_b32 v10, v1, 6, v10
	v_and_b32_e32 v4, 60, v6
	s_addc_u32 s1, s29, s1
	v_add_u32_e32 v14, 0x90, v10
	v_and_b32_e32 v10, 64, v16
	v_cmp_neq_f32_e64 s[2:3], s44, 0
	v_lshl_add_u64 v[4:5], s[0:1], 0, v[4:5]
	v_lshlrev_b32_e32 v12, 4, v1
	v_mov_b32_e32 v15, 0xff7fffff
	s_mov_b64 s[38:39], 0
	s_mov_b32 s48, 0xffff
	v_add_u32_e32 v17, 64, v10
	v_xor_b32_e32 v19, 2, v16
	v_xor_b32_e32 v20, 1, v16
	v_mov_b32_e32 v10, 0xff7fffff
	v_mov_b32_e32 v21, v1
	s_branch .LBB291_13
.LBB291_11:                             ;   in Loop: Header=BB291_13 Depth=1
	s_or_b64 exec, exec, s[40:41]
.LBB291_12:                             ;   in Loop: Header=BB291_13 Depth=1
	s_or_b64 exec, exec, s[8:9]
	v_add_u32_e32 v21, 2, v21
	v_cmp_le_i32_e64 s[0:1], s20, v21
	v_lshl_add_u64 v[4:5], v[4:5], 0, 8
	v_add_u32_e32 v12, 32, v12
	s_or_b64 s[38:39], s[0:1], s[38:39]
	v_add_u32_e32 v14, 0x80, v14
	s_andn2_b64 exec, exec, s[38:39]
	s_cbranch_execz .LBB291_20
.LBB291_13:                             ; =>This Inner Loop Header: Depth=1
	v_mul_hi_u32 v22, v12, s33
	s_waitcnt lgkmcnt(0)
	v_mul_lo_u32 v23, v22, s25
	v_sub_u32_e32 v23, v12, v23
	v_add_u32_e32 v24, 1, v22
	v_cmp_le_u32_e64 s[0:1], s25, v23
	s_nop 1
	v_cndmask_b32_e64 v22, v22, v24, s[0:1]
	v_subrev_u32_e32 v24, s25, v23
	v_cndmask_b32_e64 v23, v23, v24, s[0:1]
	v_add_u32_e32 v24, 1, v22
	v_cmp_le_u32_e64 s[0:1], s25, v23
	s_nop 1
	v_cndmask_b32_e64 v22, v22, v24, s[0:1]
	v_xor_b32_e32 v22, s23, v22
	v_subrev_u32_e32 v22, s23, v22
	v_add_u32_e32 v23, s36, v22
	v_sub_u32_e32 v25, 0, v23
	v_ashrrev_i32_e32 v24, 31, v23
	v_max_i32_e32 v23, v23, v25
	v_mul_hi_u32 v25, v23, v11
	v_mul_lo_u32 v25, v25, s46
	v_sub_u32_e32 v23, v23, v25
	v_subrev_u32_e32 v25, s46, v23
	v_cmp_le_u32_e64 s[0:1], s46, v23
	v_cmp_ge_i32_e64 s[8:9], s45, v22
	s_nop 0
	v_cndmask_b32_e64 v23, v23, v25, s[0:1]
	v_subrev_u32_e32 v25, s46, v23
	v_cmp_le_u32_e64 s[0:1], s46, v23
	s_nop 1
	v_cndmask_b32_e64 v23, v23, v25, s[0:1]
	v_xor_b32_e32 v23, v23, v24
	v_sub_u32_e32 v23, v23, v24
	v_cmp_ne_u32_e64 s[0:1], 0, v23
	s_and_b64 s[0:1], s[0:1], s[8:9]
	s_and_saveexec_b64 s[8:9], s[0:1]
	s_xor_b64 s[0:1], exec, s[8:9]
	s_cbranch_execz .LBB291_17
; %bb.14:                               ;   in Loop: Header=BB291_13 Depth=1
	s_and_saveexec_b64 s[8:9], vcc
; %bb.15:                               ;   in Loop: Header=BB291_13 Depth=1
	ds_write_b32 v14, v15
; %bb.16:                               ;   in Loop: Header=BB291_13 Depth=1
	s_or_b64 exec, exec, s[8:9]
.LBB291_17:                             ;   in Loop: Header=BB291_13 Depth=1
	s_andn2_saveexec_b64 s[8:9], s[0:1]
	s_cbranch_execz .LBB291_12
; %bb.18:                               ;   in Loop: Header=BB291_13 Depth=1
	global_load_dword v22, v[4:5], off
	s_waitcnt vmcnt(0)
	v_mad_i64_i32 v[22:23], s[0:1], v22, s47, v[2:3]
	global_load_ushort v30, v[22:23], off
	global_load_ushort v31, v[22:23], off offset:8
	global_load_ushort v32, v[22:23], off offset:256
	;; [unrolled: 1-line block ×7, first 2 shown]
	v_cmp_lt_i32_e64 s[0:1], v19, v17
	ds_read_b128 v[22:25], v9
	ds_read_b128 v[26:29], v9 offset:16
	v_cndmask_b32_e64 v38, v16, v19, s[0:1]
	s_load_dword s0, s[12:13], 0x0
	v_lshlrev_b32_e32 v38, 2, v38
	s_waitcnt lgkmcnt(0)
	v_lshlrev_b32_e32 v40, 16, v23
	v_and_b32_e32 v23, 0xffff0000, v23
	v_lshlrev_b32_e32 v39, 16, v22
	v_and_b32_e32 v22, 0xffff0000, v22
	;; [unrolled: 2-line block ×8, first 2 shown]
	s_waitcnt vmcnt(7)
	v_and_b32_sdwa v47, s48, v30 dst_sel:DWORD dst_unused:UNUSED_PAD src0_sel:DWORD src1_sel:BYTE_0
	s_waitcnt vmcnt(6)
	v_and_b32_sdwa v48, s48, v31 dst_sel:DWORD dst_unused:UNUSED_PAD src0_sel:DWORD src1_sel:BYTE_0
	v_lshrrev_b16_e32 v31, 8, v31
	v_lshrrev_b16_e32 v30, 8, v30
	v_cvt_f32_fp8_e32 v48, v48
	v_cvt_f32_fp8_e32 v31, v31
	s_waitcnt vmcnt(5)
	v_and_b32_sdwa v49, s48, v32 dst_sel:DWORD dst_unused:UNUSED_PAD src0_sel:DWORD src1_sel:BYTE_0
	v_lshrrev_b16_e32 v32, 8, v32
	v_cvt_f32_fp8_e32 v47, v47
	v_cvt_f32_fp8_e32 v30, v30
	s_waitcnt vmcnt(4)
	v_and_b32_sdwa v50, s48, v33 dst_sel:DWORD dst_unused:UNUSED_PAD src0_sel:DWORD src1_sel:BYTE_0
	v_lshrrev_b16_e32 v33, 8, v33
	v_cvt_f32_fp8_e32 v49, v49
	v_cvt_f32_fp8_e32 v32, v32
	s_waitcnt vmcnt(3)
	v_and_b32_sdwa v51, s48, v34 dst_sel:DWORD dst_unused:UNUSED_PAD src0_sel:DWORD src1_sel:BYTE_0
	v_lshrrev_b16_e32 v34, 8, v34
	v_cvt_f32_fp8_e32 v50, v50
	v_cvt_f32_fp8_e32 v33, v33
	s_waitcnt vmcnt(2)
	v_and_b32_sdwa v52, s48, v35 dst_sel:DWORD dst_unused:UNUSED_PAD src0_sel:DWORD src1_sel:BYTE_0
	v_lshrrev_b16_e32 v35, 8, v35
	v_cvt_f32_fp8_e32 v51, v51
	v_cvt_f32_fp8_e32 v34, v34
	v_mul_f32_e32 v48, s0, v48
	v_mul_f32_e32 v31, s0, v31
	s_waitcnt vmcnt(1)
	v_and_b32_sdwa v53, s48, v36 dst_sel:DWORD dst_unused:UNUSED_PAD src0_sel:DWORD src1_sel:BYTE_0
	v_lshrrev_b16_e32 v36, 8, v36
	v_cvt_f32_fp8_e32 v52, v52
	v_cvt_f32_fp8_e32 v35, v35
	v_mul_f32_e32 v47, s0, v47
	v_mul_f32_e32 v30, s0, v30
	v_cvt_pk_bf16_f32 v48, v48, s0
	v_cvt_pk_bf16_f32 v31, v31, s0
	s_waitcnt vmcnt(0)
	v_and_b32_sdwa v54, s48, v37 dst_sel:DWORD dst_unused:UNUSED_PAD src0_sel:DWORD src1_sel:BYTE_0
	v_lshrrev_b16_e32 v37, 8, v37
	v_cvt_f32_fp8_e32 v53, v53
	v_cvt_f32_fp8_e32 v36, v36
	v_mul_f32_e32 v49, s0, v49
	v_mul_f32_e32 v32, s0, v32
	v_cvt_pk_bf16_f32 v47, v47, s0
	v_cvt_pk_bf16_f32 v30, v30, s0
	v_lshlrev_b32_e32 v48, 16, v48
	v_lshlrev_b32_e32 v31, 16, v31
	v_cvt_f32_fp8_e32 v54, v54
	v_cvt_f32_fp8_e32 v37, v37
	v_mul_f32_e32 v50, s0, v50
	v_mul_f32_e32 v33, s0, v33
	v_cvt_pk_bf16_f32 v49, v49, s0
	v_cvt_pk_bf16_f32 v32, v32, s0
	v_lshlrev_b32_e32 v47, 16, v47
	v_lshlrev_b32_e32 v30, 16, v30
	v_mul_f32_e32 v40, v40, v48
	v_mul_f32_e32 v23, v23, v31
	;; [unrolled: 1-line block ×4, first 2 shown]
	v_cvt_pk_bf16_f32 v50, v50, s0
	v_cvt_pk_bf16_f32 v33, v33, s0
	v_lshlrev_b32_e32 v49, 16, v49
	v_lshlrev_b32_e32 v32, 16, v32
	v_fmac_f32_e32 v40, v39, v47
	v_fmac_f32_e32 v23, v22, v30
	v_mul_f32_e32 v52, s0, v52
	v_mul_f32_e32 v35, s0, v35
	v_cvt_pk_bf16_f32 v51, v51, s0
	v_cvt_pk_bf16_f32 v34, v34, s0
	v_lshlrev_b32_e32 v50, 16, v50
	v_lshlrev_b32_e32 v33, 16, v33
	v_fmac_f32_e32 v40, v41, v49
	v_fmac_f32_e32 v23, v24, v32
	v_mul_f32_e32 v53, s0, v53
	v_mul_f32_e32 v36, s0, v36
	v_cvt_pk_bf16_f32 v52, v52, s0
	v_cvt_pk_bf16_f32 v35, v35, s0
	v_lshlrev_b32_e32 v51, 16, v51
	v_lshlrev_b32_e32 v34, 16, v34
	v_fmac_f32_e32 v40, v42, v50
	v_fmac_f32_e32 v23, v25, v33
	v_mul_f32_e32 v54, s0, v54
	v_mul_f32_e32 v37, s0, v37
	v_cvt_pk_bf16_f32 v53, v53, s0
	v_cvt_pk_bf16_f32 v36, v36, s0
	v_lshlrev_b32_e32 v52, 16, v52
	v_lshlrev_b32_e32 v35, 16, v35
	v_fmac_f32_e32 v40, v43, v51
	v_fmac_f32_e32 v23, v26, v34
	v_cvt_pk_bf16_f32 v54, v54, s0
	v_cvt_pk_bf16_f32 v37, v37, s0
	v_lshlrev_b32_e32 v53, 16, v53
	v_lshlrev_b32_e32 v36, 16, v36
	v_fmac_f32_e32 v40, v44, v52
	v_fmac_f32_e32 v23, v27, v35
	v_lshlrev_b32_e32 v54, 16, v54
	v_lshlrev_b32_e32 v37, 16, v37
	v_fmac_f32_e32 v40, v45, v53
	v_fmac_f32_e32 v23, v28, v36
	;; [unrolled: 1-line block ×4, first 2 shown]
	v_add_f32_e32 v22, v40, v23
	ds_bpermute_b32 v23, v38, v22
	v_cmp_lt_i32_e64 s[0:1], v20, v17
	s_waitcnt lgkmcnt(0)
	v_add_f32_e32 v22, v22, v23
	v_cndmask_b32_e64 v24, v16, v20, s[0:1]
	v_lshlrev_b32_e32 v24, 2, v24
	ds_bpermute_b32 v23, v24, v22
	s_and_saveexec_b64 s[40:41], vcc
	s_cbranch_execz .LBB291_11
; %bb.19:                               ;   in Loop: Header=BB291_13 Depth=1
	v_add_u32_e32 v24, v13, v12
	v_cvt_f32_i32_e32 v24, v24
	s_waitcnt lgkmcnt(0)
	v_add_f32_e32 v22, v22, v23
	v_add_u32_e32 v25, v8, v12
	v_cmp_gt_i32_e64 s[0:1], s11, v25
	v_mul_f32_e32 v23, s44, v24
	v_cndmask_b32_e64 v23, 0, v23, s[2:3]
	v_fmac_f32_e32 v23, s37, v22
	v_cndmask_b32_e64 v22, 0, v23, s[0:1]
	ds_write_b32 v14, v22
	v_max_f32_e32 v22, v10, v10
	v_max_f32_e32 v22, v22, v23
	v_cndmask_b32_e64 v10, v10, v22, s[0:1]
	s_branch .LBB291_11
.LBB291_20:
	s_or_b64 exec, exec, s[38:39]
.LBB291_21:
	s_or_b64 exec, exec, s[18:19]
	v_mbcnt_hi_u32_b32 v2, -1, v7
	v_and_b32_e32 v11, 64, v2
	v_add_u32_e32 v3, 64, v11
	v_xor_b32_e32 v4, 32, v2
	v_cmp_lt_i32_e32 vcc, v4, v3
	v_xor_b32_e32 v8, 16, v2
	v_max_f32_e32 v7, v10, v10
	v_cndmask_b32_e32 v4, v2, v4, vcc
	v_lshlrev_b32_e32 v4, 2, v4
	ds_bpermute_b32 v5, v4, v10
	v_cmp_lt_i32_e32 vcc, v8, v3
	v_xor_b32_e32 v9, 8, v2
	v_xor_b32_e32 v10, 4, v2
	v_and_b32_e32 v19, 63, v0
	s_waitcnt lgkmcnt(0)
	v_max_f32_e32 v5, v5, v5
	v_max_f32_e32 v7, v7, v5
	v_cndmask_b32_e32 v5, v2, v8, vcc
	v_lshlrev_b32_e32 v5, 2, v5
	ds_bpermute_b32 v8, v5, v7
	v_cmp_lt_i32_e32 vcc, v9, v3
	s_waitcnt lgkmcnt(0)
	v_max_f32_e32 v8, v8, v8
	v_max_f32_e32 v7, v7, v8
	v_cndmask_b32_e32 v8, v2, v9, vcc
	v_lshlrev_b32_e32 v9, 2, v8
	ds_bpermute_b32 v8, v9, v7
	v_cmp_lt_i32_e32 vcc, v10, v3
	s_waitcnt lgkmcnt(0)
	v_max_f32_e32 v8, v8, v8
	v_max_f32_e32 v8, v7, v8
	v_cndmask_b32_e32 v7, v2, v10, vcc
	v_lshlrev_b32_e32 v10, 2, v7
	ds_bpermute_b32 v12, v10, v8
	v_cmp_eq_u32_e32 vcc, 0, v19
	v_lshlrev_b32_e32 v7, 2, v1
	s_and_saveexec_b64 s[0:1], vcc
	s_cbranch_execz .LBB291_23
; %bb.22:
	s_waitcnt lgkmcnt(0)
	v_max_f32_e32 v12, v12, v12
	v_max_f32_e32 v8, v8, v8
	v_max_f32_e32 v8, v8, v12
	ds_write_b32 v7, v8 offset:128
.LBB291_23:
	s_or_b64 exec, exec, s[0:1]
	v_cmp_gt_u32_e64 s[0:1], 2, v19
	s_waitcnt lgkmcnt(0)
	v_mov_b32_e32 v12, 0xff7fffff
	v_lshlrev_b32_e32 v8, 2, v19
	s_barrier
	s_and_saveexec_b64 s[2:3], s[0:1]
; %bb.24:
	ds_read_b32 v12, v8 offset:128
; %bb.25:
	s_or_b64 exec, exec, s[2:3]
	v_xor_b32_e32 v13, 1, v2
	v_cmp_lt_i32_e64 s[2:3], v13, v3
	v_lshlrev_b32_e32 v11, 2, v11
	s_nop 0
	v_cndmask_b32_e64 v13, v2, v13, s[2:3]
	v_lshlrev_b32_e32 v20, 2, v13
	s_waitcnt lgkmcnt(0)
	ds_bpermute_b32 v13, v20, v12
	v_max_f32_e32 v12, v12, v12
	s_lshl_b32 s2, s20, 4
	s_min_i32 s37, s2, s11
	v_cmp_gt_i32_e64 s[2:3], s37, v0
	s_waitcnt lgkmcnt(0)
	v_max_f32_e32 v13, v13, v13
	v_max_f32_e32 v12, v12, v13
	ds_bpermute_b32 v12, v11, v12
	v_mov_b32_e32 v11, 0
	s_and_saveexec_b64 s[12:13], s[2:3]
	s_cbranch_execz .LBB291_29
; %bb.26:
	v_mov_b32_e32 v11, 0x90
	v_lshl_add_u32 v13, v0, 2, v11
	v_mov_b32_e32 v11, 0
	s_mov_b64 s[18:19], 0
	v_mov_b32_e32 v14, v0
.LBB291_27:                             ; =>This Inner Loop Header: Depth=1
	ds_read_b32 v15, v13
	v_add_u32_e32 v14, 0x80, v14
	v_cmp_le_i32_e64 s[8:9], s37, v14
	s_or_b64 s[18:19], s[8:9], s[18:19]
	s_waitcnt lgkmcnt(0)
	v_sub_f32_e32 v15, v15, v12
	v_mul_f32_e32 v15, 0x3fb8aa3b, v15
	v_exp_f32_e32 v15, v15
	ds_write_b32 v13, v15
	v_add_f32_e32 v11, v11, v15
	v_add_u32_e32 v13, 0x200, v13
	s_andn2_b64 exec, exec, s[18:19]
	s_cbranch_execnz .LBB291_27
; %bb.28:
	s_or_b64 exec, exec, s[18:19]
.LBB291_29:
	s_or_b64 exec, exec, s[12:13]
	ds_bpermute_b32 v4, v4, v11
	s_waitcnt lgkmcnt(0)
	v_add_f32_e32 v4, v11, v4
	ds_bpermute_b32 v5, v5, v4
	s_waitcnt lgkmcnt(0)
	v_add_f32_e32 v4, v4, v5
	ds_bpermute_b32 v5, v9, v4
	v_xor_b32_e32 v9, 2, v2
	v_cmp_lt_i32_e64 s[8:9], v9, v3
	s_waitcnt lgkmcnt(0)
	v_add_f32_e32 v4, v4, v5
	ds_bpermute_b32 v5, v10, v4
	v_cndmask_b32_e64 v3, v2, v9, s[8:9]
	v_lshlrev_b32_e32 v3, 2, v3
	s_waitcnt lgkmcnt(0)
	v_add_f32_e32 v4, v4, v5
	ds_bpermute_b32 v3, v3, v4
	s_waitcnt lgkmcnt(0)
	v_add_f32_e32 v3, v4, v3
	ds_bpermute_b32 v4, v20, v3
	s_waitcnt lgkmcnt(0)
	v_add_f32_e32 v3, v3, v4
	s_and_saveexec_b64 s[8:9], vcc
; %bb.30:
	ds_write_b32 v7, v3 offset:136
; %bb.31:
	s_or_b64 exec, exec, s[8:9]
	s_waitcnt lgkmcnt(0)
	s_barrier
	s_and_saveexec_b64 s[8:9], s[0:1]
; %bb.32:
	ds_read_b32 v3, v8 offset:136
; %bb.33:
	s_or_b64 exec, exec, s[8:9]
	s_waitcnt lgkmcnt(0)
	ds_bpermute_b32 v4, v20, v3
	v_lshlrev_b32_e32 v2, 2, v2
	v_and_b32_e32 v2, 0x100, v2
	s_waitcnt lgkmcnt(0)
	v_add_f32_e32 v3, v3, v4
	ds_bpermute_b32 v2, v2, v3
	s_and_saveexec_b64 s[0:1], s[2:3]
	s_cbranch_execz .LBB291_46
; %bb.34:
	s_waitcnt lgkmcnt(0)
	v_add_f32_e32 v2, 0x358637bd, v2
	v_div_scale_f32 v3, s[2:3], v2, v2, 1.0
	v_rcp_f32_e32 v4, v3
	v_div_scale_f32 v5, vcc, 1.0, v2, 1.0
	s_movk_i32 s2, 0x7f
	v_fma_f32 v7, -v3, v4, 1.0
	v_fmac_f32_e32 v4, v7, v4
	v_mul_f32_e32 v7, v5, v4
	v_fma_f32 v8, -v3, v7, v5
	v_fmac_f32_e32 v7, v8, v4
	v_fma_f32 v3, -v3, v7, v5
	v_div_fmas_f32 v3, v3, v4, v7
	v_xad_u32 v4, v0, -1, s37
	v_div_fixup_f32 v2, v3, v2, 1.0
	v_cmp_lt_u32_e32 vcc, s2, v4
	s_mov_b64 s[8:9], -1
	v_mov_b32_e32 v3, v0
	s_and_saveexec_b64 s[2:3], vcc
	s_cbranch_execz .LBB291_43
; %bb.35:
	v_lshrrev_b32_e32 v4, 7, v4
	v_add_u32_e32 v7, -1, v4
	v_lshrrev_b32_e32 v5, 1, v7
	v_mov_b32_e32 v3, v2
	v_add_u32_e32 v5, 1, v5
	v_cmp_lt_u32_e32 vcc, 13, v7
	v_mov_b32_e32 v9, 0
	s_and_saveexec_b64 s[8:9], vcc
	s_cbranch_execz .LBB291_39
; %bb.36:
	v_mov_b32_e32 v8, 0x90
	v_and_b32_e32 v7, -8, v5
	v_lshl_add_u32 v8, v0, 2, v8
	s_mov_b32 s18, 0
	s_mov_b64 s[12:13], 0
.LBB291_37:                             ; =>This Inner Loop Header: Depth=1
	ds_read2st64_b32 v[10:11], v8 offset1:2
	ds_read2st64_b32 v[12:13], v8 offset0:4 offset1:6
	ds_read2st64_b32 v[14:15], v8 offset0:8 offset1:10
	;; [unrolled: 1-line block ×3, first 2 shown]
	v_add_u32_e32 v7, -8, v7
	s_waitcnt lgkmcnt(3)
	v_pk_mul_f32 v[10:11], v[2:3], v[10:11]
	s_waitcnt lgkmcnt(2)
	v_pk_mul_f32 v[12:13], v[2:3], v[12:13]
	ds_write2st64_b32 v8, v10, v11 offset1:2
	ds_write2st64_b32 v8, v12, v13 offset0:4 offset1:6
	ds_read2st64_b32 v[12:13], v8 offset0:16 offset1:18
	s_waitcnt lgkmcnt(4)
	v_pk_mul_f32 v[10:11], v[2:3], v[14:15]
	ds_write2st64_b32 v8, v10, v11 offset0:8 offset1:10
	s_waitcnt lgkmcnt(4)
	v_pk_mul_f32 v[10:11], v[2:3], v[16:17]
	ds_write2st64_b32 v8, v10, v11 offset0:12 offset1:14
	ds_read2st64_b32 v[10:11], v8 offset0:20 offset1:22
	s_waitcnt lgkmcnt(3)
	v_pk_mul_f32 v[12:13], v[2:3], v[12:13]
	ds_read2st64_b32 v[14:15], v8 offset0:24 offset1:26
	ds_write2st64_b32 v8, v12, v13 offset0:16 offset1:18
	ds_read2st64_b32 v[12:13], v8 offset0:28 offset1:30
	s_waitcnt lgkmcnt(3)
	v_pk_mul_f32 v[10:11], v[2:3], v[10:11]
	ds_write2st64_b32 v8, v10, v11 offset0:20 offset1:22
	s_waitcnt lgkmcnt(3)
	v_pk_mul_f32 v[10:11], v[2:3], v[14:15]
	ds_write2st64_b32 v8, v10, v11 offset0:24 offset1:26
	s_waitcnt lgkmcnt(2)
	v_pk_mul_f32 v[10:11], v[2:3], v[12:13]
	s_add_i32 s18, s18, 16
	v_cmp_eq_u32_e32 vcc, 0, v7
	ds_write2st64_b32 v8, v10, v11 offset0:28 offset1:30
	v_add_u32_e32 v8, 0x2000, v8
	s_or_b64 s[12:13], vcc, s[12:13]
	v_mov_b32_e32 v9, s18
	s_andn2_b64 exec, exec, s[12:13]
	s_cbranch_execnz .LBB291_37
; %bb.38:
	s_or_b64 exec, exec, s[12:13]
.LBB291_39:
	s_or_b64 exec, exec, s[8:9]
	v_and_b32_e32 v5, 7, v5
	v_cmp_ne_u32_e32 vcc, 0, v5
	s_and_saveexec_b64 s[8:9], vcc
	s_cbranch_execz .LBB291_42
; %bb.40:
	v_lshlrev_b32_e32 v7, 9, v9
	v_lshlrev_b32_e32 v8, 2, v0
	s_movk_i32 s12, 0x90
	v_add3_u32 v7, v7, v8, s12
	s_mov_b64 s[12:13], 0
.LBB291_41:                             ; =>This Inner Loop Header: Depth=1
	ds_read2st64_b32 v[8:9], v7 offset1:2
	v_add_u32_e32 v5, -1, v5
	v_cmp_eq_u32_e32 vcc, 0, v5
	s_or_b64 s[12:13], vcc, s[12:13]
	s_waitcnt lgkmcnt(0)
	v_pk_mul_f32 v[8:9], v[2:3], v[8:9]
	ds_write2st64_b32 v7, v8, v9 offset1:2
	v_add_u32_e32 v7, 0x400, v7
	s_andn2_b64 exec, exec, s[12:13]
	s_cbranch_execnz .LBB291_41
.LBB291_42:
	s_or_b64 exec, exec, s[8:9]
	v_add_u32_e32 v4, 1, v4
	v_and_b32_e32 v5, 0x3fffffe, v4
	v_cmp_ne_u32_e32 vcc, v4, v5
	v_lshl_add_u32 v3, v5, 7, v0
	s_orn2_b64 s[8:9], vcc, exec
.LBB291_43:
	s_or_b64 exec, exec, s[2:3]
	s_and_b64 exec, exec, s[8:9]
	s_cbranch_execz .LBB291_46
; %bb.44:
	v_mov_b32_e32 v4, 0x90
	v_lshl_add_u32 v4, v3, 2, v4
	s_mov_b64 s[2:3], 0
.LBB291_45:                             ; =>This Inner Loop Header: Depth=1
	ds_read_b32 v5, v4
	v_add_u32_e32 v3, 0x80, v3
	v_cmp_le_i32_e32 vcc, s37, v3
	s_or_b64 s[2:3], vcc, s[2:3]
	s_waitcnt lgkmcnt(0)
	v_mul_f32_e32 v5, v2, v5
	ds_write_b32 v4, v5
	v_add_u32_e32 v4, 0x200, v4
	s_andn2_b64 exec, exec, s[2:3]
	s_cbranch_execnz .LBB291_45
.LBB291_46:
	s_or_b64 exec, exec, s[0:1]
	v_mov_b32_e32 v11, 0
	v_and_b32_e32 v21, 1, v0
	v_mov_b32_e32 v10, v11
	s_waitcnt lgkmcnt(0)
	s_barrier
	s_and_saveexec_b64 s[2:3], s[6:7]
	s_cbranch_execz .LBB291_56
; %bb.47:
	s_sub_i32 s18, s42, s21
	s_ashr_i32 s1, s43, 31
	s_add_u32 s0, s34, s43
	s_addc_u32 s1, s35, s1
	s_abs_i32 s19, s22
	v_cvt_f32_u32_e32 v2, s19
	v_lshlrev_b32_e32 v3, 3, v0
	v_and_b32_e32 v10, 0x1f8, v3
	v_mov_b32_e32 v11, 0
	v_rcp_iflag_f32_e32 v2, v2
	v_lshl_add_u64 v[12:13], s[0:1], 0, v[10:11]
	s_sub_i32 s0, 0, s19
	v_and_b32_e32 v22, 8, v3
	v_mul_f32_e32 v2, 0x4f7ffffe, v2
	v_cvt_u32_f32_e32 v2, v2
	s_add_i32 s21, s20, -1
	v_and_b32_e32 v10, 60, v6
	s_mov_b64 s[6:7], 0
	v_mul_lo_u32 v3, s0, v2
	v_mul_hi_u32 v3, v2, v3
	s_lshl_b64 s[0:1], s[30:31], 2
	v_add_u32_e32 v23, v2, v3
	s_add_u32 s0, s28, s0
	v_lshlrev_b32_e32 v2, 5, v21
	s_addc_u32 s1, s29, s1
	v_lshl_or_b32 v2, v1, 6, v2
	v_lshl_add_u64 v[14:15], s[0:1], 0, v[10:11]
	v_add_u32_e32 v24, 0x90, v2
	v_mov_b32_e32 v10, v11
	s_branch .LBB291_50
.LBB291_48:                             ;   in Loop: Header=BB291_50 Depth=1
	s_or_b64 exec, exec, s[0:1]
	v_cvt_pk_bf16_f32 v6, v6, s0
	v_cvt_pk_bf16_f32 v8, v8, s0
	;; [unrolled: 1-line block ×3, first 2 shown]
	v_lshlrev_b32_e32 v25, 16, v33
	v_lshlrev_b32_e32 v33, 16, v6
	;; [unrolled: 1-line block ×7, first 2 shown]
	v_cvt_pk_bf16_f32 v5, v5, s0
	v_mul_f32_e32 v2, v30, v2
	v_cvt_pk_bf16_f32 v7, v7, s0
	v_cvt_pk_bf16_f32 v28, v2, s0
	v_lshlrev_b32_e32 v5, 16, v5
	v_lshlrev_b32_e32 v2, 16, v27
	v_cvt_pk_bf16_f32 v9, v9, s0
	v_cvt_pk_bf16_f32 v4, v4, s0
	v_lshlrev_b32_e32 v7, 16, v7
	v_mul_f32_e32 v2, v5, v2
	v_cvt_pk_bf16_f32 v3, v3, s0
	v_mul_f32_e32 v25, v7, v25
	v_mul_f32_e32 v6, v33, v6
	v_lshlrev_b32_e32 v9, 16, v9
	v_lshlrev_b32_e32 v31, 16, v31
	v_cvt_pk_bf16_f32 v27, v2, s0
	v_lshlrev_b32_e32 v34, 16, v4
	v_lshlrev_b32_e32 v2, 16, v26
	v_cvt_pk_bf16_f32 v25, v25, s0
	v_cvt_pk_bf16_f32 v6, v6, s0
	v_mul_f32_e32 v31, v9, v31
	v_mul_f32_e32 v8, v32, v8
	v_lshlrev_b32_e32 v3, 16, v3
	v_lshlrev_b32_e32 v29, 16, v29
	v_mul_f32_e32 v2, v34, v2
	v_cvt_pk_bf16_f32 v31, v31, s0
	v_cvt_pk_bf16_f32 v8, v8, s0
	v_mul_f32_e32 v29, v3, v29
	v_cvt_pk_bf16_f32 v26, v2, s0
	v_lshlrev_b32_e32 v2, 16, v6
	v_lshlrev_b32_e32 v4, 16, v25
	v_cvt_pk_bf16_f32 v29, v29, s0
	v_add_f32_e32 v2, v4, v2
	v_lshlrev_b32_e32 v4, 16, v8
	v_lshlrev_b32_e32 v6, 16, v31
	v_add_f32_e32 v4, v6, v4
	v_lshlrev_b32_e32 v6, 16, v28
	v_lshlrev_b32_e32 v8, 16, v29
	v_lshlrev_b32_e32 v25, 16, v27
	v_lshlrev_b32_e32 v27, 16, v43
	v_add_f32_e32 v6, v8, v6
	v_lshlrev_b32_e32 v8, 16, v26
	v_lshlrev_b32_e32 v26, 16, v45
	v_mul_f32_e32 v9, v9, v27
	v_lshlrev_b32_e32 v27, 16, v42
	v_add_f32_e32 v8, v25, v8
	v_lshlrev_b32_e32 v25, 16, v46
	v_mul_f32_e32 v7, v7, v26
	v_lshlrev_b32_e32 v26, 16, v44
	v_mul_f32_e32 v27, v30, v27
	v_mul_f32_e32 v25, v33, v25
	;; [unrolled: 1-line block ×3, first 2 shown]
	v_cvt_pk_bf16_f32 v28, v27, s0
	v_lshlrev_b32_e32 v27, 16, v41
	v_lshlrev_b32_e32 v17, 16, v17
	;; [unrolled: 1-line block ×3, first 2 shown]
	v_cvt_pk_bf16_f32 v25, v25, s0
	v_cvt_pk_bf16_f32 v7, v7, s0
	;; [unrolled: 1-line block ×4, first 2 shown]
	v_mul_f32_e32 v3, v3, v27
	v_mul_f32_e32 v17, v34, v17
	;; [unrolled: 1-line block ×3, first 2 shown]
	v_cvt_pk_bf16_f32 v3, v3, s0
	v_cvt_pk_bf16_f32 v30, v17, s0
	;; [unrolled: 1-line block ×3, first 2 shown]
	v_lshlrev_b32_e32 v17, 16, v7
	v_lshlrev_b32_e32 v27, 16, v25
	;; [unrolled: 1-line block ×4, first 2 shown]
	v_pk_add_f32 v[16:17], v[26:27], v[16:17]
	v_lshlrev_b32_e32 v27, 16, v3
	v_lshlrev_b32_e32 v29, 16, v28
	;; [unrolled: 1-line block ×4, first 2 shown]
	v_pk_add_f32 v[26:27], v[28:29], v[26:27]
	v_mov_b32_e32 v5, v16
	v_mov_b32_e32 v3, v17
	;; [unrolled: 1-line block ×3, first 2 shown]
	v_pk_add_f32 v[2:3], v[4:5], v[2:3]
	v_mov_b32_e32 v9, v26
	v_pk_add_f32 v[2:3], v[6:7], v[2:3]
	s_nop 0
	v_pk_add_f32 v[2:3], v[8:9], v[2:3]
	s_nop 0
	v_pk_add_f32 v[10:11], v[10:11], v[2:3]
.LBB291_49:                             ;   in Loop: Header=BB291_50 Depth=1
	s_or_b64 exec, exec, s[8:9]
	v_add_u32_e32 v1, 2, v1
	v_cmp_le_i32_e32 vcc, s20, v1
	v_lshl_add_u64 v[14:15], v[14:15], 0, 8
	v_add_u32_e32 v18, 32, v18
	s_or_b64 s[6:7], vcc, s[6:7]
	v_add_u32_e32 v24, 0x80, v24
	s_andn2_b64 exec, exec, s[6:7]
	s_cbranch_execz .LBB291_55
.LBB291_50:                             ; =>This Inner Loop Header: Depth=1
	v_mul_hi_u32 v2, v18, s33
	v_mul_lo_u32 v3, v2, s25
	v_sub_u32_e32 v3, v18, v3
	v_add_u32_e32 v4, 1, v2
	v_cmp_le_u32_e32 vcc, s25, v3
	s_nop 1
	v_cndmask_b32_e32 v2, v2, v4, vcc
	v_subrev_u32_e32 v4, s25, v3
	v_cndmask_b32_e32 v3, v3, v4, vcc
	v_add_u32_e32 v4, 1, v2
	v_cmp_le_u32_e32 vcc, s25, v3
	s_nop 1
	v_cndmask_b32_e32 v2, v2, v4, vcc
	v_xor_b32_e32 v2, s23, v2
	v_subrev_u32_e32 v2, s23, v2
	v_add_u32_e32 v3, s36, v2
	v_sub_u32_e32 v5, 0, v3
	v_ashrrev_i32_e32 v4, 31, v3
	v_max_i32_e32 v3, v3, v5
	v_mul_hi_u32 v5, v3, v23
	v_mul_lo_u32 v5, v5, s19
	v_sub_u32_e32 v3, v3, v5
	v_subrev_u32_e32 v5, s19, v3
	v_cmp_le_u32_e32 vcc, s19, v3
	v_cmp_lt_i32_e64 s[0:1], s18, v2
	s_nop 0
	v_cndmask_b32_e32 v3, v3, v5, vcc
	v_subrev_u32_e32 v5, s19, v3
	v_cmp_le_u32_e32 vcc, s19, v3
	s_nop 1
	v_cndmask_b32_e32 v3, v3, v5, vcc
	v_xor_b32_e32 v3, v3, v4
	v_sub_u32_e32 v3, v3, v4
	v_cmp_eq_u32_e32 vcc, 0, v3
	s_or_b64 s[0:1], vcc, s[0:1]
	s_and_saveexec_b64 s[8:9], s[0:1]
	s_cbranch_execz .LBB291_49
; %bb.51:                               ;   in Loop: Header=BB291_50 Depth=1
	global_load_dword v2, v[14:15], off
	v_add_u32_e32 v25, v22, v18
	v_cmp_eq_u32_e32 vcc, s21, v1
	v_add_u32_e32 v39, 1, v25
	v_add_u32_e32 v38, 2, v25
	;; [unrolled: 1-line block ×6, first 2 shown]
	s_waitcnt vmcnt(0)
	v_mad_i64_i32 v[16:17], s[0:1], v2, s17, v[12:13]
	global_load_dwordx2 v[26:27], v[16:17], off
	ds_read2_b64 v[6:9], v24 offset1:1
	ds_read2_b64 v[2:5], v24 offset0:2 offset1:3
	s_load_dword s22, s[14:15], 0x0
	s_waitcnt vmcnt(0)
	v_and_b32_e32 v28, 0xff, v26
	v_bfe_u32 v29, v26, 8, 8
	v_bfe_u32 v30, v26, 16, 8
	v_lshrrev_b32_e32 v26, 24, v26
	v_and_b32_e32 v31, 0xff, v27
	v_bfe_u32 v32, v27, 8, 8
	v_bfe_u32 v33, v27, 16, 8
	v_lshrrev_b32_e32 v27, 24, v27
	v_cvt_f32_fp8_e32 v28, v28
	v_cvt_f32_fp8_e32 v29, v29
	;; [unrolled: 1-line block ×8, first 2 shown]
	s_waitcnt lgkmcnt(0)
	v_mul_f32_e32 v28, s22, v28
	v_mul_f32_e32 v29, s22, v29
	;; [unrolled: 1-line block ×8, first 2 shown]
	v_cvt_pk_bf16_f32 v32, v28, s0
	v_cvt_pk_bf16_f32 v33, v29, s0
	;; [unrolled: 1-line block ×8, first 2 shown]
	v_add_u32_e32 v40, 7, v25
	s_and_saveexec_b64 s[12:13], vcc
	s_cbranch_execz .LBB291_53
; %bb.52:                               ;   in Loop: Header=BB291_50 Depth=1
	v_cmp_gt_i32_e64 s[0:1], s11, v25
	s_nop 1
	v_cndmask_b32_e64 v32, 0, v32, s[0:1]
	v_cmp_gt_i32_e64 s[0:1], s11, v39
	s_nop 1
	v_cndmask_b32_e64 v33, 0, v33, s[0:1]
	;; [unrolled: 3-line block ×8, first 2 shown]
.LBB291_53:                             ;   in Loop: Header=BB291_50 Depth=1
	s_or_b64 exec, exec, s[12:13]
	global_load_dwordx2 v[16:17], v[16:17], off offset:512
	s_waitcnt vmcnt(0)
	v_and_b32_e32 v41, 0xff, v16
	v_bfe_u32 v42, v16, 8, 8
	v_bfe_u32 v43, v16, 16, 8
	v_lshrrev_b32_e32 v16, 24, v16
	v_and_b32_e32 v44, 0xff, v17
	v_bfe_u32 v45, v17, 8, 8
	v_bfe_u32 v46, v17, 16, 8
	v_lshrrev_b32_e32 v17, 24, v17
	v_cvt_f32_fp8_e32 v41, v41
	v_cvt_f32_fp8_e32 v42, v42
	;; [unrolled: 1-line block ×8, first 2 shown]
	v_mul_f32_e32 v41, s22, v41
	v_mul_f32_e32 v42, s22, v42
	;; [unrolled: 1-line block ×8, first 2 shown]
	v_cvt_pk_bf16_f32 v46, v41, s0
	v_cvt_pk_bf16_f32 v45, v42, s0
	;; [unrolled: 1-line block ×8, first 2 shown]
	s_and_saveexec_b64 s[0:1], vcc
	s_cbranch_execz .LBB291_48
; %bb.54:                               ;   in Loop: Header=BB291_50 Depth=1
	v_cmp_gt_i32_e32 vcc, s11, v25
	s_nop 1
	v_cndmask_b32_e32 v46, 0, v46, vcc
	v_cmp_gt_i32_e32 vcc, s11, v39
	s_nop 1
	v_cndmask_b32_e32 v45, 0, v45, vcc
	;; [unrolled: 3-line block ×8, first 2 shown]
	s_branch .LBB291_48
.LBB291_55:
	s_or_b64 exec, exec, s[6:7]
.LBB291_56:
	s_or_b64 exec, exec, s[2:3]
	ds_bpermute_b32 v2, v20, v10
	ds_bpermute_b32 v3, v20, v11
	v_and_b32_e32 v1, 0x3c1, v0
	v_cmp_eq_u32_e32 vcc, 64, v1
	s_waitcnt lgkmcnt(0)
	s_barrier
	v_pk_add_f32 v[2:3], v[10:11], v[2:3]
	s_and_saveexec_b64 s[0:1], vcc
; %bb.57:
	v_mov_b32_e32 v4, 0x90
	v_lshl_add_u32 v4, v19, 1, v4
	ds_write2_b32 v4, v2, v3 offset1:32
; %bb.58:
	s_or_b64 exec, exec, s[0:1]
	v_cmp_gt_u32_e32 vcc, 64, v0
	v_lshrrev_b32_e32 v0, 1, v0
	s_waitcnt lgkmcnt(0)
	s_barrier
	s_and_saveexec_b64 s[0:1], vcc
	s_cbranch_execz .LBB291_64
; %bb.59:
	v_mov_b32_e32 v4, 0x90
	v_cmp_eq_u32_e32 vcc, 0, v21
	v_lshl_add_u32 v4, v0, 2, v4
	s_and_saveexec_b64 s[2:3], vcc
	s_cbranch_execz .LBB291_61
; %bb.60:
	ds_read_b32 v5, v4
	s_waitcnt lgkmcnt(0)
	v_add_f32_e32 v2, v2, v5
.LBB291_61:
	s_or_b64 exec, exec, s[2:3]
	s_and_saveexec_b64 s[2:3], vcc
	s_cbranch_execz .LBB291_63
; %bb.62:
	ds_read_b32 v4, v4 offset:128
	s_waitcnt lgkmcnt(0)
	v_add_f32_e32 v3, v3, v4
.LBB291_63:
	s_or_b64 exec, exec, s[2:3]
.LBB291_64:
	s_or_b64 exec, exec, s[0:1]
	v_cmp_eq_u32_e32 vcc, 0, v1
	s_barrier
	s_and_saveexec_b64 s[0:1], vcc
	s_cbranch_execz .LBB291_66
; %bb.65:
	s_mul_i32 s0, s10, s16
	s_mul_i32 s0, s0, s5
	s_lshl_b32 s0, s0, 6
	s_ashr_i32 s1, s0, 31
	s_lshl_b64 s[0:1], s[0:1], 1
	s_add_u32 s2, s26, s0
	s_mul_i32 s0, s16, s24
	s_addc_u32 s3, s27, s1
	s_ashr_i32 s1, s0, 31
	s_lshl_b64 s[0:1], s[0:1], 1
	s_add_u32 s2, s2, s0
	s_addc_u32 s3, s3, s1
	s_lshl_b32 s0, s4, 6
	s_ashr_i32 s1, s0, 31
	s_lshl_b64 s[0:1], s[0:1], 1
	s_add_u32 s0, s2, s0
	s_addc_u32 s1, s3, s1
	v_cvt_pk_bf16_f32 v1, v2, s0
	v_lshlrev_b32_e32 v0, 1, v0
	global_store_short v0, v1, s[0:1]
	v_cvt_pk_bf16_f32 v1, v3, s0
	global_store_short v0, v1, s[0:1] offset:64
.LBB291_66:
	s_endpgm
	.section	.rodata,"a",@progbits
	.p2align	6, 0x0
	.amdhsa_kernel _ZN4vllm25paged_attention_v1_kernelI14__hip_bfloat16hLi64ELi16ELi128ELNS_18Fp8KVCacheDataTypeE1ELb1EEEvPT_PKS3_PKT0_S9_ifPKiSB_iPKfiiiSD_SD_iiiii
		.amdhsa_group_segment_fixed_size 144
		.amdhsa_private_segment_fixed_size 0
		.amdhsa_kernarg_size 384
		.amdhsa_user_sgpr_count 2
		.amdhsa_user_sgpr_dispatch_ptr 0
		.amdhsa_user_sgpr_queue_ptr 0
		.amdhsa_user_sgpr_kernarg_segment_ptr 1
		.amdhsa_user_sgpr_dispatch_id 0
		.amdhsa_user_sgpr_kernarg_preload_length 0
		.amdhsa_user_sgpr_kernarg_preload_offset 0
		.amdhsa_user_sgpr_private_segment_size 0
		.amdhsa_uses_dynamic_stack 0
		.amdhsa_enable_private_segment 0
		.amdhsa_system_sgpr_workgroup_id_x 1
		.amdhsa_system_sgpr_workgroup_id_y 1
		.amdhsa_system_sgpr_workgroup_id_z 1
		.amdhsa_system_sgpr_workgroup_info 0
		.amdhsa_system_vgpr_workitem_id 0
		.amdhsa_next_free_vgpr 55
		.amdhsa_next_free_sgpr 49
		.amdhsa_accum_offset 56
		.amdhsa_reserve_vcc 1
		.amdhsa_float_round_mode_32 0
		.amdhsa_float_round_mode_16_64 0
		.amdhsa_float_denorm_mode_32 3
		.amdhsa_float_denorm_mode_16_64 3
		.amdhsa_dx10_clamp 1
		.amdhsa_ieee_mode 1
		.amdhsa_fp16_overflow 0
		.amdhsa_tg_split 0
		.amdhsa_exception_fp_ieee_invalid_op 0
		.amdhsa_exception_fp_denorm_src 0
		.amdhsa_exception_fp_ieee_div_zero 0
		.amdhsa_exception_fp_ieee_overflow 0
		.amdhsa_exception_fp_ieee_underflow 0
		.amdhsa_exception_fp_ieee_inexact 0
		.amdhsa_exception_int_div_zero 0
	.end_amdhsa_kernel
	.section	.text._ZN4vllm25paged_attention_v1_kernelI14__hip_bfloat16hLi64ELi16ELi128ELNS_18Fp8KVCacheDataTypeE1ELb1EEEvPT_PKS3_PKT0_S9_ifPKiSB_iPKfiiiSD_SD_iiiii,"axG",@progbits,_ZN4vllm25paged_attention_v1_kernelI14__hip_bfloat16hLi64ELi16ELi128ELNS_18Fp8KVCacheDataTypeE1ELb1EEEvPT_PKS3_PKT0_S9_ifPKiSB_iPKfiiiSD_SD_iiiii,comdat
.Lfunc_end291:
	.size	_ZN4vllm25paged_attention_v1_kernelI14__hip_bfloat16hLi64ELi16ELi128ELNS_18Fp8KVCacheDataTypeE1ELb1EEEvPT_PKS3_PKT0_S9_ifPKiSB_iPKfiiiSD_SD_iiiii, .Lfunc_end291-_ZN4vllm25paged_attention_v1_kernelI14__hip_bfloat16hLi64ELi16ELi128ELNS_18Fp8KVCacheDataTypeE1ELb1EEEvPT_PKS3_PKT0_S9_ifPKiSB_iPKfiiiSD_SD_iiiii
                                        ; -- End function
	.set _ZN4vllm25paged_attention_v1_kernelI14__hip_bfloat16hLi64ELi16ELi128ELNS_18Fp8KVCacheDataTypeE1ELb1EEEvPT_PKS3_PKT0_S9_ifPKiSB_iPKfiiiSD_SD_iiiii.num_vgpr, 55
	.set _ZN4vllm25paged_attention_v1_kernelI14__hip_bfloat16hLi64ELi16ELi128ELNS_18Fp8KVCacheDataTypeE1ELb1EEEvPT_PKS3_PKT0_S9_ifPKiSB_iPKfiiiSD_SD_iiiii.num_agpr, 0
	.set _ZN4vllm25paged_attention_v1_kernelI14__hip_bfloat16hLi64ELi16ELi128ELNS_18Fp8KVCacheDataTypeE1ELb1EEEvPT_PKS3_PKT0_S9_ifPKiSB_iPKfiiiSD_SD_iiiii.numbered_sgpr, 49
	.set _ZN4vllm25paged_attention_v1_kernelI14__hip_bfloat16hLi64ELi16ELi128ELNS_18Fp8KVCacheDataTypeE1ELb1EEEvPT_PKS3_PKT0_S9_ifPKiSB_iPKfiiiSD_SD_iiiii.num_named_barrier, 0
	.set _ZN4vllm25paged_attention_v1_kernelI14__hip_bfloat16hLi64ELi16ELi128ELNS_18Fp8KVCacheDataTypeE1ELb1EEEvPT_PKS3_PKT0_S9_ifPKiSB_iPKfiiiSD_SD_iiiii.private_seg_size, 0
	.set _ZN4vllm25paged_attention_v1_kernelI14__hip_bfloat16hLi64ELi16ELi128ELNS_18Fp8KVCacheDataTypeE1ELb1EEEvPT_PKS3_PKT0_S9_ifPKiSB_iPKfiiiSD_SD_iiiii.uses_vcc, 1
	.set _ZN4vllm25paged_attention_v1_kernelI14__hip_bfloat16hLi64ELi16ELi128ELNS_18Fp8KVCacheDataTypeE1ELb1EEEvPT_PKS3_PKT0_S9_ifPKiSB_iPKfiiiSD_SD_iiiii.uses_flat_scratch, 0
	.set _ZN4vllm25paged_attention_v1_kernelI14__hip_bfloat16hLi64ELi16ELi128ELNS_18Fp8KVCacheDataTypeE1ELb1EEEvPT_PKS3_PKT0_S9_ifPKiSB_iPKfiiiSD_SD_iiiii.has_dyn_sized_stack, 0
	.set _ZN4vllm25paged_attention_v1_kernelI14__hip_bfloat16hLi64ELi16ELi128ELNS_18Fp8KVCacheDataTypeE1ELb1EEEvPT_PKS3_PKT0_S9_ifPKiSB_iPKfiiiSD_SD_iiiii.has_recursion, 0
	.set _ZN4vllm25paged_attention_v1_kernelI14__hip_bfloat16hLi64ELi16ELi128ELNS_18Fp8KVCacheDataTypeE1ELb1EEEvPT_PKS3_PKT0_S9_ifPKiSB_iPKfiiiSD_SD_iiiii.has_indirect_call, 0
	.section	.AMDGPU.csdata,"",@progbits
; Kernel info:
; codeLenInByte = 5504
; TotalNumSgprs: 55
; NumVgprs: 55
; NumAgprs: 0
; TotalNumVgprs: 55
; ScratchSize: 0
; MemoryBound: 0
; FloatMode: 240
; IeeeMode: 1
; LDSByteSize: 144 bytes/workgroup (compile time only)
; SGPRBlocks: 6
; VGPRBlocks: 6
; NumSGPRsForWavesPerEU: 55
; NumVGPRsForWavesPerEU: 55
; AccumOffset: 56
; Occupancy: 8
; WaveLimiterHint : 1
; COMPUTE_PGM_RSRC2:SCRATCH_EN: 0
; COMPUTE_PGM_RSRC2:USER_SGPR: 2
; COMPUTE_PGM_RSRC2:TRAP_HANDLER: 0
; COMPUTE_PGM_RSRC2:TGID_X_EN: 1
; COMPUTE_PGM_RSRC2:TGID_Y_EN: 1
; COMPUTE_PGM_RSRC2:TGID_Z_EN: 1
; COMPUTE_PGM_RSRC2:TIDIG_COMP_CNT: 0
; COMPUTE_PGM_RSRC3_GFX90A:ACCUM_OFFSET: 13
; COMPUTE_PGM_RSRC3_GFX90A:TG_SPLIT: 0
	.section	.text._ZN4vllm25paged_attention_v1_kernelI14__hip_bfloat16hLi80ELi16ELi128ELNS_18Fp8KVCacheDataTypeE1ELb1EEEvPT_PKS3_PKT0_S9_ifPKiSB_iPKfiiiSD_SD_iiiii,"axG",@progbits,_ZN4vllm25paged_attention_v1_kernelI14__hip_bfloat16hLi80ELi16ELi128ELNS_18Fp8KVCacheDataTypeE1ELb1EEEvPT_PKS3_PKT0_S9_ifPKiSB_iPKfiiiSD_SD_iiiii,comdat
	.protected	_ZN4vllm25paged_attention_v1_kernelI14__hip_bfloat16hLi80ELi16ELi128ELNS_18Fp8KVCacheDataTypeE1ELb1EEEvPT_PKS3_PKT0_S9_ifPKiSB_iPKfiiiSD_SD_iiiii ; -- Begin function _ZN4vllm25paged_attention_v1_kernelI14__hip_bfloat16hLi80ELi16ELi128ELNS_18Fp8KVCacheDataTypeE1ELb1EEEvPT_PKS3_PKT0_S9_ifPKiSB_iPKfiiiSD_SD_iiiii
	.globl	_ZN4vllm25paged_attention_v1_kernelI14__hip_bfloat16hLi80ELi16ELi128ELNS_18Fp8KVCacheDataTypeE1ELb1EEEvPT_PKS3_PKT0_S9_ifPKiSB_iPKfiiiSD_SD_iiiii
	.p2align	8
	.type	_ZN4vllm25paged_attention_v1_kernelI14__hip_bfloat16hLi80ELi16ELi128ELNS_18Fp8KVCacheDataTypeE1ELb1EEEvPT_PKS3_PKT0_S9_ifPKiSB_iPKfiiiSD_SD_iiiii,@function
_ZN4vllm25paged_attention_v1_kernelI14__hip_bfloat16hLi80ELi16ELi128ELNS_18Fp8KVCacheDataTypeE1ELb1EEEvPT_PKS3_PKT0_S9_ifPKiSB_iPKfiiiSD_SD_iiiii: ; @_ZN4vllm25paged_attention_v1_kernelI14__hip_bfloat16hLi80ELi16ELi128ELNS_18Fp8KVCacheDataTypeE1ELb1EEEvPT_PKS3_PKT0_S9_ifPKiSB_iPKfiiiSD_SD_iiiii
; %bb.0:
	s_load_dword s5, s[0:1], 0x80
	s_load_dwordx2 s[6:7], s[0:1], 0x30
	s_load_dwordx2 s[36:37], s[0:1], 0x20
	s_mov_b32 s10, s3
	s_ashr_i32 s11, s3, 31
	s_lshl_b64 s[8:9], s[10:11], 2
	s_waitcnt lgkmcnt(0)
	s_add_u32 s6, s6, s8
	s_addc_u32 s7, s7, s9
	s_abs_i32 s3, s36
	v_cvt_f32_u32_e32 v1, s3
	s_sub_i32 s11, 0, s3
	s_abs_i32 s9, s5
	s_xor_b32 s8, s5, s36
	v_rcp_iflag_f32_e32 v1, v1
	s_ashr_i32 s8, s8, 31
	s_mov_b32 s44, 0
	v_mul_f32_e32 v1, 0x4f7ffffe, v1
	v_cvt_u32_f32_e32 v1, v1
	s_nop 0
	v_readfirstlane_b32 s12, v1
	s_mul_i32 s11, s11, s12
	s_mul_hi_u32 s11, s12, s11
	s_add_i32 s12, s12, s11
	s_mul_hi_u32 s11, s9, s12
	s_mul_i32 s12, s11, s3
	s_sub_i32 s9, s9, s12
	s_add_i32 s12, s11, 1
	s_sub_i32 s13, s9, s3
	s_cmp_ge_u32 s9, s3
	s_cselect_b32 s11, s12, s11
	s_cselect_b32 s9, s13, s9
	s_add_i32 s12, s11, 1
	s_cmp_ge_u32 s9, s3
	s_cselect_b32 s3, s12, s11
	s_xor_b32 s3, s3, s8
	s_sub_i32 s14, s3, s8
	s_abs_i32 s11, s14
	v_cvt_f32_u32_e32 v1, s11
	s_load_dwordx2 s[8:9], s[0:1], 0x40
	s_sub_i32 s3, 0, s11
	s_abs_i32 s12, s2
	v_rcp_iflag_f32_e32 v1, v1
	s_nop 0
	v_mul_f32_e32 v1, 0x4f7ffffe, v1
	v_cvt_u32_f32_e32 v1, v1
	s_nop 0
	v_readfirstlane_b32 s13, v1
	s_mul_i32 s3, s3, s13
	s_mul_hi_u32 s3, s13, s3
	s_add_i32 s13, s13, s3
	s_waitcnt lgkmcnt(0)
	s_cmp_eq_u64 s[8:9], 0
	s_mul_hi_u32 s13, s12, s13
	s_cbranch_scc1 .LBB292_2
; %bb.1:
	s_ashr_i32 s3, s2, 31
	s_lshl_b64 s[16:17], s[2:3], 2
	s_add_u32 s8, s8, s16
	s_addc_u32 s9, s9, s17
	s_load_dword s44, s[8:9], 0x0
.LBB292_2:
	s_load_dword s33, s[6:7], 0x0
	s_load_dwordx4 s[16:19], s[0:1], 0x48
	s_ashr_i32 s8, s2, 31
	s_ashr_i32 s9, s14, 31
	v_and_b32_e32 v2, 3, v0
	s_mul_i32 s24, s2, 0x50
	v_cmp_gt_u32_e32 vcc, 40, v0
	s_and_saveexec_b64 s[6:7], vcc
	s_cbranch_execz .LBB292_4
; %bb.3:
	s_load_dwordx2 s[14:15], s[0:1], 0x8
	s_waitcnt lgkmcnt(0)
	s_mul_i32 s20, s16, s10
	s_ashr_i32 s21, s20, 31
	s_lshl_b64 s[20:21], s[20:21], 1
	v_lshlrev_b32_e32 v1, 2, v0
	s_add_u32 s3, s14, s20
	s_addc_u32 s16, s15, s21
	s_ashr_i32 s25, s24, 31
	s_lshl_b64 s[14:15], s[24:25], 1
	s_add_u32 s14, s3, s14
	s_addc_u32 s15, s16, s15
	global_load_dword v1, v1, s[14:15]
	v_and_b32_e32 v3, 0x3fc, v0
	v_mad_u32_u24 v3, v2, 40, v3
	s_waitcnt vmcnt(0)
	ds_write_b32 v3, v1
.LBB292_4:
	s_or_b64 exec, exec, s[6:7]
	s_mul_i32 s7, s13, s11
	s_sub_i32 s7, s12, s7
	s_xor_b32 s6, s8, s9
	s_add_i32 s8, s13, 1
	s_sub_i32 s9, s7, s11
	s_load_dwordx4 s[20:23], s[0:1], 0x68
	s_load_dword s3, s[0:1], 0x78
	s_cmp_ge_u32 s7, s11
	s_cselect_b32 s8, s8, s13
	s_cselect_b32 s7, s9, s7
	s_add_i32 s9, s8, 1
	s_cmp_ge_u32 s7, s11
	s_cselect_b32 s7, s9, s8
	s_waitcnt lgkmcnt(0)
	s_abs_i32 s25, s23
	v_cvt_f32_u32_e32 v1, s25
	s_xor_b32 s7, s7, s6
	s_sub_i32 s43, s7, s6
	s_sub_i32 s6, 0, s25
	v_rcp_iflag_f32_e32 v1, v1
	s_add_i32 s11, s33, -1
	s_abs_i32 s8, s11
	v_mul_f32_e32 v1, 0x4f7ffffe, v1
	v_cvt_u32_f32_e32 v1, v1
	s_barrier
	v_readfirstlane_b32 s42, v1
	s_mul_i32 s6, s6, s42
	s_mul_hi_u32 s6, s42, s6
	s_add_i32 s42, s42, s6
	s_cmp_lt_i32 s3, 0
	s_mul_hi_u32 s9, s8, s42
	s_cbranch_scc0 .LBB292_6
; %bb.5:
	s_mul_i32 s6, s20, s36
	s_add_i32 s6, s43, s6
	s_mul_i32 s6, s6, s3
	s_sub_i32 s36, 1, s6
	s_mov_b64 s[6:7], 0
	s_branch .LBB292_7
.LBB292_6:
	s_mov_b64 s[6:7], -1
                                        ; implicit-def: $sgpr36
.LBB292_7:
	s_load_dwordx2 s[28:29], s[0:1], 0x28
	s_ashr_i32 s16, s11, 31
	s_andn2_b64 vcc, exec, s[6:7]
	s_ashr_i32 s23, s23, 31
	s_cbranch_vccnz .LBB292_9
; %bb.8:
	s_mul_i32 s6, s5, s20
	s_add_i32 s2, s6, s2
	s_mul_i32 s2, s2, s3
	s_add_i32 s36, s2, 1
.LBB292_9:
	s_load_dword s2, s[0:1], 0x38
	s_load_dwordx2 s[26:27], s[0:1], 0x0
	s_load_dwordx2 s[34:35], s[0:1], 0x18
	s_load_dword s11, s[0:1], 0x88
	s_load_dwordx4 s[12:15], s[0:1], 0x58
	s_mul_i32 s3, s9, s25
	s_waitcnt lgkmcnt(0)
	s_mul_i32 s30, s2, s10
	s_sub_i32 s3, s8, s3
	s_ashr_i32 s31, s30, 31
	s_xor_b32 s2, s16, s23
	s_add_i32 s6, s9, 1
	s_sub_i32 s7, s3, s25
	s_cmp_ge_u32 s3, s25
	s_cselect_b32 s6, s6, s9
	s_cselect_b32 s3, s7, s3
	s_add_i32 s7, s6, 1
	s_cmp_ge_u32 s3, s25
	s_cselect_b32 s3, s7, s6
	s_xor_b32 s3, s3, s2
	s_sub_i32 s16, s3, s2
	s_add_i32 s2, s33, 15
	s_ashr_i32 s3, s2, 31
	s_lshr_b32 s3, s3, 28
	s_add_i32 s2, s2, s3
	s_ashr_i32 s20, s2, 4
	v_lshrrev_b32_e32 v1, 6, v0
	v_cmp_le_i32_e64 s[6:7], s20, v1
	v_cmp_gt_i32_e32 vcc, s20, v1
	v_mov_b32_e32 v10, 0xff7fffff
	s_mul_i32 s43, s43, s18
	v_lshrrev_b32_e32 v6, 4, v0
	v_lshlrev_b32_e32 v22, 4, v1
	v_mbcnt_lo_u32_b32 v7, -1, 0
	s_and_saveexec_b64 s[18:19], vcc
	s_cbranch_execz .LBB292_21
; %bb.10:
	s_load_dwordx2 s[0:1], s[0:1], 0x10
	s_sub_i32 s45, s16, s21
	s_ashr_i32 s2, s43, 31
	v_bfe_u32 v8, v0, 2, 4
	v_mov_b32_e32 v5, 0
	s_waitcnt lgkmcnt(0)
	s_add_u32 s0, s0, s43
	s_addc_u32 s1, s1, s2
	s_abs_i32 s46, s22
	v_cvt_f32_u32_e32 v3, s46
	v_lshlrev_b32_e32 v4, 4, v8
	v_lshl_add_u64 v[12:13], s[0:1], 0, v[4:5]
	s_sub_i32 s0, 0, s46
	v_rcp_iflag_f32_e32 v3, v3
	v_cmp_eq_u32_e32 vcc, 0, v2
	v_mul_u32_u24_e32 v9, 40, v2
	v_lshlrev_b32_e32 v4, 1, v2
	v_mul_f32_e32 v3, 0x4f7ffffe, v3
	v_cvt_u32_f32_e32 v3, v3
	v_subrev_u32_e32 v10, s33, v8
	v_mbcnt_hi_u32_b32 v16, -1, v7
	s_mov_b32 s47, s17
	v_mul_lo_u32 v2, s0, v3
	v_mul_hi_u32 v2, v3, v2
	v_add_u32_e32 v11, v3, v2
	v_lshl_add_u64 v[2:3], v[12:13], 0, v[4:5]
	s_lshl_b64 s[0:1], s[30:31], 2
	v_add_u32_e32 v13, 1, v10
	v_lshlrev_b32_e32 v10, 2, v8
	s_add_u32 s0, s28, s0
	v_lshl_or_b32 v10, v1, 6, v10
	v_and_b32_e32 v4, 60, v6
	s_addc_u32 s1, s29, s1
	v_add_u32_e32 v14, 0xb0, v10
	v_and_b32_e32 v10, 64, v16
	v_cmp_neq_f32_e64 s[2:3], s44, 0
	v_lshl_add_u64 v[4:5], s[0:1], 0, v[4:5]
	v_lshlrev_b32_e32 v12, 4, v1
	v_mov_b32_e32 v15, 0xff7fffff
	s_mov_b64 s[38:39], 0
	s_mov_b32 s48, 0xffff
	v_add_u32_e32 v17, 64, v10
	v_xor_b32_e32 v18, 2, v16
	v_xor_b32_e32 v19, 1, v16
	v_mov_b32_e32 v10, 0xff7fffff
	v_mov_b32_e32 v20, v1
	s_branch .LBB292_13
.LBB292_11:                             ;   in Loop: Header=BB292_13 Depth=1
	s_or_b64 exec, exec, s[40:41]
.LBB292_12:                             ;   in Loop: Header=BB292_13 Depth=1
	s_or_b64 exec, exec, s[8:9]
	v_add_u32_e32 v20, 2, v20
	v_cmp_le_i32_e64 s[0:1], s20, v20
	v_lshl_add_u64 v[4:5], v[4:5], 0, 8
	v_add_u32_e32 v12, 32, v12
	s_or_b64 s[38:39], s[0:1], s[38:39]
	v_add_u32_e32 v14, 0x80, v14
	s_andn2_b64 exec, exec, s[38:39]
	s_cbranch_execz .LBB292_20
.LBB292_13:                             ; =>This Inner Loop Header: Depth=1
	v_mul_hi_u32 v21, v12, s42
	s_waitcnt lgkmcnt(0)
	v_mul_lo_u32 v23, v21, s25
	v_sub_u32_e32 v23, v12, v23
	v_add_u32_e32 v24, 1, v21
	v_cmp_le_u32_e64 s[0:1], s25, v23
	s_nop 1
	v_cndmask_b32_e64 v21, v21, v24, s[0:1]
	v_subrev_u32_e32 v24, s25, v23
	v_cndmask_b32_e64 v23, v23, v24, s[0:1]
	v_add_u32_e32 v24, 1, v21
	v_cmp_le_u32_e64 s[0:1], s25, v23
	s_nop 1
	v_cndmask_b32_e64 v21, v21, v24, s[0:1]
	v_xor_b32_e32 v21, s23, v21
	v_subrev_u32_e32 v21, s23, v21
	v_add_u32_e32 v23, s36, v21
	v_sub_u32_e32 v25, 0, v23
	v_ashrrev_i32_e32 v24, 31, v23
	v_max_i32_e32 v23, v23, v25
	v_mul_hi_u32 v25, v23, v11
	v_mul_lo_u32 v25, v25, s46
	v_sub_u32_e32 v23, v23, v25
	v_subrev_u32_e32 v25, s46, v23
	v_cmp_le_u32_e64 s[0:1], s46, v23
	v_cmp_ge_i32_e64 s[8:9], s45, v21
	s_nop 0
	v_cndmask_b32_e64 v23, v23, v25, s[0:1]
	v_subrev_u32_e32 v25, s46, v23
	v_cmp_le_u32_e64 s[0:1], s46, v23
	s_nop 1
	v_cndmask_b32_e64 v23, v23, v25, s[0:1]
	v_xor_b32_e32 v23, v23, v24
	v_sub_u32_e32 v23, v23, v24
	v_cmp_ne_u32_e64 s[0:1], 0, v23
	s_and_b64 s[0:1], s[0:1], s[8:9]
	s_and_saveexec_b64 s[8:9], s[0:1]
	s_xor_b64 s[0:1], exec, s[8:9]
	s_cbranch_execz .LBB292_17
; %bb.14:                               ;   in Loop: Header=BB292_13 Depth=1
	s_and_saveexec_b64 s[8:9], vcc
; %bb.15:                               ;   in Loop: Header=BB292_13 Depth=1
	ds_write_b32 v14, v15
; %bb.16:                               ;   in Loop: Header=BB292_13 Depth=1
	s_or_b64 exec, exec, s[8:9]
.LBB292_17:                             ;   in Loop: Header=BB292_13 Depth=1
	s_andn2_saveexec_b64 s[8:9], s[0:1]
	s_cbranch_execz .LBB292_12
; %bb.18:                               ;   in Loop: Header=BB292_13 Depth=1
	global_load_dword v21, v[4:5], off
	s_waitcnt vmcnt(0)
	v_mad_i64_i32 v[24:25], s[0:1], v21, s47, v[2:3]
	global_load_ushort v21, v[24:25], off
	global_load_ushort v23, v[24:25], off offset:8
	global_load_ushort v34, v[24:25], off offset:256
	global_load_ushort v35, v[24:25], off offset:264
	global_load_ushort v36, v[24:25], off offset:512
	global_load_ushort v37, v[24:25], off offset:520
	global_load_ushort v38, v[24:25], off offset:768
	global_load_ushort v39, v[24:25], off offset:776
	global_load_ushort v40, v[24:25], off offset:1024
	global_load_ushort v41, v[24:25], off offset:1032
	v_cmp_lt_i32_e64 s[0:1], v18, v17
	ds_read2_b64 v[24:27], v9 offset1:1
	ds_read2_b64 v[28:31], v9 offset0:2 offset1:3
	ds_read_b64 v[32:33], v9 offset:32
	v_cndmask_b32_e64 v42, v16, v18, s[0:1]
	s_load_dword s0, s[12:13], 0x0
	s_waitcnt lgkmcnt(0)
	v_lshlrev_b32_e32 v44, 16, v25
	v_and_b32_e32 v25, 0xffff0000, v25
	v_lshlrev_b32_e32 v43, 16, v24
	v_and_b32_e32 v24, 0xffff0000, v24
	;; [unrolled: 2-line block ×10, first 2 shown]
	v_lshlrev_b32_e32 v42, 2, v42
	s_waitcnt vmcnt(9)
	v_and_b32_sdwa v53, s48, v21 dst_sel:DWORD dst_unused:UNUSED_PAD src0_sel:DWORD src1_sel:BYTE_0
	s_waitcnt vmcnt(8)
	v_and_b32_sdwa v54, s48, v23 dst_sel:DWORD dst_unused:UNUSED_PAD src0_sel:DWORD src1_sel:BYTE_0
	v_lshrrev_b16_e32 v23, 8, v23
	v_lshrrev_b16_e32 v21, 8, v21
	v_cvt_f32_fp8_e32 v54, v54
	v_cvt_f32_fp8_e32 v23, v23
	s_waitcnt vmcnt(7)
	v_and_b32_sdwa v55, s48, v34 dst_sel:DWORD dst_unused:UNUSED_PAD src0_sel:DWORD src1_sel:BYTE_0
	v_lshrrev_b16_e32 v34, 8, v34
	v_cvt_f32_fp8_e32 v53, v53
	v_cvt_f32_fp8_e32 v21, v21
	s_waitcnt vmcnt(6)
	v_and_b32_sdwa v56, s48, v35 dst_sel:DWORD dst_unused:UNUSED_PAD src0_sel:DWORD src1_sel:BYTE_0
	;; [unrolled: 5-line block ×4, first 2 shown]
	v_lshrrev_b16_e32 v37, 8, v37
	v_cvt_f32_fp8_e32 v57, v57
	v_cvt_f32_fp8_e32 v36, v36
	v_mul_f32_e32 v54, s0, v54
	v_mul_f32_e32 v23, s0, v23
	s_waitcnt vmcnt(3)
	v_and_b32_sdwa v59, s48, v38 dst_sel:DWORD dst_unused:UNUSED_PAD src0_sel:DWORD src1_sel:BYTE_0
	v_lshrrev_b16_e32 v38, 8, v38
	v_cvt_f32_fp8_e32 v58, v58
	v_cvt_f32_fp8_e32 v37, v37
	v_mul_f32_e32 v53, s0, v53
	v_mul_f32_e32 v21, s0, v21
	v_cvt_pk_bf16_f32 v54, v54, s0
	v_cvt_pk_bf16_f32 v23, v23, s0
	s_waitcnt vmcnt(2)
	v_and_b32_sdwa v60, s48, v39 dst_sel:DWORD dst_unused:UNUSED_PAD src0_sel:DWORD src1_sel:BYTE_0
	v_lshrrev_b16_e32 v39, 8, v39
	v_cvt_f32_fp8_e32 v59, v59
	v_cvt_f32_fp8_e32 v38, v38
	v_mul_f32_e32 v55, s0, v55
	v_mul_f32_e32 v34, s0, v34
	v_cvt_pk_bf16_f32 v53, v53, s0
	v_cvt_pk_bf16_f32 v21, v21, s0
	v_lshlrev_b32_e32 v54, 16, v54
	v_lshlrev_b32_e32 v23, 16, v23
	s_waitcnt vmcnt(1)
	v_and_b32_sdwa v61, s48, v40 dst_sel:DWORD dst_unused:UNUSED_PAD src0_sel:DWORD src1_sel:BYTE_0
	v_lshrrev_b16_e32 v40, 8, v40
	v_cvt_f32_fp8_e32 v60, v60
	v_cvt_f32_fp8_e32 v39, v39
	v_mul_f32_e32 v56, s0, v56
	v_mul_f32_e32 v35, s0, v35
	v_cvt_pk_bf16_f32 v55, v55, s0
	v_cvt_pk_bf16_f32 v34, v34, s0
	v_lshlrev_b32_e32 v53, 16, v53
	v_lshlrev_b32_e32 v21, 16, v21
	v_mul_f32_e32 v44, v44, v54
	v_mul_f32_e32 v23, v25, v23
	s_waitcnt vmcnt(0)
	v_and_b32_sdwa v62, s48, v41 dst_sel:DWORD dst_unused:UNUSED_PAD src0_sel:DWORD src1_sel:BYTE_0
	v_lshrrev_b16_e32 v41, 8, v41
	v_cvt_f32_fp8_e32 v61, v61
	v_cvt_f32_fp8_e32 v40, v40
	v_mul_f32_e32 v57, s0, v57
	v_mul_f32_e32 v36, s0, v36
	v_cvt_pk_bf16_f32 v56, v56, s0
	v_cvt_pk_bf16_f32 v35, v35, s0
	v_lshlrev_b32_e32 v55, 16, v55
	v_lshlrev_b32_e32 v34, 16, v34
	v_fmac_f32_e32 v44, v43, v53
	v_fmac_f32_e32 v23, v24, v21
	v_cvt_f32_fp8_e32 v62, v62
	v_cvt_f32_fp8_e32 v41, v41
	v_mul_f32_e32 v58, s0, v58
	v_mul_f32_e32 v37, s0, v37
	v_cvt_pk_bf16_f32 v57, v57, s0
	v_cvt_pk_bf16_f32 v36, v36, s0
	v_lshlrev_b32_e32 v56, 16, v56
	v_lshlrev_b32_e32 v35, 16, v35
	v_fmac_f32_e32 v44, v45, v55
	v_fmac_f32_e32 v23, v26, v34
	v_mul_f32_e32 v59, s0, v59
	v_mul_f32_e32 v38, s0, v38
	v_cvt_pk_bf16_f32 v58, v58, s0
	v_cvt_pk_bf16_f32 v37, v37, s0
	v_lshlrev_b32_e32 v57, 16, v57
	v_lshlrev_b32_e32 v36, 16, v36
	v_fmac_f32_e32 v44, v46, v56
	v_fmac_f32_e32 v23, v27, v35
	;; [unrolled: 8-line block ×5, first 2 shown]
	v_cvt_pk_bf16_f32 v62, v62, s0
	v_cvt_pk_bf16_f32 v41, v41, s0
	v_lshlrev_b32_e32 v61, 16, v61
	v_lshlrev_b32_e32 v40, 16, v40
	v_fmac_f32_e32 v44, v50, v60
	v_fmac_f32_e32 v23, v31, v39
	v_lshlrev_b32_e32 v62, 16, v62
	v_lshlrev_b32_e32 v41, 16, v41
	v_fmac_f32_e32 v44, v51, v61
	v_fmac_f32_e32 v23, v32, v40
	;; [unrolled: 1-line block ×4, first 2 shown]
	v_add_f32_e32 v21, v44, v23
	ds_bpermute_b32 v23, v42, v21
	v_cmp_lt_i32_e64 s[0:1], v19, v17
	s_waitcnt lgkmcnt(0)
	v_add_f32_e32 v21, v21, v23
	v_cndmask_b32_e64 v24, v16, v19, s[0:1]
	v_lshlrev_b32_e32 v24, 2, v24
	ds_bpermute_b32 v23, v24, v21
	s_and_saveexec_b64 s[40:41], vcc
	s_cbranch_execz .LBB292_11
; %bb.19:                               ;   in Loop: Header=BB292_13 Depth=1
	v_add_u32_e32 v24, v13, v12
	v_cvt_f32_i32_e32 v24, v24
	s_waitcnt lgkmcnt(0)
	v_add_f32_e32 v21, v21, v23
	v_add_u32_e32 v25, v8, v12
	v_cmp_gt_i32_e64 s[0:1], s33, v25
	v_mul_f32_e32 v23, s44, v24
	v_cndmask_b32_e64 v23, 0, v23, s[2:3]
	v_fmac_f32_e32 v23, s37, v21
	v_cndmask_b32_e64 v21, 0, v23, s[0:1]
	ds_write_b32 v14, v21
	v_max_f32_e32 v21, v10, v10
	v_max_f32_e32 v21, v21, v23
	v_cndmask_b32_e64 v10, v10, v21, s[0:1]
	s_branch .LBB292_11
.LBB292_20:
	s_or_b64 exec, exec, s[38:39]
.LBB292_21:
	s_or_b64 exec, exec, s[18:19]
	v_mbcnt_hi_u32_b32 v2, -1, v7
	v_and_b32_e32 v12, 64, v2
	v_add_u32_e32 v3, 64, v12
	v_xor_b32_e32 v4, 32, v2
	v_cmp_lt_i32_e32 vcc, v4, v3
	v_xor_b32_e32 v8, 16, v2
	v_max_f32_e32 v7, v10, v10
	v_cndmask_b32_e32 v4, v2, v4, vcc
	v_lshlrev_b32_e32 v5, 2, v4
	ds_bpermute_b32 v4, v5, v10
	v_cmp_lt_i32_e32 vcc, v8, v3
	v_xor_b32_e32 v9, 8, v2
	v_xor_b32_e32 v11, 4, v2
	s_waitcnt lgkmcnt(0)
	v_max_f32_e32 v4, v4, v4
	v_max_f32_e32 v4, v7, v4
	v_cndmask_b32_e32 v7, v2, v8, vcc
	v_lshlrev_b32_e32 v7, 2, v7
	ds_bpermute_b32 v8, v7, v4
	v_cmp_lt_i32_e32 vcc, v9, v3
	s_waitcnt lgkmcnt(0)
	v_max_f32_e32 v8, v8, v8
	v_max_f32_e32 v4, v4, v8
	v_cndmask_b32_e32 v8, v2, v9, vcc
	v_lshlrev_b32_e32 v10, 2, v8
	ds_bpermute_b32 v8, v10, v4
	v_cmp_lt_i32_e32 vcc, v11, v3
	s_waitcnt lgkmcnt(0)
	v_max_f32_e32 v8, v8, v8
	v_max_f32_e32 v9, v4, v8
	v_cndmask_b32_e32 v4, v2, v11, vcc
	v_lshlrev_b32_e32 v11, 2, v4
	ds_bpermute_b32 v13, v11, v9
	v_and_b32_e32 v4, 63, v0
	v_cmp_eq_u32_e32 vcc, 0, v4
	v_lshlrev_b32_e32 v8, 2, v1
	s_and_saveexec_b64 s[0:1], vcc
	s_cbranch_execz .LBB292_23
; %bb.22:
	s_waitcnt lgkmcnt(0)
	v_max_f32_e32 v13, v13, v13
	v_max_f32_e32 v9, v9, v9
	;; [unrolled: 1-line block ×3, first 2 shown]
	ds_write_b32 v8, v9 offset:160
.LBB292_23:
	s_or_b64 exec, exec, s[0:1]
	v_cmp_gt_u32_e64 s[0:1], 2, v4
	s_waitcnt lgkmcnt(0)
	v_mov_b32_e32 v13, 0xff7fffff
	v_lshlrev_b32_e32 v9, 2, v4
	s_barrier
	s_and_saveexec_b64 s[2:3], s[0:1]
; %bb.24:
	ds_read_b32 v13, v9 offset:160
; %bb.25:
	s_or_b64 exec, exec, s[2:3]
	v_xor_b32_e32 v14, 1, v2
	v_cmp_lt_i32_e64 s[2:3], v14, v3
	v_lshlrev_b32_e32 v12, 2, v12
	s_nop 0
	v_cndmask_b32_e64 v14, v2, v14, s[2:3]
	v_lshlrev_b32_e32 v23, 2, v14
	s_waitcnt lgkmcnt(0)
	ds_bpermute_b32 v14, v23, v13
	v_max_f32_e32 v13, v13, v13
	s_lshl_b32 s2, s20, 4
	s_min_i32 s37, s2, s33
	v_cmp_gt_i32_e64 s[2:3], s37, v0
	s_waitcnt lgkmcnt(0)
	v_max_f32_e32 v14, v14, v14
	v_max_f32_e32 v13, v13, v14
	ds_bpermute_b32 v13, v12, v13
	v_mov_b32_e32 v12, 0
	s_and_saveexec_b64 s[12:13], s[2:3]
	s_cbranch_execz .LBB292_29
; %bb.26:
	v_mov_b32_e32 v12, 0xb0
	v_lshl_add_u32 v14, v0, 2, v12
	v_mov_b32_e32 v12, 0
	s_mov_b64 s[18:19], 0
	v_mov_b32_e32 v15, v0
.LBB292_27:                             ; =>This Inner Loop Header: Depth=1
	ds_read_b32 v16, v14
	v_add_u32_e32 v15, 0x80, v15
	v_cmp_le_i32_e64 s[8:9], s37, v15
	s_or_b64 s[18:19], s[8:9], s[18:19]
	s_waitcnt lgkmcnt(0)
	v_sub_f32_e32 v16, v16, v13
	v_mul_f32_e32 v16, 0x3fb8aa3b, v16
	v_exp_f32_e32 v16, v16
	ds_write_b32 v14, v16
	v_add_f32_e32 v12, v12, v16
	v_add_u32_e32 v14, 0x200, v14
	s_andn2_b64 exec, exec, s[18:19]
	s_cbranch_execnz .LBB292_27
; %bb.28:
	s_or_b64 exec, exec, s[18:19]
.LBB292_29:
	s_or_b64 exec, exec, s[12:13]
	ds_bpermute_b32 v5, v5, v12
	s_waitcnt lgkmcnt(0)
	v_add_f32_e32 v5, v12, v5
	ds_bpermute_b32 v7, v7, v5
	s_waitcnt lgkmcnt(0)
	v_add_f32_e32 v5, v5, v7
	ds_bpermute_b32 v7, v10, v5
	v_xor_b32_e32 v10, 2, v2
	v_cmp_lt_i32_e64 s[8:9], v10, v3
	s_waitcnt lgkmcnt(0)
	v_add_f32_e32 v5, v5, v7
	ds_bpermute_b32 v7, v11, v5
	v_cndmask_b32_e64 v3, v2, v10, s[8:9]
	v_lshlrev_b32_e32 v3, 2, v3
	s_waitcnt lgkmcnt(0)
	v_add_f32_e32 v5, v5, v7
	ds_bpermute_b32 v3, v3, v5
	s_waitcnt lgkmcnt(0)
	v_add_f32_e32 v3, v5, v3
	ds_bpermute_b32 v5, v23, v3
	s_waitcnt lgkmcnt(0)
	v_add_f32_e32 v3, v3, v5
	s_and_saveexec_b64 s[8:9], vcc
; %bb.30:
	ds_write_b32 v8, v3 offset:168
; %bb.31:
	s_or_b64 exec, exec, s[8:9]
	s_waitcnt lgkmcnt(0)
	s_barrier
	s_and_saveexec_b64 s[8:9], s[0:1]
; %bb.32:
	ds_read_b32 v3, v9 offset:168
; %bb.33:
	s_or_b64 exec, exec, s[8:9]
	s_waitcnt lgkmcnt(0)
	ds_bpermute_b32 v5, v23, v3
	v_lshlrev_b32_e32 v2, 2, v2
	v_and_b32_e32 v2, 0x100, v2
	s_waitcnt lgkmcnt(0)
	v_add_f32_e32 v3, v3, v5
	ds_bpermute_b32 v2, v2, v3
	s_and_saveexec_b64 s[0:1], s[2:3]
	s_cbranch_execz .LBB292_46
; %bb.34:
	s_waitcnt lgkmcnt(0)
	v_add_f32_e32 v2, 0x358637bd, v2
	v_div_scale_f32 v3, s[2:3], v2, v2, 1.0
	v_rcp_f32_e32 v5, v3
	v_div_scale_f32 v7, vcc, 1.0, v2, 1.0
	s_movk_i32 s2, 0x7f
	v_fma_f32 v8, -v3, v5, 1.0
	v_fmac_f32_e32 v5, v8, v5
	v_mul_f32_e32 v8, v7, v5
	v_fma_f32 v9, -v3, v8, v7
	v_fmac_f32_e32 v8, v9, v5
	v_fma_f32 v3, -v3, v8, v7
	v_div_fmas_f32 v3, v3, v5, v8
	v_xad_u32 v5, v0, -1, s37
	v_div_fixup_f32 v2, v3, v2, 1.0
	v_cmp_lt_u32_e32 vcc, s2, v5
	s_mov_b64 s[8:9], -1
	v_mov_b32_e32 v3, v0
	s_and_saveexec_b64 s[2:3], vcc
	s_cbranch_execz .LBB292_43
; %bb.35:
	v_lshrrev_b32_e32 v5, 7, v5
	v_add_u32_e32 v8, -1, v5
	v_lshrrev_b32_e32 v7, 1, v8
	v_mov_b32_e32 v3, v2
	v_add_u32_e32 v7, 1, v7
	v_cmp_lt_u32_e32 vcc, 13, v8
	v_mov_b32_e32 v10, 0
	s_and_saveexec_b64 s[8:9], vcc
	s_cbranch_execz .LBB292_39
; %bb.36:
	v_mov_b32_e32 v9, 0xb0
	v_and_b32_e32 v8, -8, v7
	v_lshl_add_u32 v9, v0, 2, v9
	s_mov_b32 s18, 0
	s_mov_b64 s[12:13], 0
.LBB292_37:                             ; =>This Inner Loop Header: Depth=1
	ds_read2st64_b32 v[10:11], v9 offset1:2
	ds_read2st64_b32 v[12:13], v9 offset0:4 offset1:6
	ds_read2st64_b32 v[14:15], v9 offset0:8 offset1:10
	;; [unrolled: 1-line block ×3, first 2 shown]
	v_add_u32_e32 v8, -8, v8
	s_waitcnt lgkmcnt(3)
	v_pk_mul_f32 v[10:11], v[2:3], v[10:11]
	s_waitcnt lgkmcnt(2)
	v_pk_mul_f32 v[12:13], v[2:3], v[12:13]
	ds_write2st64_b32 v9, v10, v11 offset1:2
	ds_write2st64_b32 v9, v12, v13 offset0:4 offset1:6
	ds_read2st64_b32 v[12:13], v9 offset0:16 offset1:18
	s_waitcnt lgkmcnt(4)
	v_pk_mul_f32 v[10:11], v[2:3], v[14:15]
	ds_write2st64_b32 v9, v10, v11 offset0:8 offset1:10
	s_waitcnt lgkmcnt(4)
	v_pk_mul_f32 v[10:11], v[2:3], v[16:17]
	ds_write2st64_b32 v9, v10, v11 offset0:12 offset1:14
	ds_read2st64_b32 v[10:11], v9 offset0:20 offset1:22
	s_waitcnt lgkmcnt(3)
	v_pk_mul_f32 v[12:13], v[2:3], v[12:13]
	ds_read2st64_b32 v[14:15], v9 offset0:24 offset1:26
	ds_write2st64_b32 v9, v12, v13 offset0:16 offset1:18
	ds_read2st64_b32 v[12:13], v9 offset0:28 offset1:30
	s_waitcnt lgkmcnt(3)
	v_pk_mul_f32 v[10:11], v[2:3], v[10:11]
	ds_write2st64_b32 v9, v10, v11 offset0:20 offset1:22
	s_waitcnt lgkmcnt(3)
	v_pk_mul_f32 v[10:11], v[2:3], v[14:15]
	ds_write2st64_b32 v9, v10, v11 offset0:24 offset1:26
	s_waitcnt lgkmcnt(2)
	v_pk_mul_f32 v[10:11], v[2:3], v[12:13]
	s_add_i32 s18, s18, 16
	v_cmp_eq_u32_e32 vcc, 0, v8
	ds_write2st64_b32 v9, v10, v11 offset0:28 offset1:30
	v_add_u32_e32 v9, 0x2000, v9
	s_or_b64 s[12:13], vcc, s[12:13]
	v_mov_b32_e32 v10, s18
	s_andn2_b64 exec, exec, s[12:13]
	s_cbranch_execnz .LBB292_37
; %bb.38:
	s_or_b64 exec, exec, s[12:13]
.LBB292_39:
	s_or_b64 exec, exec, s[8:9]
	v_and_b32_e32 v7, 7, v7
	v_cmp_ne_u32_e32 vcc, 0, v7
	s_and_saveexec_b64 s[8:9], vcc
	s_cbranch_execz .LBB292_42
; %bb.40:
	v_lshlrev_b32_e32 v8, 9, v10
	v_lshlrev_b32_e32 v9, 2, v0
	s_movk_i32 s12, 0xb0
	v_add3_u32 v8, v8, v9, s12
	s_mov_b64 s[12:13], 0
.LBB292_41:                             ; =>This Inner Loop Header: Depth=1
	ds_read2st64_b32 v[10:11], v8 offset1:2
	v_add_u32_e32 v7, -1, v7
	v_cmp_eq_u32_e32 vcc, 0, v7
	s_or_b64 s[12:13], vcc, s[12:13]
	s_waitcnt lgkmcnt(0)
	v_pk_mul_f32 v[10:11], v[2:3], v[10:11]
	ds_write2st64_b32 v8, v10, v11 offset1:2
	v_add_u32_e32 v8, 0x400, v8
	s_andn2_b64 exec, exec, s[12:13]
	s_cbranch_execnz .LBB292_41
.LBB292_42:
	s_or_b64 exec, exec, s[8:9]
	v_add_u32_e32 v5, 1, v5
	v_and_b32_e32 v7, 0x3fffffe, v5
	v_cmp_ne_u32_e32 vcc, v5, v7
	v_lshl_add_u32 v3, v7, 7, v0
	s_orn2_b64 s[8:9], vcc, exec
.LBB292_43:
	s_or_b64 exec, exec, s[2:3]
	s_and_b64 exec, exec, s[8:9]
	s_cbranch_execz .LBB292_46
; %bb.44:
	v_mov_b32_e32 v5, 0xb0
	v_lshl_add_u32 v5, v3, 2, v5
	s_mov_b64 s[2:3], 0
.LBB292_45:                             ; =>This Inner Loop Header: Depth=1
	ds_read_b32 v7, v5
	v_add_u32_e32 v3, 0x80, v3
	v_cmp_le_i32_e32 vcc, s37, v3
	s_or_b64 s[2:3], vcc, s[2:3]
	s_waitcnt lgkmcnt(0)
	v_mul_f32_e32 v7, v2, v7
	ds_write_b32 v5, v7
	v_add_u32_e32 v5, 0x200, v5
	s_andn2_b64 exec, exec, s[2:3]
	s_cbranch_execnz .LBB292_45
.LBB292_46:
	s_or_b64 exec, exec, s[0:1]
	v_lshrrev_b32_e32 v24, 1, v4
	s_waitcnt lgkmcnt(0)
	s_barrier
	s_and_saveexec_b64 s[0:1], s[6:7]
	s_xor_b64 s[0:1], exec, s[0:1]
; %bb.47:
	v_lshrrev_b32_e32 v24, 1, v4
                                        ; implicit-def: $vgpr22
                                        ; implicit-def: $vgpr1
                                        ; implicit-def: $vgpr6
; %bb.48:
	s_or_saveexec_b64 s[6:7], s[0:1]
	v_mov_b32_e32 v11, 0
	v_and_b32_e32 v25, 1, v0
	v_mov_b32_e32 v10, 0
	v_mov_b32_e32 v27, 0
	s_xor_b64 exec, exec, s[6:7]
	s_cbranch_execz .LBB292_62
; %bb.49:
	s_sub_i32 s21, s16, s21
	s_ashr_i32 s0, s43, 31
	s_add_u32 s8, s34, s43
	v_lshlrev_b32_e32 v2, 3, v0
	s_addc_u32 s9, s35, s0
	s_abs_i32 s22, s22
	v_and_b32_e32 v26, 8, v2
	v_cvt_f32_u32_e32 v2, s22
	v_or_b32_e32 v3, 64, v24
	s_movk_i32 s0, 0x50
	v_cmp_gt_u32_e32 vcc, s0, v3
	v_rcp_iflag_f32_e32 v2, v2
	s_sub_i32 s0, 0, s22
	s_add_i32 s34, s20, -1
	v_lshl_or_b32 v14, v3, 4, v26
	v_mul_f32_e32 v2, 0x4f7ffffe, v2
	v_cvt_u32_f32_e32 v2, v2
	v_mov_b32_e32 v13, 0
	s_mov_b32 s37, s17
	v_lshl_or_b32 v12, v24, 4, v26
	v_mul_lo_u32 v3, s0, v2
	s_lshl_b64 s[0:1], s[30:31], 2
	v_mul_hi_u32 v3, v2, v3
	s_add_u32 s0, s28, s0
	v_add_u32_e32 v28, v2, v3
	v_and_b32_e32 v2, 60, v6
	v_mov_b32_e32 v3, v13
	s_addc_u32 s1, s29, s1
	v_lshl_add_u64 v[16:17], s[0:1], 0, v[2:3]
	v_lshlrev_b32_e32 v2, 5, v25
	v_lshl_or_b32 v2, v1, 6, v2
	v_mov_b32_e32 v15, v13
	v_add_u32_e32 v29, 0xb0, v2
	s_mov_b64 s[12:13], 0
	v_mov_b32_e32 v27, v13
	v_mov_b32_e32 v10, v13
	;; [unrolled: 1-line block ×3, first 2 shown]
	s_branch .LBB292_53
.LBB292_50:                             ;   in Loop: Header=BB292_53 Depth=1
	s_or_b64 exec, exec, s[18:19]
	v_and_b32_e32 v38, 0xffff0000, v7
	v_lshlrev_b32_e32 v46, 16, v46
	v_mul_f32_e32 v38, v38, v46
	v_lshlrev_b32_e32 v46, 16, v7
	v_lshlrev_b32_e32 v45, 16, v45
	v_mul_f32_e32 v45, v46, v45
	v_and_b32_e32 v46, 0xffff0000, v6
	v_lshlrev_b32_e32 v19, 16, v19
	v_mul_f32_e32 v19, v46, v19
	v_lshlrev_b32_e32 v46, 16, v6
	v_lshlrev_b32_e32 v18, 16, v18
	v_mul_f32_e32 v18, v46, v18
	;; [unrolled: 6-line block ×3, first 2 shown]
	v_and_b32_e32 v46, 0xffff0000, v2
	v_lshlrev_b32_e32 v5, 16, v5
	v_cvt_pk_bf16_f32 v38, v38, s0
	v_cvt_pk_bf16_f32 v45, v45, s0
	;; [unrolled: 1-line block ×4, first 2 shown]
	v_mul_f32_e32 v5, v46, v5
	v_lshlrev_b32_e32 v46, 16, v2
	v_lshlrev_b32_e32 v4, 16, v4
	v_cvt_pk_bf16_f32 v9, v9, s0
	v_cvt_pk_bf16_f32 v8, v8, s0
	v_mul_f32_e32 v4, v46, v4
	v_lshlrev_b32_e32 v45, 16, v45
	v_lshlrev_b32_e32 v38, 16, v38
	;; [unrolled: 1-line block ×4, first 2 shown]
	v_cvt_pk_bf16_f32 v5, v5, s0
	v_cvt_pk_bf16_f32 v4, v4, s0
	v_lshlrev_b32_e32 v8, 16, v8
	v_lshlrev_b32_e32 v9, 16, v9
	v_add_f32_e32 v38, v38, v45
	v_add_f32_e32 v18, v19, v18
	v_lshlrev_b32_e32 v4, 16, v4
	v_lshlrev_b32_e32 v5, 16, v5
	v_add_f32_e32 v18, v18, v38
	v_add_f32_e32 v8, v9, v8
	;; [unrolled: 1-line block ×6, first 2 shown]
.LBB292_51:                             ;   in Loop: Header=BB292_53 Depth=1
	s_or_b64 exec, exec, s[2:3]
	v_and_b32_e32 v4, 0xffff0000, v7
	v_lshlrev_b32_e32 v5, 16, v44
	v_lshlrev_b32_e32 v7, 16, v7
	;; [unrolled: 1-line block ×3, first 2 shown]
	v_mul_f32_e32 v5, v4, v5
	v_mul_f32_e32 v8, v7, v8
	v_and_b32_e32 v9, 0xffff0000, v6
	v_lshlrev_b32_e32 v18, 16, v42
	v_lshlrev_b32_e32 v6, 16, v6
	;; [unrolled: 1-line block ×3, first 2 shown]
	v_cvt_pk_bf16_f32 v5, v5, s0
	v_cvt_pk_bf16_f32 v8, v8, s0
	v_mul_f32_e32 v18, v9, v18
	v_mul_f32_e32 v19, v6, v19
	v_cvt_pk_bf16_f32 v18, v18, s0
	v_cvt_pk_bf16_f32 v19, v19, s0
	v_and_b32_e32 v38, 0xffff0000, v3
	v_lshlrev_b32_e32 v40, 16, v40
	v_lshlrev_b32_e32 v3, 16, v3
	;; [unrolled: 1-line block ×5, first 2 shown]
	v_mul_f32_e32 v40, v38, v40
	v_mul_f32_e32 v39, v3, v39
	v_add_f32_e32 v5, v8, v5
	v_lshlrev_b32_e32 v8, 16, v19
	v_lshlrev_b32_e32 v18, 16, v18
	v_cvt_pk_bf16_f32 v40, v40, s0
	v_cvt_pk_bf16_f32 v39, v39, s0
	v_and_b32_e32 v41, 0xffff0000, v2
	v_lshlrev_b32_e32 v21, 16, v21
	v_lshlrev_b32_e32 v2, 16, v2
	;; [unrolled: 1-line block ×3, first 2 shown]
	v_add_f32_e32 v8, v8, v18
	v_mul_f32_e32 v21, v41, v21
	v_mul_f32_e32 v20, v2, v20
	v_add_f32_e32 v5, v8, v5
	v_lshlrev_b32_e32 v8, 16, v39
	v_lshlrev_b32_e32 v18, 16, v40
	v_cvt_pk_bf16_f32 v21, v21, s0
	v_cvt_pk_bf16_f32 v20, v20, s0
	v_add_f32_e32 v8, v8, v18
	v_add_f32_e32 v5, v8, v5
	v_lshlrev_b32_e32 v8, 16, v20
	v_lshlrev_b32_e32 v18, 16, v21
	v_add_f32_e32 v8, v8, v18
	v_add_f32_e32 v5, v8, v5
	;; [unrolled: 1-line block ×3, first 2 shown]
	v_lshlrev_b32_e32 v5, 16, v37
	v_mul_f32_e32 v4, v4, v5
	v_lshlrev_b32_e32 v5, 16, v36
	v_mul_f32_e32 v5, v7, v5
	v_lshlrev_b32_e32 v7, 16, v35
	v_lshlrev_b32_e32 v8, 16, v34
	v_cvt_pk_bf16_f32 v4, v4, s0
	v_cvt_pk_bf16_f32 v5, v5, s0
	v_mul_f32_e32 v7, v9, v7
	v_mul_f32_e32 v6, v6, v8
	v_cvt_pk_bf16_f32 v7, v7, s0
	v_cvt_pk_bf16_f32 v6, v6, s0
	v_lshlrev_b32_e32 v8, 16, v33
	v_lshlrev_b32_e32 v9, 16, v32
	;; [unrolled: 1-line block ×4, first 2 shown]
	v_mul_f32_e32 v8, v38, v8
	v_mul_f32_e32 v3, v3, v9
	v_add_f32_e32 v4, v5, v4
	v_lshlrev_b32_e32 v5, 16, v6
	v_lshlrev_b32_e32 v6, 16, v7
	v_cvt_pk_bf16_f32 v8, v8, s0
	v_cvt_pk_bf16_f32 v3, v3, s0
	v_lshlrev_b32_e32 v9, 16, v31
	v_lshlrev_b32_e32 v18, 16, v30
	v_add_f32_e32 v5, v5, v6
	v_mul_f32_e32 v9, v41, v9
	v_mul_f32_e32 v2, v2, v18
	v_add_f32_e32 v4, v5, v4
	v_lshlrev_b32_e32 v3, 16, v3
	v_lshlrev_b32_e32 v5, 16, v8
	v_cvt_pk_bf16_f32 v9, v9, s0
	v_cvt_pk_bf16_f32 v2, v2, s0
	v_add_f32_e32 v3, v3, v5
	v_add_f32_e32 v3, v3, v4
	v_lshlrev_b32_e32 v2, 16, v2
	v_lshlrev_b32_e32 v4, 16, v9
	v_add_f32_e32 v2, v2, v4
	v_add_f32_e32 v2, v2, v3
	;; [unrolled: 1-line block ×3, first 2 shown]
.LBB292_52:                             ;   in Loop: Header=BB292_53 Depth=1
	s_or_b64 exec, exec, s[16:17]
	v_add_u32_e32 v1, 2, v1
	v_cmp_le_i32_e64 s[0:1], s20, v1
	v_lshl_add_u64 v[16:17], v[16:17], 0, 8
	v_add_u32_e32 v22, 32, v22
	s_or_b64 s[12:13], s[0:1], s[12:13]
	v_add_u32_e32 v29, 0x80, v29
	s_andn2_b64 exec, exec, s[12:13]
	s_cbranch_execz .LBB292_61
.LBB292_53:                             ; =>This Inner Loop Header: Depth=1
	v_mul_hi_u32 v2, v22, s42
	v_mul_lo_u32 v3, v2, s25
	v_sub_u32_e32 v3, v22, v3
	v_add_u32_e32 v4, 1, v2
	v_cmp_le_u32_e64 s[0:1], s25, v3
	s_nop 1
	v_cndmask_b32_e64 v2, v2, v4, s[0:1]
	v_subrev_u32_e32 v4, s25, v3
	v_cndmask_b32_e64 v3, v3, v4, s[0:1]
	v_add_u32_e32 v4, 1, v2
	v_cmp_le_u32_e64 s[0:1], s25, v3
	s_nop 1
	v_cndmask_b32_e64 v2, v2, v4, s[0:1]
	v_xor_b32_e32 v2, s23, v2
	v_subrev_u32_e32 v2, s23, v2
	v_add_u32_e32 v3, s36, v2
	v_sub_u32_e32 v5, 0, v3
	v_ashrrev_i32_e32 v4, 31, v3
	v_max_i32_e32 v3, v3, v5
	v_mul_hi_u32 v5, v3, v28
	v_mul_lo_u32 v5, v5, s22
	v_sub_u32_e32 v3, v3, v5
	v_subrev_u32_e32 v5, s22, v3
	v_cmp_le_u32_e64 s[0:1], s22, v3
	v_cmp_lt_i32_e64 s[2:3], s21, v2
	s_nop 0
	v_cndmask_b32_e64 v3, v3, v5, s[0:1]
	v_subrev_u32_e32 v5, s22, v3
	v_cmp_le_u32_e64 s[0:1], s22, v3
	s_nop 1
	v_cndmask_b32_e64 v3, v3, v5, s[0:1]
	v_xor_b32_e32 v3, v3, v4
	v_sub_u32_e32 v3, v3, v4
	v_cmp_eq_u32_e64 s[0:1], 0, v3
	s_or_b64 s[0:1], s[0:1], s[2:3]
	s_and_saveexec_b64 s[16:17], s[0:1]
	s_cbranch_execz .LBB292_52
; %bb.54:                               ;   in Loop: Header=BB292_53 Depth=1
	global_load_dword v4, v[16:17], off
	v_mov_b64_e32 v[2:3], s[8:9]
	v_add_u32_e32 v38, v26, v22
	s_waitcnt vmcnt(0)
	v_mad_i64_i32 v[18:19], s[0:1], v4, s37, v[2:3]
	v_lshl_add_u64 v[20:21], v[18:19], 0, v[12:13]
	global_load_dwordx2 v[30:31], v[20:21], off
	ds_read2_b64 v[6:9], v29 offset1:1
	ds_read2_b64 v[2:5], v29 offset0:2 offset1:3
	s_load_dword s28, s[14:15], 0x0
	v_cmp_eq_u32_e64 s[0:1], s34, v1
	s_waitcnt vmcnt(0)
	v_and_b32_e32 v32, 0xff, v30
	v_bfe_u32 v33, v30, 8, 8
	v_bfe_u32 v34, v30, 16, 8
	v_lshrrev_b32_e32 v30, 24, v30
	v_and_b32_e32 v35, 0xff, v31
	v_bfe_u32 v36, v31, 8, 8
	v_bfe_u32 v37, v31, 16, 8
	v_lshrrev_b32_e32 v31, 24, v31
	v_cvt_f32_fp8_e32 v32, v32
	v_cvt_f32_fp8_e32 v33, v33
	;; [unrolled: 1-line block ×8, first 2 shown]
	s_waitcnt lgkmcnt(0)
	v_mul_f32_e32 v32, s28, v32
	v_mul_f32_e32 v33, s28, v33
	v_mul_f32_e32 v34, s28, v34
	v_mul_f32_e32 v30, s28, v30
	v_mul_f32_e32 v39, s28, v35
	v_mul_f32_e32 v40, s28, v36
	v_mul_f32_e32 v41, s28, v37
	v_mul_f32_e32 v31, s28, v31
	v_cvt_pk_bf16_f32 v36, v32, s0
	v_cvt_pk_bf16_f32 v37, v33, s0
	;; [unrolled: 1-line block ×8, first 2 shown]
	s_and_saveexec_b64 s[18:19], s[0:1]
	s_cbranch_execz .LBB292_56
; %bb.55:                               ;   in Loop: Header=BB292_53 Depth=1
	v_cmp_gt_i32_e64 s[2:3], s33, v38
	v_add_u32_e32 v39, 1, v38
	s_nop 0
	v_cndmask_b32_e64 v36, 0, v36, s[2:3]
	v_cmp_gt_i32_e64 s[2:3], s33, v39
	v_add_u32_e32 v39, 2, v38
	s_nop 0
	v_cndmask_b32_e64 v37, 0, v37, s[2:3]
	;; [unrolled: 4-line block ×7, first 2 shown]
	v_cmp_gt_i32_e64 s[2:3], s33, v39
	s_nop 1
	v_cndmask_b32_e64 v31, 0, v31, s[2:3]
.LBB292_56:                             ;   in Loop: Header=BB292_53 Depth=1
	s_or_b64 exec, exec, s[18:19]
	global_load_dwordx2 v[20:21], v[20:21], off offset:512
	s_waitcnt vmcnt(0)
	v_and_b32_e32 v39, 0xff, v20
	v_bfe_u32 v40, v20, 8, 8
	v_bfe_u32 v41, v20, 16, 8
	v_lshrrev_b32_e32 v20, 24, v20
	v_and_b32_e32 v42, 0xff, v21
	v_bfe_u32 v43, v21, 8, 8
	v_bfe_u32 v44, v21, 16, 8
	v_lshrrev_b32_e32 v21, 24, v21
	v_cvt_f32_fp8_e32 v39, v39
	v_cvt_f32_fp8_e32 v40, v40
	;; [unrolled: 1-line block ×8, first 2 shown]
	v_mul_f32_e32 v39, s28, v39
	v_mul_f32_e32 v40, s28, v40
	;; [unrolled: 1-line block ×8, first 2 shown]
	v_cvt_pk_bf16_f32 v43, v39, s0
	v_cvt_pk_bf16_f32 v44, v40, s0
	;; [unrolled: 1-line block ×8, first 2 shown]
	s_and_saveexec_b64 s[18:19], s[0:1]
	s_cbranch_execz .LBB292_58
; %bb.57:                               ;   in Loop: Header=BB292_53 Depth=1
	v_cmp_gt_i32_e64 s[2:3], s33, v38
	v_add_u32_e32 v45, 1, v38
	s_nop 0
	v_cndmask_b32_e64 v43, 0, v43, s[2:3]
	v_cmp_gt_i32_e64 s[2:3], s33, v45
	v_add_u32_e32 v45, 2, v38
	s_nop 0
	v_cndmask_b32_e64 v44, 0, v44, s[2:3]
	;; [unrolled: 4-line block ×7, first 2 shown]
	v_cmp_gt_i32_e64 s[2:3], s33, v45
	s_nop 1
	v_cndmask_b32_e64 v21, 0, v21, s[2:3]
.LBB292_58:                             ;   in Loop: Header=BB292_53 Depth=1
	s_or_b64 exec, exec, s[18:19]
	v_cvt_pk_bf16_f32 v7, v6, v7
	v_cvt_pk_bf16_f32 v6, v8, v9
	;; [unrolled: 1-line block ×4, first 2 shown]
	s_and_saveexec_b64 s[2:3], vcc
	s_cbranch_execz .LBB292_51
; %bb.59:                               ;   in Loop: Header=BB292_53 Depth=1
	v_lshl_add_u64 v[4:5], v[18:19], 0, v[14:15]
	global_load_dwordx2 v[4:5], v[4:5], off
	s_waitcnt vmcnt(0)
	v_and_b32_e32 v8, 0xff, v4
	v_bfe_u32 v9, v4, 8, 8
	v_bfe_u32 v18, v4, 16, 8
	v_lshrrev_b32_e32 v4, 24, v4
	v_and_b32_e32 v19, 0xff, v5
	v_bfe_u32 v45, v5, 8, 8
	v_bfe_u32 v46, v5, 16, 8
	v_lshrrev_b32_e32 v5, 24, v5
	v_cvt_f32_fp8_e32 v8, v8
	v_cvt_f32_fp8_e32 v9, v9
	;; [unrolled: 1-line block ×8, first 2 shown]
	v_mul_f32_e32 v8, s28, v8
	v_mul_f32_e32 v9, s28, v9
	;; [unrolled: 1-line block ×8, first 2 shown]
	v_cvt_pk_bf16_f32 v45, v8, s0
	v_cvt_pk_bf16_f32 v46, v9, s0
	;; [unrolled: 1-line block ×8, first 2 shown]
	s_and_saveexec_b64 s[18:19], s[0:1]
	s_cbranch_execz .LBB292_50
; %bb.60:                               ;   in Loop: Header=BB292_53 Depth=1
	v_cmp_gt_i32_e64 s[0:1], s33, v38
	v_add_u32_e32 v47, 1, v38
	s_nop 0
	v_cndmask_b32_e64 v45, 0, v45, s[0:1]
	v_cmp_gt_i32_e64 s[0:1], s33, v47
	v_add_u32_e32 v47, 2, v38
	s_nop 0
	v_cndmask_b32_e64 v46, 0, v46, s[0:1]
	;; [unrolled: 4-line block ×5, first 2 shown]
	v_cmp_gt_i32_e64 s[0:1], s33, v47
	v_add_u32_e32 v47, 6, v38
	v_add_u32_e32 v38, 7, v38
	v_cndmask_b32_e64 v9, 0, v9, s[0:1]
	v_cmp_gt_i32_e64 s[0:1], s33, v47
	s_nop 1
	v_cndmask_b32_e64 v4, 0, v4, s[0:1]
	v_cmp_gt_i32_e64 s[0:1], s33, v38
	s_nop 1
	v_cndmask_b32_e64 v5, 0, v5, s[0:1]
	s_branch .LBB292_50
.LBB292_61:
	s_or_b64 exec, exec, s[12:13]
.LBB292_62:
	s_or_b64 exec, exec, s[6:7]
	ds_bpermute_b32 v2, v23, v10
	ds_bpermute_b32 v3, v23, v11
	ds_bpermute_b32 v1, v23, v27
	v_and_b32_e32 v4, 0x3c0, v0
	v_cmp_eq_u32_e64 s[0:1], 64, v4
	v_cmp_eq_u32_e32 vcc, 0, v25
	s_waitcnt lgkmcnt(1)
	v_pk_add_f32 v[2:3], v[10:11], v[2:3]
	s_waitcnt lgkmcnt(0)
	v_add_f32_e32 v1, v27, v1
	s_barrier
	s_and_saveexec_b64 s[2:3], s[0:1]
	s_cbranch_execz .LBB292_67
; %bb.63:
	s_and_saveexec_b64 s[0:1], vcc
; %bb.64:
	v_mov_b32_e32 v4, 0xb0
	v_lshl_add_u32 v4, v24, 2, v4
	ds_write2_b32 v4, v2, v3 offset1:32
; %bb.65:
	s_or_b64 exec, exec, s[0:1]
	v_or_b32_e32 v4, 64, v24
	s_movk_i32 s0, 0x50
	v_cmp_gt_u32_e64 s[0:1], s0, v4
	s_and_b64 s[0:1], vcc, s[0:1]
	s_and_b64 exec, exec, s[0:1]
; %bb.66:
	v_mov_b32_e32 v4, 0xb0
	v_lshl_add_u32 v4, v24, 2, v4
	ds_write_b32 v4, v1 offset:256
.LBB292_67:
	s_or_b64 exec, exec, s[2:3]
	v_cmp_gt_u32_e64 s[0:1], 64, v0
	v_lshrrev_b32_e32 v0, 1, v0
	s_waitcnt lgkmcnt(0)
	s_barrier
	s_and_saveexec_b64 s[6:7], s[0:1]
	s_cbranch_execz .LBB292_75
; %bb.68:
	s_and_saveexec_b64 s[2:3], vcc
	s_cbranch_execz .LBB292_70
; %bb.69:
	v_mov_b32_e32 v4, 0xb0
	v_lshl_add_u32 v4, v0, 2, v4
	ds_read_b32 v4, v4
	s_waitcnt lgkmcnt(0)
	v_add_f32_e32 v2, v2, v4
.LBB292_70:
	s_or_b64 exec, exec, s[2:3]
	v_or_b32_e32 v4, 32, v0
	s_movk_i32 s8, 0x50
	v_cmp_gt_u32_e64 s[2:3], s8, v4
	s_and_b64 s[12:13], vcc, s[2:3]
	s_and_saveexec_b64 s[2:3], s[12:13]
	s_cbranch_execz .LBB292_72
; %bb.71:
	v_mov_b32_e32 v4, 0xb0
	v_lshl_add_u32 v4, v0, 2, v4
	ds_read_b32 v4, v4 offset:128
	s_waitcnt lgkmcnt(0)
	v_add_f32_e32 v3, v3, v4
.LBB292_72:
	s_or_b64 exec, exec, s[2:3]
	v_or_b32_e32 v4, 64, v0
	v_cmp_gt_u32_e64 s[2:3], s8, v4
	s_and_b64 s[8:9], vcc, s[2:3]
	s_and_saveexec_b64 s[2:3], s[8:9]
	s_cbranch_execz .LBB292_74
; %bb.73:
	v_mov_b32_e32 v4, 0xb0
	v_lshl_add_u32 v4, v0, 2, v4
	ds_read_b32 v4, v4 offset:256
	s_waitcnt lgkmcnt(0)
	v_add_f32_e32 v1, v1, v4
.LBB292_74:
	s_or_b64 exec, exec, s[2:3]
.LBB292_75:
	s_or_b64 exec, exec, s[6:7]
	s_barrier
	s_and_saveexec_b64 s[2:3], s[0:1]
	s_cbranch_execz .LBB292_82
; %bb.76:
	s_mul_i32 s0, s10, s11
	s_mul_i32 s0, s0, s5
	s_mulk_i32 s0, 0x50
	s_ashr_i32 s1, s0, 31
	s_lshl_b64 s[0:1], s[0:1], 1
	s_add_u32 s2, s26, s0
	s_mul_i32 s0, s11, s24
	s_addc_u32 s3, s27, s1
	s_ashr_i32 s1, s0, 31
	s_lshl_b64 s[0:1], s[0:1], 1
	s_add_u32 s2, s2, s0
	s_mul_i32 s0, s4, 0x50
	s_addc_u32 s3, s3, s1
	s_ashr_i32 s1, s0, 31
	s_lshl_b64 s[0:1], s[0:1], 1
	s_add_u32 s2, s2, s0
	s_movk_i32 s5, 0x50
	s_addc_u32 s3, s3, s1
	v_lshlrev_b32_e32 v4, 1, v0
	s_and_saveexec_b64 s[0:1], vcc
	s_cbranch_execz .LBB292_78
; %bb.77:
	v_cvt_pk_bf16_f32 v2, v2, s0
	global_store_short v4, v2, s[2:3]
.LBB292_78:
	s_or_b64 exec, exec, s[0:1]
	v_or_b32_e32 v2, 32, v0
	v_cmp_gt_u32_e64 s[0:1], s5, v2
	s_and_b64 s[4:5], vcc, s[0:1]
	s_and_saveexec_b64 s[0:1], s[4:5]
	s_cbranch_execz .LBB292_80
; %bb.79:
	v_cvt_pk_bf16_f32 v2, v3, s0
	global_store_short v4, v2, s[2:3] offset:64
.LBB292_80:
	s_or_b64 exec, exec, s[0:1]
	v_or_b32_e32 v0, 64, v0
	s_movk_i32 s0, 0x50
	v_cmp_gt_u32_e64 s[0:1], s0, v0
	s_and_b64 s[0:1], vcc, s[0:1]
	s_and_b64 exec, exec, s[0:1]
	s_cbranch_execz .LBB292_82
; %bb.81:
	v_cvt_pk_bf16_f32 v0, v1, s0
	global_store_short v4, v0, s[2:3] offset:128
.LBB292_82:
	s_endpgm
	.section	.rodata,"a",@progbits
	.p2align	6, 0x0
	.amdhsa_kernel _ZN4vllm25paged_attention_v1_kernelI14__hip_bfloat16hLi80ELi16ELi128ELNS_18Fp8KVCacheDataTypeE1ELb1EEEvPT_PKS3_PKT0_S9_ifPKiSB_iPKfiiiSD_SD_iiiii
		.amdhsa_group_segment_fixed_size 176
		.amdhsa_private_segment_fixed_size 0
		.amdhsa_kernarg_size 384
		.amdhsa_user_sgpr_count 2
		.amdhsa_user_sgpr_dispatch_ptr 0
		.amdhsa_user_sgpr_queue_ptr 0
		.amdhsa_user_sgpr_kernarg_segment_ptr 1
		.amdhsa_user_sgpr_dispatch_id 0
		.amdhsa_user_sgpr_kernarg_preload_length 0
		.amdhsa_user_sgpr_kernarg_preload_offset 0
		.amdhsa_user_sgpr_private_segment_size 0
		.amdhsa_uses_dynamic_stack 0
		.amdhsa_enable_private_segment 0
		.amdhsa_system_sgpr_workgroup_id_x 1
		.amdhsa_system_sgpr_workgroup_id_y 1
		.amdhsa_system_sgpr_workgroup_id_z 1
		.amdhsa_system_sgpr_workgroup_info 0
		.amdhsa_system_vgpr_workitem_id 0
		.amdhsa_next_free_vgpr 63
		.amdhsa_next_free_sgpr 49
		.amdhsa_accum_offset 64
		.amdhsa_reserve_vcc 1
		.amdhsa_float_round_mode_32 0
		.amdhsa_float_round_mode_16_64 0
		.amdhsa_float_denorm_mode_32 3
		.amdhsa_float_denorm_mode_16_64 3
		.amdhsa_dx10_clamp 1
		.amdhsa_ieee_mode 1
		.amdhsa_fp16_overflow 0
		.amdhsa_tg_split 0
		.amdhsa_exception_fp_ieee_invalid_op 0
		.amdhsa_exception_fp_denorm_src 0
		.amdhsa_exception_fp_ieee_div_zero 0
		.amdhsa_exception_fp_ieee_overflow 0
		.amdhsa_exception_fp_ieee_underflow 0
		.amdhsa_exception_fp_ieee_inexact 0
		.amdhsa_exception_int_div_zero 0
	.end_amdhsa_kernel
	.section	.text._ZN4vllm25paged_attention_v1_kernelI14__hip_bfloat16hLi80ELi16ELi128ELNS_18Fp8KVCacheDataTypeE1ELb1EEEvPT_PKS3_PKT0_S9_ifPKiSB_iPKfiiiSD_SD_iiiii,"axG",@progbits,_ZN4vllm25paged_attention_v1_kernelI14__hip_bfloat16hLi80ELi16ELi128ELNS_18Fp8KVCacheDataTypeE1ELb1EEEvPT_PKS3_PKT0_S9_ifPKiSB_iPKfiiiSD_SD_iiiii,comdat
.Lfunc_end292:
	.size	_ZN4vllm25paged_attention_v1_kernelI14__hip_bfloat16hLi80ELi16ELi128ELNS_18Fp8KVCacheDataTypeE1ELb1EEEvPT_PKS3_PKT0_S9_ifPKiSB_iPKfiiiSD_SD_iiiii, .Lfunc_end292-_ZN4vllm25paged_attention_v1_kernelI14__hip_bfloat16hLi80ELi16ELi128ELNS_18Fp8KVCacheDataTypeE1ELb1EEEvPT_PKS3_PKT0_S9_ifPKiSB_iPKfiiiSD_SD_iiiii
                                        ; -- End function
	.set _ZN4vllm25paged_attention_v1_kernelI14__hip_bfloat16hLi80ELi16ELi128ELNS_18Fp8KVCacheDataTypeE1ELb1EEEvPT_PKS3_PKT0_S9_ifPKiSB_iPKfiiiSD_SD_iiiii.num_vgpr, 63
	.set _ZN4vllm25paged_attention_v1_kernelI14__hip_bfloat16hLi80ELi16ELi128ELNS_18Fp8KVCacheDataTypeE1ELb1EEEvPT_PKS3_PKT0_S9_ifPKiSB_iPKfiiiSD_SD_iiiii.num_agpr, 0
	.set _ZN4vllm25paged_attention_v1_kernelI14__hip_bfloat16hLi80ELi16ELi128ELNS_18Fp8KVCacheDataTypeE1ELb1EEEvPT_PKS3_PKT0_S9_ifPKiSB_iPKfiiiSD_SD_iiiii.numbered_sgpr, 49
	.set _ZN4vllm25paged_attention_v1_kernelI14__hip_bfloat16hLi80ELi16ELi128ELNS_18Fp8KVCacheDataTypeE1ELb1EEEvPT_PKS3_PKT0_S9_ifPKiSB_iPKfiiiSD_SD_iiiii.num_named_barrier, 0
	.set _ZN4vllm25paged_attention_v1_kernelI14__hip_bfloat16hLi80ELi16ELi128ELNS_18Fp8KVCacheDataTypeE1ELb1EEEvPT_PKS3_PKT0_S9_ifPKiSB_iPKfiiiSD_SD_iiiii.private_seg_size, 0
	.set _ZN4vllm25paged_attention_v1_kernelI14__hip_bfloat16hLi80ELi16ELi128ELNS_18Fp8KVCacheDataTypeE1ELb1EEEvPT_PKS3_PKT0_S9_ifPKiSB_iPKfiiiSD_SD_iiiii.uses_vcc, 1
	.set _ZN4vllm25paged_attention_v1_kernelI14__hip_bfloat16hLi80ELi16ELi128ELNS_18Fp8KVCacheDataTypeE1ELb1EEEvPT_PKS3_PKT0_S9_ifPKiSB_iPKfiiiSD_SD_iiiii.uses_flat_scratch, 0
	.set _ZN4vllm25paged_attention_v1_kernelI14__hip_bfloat16hLi80ELi16ELi128ELNS_18Fp8KVCacheDataTypeE1ELb1EEEvPT_PKS3_PKT0_S9_ifPKiSB_iPKfiiiSD_SD_iiiii.has_dyn_sized_stack, 0
	.set _ZN4vllm25paged_attention_v1_kernelI14__hip_bfloat16hLi80ELi16ELi128ELNS_18Fp8KVCacheDataTypeE1ELb1EEEvPT_PKS3_PKT0_S9_ifPKiSB_iPKfiiiSD_SD_iiiii.has_recursion, 0
	.set _ZN4vllm25paged_attention_v1_kernelI14__hip_bfloat16hLi80ELi16ELi128ELNS_18Fp8KVCacheDataTypeE1ELb1EEEvPT_PKS3_PKT0_S9_ifPKiSB_iPKfiiiSD_SD_iiiii.has_indirect_call, 0
	.section	.AMDGPU.csdata,"",@progbits
; Kernel info:
; codeLenInByte = 6776
; TotalNumSgprs: 55
; NumVgprs: 63
; NumAgprs: 0
; TotalNumVgprs: 63
; ScratchSize: 0
; MemoryBound: 0
; FloatMode: 240
; IeeeMode: 1
; LDSByteSize: 176 bytes/workgroup (compile time only)
; SGPRBlocks: 6
; VGPRBlocks: 7
; NumSGPRsForWavesPerEU: 55
; NumVGPRsForWavesPerEU: 63
; AccumOffset: 64
; Occupancy: 8
; WaveLimiterHint : 1
; COMPUTE_PGM_RSRC2:SCRATCH_EN: 0
; COMPUTE_PGM_RSRC2:USER_SGPR: 2
; COMPUTE_PGM_RSRC2:TRAP_HANDLER: 0
; COMPUTE_PGM_RSRC2:TGID_X_EN: 1
; COMPUTE_PGM_RSRC2:TGID_Y_EN: 1
; COMPUTE_PGM_RSRC2:TGID_Z_EN: 1
; COMPUTE_PGM_RSRC2:TIDIG_COMP_CNT: 0
; COMPUTE_PGM_RSRC3_GFX90A:ACCUM_OFFSET: 15
; COMPUTE_PGM_RSRC3_GFX90A:TG_SPLIT: 0
	.section	.text._ZN4vllm25paged_attention_v1_kernelI14__hip_bfloat16hLi96ELi16ELi128ELNS_18Fp8KVCacheDataTypeE1ELb1EEEvPT_PKS3_PKT0_S9_ifPKiSB_iPKfiiiSD_SD_iiiii,"axG",@progbits,_ZN4vllm25paged_attention_v1_kernelI14__hip_bfloat16hLi96ELi16ELi128ELNS_18Fp8KVCacheDataTypeE1ELb1EEEvPT_PKS3_PKT0_S9_ifPKiSB_iPKfiiiSD_SD_iiiii,comdat
	.protected	_ZN4vllm25paged_attention_v1_kernelI14__hip_bfloat16hLi96ELi16ELi128ELNS_18Fp8KVCacheDataTypeE1ELb1EEEvPT_PKS3_PKT0_S9_ifPKiSB_iPKfiiiSD_SD_iiiii ; -- Begin function _ZN4vllm25paged_attention_v1_kernelI14__hip_bfloat16hLi96ELi16ELi128ELNS_18Fp8KVCacheDataTypeE1ELb1EEEvPT_PKS3_PKT0_S9_ifPKiSB_iPKfiiiSD_SD_iiiii
	.globl	_ZN4vllm25paged_attention_v1_kernelI14__hip_bfloat16hLi96ELi16ELi128ELNS_18Fp8KVCacheDataTypeE1ELb1EEEvPT_PKS3_PKT0_S9_ifPKiSB_iPKfiiiSD_SD_iiiii
	.p2align	8
	.type	_ZN4vllm25paged_attention_v1_kernelI14__hip_bfloat16hLi96ELi16ELi128ELNS_18Fp8KVCacheDataTypeE1ELb1EEEvPT_PKS3_PKT0_S9_ifPKiSB_iPKfiiiSD_SD_iiiii,@function
_ZN4vllm25paged_attention_v1_kernelI14__hip_bfloat16hLi96ELi16ELi128ELNS_18Fp8KVCacheDataTypeE1ELb1EEEvPT_PKS3_PKT0_S9_ifPKiSB_iPKfiiiSD_SD_iiiii: ; @_ZN4vllm25paged_attention_v1_kernelI14__hip_bfloat16hLi96ELi16ELi128ELNS_18Fp8KVCacheDataTypeE1ELb1EEEvPT_PKS3_PKT0_S9_ifPKiSB_iPKfiiiSD_SD_iiiii
; %bb.0:
	s_load_dword s5, s[0:1], 0x80
	s_load_dwordx2 s[6:7], s[0:1], 0x30
	s_load_dwordx2 s[36:37], s[0:1], 0x20
	s_mov_b32 s10, s3
	s_ashr_i32 s11, s3, 31
	s_lshl_b64 s[8:9], s[10:11], 2
	s_waitcnt lgkmcnt(0)
	s_add_u32 s6, s6, s8
	s_addc_u32 s7, s7, s9
	s_abs_i32 s3, s36
	v_cvt_f32_u32_e32 v1, s3
	s_sub_i32 s11, 0, s3
	s_abs_i32 s9, s5
	s_xor_b32 s8, s5, s36
	v_rcp_iflag_f32_e32 v1, v1
	s_ashr_i32 s8, s8, 31
	s_mov_b32 s44, 0
	v_mul_f32_e32 v1, 0x4f7ffffe, v1
	v_cvt_u32_f32_e32 v1, v1
	s_nop 0
	v_readfirstlane_b32 s12, v1
	s_mul_i32 s11, s11, s12
	s_mul_hi_u32 s11, s12, s11
	s_add_i32 s12, s12, s11
	s_mul_hi_u32 s11, s9, s12
	s_mul_i32 s12, s11, s3
	s_sub_i32 s9, s9, s12
	s_add_i32 s12, s11, 1
	s_sub_i32 s13, s9, s3
	s_cmp_ge_u32 s9, s3
	s_cselect_b32 s11, s12, s11
	s_cselect_b32 s9, s13, s9
	s_add_i32 s12, s11, 1
	s_cmp_ge_u32 s9, s3
	s_cselect_b32 s3, s12, s11
	s_xor_b32 s3, s3, s8
	s_sub_i32 s14, s3, s8
	s_abs_i32 s11, s14
	v_cvt_f32_u32_e32 v1, s11
	s_load_dwordx2 s[8:9], s[0:1], 0x40
	s_sub_i32 s3, 0, s11
	s_abs_i32 s12, s2
	v_rcp_iflag_f32_e32 v1, v1
	s_nop 0
	v_mul_f32_e32 v1, 0x4f7ffffe, v1
	v_cvt_u32_f32_e32 v1, v1
	s_nop 0
	v_readfirstlane_b32 s13, v1
	s_mul_i32 s3, s3, s13
	s_mul_hi_u32 s3, s13, s3
	s_add_i32 s13, s13, s3
	s_waitcnt lgkmcnt(0)
	s_cmp_eq_u64 s[8:9], 0
	s_mul_hi_u32 s13, s12, s13
	s_cbranch_scc1 .LBB293_2
; %bb.1:
	s_ashr_i32 s3, s2, 31
	s_lshl_b64 s[16:17], s[2:3], 2
	s_add_u32 s8, s8, s16
	s_addc_u32 s9, s9, s17
	s_load_dword s44, s[8:9], 0x0
.LBB293_2:
	s_load_dword s33, s[6:7], 0x0
	s_load_dwordx4 s[16:19], s[0:1], 0x48
	s_ashr_i32 s8, s2, 31
	s_ashr_i32 s9, s14, 31
	v_and_b32_e32 v2, 3, v0
	s_mul_i32 s24, s2, 0x60
	v_cmp_gt_u32_e32 vcc, 48, v0
	s_and_saveexec_b64 s[6:7], vcc
	s_cbranch_execz .LBB293_4
; %bb.3:
	s_load_dwordx2 s[14:15], s[0:1], 0x8
	s_waitcnt lgkmcnt(0)
	s_mul_i32 s20, s16, s10
	s_ashr_i32 s21, s20, 31
	s_lshl_b64 s[20:21], s[20:21], 1
	v_lshlrev_b32_e32 v1, 2, v0
	s_add_u32 s3, s14, s20
	s_addc_u32 s16, s15, s21
	s_ashr_i32 s25, s24, 31
	s_lshl_b64 s[14:15], s[24:25], 1
	s_add_u32 s14, s3, s14
	s_addc_u32 s15, s16, s15
	global_load_dword v1, v1, s[14:15]
	v_and_b32_e32 v3, 0x3fc, v0
	v_mad_u32_u24 v3, v2, 48, v3
	s_waitcnt vmcnt(0)
	ds_write_b32 v3, v1
.LBB293_4:
	s_or_b64 exec, exec, s[6:7]
	s_mul_i32 s7, s13, s11
	s_sub_i32 s7, s12, s7
	s_xor_b32 s6, s8, s9
	s_add_i32 s8, s13, 1
	s_sub_i32 s9, s7, s11
	s_load_dwordx4 s[20:23], s[0:1], 0x68
	s_load_dword s3, s[0:1], 0x78
	s_cmp_ge_u32 s7, s11
	s_cselect_b32 s8, s8, s13
	s_cselect_b32 s7, s9, s7
	s_add_i32 s9, s8, 1
	s_cmp_ge_u32 s7, s11
	s_cselect_b32 s7, s9, s8
	s_waitcnt lgkmcnt(0)
	s_abs_i32 s16, s23
	v_cvt_f32_u32_e32 v1, s16
	s_xor_b32 s7, s7, s6
	s_sub_i32 s43, s7, s6
	s_sub_i32 s6, 0, s16
	v_rcp_iflag_f32_e32 v1, v1
	s_add_i32 s11, s33, -1
	s_abs_i32 s8, s11
	v_mul_f32_e32 v1, 0x4f7ffffe, v1
	v_cvt_u32_f32_e32 v1, v1
	s_barrier
	v_readfirstlane_b32 s25, v1
	s_mul_i32 s6, s6, s25
	s_mul_hi_u32 s6, s25, s6
	s_add_i32 s25, s25, s6
	s_cmp_lt_i32 s3, 0
	s_mul_hi_u32 s9, s8, s25
	s_cbranch_scc0 .LBB293_6
; %bb.5:
	s_mul_i32 s6, s20, s36
	s_add_i32 s6, s43, s6
	s_mul_i32 s6, s6, s3
	s_sub_i32 s36, 1, s6
	s_mov_b64 s[6:7], 0
	s_branch .LBB293_7
.LBB293_6:
	s_mov_b64 s[6:7], -1
                                        ; implicit-def: $sgpr36
.LBB293_7:
	s_load_dwordx2 s[28:29], s[0:1], 0x28
	s_ashr_i32 s19, s11, 31
	s_andn2_b64 vcc, exec, s[6:7]
	s_ashr_i32 s23, s23, 31
	s_cbranch_vccnz .LBB293_9
; %bb.8:
	s_mul_i32 s6, s5, s20
	s_add_i32 s2, s6, s2
	s_mul_i32 s2, s2, s3
	s_add_i32 s36, s2, 1
.LBB293_9:
	s_load_dword s2, s[0:1], 0x38
	s_load_dwordx2 s[26:27], s[0:1], 0x0
	s_load_dwordx2 s[34:35], s[0:1], 0x18
	s_load_dword s11, s[0:1], 0x88
	s_load_dwordx4 s[12:15], s[0:1], 0x58
	s_mul_i32 s3, s9, s16
	s_waitcnt lgkmcnt(0)
	s_mul_i32 s30, s2, s10
	s_sub_i32 s3, s8, s3
	s_ashr_i32 s31, s30, 31
	s_xor_b32 s2, s19, s23
	s_add_i32 s6, s9, 1
	s_sub_i32 s7, s3, s16
	s_cmp_ge_u32 s3, s16
	s_cselect_b32 s6, s6, s9
	s_cselect_b32 s3, s7, s3
	s_add_i32 s7, s6, 1
	s_cmp_ge_u32 s3, s16
	s_cselect_b32 s3, s7, s6
	s_xor_b32 s3, s3, s2
	s_sub_i32 s42, s3, s2
	s_add_i32 s2, s33, 15
	s_ashr_i32 s3, s2, 31
	s_lshr_b32 s3, s3, 28
	s_add_i32 s2, s2, s3
	s_ashr_i32 s20, s2, 4
	v_lshrrev_b32_e32 v1, 6, v0
	v_cmp_gt_i32_e64 s[6:7], s20, v1
	v_mov_b32_e32 v10, 0xff7fffff
	s_mul_i32 s43, s43, s18
	v_lshrrev_b32_e32 v6, 4, v0
	v_lshlrev_b32_e32 v20, 4, v1
	v_mbcnt_lo_u32_b32 v7, -1, 0
	s_and_saveexec_b64 s[18:19], s[6:7]
	s_cbranch_execz .LBB293_21
; %bb.10:
	s_load_dwordx2 s[0:1], s[0:1], 0x10
	s_sub_i32 s45, s42, s21
	s_ashr_i32 s2, s43, 31
	v_bfe_u32 v8, v0, 2, 4
	v_mov_b32_e32 v5, 0
	s_waitcnt lgkmcnt(0)
	s_add_u32 s0, s0, s43
	s_addc_u32 s1, s1, s2
	s_abs_i32 s46, s22
	v_cvt_f32_u32_e32 v3, s46
	v_lshlrev_b32_e32 v4, 4, v8
	v_lshl_add_u64 v[12:13], s[0:1], 0, v[4:5]
	s_sub_i32 s0, 0, s46
	v_rcp_iflag_f32_e32 v3, v3
	v_cmp_eq_u32_e32 vcc, 0, v2
	v_mul_u32_u24_e32 v9, 48, v2
	v_lshlrev_b32_e32 v4, 1, v2
	v_mul_f32_e32 v3, 0x4f7ffffe, v3
	v_cvt_u32_f32_e32 v3, v3
	v_subrev_u32_e32 v10, s33, v8
	v_mbcnt_hi_u32_b32 v16, -1, v7
	s_mov_b32 s47, s17
	v_mul_lo_u32 v2, s0, v3
	v_mul_hi_u32 v2, v3, v2
	v_add_u32_e32 v11, v3, v2
	v_lshl_add_u64 v[2:3], v[12:13], 0, v[4:5]
	s_lshl_b64 s[0:1], s[30:31], 2
	v_add_u32_e32 v13, 1, v10
	v_lshlrev_b32_e32 v10, 2, v8
	s_add_u32 s0, s28, s0
	v_lshl_or_b32 v10, v1, 6, v10
	v_and_b32_e32 v4, 60, v6
	s_addc_u32 s1, s29, s1
	v_add_u32_e32 v14, 0xd0, v10
	v_and_b32_e32 v10, 64, v16
	v_cmp_neq_f32_e64 s[2:3], s44, 0
	v_lshl_add_u64 v[4:5], s[0:1], 0, v[4:5]
	v_lshlrev_b32_e32 v12, 4, v1
	v_mov_b32_e32 v15, 0xff7fffff
	s_mov_b64 s[38:39], 0
	s_mov_b32 s48, 0xffff
	v_add_u32_e32 v17, 64, v10
	v_xor_b32_e32 v18, 2, v16
	v_xor_b32_e32 v19, 1, v16
	v_mov_b32_e32 v10, 0xff7fffff
	v_mov_b32_e32 v21, v1
	s_branch .LBB293_13
.LBB293_11:                             ;   in Loop: Header=BB293_13 Depth=1
	s_or_b64 exec, exec, s[40:41]
.LBB293_12:                             ;   in Loop: Header=BB293_13 Depth=1
	s_or_b64 exec, exec, s[8:9]
	v_add_u32_e32 v21, 2, v21
	v_cmp_le_i32_e64 s[0:1], s20, v21
	v_lshl_add_u64 v[4:5], v[4:5], 0, 8
	v_add_u32_e32 v12, 32, v12
	s_or_b64 s[38:39], s[0:1], s[38:39]
	v_add_u32_e32 v14, 0x80, v14
	s_andn2_b64 exec, exec, s[38:39]
	s_cbranch_execz .LBB293_20
.LBB293_13:                             ; =>This Inner Loop Header: Depth=1
	v_mul_hi_u32 v22, v12, s25
	s_waitcnt lgkmcnt(0)
	v_mul_lo_u32 v23, v22, s16
	v_sub_u32_e32 v23, v12, v23
	v_add_u32_e32 v24, 1, v22
	v_cmp_le_u32_e64 s[0:1], s16, v23
	s_nop 1
	v_cndmask_b32_e64 v22, v22, v24, s[0:1]
	v_subrev_u32_e32 v24, s16, v23
	v_cndmask_b32_e64 v23, v23, v24, s[0:1]
	v_add_u32_e32 v24, 1, v22
	v_cmp_le_u32_e64 s[0:1], s16, v23
	s_nop 1
	v_cndmask_b32_e64 v22, v22, v24, s[0:1]
	v_xor_b32_e32 v22, s23, v22
	v_subrev_u32_e32 v22, s23, v22
	v_add_u32_e32 v23, s36, v22
	v_sub_u32_e32 v25, 0, v23
	v_ashrrev_i32_e32 v24, 31, v23
	v_max_i32_e32 v23, v23, v25
	v_mul_hi_u32 v25, v23, v11
	v_mul_lo_u32 v25, v25, s46
	v_sub_u32_e32 v23, v23, v25
	v_subrev_u32_e32 v25, s46, v23
	v_cmp_le_u32_e64 s[0:1], s46, v23
	v_cmp_ge_i32_e64 s[8:9], s45, v22
	s_nop 0
	v_cndmask_b32_e64 v23, v23, v25, s[0:1]
	v_subrev_u32_e32 v25, s46, v23
	v_cmp_le_u32_e64 s[0:1], s46, v23
	s_nop 1
	v_cndmask_b32_e64 v23, v23, v25, s[0:1]
	v_xor_b32_e32 v23, v23, v24
	v_sub_u32_e32 v23, v23, v24
	v_cmp_ne_u32_e64 s[0:1], 0, v23
	s_and_b64 s[0:1], s[0:1], s[8:9]
	s_and_saveexec_b64 s[8:9], s[0:1]
	s_xor_b64 s[0:1], exec, s[8:9]
	s_cbranch_execz .LBB293_17
; %bb.14:                               ;   in Loop: Header=BB293_13 Depth=1
	s_and_saveexec_b64 s[8:9], vcc
; %bb.15:                               ;   in Loop: Header=BB293_13 Depth=1
	ds_write_b32 v14, v15
; %bb.16:                               ;   in Loop: Header=BB293_13 Depth=1
	s_or_b64 exec, exec, s[8:9]
.LBB293_17:                             ;   in Loop: Header=BB293_13 Depth=1
	s_andn2_saveexec_b64 s[8:9], s[0:1]
	s_cbranch_execz .LBB293_12
; %bb.18:                               ;   in Loop: Header=BB293_13 Depth=1
	global_load_dword v22, v[4:5], off
	s_waitcnt vmcnt(0)
	v_mad_i64_i32 v[22:23], s[0:1], v22, s47, v[2:3]
	global_load_ushort v47, v[22:23], off
	global_load_ushort v56, v[22:23], off offset:8
	global_load_ushort v57, v[22:23], off offset:256
	global_load_ushort v58, v[22:23], off offset:264
	global_load_ushort v59, v[22:23], off offset:512
	global_load_ushort v60, v[22:23], off offset:520
	global_load_ushort v61, v[22:23], off offset:768
	global_load_ushort v62, v[22:23], off offset:776
	global_load_ushort v63, v[22:23], off offset:1024
	global_load_ushort v64, v[22:23], off offset:1032
	global_load_ushort v65, v[22:23], off offset:1280
	global_load_ushort v66, v[22:23], off offset:1288
	ds_read_b128 v[38:41], v9
	ds_read_b128 v[48:51], v9 offset:16
	ds_read_b128 v[52:55], v9 offset:32
	s_load_dword s40, s[12:13], 0x0
	v_cmp_lt_i32_e64 s[0:1], v18, v17
	s_waitcnt lgkmcnt(0)
	v_lshlrev_b32_e32 v36, 16, v40
	v_lshlrev_b32_e32 v34, 16, v41
	;; [unrolled: 1-line block ×4, first 2 shown]
	v_and_b32_e32 v45, 0xffff0000, v40
	v_and_b32_e32 v43, 0xffff0000, v41
	;; [unrolled: 1-line block ×4, first 2 shown]
	v_lshlrev_b32_e32 v32, 16, v48
	v_and_b32_e32 v42, 0xffff0000, v48
	v_lshlrev_b32_e32 v35, 16, v38
	v_lshlrev_b32_e32 v37, 16, v39
	;; [unrolled: 1-line block ×4, first 2 shown]
	v_and_b32_e32 v44, 0xffff0000, v38
	v_and_b32_e32 v46, 0xffff0000, v39
	;; [unrolled: 1-line block ×4, first 2 shown]
	v_lshlrev_b32_e32 v25, 16, v53
	v_lshlrev_b32_e32 v24, 16, v54
	v_and_b32_e32 v33, 0xffff0000, v53
	v_and_b32_e32 v28, 0xffff0000, v54
	v_lshlrev_b32_e32 v23, 16, v55
	v_and_b32_e32 v26, 0xffff0000, v55
	v_cndmask_b32_e64 v22, v16, v18, s[0:1]
	v_lshlrev_b32_e32 v22, 2, v22
	s_waitcnt vmcnt(11)
	v_and_b32_sdwa v48, s48, v47 dst_sel:DWORD dst_unused:UNUSED_PAD src0_sel:DWORD src1_sel:BYTE_0
	s_waitcnt vmcnt(10)
	v_and_b32_sdwa v49, s48, v56 dst_sel:DWORD dst_unused:UNUSED_PAD src0_sel:DWORD src1_sel:BYTE_0
	v_lshrrev_b16_e32 v50, 8, v56
	v_lshrrev_b16_e32 v47, 8, v47
	v_cvt_f32_fp8_e32 v49, v49
	v_cvt_f32_fp8_e32 v50, v50
	s_waitcnt vmcnt(9)
	v_and_b32_sdwa v51, s48, v57 dst_sel:DWORD dst_unused:UNUSED_PAD src0_sel:DWORD src1_sel:BYTE_0
	v_lshrrev_b16_e32 v52, 8, v57
	v_cvt_f32_fp8_e32 v48, v48
	v_cvt_f32_fp8_e32 v47, v47
	s_waitcnt vmcnt(8)
	v_and_b32_sdwa v53, s48, v58 dst_sel:DWORD dst_unused:UNUSED_PAD src0_sel:DWORD src1_sel:BYTE_0
	;; [unrolled: 5-line block ×4, first 2 shown]
	v_lshrrev_b16_e32 v58, 8, v60
	v_cvt_f32_fp8_e32 v55, v55
	v_cvt_f32_fp8_e32 v56, v56
	v_mul_f32_e32 v49, s40, v49
	v_mul_f32_e32 v50, s40, v50
	s_waitcnt vmcnt(5)
	v_and_b32_sdwa v59, s48, v61 dst_sel:DWORD dst_unused:UNUSED_PAD src0_sel:DWORD src1_sel:BYTE_0
	v_lshrrev_b16_e32 v60, 8, v61
	v_cvt_f32_fp8_e32 v57, v57
	v_cvt_f32_fp8_e32 v58, v58
	v_mul_f32_e32 v48, s40, v48
	v_mul_f32_e32 v47, s40, v47
	v_cvt_pk_bf16_f32 v49, v49, s0
	v_cvt_pk_bf16_f32 v50, v50, s0
	s_waitcnt vmcnt(4)
	v_and_b32_sdwa v61, s48, v62 dst_sel:DWORD dst_unused:UNUSED_PAD src0_sel:DWORD src1_sel:BYTE_0
	v_lshrrev_b16_e32 v62, 8, v62
	v_cvt_f32_fp8_e32 v59, v59
	v_cvt_f32_fp8_e32 v60, v60
	v_mul_f32_e32 v51, s40, v51
	v_mul_f32_e32 v52, s40, v52
	v_cvt_pk_bf16_f32 v48, v48, s0
	v_cvt_pk_bf16_f32 v47, v47, s0
	v_lshlrev_b32_e32 v49, 16, v49
	v_lshlrev_b32_e32 v50, 16, v50
	s_waitcnt vmcnt(3)
	v_and_b32_sdwa v67, s48, v63 dst_sel:DWORD dst_unused:UNUSED_PAD src0_sel:DWORD src1_sel:BYTE_0
	v_lshrrev_b16_e32 v63, 8, v63
	v_cvt_f32_fp8_e32 v61, v61
	v_cvt_f32_fp8_e32 v62, v62
	v_mul_f32_e32 v53, s40, v53
	v_mul_f32_e32 v54, s40, v54
	v_cvt_pk_bf16_f32 v51, v51, s0
	v_cvt_pk_bf16_f32 v52, v52, s0
	v_lshlrev_b32_e32 v48, 16, v48
	v_lshlrev_b32_e32 v47, 16, v47
	v_mul_f32_e32 v37, v37, v49
	v_mul_f32_e32 v46, v46, v50
	s_waitcnt vmcnt(2)
	v_and_b32_sdwa v68, s48, v64 dst_sel:DWORD dst_unused:UNUSED_PAD src0_sel:DWORD src1_sel:BYTE_0
	v_lshrrev_b16_e32 v64, 8, v64
	v_cvt_f32_fp8_e32 v67, v67
	v_cvt_f32_fp8_e32 v63, v63
	v_mul_f32_e32 v55, s40, v55
	v_mul_f32_e32 v56, s40, v56
	v_cvt_pk_bf16_f32 v53, v53, s0
	v_cvt_pk_bf16_f32 v54, v54, s0
	v_lshlrev_b32_e32 v51, 16, v51
	v_lshlrev_b32_e32 v52, 16, v52
	v_fmac_f32_e32 v37, v35, v48
	v_fmac_f32_e32 v46, v44, v47
	s_waitcnt vmcnt(1)
	v_and_b32_sdwa v69, s48, v65 dst_sel:DWORD dst_unused:UNUSED_PAD src0_sel:DWORD src1_sel:BYTE_0
	v_lshrrev_b16_e32 v65, 8, v65
	v_cvt_f32_fp8_e32 v68, v68
	v_cvt_f32_fp8_e32 v64, v64
	v_mul_f32_e32 v57, s40, v57
	v_mul_f32_e32 v58, s40, v58
	v_cvt_pk_bf16_f32 v55, v55, s0
	v_cvt_pk_bf16_f32 v56, v56, s0
	v_lshlrev_b32_e32 v53, 16, v53
	v_lshlrev_b32_e32 v54, 16, v54
	v_fmac_f32_e32 v37, v36, v51
	v_fmac_f32_e32 v46, v45, v52
	;; [unrolled: 13-line block ×3, first 2 shown]
	v_cvt_f32_fp8_e32 v70, v70
	v_cvt_f32_fp8_e32 v66, v66
	v_mul_f32_e32 v61, s40, v61
	v_mul_f32_e32 v62, s40, v62
	v_cvt_pk_bf16_f32 v59, v59, s0
	v_cvt_pk_bf16_f32 v60, v60, s0
	v_lshlrev_b32_e32 v57, 16, v57
	v_lshlrev_b32_e32 v58, 16, v58
	v_fmac_f32_e32 v37, v32, v55
	v_fmac_f32_e32 v46, v42, v56
	v_mul_f32_e32 v67, s40, v67
	v_mul_f32_e32 v63, s40, v63
	v_cvt_pk_bf16_f32 v61, v61, s0
	v_cvt_pk_bf16_f32 v62, v62, s0
	v_lshlrev_b32_e32 v59, 16, v59
	v_lshlrev_b32_e32 v60, 16, v60
	v_fmac_f32_e32 v37, v31, v57
	v_fmac_f32_e32 v46, v41, v58
	;; [unrolled: 8-line block ×4, first 2 shown]
	v_mul_f32_e32 v70, s40, v70
	v_mul_f32_e32 v66, s40, v66
	v_cvt_pk_bf16_f32 v69, v69, s0
	v_cvt_pk_bf16_f32 v65, v65, s0
	v_fmac_f32_e32 v37, v27, v67
	v_fmac_f32_e32 v46, v38, v63
	v_lshlrev_b32_e32 v27, 16, v68
	v_lshlrev_b32_e32 v29, 16, v64
	v_cvt_pk_bf16_f32 v70, v70, s0
	v_cvt_pk_bf16_f32 v66, v66, s0
	v_fmac_f32_e32 v37, v25, v27
	v_fmac_f32_e32 v46, v33, v29
	v_lshlrev_b32_e32 v25, 16, v69
	v_lshlrev_b32_e32 v27, 16, v65
	v_fmac_f32_e32 v37, v24, v25
	v_fmac_f32_e32 v46, v28, v27
	v_lshlrev_b32_e32 v24, 16, v70
	v_lshlrev_b32_e32 v25, 16, v66
	v_fmac_f32_e32 v37, v23, v24
	v_fmac_f32_e32 v46, v26, v25
	v_add_f32_e32 v23, v37, v46
	ds_bpermute_b32 v22, v22, v23
	v_cmp_lt_i32_e64 s[0:1], v19, v17
	s_waitcnt lgkmcnt(0)
	v_add_f32_e32 v22, v23, v22
	v_cndmask_b32_e64 v24, v16, v19, s[0:1]
	v_lshlrev_b32_e32 v24, 2, v24
	ds_bpermute_b32 v23, v24, v22
	s_and_saveexec_b64 s[40:41], vcc
	s_cbranch_execz .LBB293_11
; %bb.19:                               ;   in Loop: Header=BB293_13 Depth=1
	v_add_u32_e32 v24, v13, v12
	v_cvt_f32_i32_e32 v24, v24
	s_waitcnt lgkmcnt(0)
	v_add_f32_e32 v22, v22, v23
	v_add_u32_e32 v25, v8, v12
	v_cmp_gt_i32_e64 s[0:1], s33, v25
	v_mul_f32_e32 v23, s44, v24
	v_cndmask_b32_e64 v23, 0, v23, s[2:3]
	v_fmac_f32_e32 v23, s37, v22
	v_cndmask_b32_e64 v22, 0, v23, s[0:1]
	ds_write_b32 v14, v22
	v_max_f32_e32 v22, v10, v10
	v_max_f32_e32 v22, v22, v23
	v_cndmask_b32_e64 v10, v10, v22, s[0:1]
	s_branch .LBB293_11
.LBB293_20:
	s_or_b64 exec, exec, s[38:39]
.LBB293_21:
	s_or_b64 exec, exec, s[18:19]
	v_mbcnt_hi_u32_b32 v2, -1, v7
	v_and_b32_e32 v11, 64, v2
	v_add_u32_e32 v3, 64, v11
	v_xor_b32_e32 v4, 32, v2
	v_cmp_lt_i32_e32 vcc, v4, v3
	v_xor_b32_e32 v8, 16, v2
	v_max_f32_e32 v7, v10, v10
	v_cndmask_b32_e32 v4, v2, v4, vcc
	v_lshlrev_b32_e32 v4, 2, v4
	ds_bpermute_b32 v5, v4, v10
	v_cmp_lt_i32_e32 vcc, v8, v3
	v_xor_b32_e32 v9, 8, v2
	v_xor_b32_e32 v10, 4, v2
	v_and_b32_e32 v21, 63, v0
	s_waitcnt lgkmcnt(0)
	v_max_f32_e32 v5, v5, v5
	v_max_f32_e32 v7, v7, v5
	v_cndmask_b32_e32 v5, v2, v8, vcc
	v_lshlrev_b32_e32 v5, 2, v5
	ds_bpermute_b32 v8, v5, v7
	v_cmp_lt_i32_e32 vcc, v9, v3
	s_waitcnt lgkmcnt(0)
	v_max_f32_e32 v8, v8, v8
	v_max_f32_e32 v7, v7, v8
	v_cndmask_b32_e32 v8, v2, v9, vcc
	v_lshlrev_b32_e32 v9, 2, v8
	ds_bpermute_b32 v8, v9, v7
	v_cmp_lt_i32_e32 vcc, v10, v3
	s_waitcnt lgkmcnt(0)
	v_max_f32_e32 v8, v8, v8
	v_max_f32_e32 v8, v7, v8
	v_cndmask_b32_e32 v7, v2, v10, vcc
	v_lshlrev_b32_e32 v10, 2, v7
	ds_bpermute_b32 v12, v10, v8
	v_cmp_eq_u32_e32 vcc, 0, v21
	v_lshlrev_b32_e32 v7, 2, v1
	s_and_saveexec_b64 s[0:1], vcc
	s_cbranch_execz .LBB293_23
; %bb.22:
	s_waitcnt lgkmcnt(0)
	v_max_f32_e32 v12, v12, v12
	v_max_f32_e32 v8, v8, v8
	v_max_f32_e32 v8, v8, v12
	ds_write_b32 v7, v8 offset:192
.LBB293_23:
	s_or_b64 exec, exec, s[0:1]
	v_cmp_gt_u32_e64 s[0:1], 2, v21
	s_waitcnt lgkmcnt(0)
	v_mov_b32_e32 v12, 0xff7fffff
	v_lshlrev_b32_e32 v8, 2, v21
	s_barrier
	s_and_saveexec_b64 s[2:3], s[0:1]
; %bb.24:
	ds_read_b32 v12, v8 offset:192
; %bb.25:
	s_or_b64 exec, exec, s[2:3]
	v_xor_b32_e32 v13, 1, v2
	v_cmp_lt_i32_e64 s[2:3], v13, v3
	v_lshlrev_b32_e32 v11, 2, v11
	s_nop 0
	v_cndmask_b32_e64 v13, v2, v13, s[2:3]
	v_lshlrev_b32_e32 v22, 2, v13
	s_waitcnt lgkmcnt(0)
	ds_bpermute_b32 v13, v22, v12
	v_max_f32_e32 v12, v12, v12
	s_lshl_b32 s2, s20, 4
	s_min_i32 s37, s2, s33
	v_cmp_gt_i32_e64 s[2:3], s37, v0
	s_waitcnt lgkmcnt(0)
	v_max_f32_e32 v13, v13, v13
	v_max_f32_e32 v12, v12, v13
	ds_bpermute_b32 v12, v11, v12
	v_mov_b32_e32 v11, 0
	s_and_saveexec_b64 s[12:13], s[2:3]
	s_cbranch_execz .LBB293_29
; %bb.26:
	v_mov_b32_e32 v11, 0xd0
	v_lshl_add_u32 v13, v0, 2, v11
	v_mov_b32_e32 v11, 0
	s_mov_b64 s[18:19], 0
	v_mov_b32_e32 v14, v0
.LBB293_27:                             ; =>This Inner Loop Header: Depth=1
	ds_read_b32 v15, v13
	v_add_u32_e32 v14, 0x80, v14
	v_cmp_le_i32_e64 s[8:9], s37, v14
	s_or_b64 s[18:19], s[8:9], s[18:19]
	s_waitcnt lgkmcnt(0)
	v_sub_f32_e32 v15, v15, v12
	v_mul_f32_e32 v15, 0x3fb8aa3b, v15
	v_exp_f32_e32 v15, v15
	ds_write_b32 v13, v15
	v_add_f32_e32 v11, v11, v15
	v_add_u32_e32 v13, 0x200, v13
	s_andn2_b64 exec, exec, s[18:19]
	s_cbranch_execnz .LBB293_27
; %bb.28:
	s_or_b64 exec, exec, s[18:19]
.LBB293_29:
	s_or_b64 exec, exec, s[12:13]
	ds_bpermute_b32 v4, v4, v11
	s_waitcnt lgkmcnt(0)
	v_add_f32_e32 v4, v11, v4
	ds_bpermute_b32 v5, v5, v4
	s_waitcnt lgkmcnt(0)
	v_add_f32_e32 v4, v4, v5
	ds_bpermute_b32 v5, v9, v4
	v_xor_b32_e32 v9, 2, v2
	v_cmp_lt_i32_e64 s[8:9], v9, v3
	s_waitcnt lgkmcnt(0)
	v_add_f32_e32 v4, v4, v5
	ds_bpermute_b32 v5, v10, v4
	v_cndmask_b32_e64 v3, v2, v9, s[8:9]
	v_lshlrev_b32_e32 v3, 2, v3
	s_waitcnt lgkmcnt(0)
	v_add_f32_e32 v4, v4, v5
	ds_bpermute_b32 v3, v3, v4
	s_waitcnt lgkmcnt(0)
	v_add_f32_e32 v3, v4, v3
	ds_bpermute_b32 v4, v22, v3
	s_waitcnt lgkmcnt(0)
	v_add_f32_e32 v3, v3, v4
	s_and_saveexec_b64 s[8:9], vcc
; %bb.30:
	ds_write_b32 v7, v3 offset:200
; %bb.31:
	s_or_b64 exec, exec, s[8:9]
	s_waitcnt lgkmcnt(0)
	s_barrier
	s_and_saveexec_b64 s[8:9], s[0:1]
; %bb.32:
	ds_read_b32 v3, v8 offset:200
; %bb.33:
	s_or_b64 exec, exec, s[8:9]
	s_waitcnt lgkmcnt(0)
	ds_bpermute_b32 v4, v22, v3
	v_lshlrev_b32_e32 v2, 2, v2
	v_and_b32_e32 v2, 0x100, v2
	s_waitcnt lgkmcnt(0)
	v_add_f32_e32 v3, v3, v4
	ds_bpermute_b32 v2, v2, v3
	s_and_saveexec_b64 s[0:1], s[2:3]
	s_cbranch_execz .LBB293_46
; %bb.34:
	s_waitcnt lgkmcnt(0)
	v_add_f32_e32 v2, 0x358637bd, v2
	v_div_scale_f32 v3, s[2:3], v2, v2, 1.0
	v_rcp_f32_e32 v4, v3
	v_div_scale_f32 v5, vcc, 1.0, v2, 1.0
	s_movk_i32 s2, 0x7f
	v_fma_f32 v7, -v3, v4, 1.0
	v_fmac_f32_e32 v4, v7, v4
	v_mul_f32_e32 v7, v5, v4
	v_fma_f32 v8, -v3, v7, v5
	v_fmac_f32_e32 v7, v8, v4
	v_fma_f32 v3, -v3, v7, v5
	v_div_fmas_f32 v3, v3, v4, v7
	v_xad_u32 v4, v0, -1, s37
	v_div_fixup_f32 v2, v3, v2, 1.0
	v_cmp_lt_u32_e32 vcc, s2, v4
	s_mov_b64 s[8:9], -1
	v_mov_b32_e32 v3, v0
	s_and_saveexec_b64 s[2:3], vcc
	s_cbranch_execz .LBB293_43
; %bb.35:
	v_lshrrev_b32_e32 v4, 7, v4
	v_add_u32_e32 v7, -1, v4
	v_lshrrev_b32_e32 v5, 1, v7
	v_mov_b32_e32 v3, v2
	v_add_u32_e32 v5, 1, v5
	v_cmp_lt_u32_e32 vcc, 13, v7
	v_mov_b32_e32 v9, 0
	s_and_saveexec_b64 s[8:9], vcc
	s_cbranch_execz .LBB293_39
; %bb.36:
	v_mov_b32_e32 v8, 0xd0
	v_and_b32_e32 v7, -8, v5
	v_lshl_add_u32 v8, v0, 2, v8
	s_mov_b32 s18, 0
	s_mov_b64 s[12:13], 0
.LBB293_37:                             ; =>This Inner Loop Header: Depth=1
	ds_read2st64_b32 v[10:11], v8 offset1:2
	ds_read2st64_b32 v[12:13], v8 offset0:4 offset1:6
	ds_read2st64_b32 v[14:15], v8 offset0:8 offset1:10
	;; [unrolled: 1-line block ×3, first 2 shown]
	v_add_u32_e32 v7, -8, v7
	s_waitcnt lgkmcnt(3)
	v_pk_mul_f32 v[10:11], v[2:3], v[10:11]
	s_waitcnt lgkmcnt(2)
	v_pk_mul_f32 v[12:13], v[2:3], v[12:13]
	ds_write2st64_b32 v8, v10, v11 offset1:2
	ds_write2st64_b32 v8, v12, v13 offset0:4 offset1:6
	ds_read2st64_b32 v[12:13], v8 offset0:16 offset1:18
	s_waitcnt lgkmcnt(4)
	v_pk_mul_f32 v[10:11], v[2:3], v[14:15]
	ds_write2st64_b32 v8, v10, v11 offset0:8 offset1:10
	s_waitcnt lgkmcnt(4)
	v_pk_mul_f32 v[10:11], v[2:3], v[16:17]
	ds_write2st64_b32 v8, v10, v11 offset0:12 offset1:14
	ds_read2st64_b32 v[10:11], v8 offset0:20 offset1:22
	s_waitcnt lgkmcnt(3)
	v_pk_mul_f32 v[12:13], v[2:3], v[12:13]
	ds_read2st64_b32 v[14:15], v8 offset0:24 offset1:26
	ds_write2st64_b32 v8, v12, v13 offset0:16 offset1:18
	ds_read2st64_b32 v[12:13], v8 offset0:28 offset1:30
	s_waitcnt lgkmcnt(3)
	v_pk_mul_f32 v[10:11], v[2:3], v[10:11]
	ds_write2st64_b32 v8, v10, v11 offset0:20 offset1:22
	s_waitcnt lgkmcnt(3)
	v_pk_mul_f32 v[10:11], v[2:3], v[14:15]
	ds_write2st64_b32 v8, v10, v11 offset0:24 offset1:26
	s_waitcnt lgkmcnt(2)
	v_pk_mul_f32 v[10:11], v[2:3], v[12:13]
	s_add_i32 s18, s18, 16
	v_cmp_eq_u32_e32 vcc, 0, v7
	ds_write2st64_b32 v8, v10, v11 offset0:28 offset1:30
	v_add_u32_e32 v8, 0x2000, v8
	s_or_b64 s[12:13], vcc, s[12:13]
	v_mov_b32_e32 v9, s18
	s_andn2_b64 exec, exec, s[12:13]
	s_cbranch_execnz .LBB293_37
; %bb.38:
	s_or_b64 exec, exec, s[12:13]
.LBB293_39:
	s_or_b64 exec, exec, s[8:9]
	v_and_b32_e32 v5, 7, v5
	v_cmp_ne_u32_e32 vcc, 0, v5
	s_and_saveexec_b64 s[8:9], vcc
	s_cbranch_execz .LBB293_42
; %bb.40:
	v_lshlrev_b32_e32 v7, 9, v9
	v_lshlrev_b32_e32 v8, 2, v0
	s_movk_i32 s12, 0xd0
	v_add3_u32 v7, v7, v8, s12
	s_mov_b64 s[12:13], 0
.LBB293_41:                             ; =>This Inner Loop Header: Depth=1
	ds_read2st64_b32 v[8:9], v7 offset1:2
	v_add_u32_e32 v5, -1, v5
	v_cmp_eq_u32_e32 vcc, 0, v5
	s_or_b64 s[12:13], vcc, s[12:13]
	s_waitcnt lgkmcnt(0)
	v_pk_mul_f32 v[8:9], v[2:3], v[8:9]
	ds_write2st64_b32 v7, v8, v9 offset1:2
	v_add_u32_e32 v7, 0x400, v7
	s_andn2_b64 exec, exec, s[12:13]
	s_cbranch_execnz .LBB293_41
.LBB293_42:
	s_or_b64 exec, exec, s[8:9]
	v_add_u32_e32 v4, 1, v4
	v_and_b32_e32 v5, 0x3fffffe, v4
	v_cmp_ne_u32_e32 vcc, v4, v5
	v_lshl_add_u32 v3, v5, 7, v0
	s_orn2_b64 s[8:9], vcc, exec
.LBB293_43:
	s_or_b64 exec, exec, s[2:3]
	s_and_b64 exec, exec, s[8:9]
	s_cbranch_execz .LBB293_46
; %bb.44:
	v_mov_b32_e32 v4, 0xd0
	v_lshl_add_u32 v4, v3, 2, v4
	s_mov_b64 s[2:3], 0
.LBB293_45:                             ; =>This Inner Loop Header: Depth=1
	ds_read_b32 v5, v4
	v_add_u32_e32 v3, 0x80, v3
	v_cmp_le_i32_e32 vcc, s37, v3
	s_or_b64 s[2:3], vcc, s[2:3]
	s_waitcnt lgkmcnt(0)
	v_mul_f32_e32 v5, v2, v5
	ds_write_b32 v4, v5
	v_add_u32_e32 v4, 0x200, v4
	s_andn2_b64 exec, exec, s[2:3]
	s_cbranch_execnz .LBB293_45
.LBB293_46:
	s_or_b64 exec, exec, s[0:1]
	v_mov_b32_e32 v13, 0
	v_and_b32_e32 v23, 1, v0
	v_mov_b32_e32 v12, 0
	v_mov_b32_e32 v11, 0
	s_waitcnt lgkmcnt(0)
	s_barrier
	s_and_saveexec_b64 s[2:3], s[6:7]
	s_cbranch_execz .LBB293_58
; %bb.47:
	s_sub_i32 s18, s42, s21
	s_ashr_i32 s1, s43, 31
	s_add_u32 s0, s34, s43
	s_addc_u32 s1, s35, s1
	s_abs_i32 s19, s22
	v_cvt_f32_u32_e32 v2, s19
	v_lshlrev_b32_e32 v3, 3, v0
	v_and_b32_e32 v10, 0x1f8, v3
	v_mov_b32_e32 v11, 0
	v_rcp_iflag_f32_e32 v2, v2
	v_lshl_add_u64 v[14:15], s[0:1], 0, v[10:11]
	s_sub_i32 s0, 0, s19
	v_and_b32_e32 v24, 8, v3
	v_mul_f32_e32 v2, 0x4f7ffffe, v2
	v_cvt_u32_f32_e32 v2, v2
	s_add_i32 s21, s20, -1
	v_and_b32_e32 v10, 60, v6
	s_mov_b64 s[6:7], 0
	v_mul_lo_u32 v3, s0, v2
	v_mul_hi_u32 v3, v2, v3
	s_lshl_b64 s[0:1], s[30:31], 2
	v_add_u32_e32 v25, v2, v3
	s_add_u32 s0, s28, s0
	v_lshlrev_b32_e32 v2, 5, v23
	s_addc_u32 s1, s29, s1
	v_lshl_or_b32 v2, v1, 6, v2
	v_lshl_add_u64 v[16:17], s[0:1], 0, v[10:11]
	v_add_u32_e32 v10, 0xd0, v2
	v_mov_b32_e32 v12, v11
	v_mov_b32_e32 v13, v11
	s_branch .LBB293_50
.LBB293_48:                             ;   in Loop: Header=BB293_50 Depth=1
	s_or_b64 exec, exec, s[0:1]
	v_cvt_pk_bf16_f32 v6, v6, s0
	v_cvt_pk_bf16_f32 v7, v7, s0
	;; [unrolled: 1-line block ×6, first 2 shown]
	v_lshlrev_b32_e32 v7, 16, v7
	v_lshlrev_b32_e32 v6, 16, v6
	v_lshlrev_b32_e32 v9, 16, v9
	v_lshlrev_b32_e32 v8, 16, v8
	v_lshlrev_b32_e32 v33, 16, v33
	v_lshlrev_b32_e32 v32, 16, v32
	v_lshlrev_b32_e32 v31, 16, v31
	v_lshlrev_b32_e32 v30, 16, v30
	v_cvt_pk_bf16_f32 v4, v4, s0
	v_cvt_pk_bf16_f32 v5, v5, s0
	v_lshlrev_b32_e32 v3, 16, v3
	v_lshlrev_b32_e32 v2, 16, v2
	v_mul_f32_e32 v33, v7, v33
	v_mul_f32_e32 v32, v6, v32
	;; [unrolled: 1-line block ×4, first 2 shown]
	v_lshlrev_b32_e32 v29, 16, v29
	v_lshlrev_b32_e32 v28, 16, v28
	;; [unrolled: 1-line block ×4, first 2 shown]
	v_cvt_pk_bf16_f32 v33, v33, s0
	v_cvt_pk_bf16_f32 v32, v32, s0
	;; [unrolled: 1-line block ×4, first 2 shown]
	v_mul_f32_e32 v29, v3, v29
	v_mul_f32_e32 v28, v2, v28
	v_lshlrev_b32_e32 v27, 16, v27
	v_lshlrev_b32_e32 v26, 16, v26
	v_cvt_pk_bf16_f32 v29, v29, s0
	v_cvt_pk_bf16_f32 v28, v28, s0
	v_mul_f32_e32 v27, v5, v27
	v_mul_f32_e32 v26, v4, v26
	v_lshlrev_b32_e32 v32, 16, v32
	v_lshlrev_b32_e32 v33, 16, v33
	;; [unrolled: 1-line block ×4, first 2 shown]
	v_cvt_pk_bf16_f32 v27, v27, s0
	v_cvt_pk_bf16_f32 v26, v26, s0
	v_add_f32_e32 v32, v32, v33
	v_add_f32_e32 v30, v30, v31
	v_lshlrev_b32_e32 v28, 16, v28
	v_lshlrev_b32_e32 v29, 16, v29
	v_add_f32_e32 v30, v30, v32
	v_add_f32_e32 v28, v28, v29
	v_lshlrev_b32_e32 v26, 16, v26
	v_lshlrev_b32_e32 v27, 16, v27
	v_add_f32_e32 v28, v28, v30
	v_add_f32_e32 v26, v26, v27
	;; [unrolled: 1-line block ×3, first 2 shown]
	v_lshlrev_b32_e32 v34, 16, v49
	v_add_f32_e32 v12, v12, v26
	v_lshlrev_b32_e32 v26, 16, v55
	v_mul_f32_e32 v34, v7, v34
	v_lshlrev_b32_e32 v35, 16, v48
	v_mul_f32_e32 v7, v7, v26
	;; [unrolled: 2-line block ×3, first 2 shown]
	v_lshlrev_b32_e32 v36, 16, v47
	v_lshlrev_b32_e32 v37, 16, v46
	v_mul_f32_e32 v6, v6, v26
	v_lshlrev_b32_e32 v26, 16, v53
	v_cvt_pk_bf16_f32 v34, v34, s0
	v_cvt_pk_bf16_f32 v35, v35, s0
	v_mul_f32_e32 v36, v9, v36
	v_mul_f32_e32 v37, v8, v37
	;; [unrolled: 1-line block ×3, first 2 shown]
	v_lshlrev_b32_e32 v26, 16, v52
	v_cvt_pk_bf16_f32 v36, v36, s0
	v_cvt_pk_bf16_f32 v37, v37, s0
	v_lshlrev_b32_e32 v38, 16, v45
	v_lshlrev_b32_e32 v39, 16, v44
	;; [unrolled: 1-line block ×4, first 2 shown]
	v_mul_f32_e32 v8, v8, v26
	v_lshlrev_b32_e32 v26, 16, v51
	v_mul_f32_e32 v38, v3, v38
	v_mul_f32_e32 v39, v2, v39
	v_add_f32_e32 v34, v35, v34
	v_lshlrev_b32_e32 v35, 16, v37
	v_lshlrev_b32_e32 v36, 16, v36
	v_mul_f32_e32 v3, v3, v26
	v_lshlrev_b32_e32 v26, 16, v50
	v_cvt_pk_bf16_f32 v38, v38, s0
	v_cvt_pk_bf16_f32 v39, v39, s0
	v_lshlrev_b32_e32 v40, 16, v43
	v_lshlrev_b32_e32 v41, 16, v42
	v_add_f32_e32 v35, v35, v36
	v_cvt_pk_bf16_f32 v7, v7, s0
	v_cvt_pk_bf16_f32 v6, v6, s0
	;; [unrolled: 1-line block ×4, first 2 shown]
	v_mul_f32_e32 v2, v2, v26
	v_lshlrev_b32_e32 v19, 16, v19
	v_lshlrev_b32_e32 v18, 16, v18
	v_mul_f32_e32 v40, v5, v40
	v_mul_f32_e32 v41, v4, v41
	v_add_f32_e32 v34, v35, v34
	v_lshlrev_b32_e32 v35, 16, v39
	v_lshlrev_b32_e32 v36, 16, v38
	v_cvt_pk_bf16_f32 v3, v3, s0
	v_cvt_pk_bf16_f32 v2, v2, s0
	v_mul_f32_e32 v5, v5, v19
	v_mul_f32_e32 v4, v4, v18
	v_lshlrev_b32_e32 v6, 16, v6
	v_lshlrev_b32_e32 v7, 16, v7
	;; [unrolled: 1-line block ×4, first 2 shown]
	v_cvt_pk_bf16_f32 v40, v40, s0
	v_cvt_pk_bf16_f32 v41, v41, s0
	v_add_f32_e32 v35, v35, v36
	v_cvt_pk_bf16_f32 v5, v5, s0
	v_cvt_pk_bf16_f32 v4, v4, s0
	v_lshlrev_b32_e32 v2, 16, v2
	v_lshlrev_b32_e32 v3, 16, v3
	v_add_f32_e32 v6, v7, v6
	v_add_f32_e32 v7, v9, v8
	;; [unrolled: 1-line block ×3, first 2 shown]
	v_lshlrev_b32_e32 v35, 16, v41
	v_lshlrev_b32_e32 v36, 16, v40
	;; [unrolled: 1-line block ×4, first 2 shown]
	v_add_f32_e32 v6, v7, v6
	v_add_f32_e32 v2, v3, v2
	;; [unrolled: 1-line block ×9, first 2 shown]
.LBB293_49:                             ;   in Loop: Header=BB293_50 Depth=1
	s_or_b64 exec, exec, s[8:9]
	v_add_u32_e32 v1, 2, v1
	v_cmp_le_i32_e32 vcc, s20, v1
	v_lshl_add_u64 v[16:17], v[16:17], 0, 8
	v_add_u32_e32 v20, 32, v20
	s_or_b64 s[6:7], vcc, s[6:7]
	v_add_u32_e32 v10, 0x80, v10
	s_andn2_b64 exec, exec, s[6:7]
	s_cbranch_execz .LBB293_57
.LBB293_50:                             ; =>This Inner Loop Header: Depth=1
	v_mul_hi_u32 v2, v20, s25
	v_mul_lo_u32 v3, v2, s16
	v_sub_u32_e32 v3, v20, v3
	v_add_u32_e32 v4, 1, v2
	v_cmp_le_u32_e32 vcc, s16, v3
	s_nop 1
	v_cndmask_b32_e32 v2, v2, v4, vcc
	v_subrev_u32_e32 v4, s16, v3
	v_cndmask_b32_e32 v3, v3, v4, vcc
	v_add_u32_e32 v4, 1, v2
	v_cmp_le_u32_e32 vcc, s16, v3
	s_nop 1
	v_cndmask_b32_e32 v2, v2, v4, vcc
	v_xor_b32_e32 v2, s23, v2
	v_subrev_u32_e32 v2, s23, v2
	v_add_u32_e32 v3, s36, v2
	v_sub_u32_e32 v5, 0, v3
	v_ashrrev_i32_e32 v4, 31, v3
	v_max_i32_e32 v3, v3, v5
	v_mul_hi_u32 v5, v3, v25
	v_mul_lo_u32 v5, v5, s19
	v_sub_u32_e32 v3, v3, v5
	v_subrev_u32_e32 v5, s19, v3
	v_cmp_le_u32_e32 vcc, s19, v3
	v_cmp_lt_i32_e64 s[0:1], s18, v2
	s_nop 0
	v_cndmask_b32_e32 v3, v3, v5, vcc
	v_subrev_u32_e32 v5, s19, v3
	v_cmp_le_u32_e32 vcc, s19, v3
	s_nop 1
	v_cndmask_b32_e32 v3, v3, v5, vcc
	v_xor_b32_e32 v3, v3, v4
	v_sub_u32_e32 v3, v3, v4
	v_cmp_eq_u32_e32 vcc, 0, v3
	s_or_b64 s[0:1], vcc, s[0:1]
	s_and_saveexec_b64 s[8:9], s[0:1]
	s_cbranch_execz .LBB293_49
; %bb.51:                               ;   in Loop: Header=BB293_50 Depth=1
	global_load_dword v2, v[16:17], off
	v_add_u32_e32 v34, v24, v20
	v_cmp_eq_u32_e32 vcc, s21, v1
	v_add_u32_e32 v40, 1, v34
	v_add_u32_e32 v39, 2, v34
	;; [unrolled: 1-line block ×6, first 2 shown]
	s_waitcnt vmcnt(0)
	v_mad_i64_i32 v[18:19], s[0:1], v2, s17, v[14:15]
	global_load_dwordx2 v[26:27], v[18:19], off
	ds_read2_b64 v[6:9], v10 offset1:1
	ds_read2_b64 v[2:5], v10 offset0:2 offset1:3
	s_load_dword s22, s[14:15], 0x0
	s_waitcnt vmcnt(0)
	v_and_b32_e32 v28, 0xff, v26
	v_bfe_u32 v29, v26, 8, 8
	v_bfe_u32 v30, v26, 16, 8
	v_lshrrev_b32_e32 v26, 24, v26
	v_and_b32_e32 v31, 0xff, v27
	v_bfe_u32 v32, v27, 8, 8
	v_bfe_u32 v33, v27, 16, 8
	v_lshrrev_b32_e32 v27, 24, v27
	v_cvt_f32_fp8_e32 v28, v28
	v_cvt_f32_fp8_e32 v29, v29
	;; [unrolled: 1-line block ×8, first 2 shown]
	s_waitcnt lgkmcnt(0)
	v_mul_f32_e32 v28, s22, v28
	v_mul_f32_e32 v29, s22, v29
	;; [unrolled: 1-line block ×8, first 2 shown]
	v_cvt_pk_bf16_f32 v32, v28, s0
	v_cvt_pk_bf16_f32 v33, v29, s0
	;; [unrolled: 1-line block ×8, first 2 shown]
	v_add_u32_e32 v41, 7, v34
	s_and_saveexec_b64 s[12:13], vcc
	s_cbranch_execz .LBB293_53
; %bb.52:                               ;   in Loop: Header=BB293_50 Depth=1
	v_cmp_gt_i32_e64 s[0:1], s33, v34
	s_nop 1
	v_cndmask_b32_e64 v32, 0, v32, s[0:1]
	v_cmp_gt_i32_e64 s[0:1], s33, v40
	s_nop 1
	v_cndmask_b32_e64 v33, 0, v33, s[0:1]
	v_cmp_gt_i32_e64 s[0:1], s33, v39
	s_nop 1
	v_cndmask_b32_e64 v30, 0, v30, s[0:1]
	v_cmp_gt_i32_e64 s[0:1], s33, v38
	s_nop 1
	v_cndmask_b32_e64 v31, 0, v31, s[0:1]
	v_cmp_gt_i32_e64 s[0:1], s33, v37
	s_nop 1
	v_cndmask_b32_e64 v28, 0, v28, s[0:1]
	v_cmp_gt_i32_e64 s[0:1], s33, v36
	s_nop 1
	v_cndmask_b32_e64 v29, 0, v29, s[0:1]
	v_cmp_gt_i32_e64 s[0:1], s33, v35
	s_nop 1
	v_cndmask_b32_e64 v26, 0, v26, s[0:1]
	v_cmp_gt_i32_e64 s[0:1], s33, v41
	s_nop 1
	v_cndmask_b32_e64 v27, 0, v27, s[0:1]
.LBB293_53:                             ;   in Loop: Header=BB293_50 Depth=1
	s_or_b64 exec, exec, s[12:13]
	global_load_dwordx2 v[42:43], v[18:19], off offset:512
	s_waitcnt vmcnt(0)
	v_and_b32_e32 v44, 0xff, v42
	v_bfe_u32 v45, v42, 8, 8
	v_bfe_u32 v46, v42, 16, 8
	v_lshrrev_b32_e32 v42, 24, v42
	v_and_b32_e32 v47, 0xff, v43
	v_bfe_u32 v48, v43, 8, 8
	v_bfe_u32 v49, v43, 16, 8
	v_lshrrev_b32_e32 v43, 24, v43
	v_cvt_f32_fp8_e32 v44, v44
	v_cvt_f32_fp8_e32 v45, v45
	;; [unrolled: 1-line block ×8, first 2 shown]
	v_mul_f32_e32 v44, s22, v44
	v_mul_f32_e32 v45, s22, v45
	v_mul_f32_e32 v46, s22, v46
	v_mul_f32_e32 v42, s22, v42
	v_mul_f32_e32 v50, s22, v47
	v_mul_f32_e32 v51, s22, v48
	v_mul_f32_e32 v52, s22, v49
	v_mul_f32_e32 v43, s22, v43
	v_cvt_pk_bf16_f32 v48, v44, s0
	v_cvt_pk_bf16_f32 v49, v45, s0
	;; [unrolled: 1-line block ×8, first 2 shown]
	s_and_saveexec_b64 s[12:13], vcc
	s_cbranch_execz .LBB293_55
; %bb.54:                               ;   in Loop: Header=BB293_50 Depth=1
	v_cmp_gt_i32_e64 s[0:1], s33, v34
	s_nop 1
	v_cndmask_b32_e64 v48, 0, v48, s[0:1]
	v_cmp_gt_i32_e64 s[0:1], s33, v40
	s_nop 1
	v_cndmask_b32_e64 v49, 0, v49, s[0:1]
	;; [unrolled: 3-line block ×8, first 2 shown]
.LBB293_55:                             ;   in Loop: Header=BB293_50 Depth=1
	s_or_b64 exec, exec, s[12:13]
	global_load_dwordx2 v[18:19], v[18:19], off offset:1024
	s_waitcnt vmcnt(0)
	v_and_b32_e32 v50, 0xff, v18
	v_bfe_u32 v51, v18, 8, 8
	v_bfe_u32 v52, v18, 16, 8
	v_lshrrev_b32_e32 v18, 24, v18
	v_and_b32_e32 v53, 0xff, v19
	v_bfe_u32 v54, v19, 8, 8
	v_bfe_u32 v55, v19, 16, 8
	v_lshrrev_b32_e32 v19, 24, v19
	v_cvt_f32_fp8_e32 v50, v50
	v_cvt_f32_fp8_e32 v51, v51
	;; [unrolled: 1-line block ×8, first 2 shown]
	v_mul_f32_e32 v50, s22, v50
	v_mul_f32_e32 v51, s22, v51
	;; [unrolled: 1-line block ×8, first 2 shown]
	v_cvt_pk_bf16_f32 v54, v50, s0
	v_cvt_pk_bf16_f32 v55, v51, s0
	;; [unrolled: 1-line block ×8, first 2 shown]
	s_and_saveexec_b64 s[0:1], vcc
	s_cbranch_execz .LBB293_48
; %bb.56:                               ;   in Loop: Header=BB293_50 Depth=1
	v_cmp_gt_i32_e32 vcc, s33, v34
	s_nop 1
	v_cndmask_b32_e32 v54, 0, v54, vcc
	v_cmp_gt_i32_e32 vcc, s33, v40
	s_nop 1
	v_cndmask_b32_e32 v55, 0, v55, vcc
	;; [unrolled: 3-line block ×8, first 2 shown]
	s_branch .LBB293_48
.LBB293_57:
	s_or_b64 exec, exec, s[6:7]
.LBB293_58:
	s_or_b64 exec, exec, s[2:3]
	ds_bpermute_b32 v2, v22, v12
	ds_bpermute_b32 v3, v22, v13
	;; [unrolled: 1-line block ×3, first 2 shown]
	v_and_b32_e32 v4, 0x3c1, v0
	v_cmp_ne_u32_e32 vcc, 64, v4
	s_waitcnt lgkmcnt(0)
	v_pk_add_f32 v[2:3], v[12:13], v[2:3]
	s_barrier
	s_and_saveexec_b64 s[0:1], vcc
	s_xor_b64 s[0:1], exec, s[0:1]
; %bb.59:
                                        ; implicit-def: $vgpr21
; %bb.60:
	s_or_saveexec_b64 s[0:1], s[0:1]
	v_add_f32_e32 v1, v11, v1
	s_xor_b64 exec, exec, s[0:1]
	s_cbranch_execz .LBB293_62
; %bb.61:
	v_mov_b32_e32 v5, 0xd0
	v_lshl_add_u32 v5, v21, 1, v5
	ds_write2_b32 v5, v2, v3 offset1:32
	ds_write_b32 v5, v1 offset:256
.LBB293_62:
	s_or_b64 exec, exec, s[0:1]
	v_cmp_gt_u32_e32 vcc, 64, v0
	v_lshrrev_b32_e32 v0, 1, v0
	s_waitcnt lgkmcnt(0)
	s_barrier
	s_and_saveexec_b64 s[0:1], vcc
	s_cbranch_execz .LBB293_68
; %bb.63:
	v_mov_b32_e32 v5, 0xd0
	v_cmp_eq_u32_e32 vcc, 0, v23
	v_lshl_add_u32 v5, v0, 2, v5
	s_and_saveexec_b64 s[2:3], vcc
	s_cbranch_execnz .LBB293_71
; %bb.64:
	s_or_b64 exec, exec, s[2:3]
	s_and_saveexec_b64 s[2:3], vcc
	s_cbranch_execnz .LBB293_72
.LBB293_65:
	s_or_b64 exec, exec, s[2:3]
	s_and_saveexec_b64 s[2:3], vcc
	s_cbranch_execz .LBB293_67
.LBB293_66:
	ds_read_b32 v5, v5 offset:256
	s_waitcnt lgkmcnt(0)
	v_add_f32_e32 v1, v1, v5
.LBB293_67:
	s_or_b64 exec, exec, s[2:3]
.LBB293_68:
	s_or_b64 exec, exec, s[0:1]
	v_cmp_eq_u32_e32 vcc, 0, v4
	s_barrier
	s_and_saveexec_b64 s[0:1], vcc
	s_cbranch_execz .LBB293_70
; %bb.69:
	s_mul_i32 s0, s10, s11
	s_mul_i32 s0, s0, s5
	s_mulk_i32 s0, 0x60
	s_ashr_i32 s1, s0, 31
	s_lshl_b64 s[0:1], s[0:1], 1
	s_add_u32 s2, s26, s0
	s_mul_i32 s0, s11, s24
	s_addc_u32 s3, s27, s1
	s_ashr_i32 s1, s0, 31
	s_lshl_b64 s[0:1], s[0:1], 1
	s_add_u32 s2, s2, s0
	s_mul_i32 s0, s4, 0x60
	s_addc_u32 s3, s3, s1
	s_ashr_i32 s1, s0, 31
	s_lshl_b64 s[0:1], s[0:1], 1
	s_add_u32 s0, s2, s0
	s_addc_u32 s1, s3, s1
	v_lshlrev_b32_e32 v0, 1, v0
	v_cvt_pk_bf16_f32 v2, v2, s0
	global_store_short v0, v2, s[0:1]
	v_cvt_pk_bf16_f32 v2, v3, s0
	v_cvt_pk_bf16_f32 v1, v1, s0
	global_store_short v0, v2, s[0:1] offset:64
	global_store_short v0, v1, s[0:1] offset:128
.LBB293_70:
	s_endpgm
.LBB293_71:
	ds_read_b32 v6, v5
	s_waitcnt lgkmcnt(0)
	v_add_f32_e32 v2, v2, v6
	s_or_b64 exec, exec, s[2:3]
	s_and_saveexec_b64 s[2:3], vcc
	s_cbranch_execz .LBB293_65
.LBB293_72:
	ds_read_b32 v6, v5 offset:128
	s_waitcnt lgkmcnt(0)
	v_add_f32_e32 v3, v3, v6
	s_or_b64 exec, exec, s[2:3]
	s_and_saveexec_b64 s[2:3], vcc
	s_cbranch_execnz .LBB293_66
	s_branch .LBB293_67
	.section	.rodata,"a",@progbits
	.p2align	6, 0x0
	.amdhsa_kernel _ZN4vllm25paged_attention_v1_kernelI14__hip_bfloat16hLi96ELi16ELi128ELNS_18Fp8KVCacheDataTypeE1ELb1EEEvPT_PKS3_PKT0_S9_ifPKiSB_iPKfiiiSD_SD_iiiii
		.amdhsa_group_segment_fixed_size 208
		.amdhsa_private_segment_fixed_size 0
		.amdhsa_kernarg_size 384
		.amdhsa_user_sgpr_count 2
		.amdhsa_user_sgpr_dispatch_ptr 0
		.amdhsa_user_sgpr_queue_ptr 0
		.amdhsa_user_sgpr_kernarg_segment_ptr 1
		.amdhsa_user_sgpr_dispatch_id 0
		.amdhsa_user_sgpr_kernarg_preload_length 0
		.amdhsa_user_sgpr_kernarg_preload_offset 0
		.amdhsa_user_sgpr_private_segment_size 0
		.amdhsa_uses_dynamic_stack 0
		.amdhsa_enable_private_segment 0
		.amdhsa_system_sgpr_workgroup_id_x 1
		.amdhsa_system_sgpr_workgroup_id_y 1
		.amdhsa_system_sgpr_workgroup_id_z 1
		.amdhsa_system_sgpr_workgroup_info 0
		.amdhsa_system_vgpr_workitem_id 0
		.amdhsa_next_free_vgpr 71
		.amdhsa_next_free_sgpr 49
		.amdhsa_accum_offset 72
		.amdhsa_reserve_vcc 1
		.amdhsa_float_round_mode_32 0
		.amdhsa_float_round_mode_16_64 0
		.amdhsa_float_denorm_mode_32 3
		.amdhsa_float_denorm_mode_16_64 3
		.amdhsa_dx10_clamp 1
		.amdhsa_ieee_mode 1
		.amdhsa_fp16_overflow 0
		.amdhsa_tg_split 0
		.amdhsa_exception_fp_ieee_invalid_op 0
		.amdhsa_exception_fp_denorm_src 0
		.amdhsa_exception_fp_ieee_div_zero 0
		.amdhsa_exception_fp_ieee_overflow 0
		.amdhsa_exception_fp_ieee_underflow 0
		.amdhsa_exception_fp_ieee_inexact 0
		.amdhsa_exception_int_div_zero 0
	.end_amdhsa_kernel
	.section	.text._ZN4vllm25paged_attention_v1_kernelI14__hip_bfloat16hLi96ELi16ELi128ELNS_18Fp8KVCacheDataTypeE1ELb1EEEvPT_PKS3_PKT0_S9_ifPKiSB_iPKfiiiSD_SD_iiiii,"axG",@progbits,_ZN4vllm25paged_attention_v1_kernelI14__hip_bfloat16hLi96ELi16ELi128ELNS_18Fp8KVCacheDataTypeE1ELb1EEEvPT_PKS3_PKT0_S9_ifPKiSB_iPKfiiiSD_SD_iiiii,comdat
.Lfunc_end293:
	.size	_ZN4vllm25paged_attention_v1_kernelI14__hip_bfloat16hLi96ELi16ELi128ELNS_18Fp8KVCacheDataTypeE1ELb1EEEvPT_PKS3_PKT0_S9_ifPKiSB_iPKfiiiSD_SD_iiiii, .Lfunc_end293-_ZN4vllm25paged_attention_v1_kernelI14__hip_bfloat16hLi96ELi16ELi128ELNS_18Fp8KVCacheDataTypeE1ELb1EEEvPT_PKS3_PKT0_S9_ifPKiSB_iPKfiiiSD_SD_iiiii
                                        ; -- End function
	.set _ZN4vllm25paged_attention_v1_kernelI14__hip_bfloat16hLi96ELi16ELi128ELNS_18Fp8KVCacheDataTypeE1ELb1EEEvPT_PKS3_PKT0_S9_ifPKiSB_iPKfiiiSD_SD_iiiii.num_vgpr, 71
	.set _ZN4vllm25paged_attention_v1_kernelI14__hip_bfloat16hLi96ELi16ELi128ELNS_18Fp8KVCacheDataTypeE1ELb1EEEvPT_PKS3_PKT0_S9_ifPKiSB_iPKfiiiSD_SD_iiiii.num_agpr, 0
	.set _ZN4vllm25paged_attention_v1_kernelI14__hip_bfloat16hLi96ELi16ELi128ELNS_18Fp8KVCacheDataTypeE1ELb1EEEvPT_PKS3_PKT0_S9_ifPKiSB_iPKfiiiSD_SD_iiiii.numbered_sgpr, 49
	.set _ZN4vllm25paged_attention_v1_kernelI14__hip_bfloat16hLi96ELi16ELi128ELNS_18Fp8KVCacheDataTypeE1ELb1EEEvPT_PKS3_PKT0_S9_ifPKiSB_iPKfiiiSD_SD_iiiii.num_named_barrier, 0
	.set _ZN4vllm25paged_attention_v1_kernelI14__hip_bfloat16hLi96ELi16ELi128ELNS_18Fp8KVCacheDataTypeE1ELb1EEEvPT_PKS3_PKT0_S9_ifPKiSB_iPKfiiiSD_SD_iiiii.private_seg_size, 0
	.set _ZN4vllm25paged_attention_v1_kernelI14__hip_bfloat16hLi96ELi16ELi128ELNS_18Fp8KVCacheDataTypeE1ELb1EEEvPT_PKS3_PKT0_S9_ifPKiSB_iPKfiiiSD_SD_iiiii.uses_vcc, 1
	.set _ZN4vllm25paged_attention_v1_kernelI14__hip_bfloat16hLi96ELi16ELi128ELNS_18Fp8KVCacheDataTypeE1ELb1EEEvPT_PKS3_PKT0_S9_ifPKiSB_iPKfiiiSD_SD_iiiii.uses_flat_scratch, 0
	.set _ZN4vllm25paged_attention_v1_kernelI14__hip_bfloat16hLi96ELi16ELi128ELNS_18Fp8KVCacheDataTypeE1ELb1EEEvPT_PKS3_PKT0_S9_ifPKiSB_iPKfiiiSD_SD_iiiii.has_dyn_sized_stack, 0
	.set _ZN4vllm25paged_attention_v1_kernelI14__hip_bfloat16hLi96ELi16ELi128ELNS_18Fp8KVCacheDataTypeE1ELb1EEEvPT_PKS3_PKT0_S9_ifPKiSB_iPKfiiiSD_SD_iiiii.has_recursion, 0
	.set _ZN4vllm25paged_attention_v1_kernelI14__hip_bfloat16hLi96ELi16ELi128ELNS_18Fp8KVCacheDataTypeE1ELb1EEEvPT_PKS3_PKT0_S9_ifPKiSB_iPKfiiiSD_SD_iiiii.has_indirect_call, 0
	.section	.AMDGPU.csdata,"",@progbits
; Kernel info:
; codeLenInByte = 6508
; TotalNumSgprs: 55
; NumVgprs: 71
; NumAgprs: 0
; TotalNumVgprs: 71
; ScratchSize: 0
; MemoryBound: 0
; FloatMode: 240
; IeeeMode: 1
; LDSByteSize: 208 bytes/workgroup (compile time only)
; SGPRBlocks: 6
; VGPRBlocks: 8
; NumSGPRsForWavesPerEU: 55
; NumVGPRsForWavesPerEU: 71
; AccumOffset: 72
; Occupancy: 7
; WaveLimiterHint : 1
; COMPUTE_PGM_RSRC2:SCRATCH_EN: 0
; COMPUTE_PGM_RSRC2:USER_SGPR: 2
; COMPUTE_PGM_RSRC2:TRAP_HANDLER: 0
; COMPUTE_PGM_RSRC2:TGID_X_EN: 1
; COMPUTE_PGM_RSRC2:TGID_Y_EN: 1
; COMPUTE_PGM_RSRC2:TGID_Z_EN: 1
; COMPUTE_PGM_RSRC2:TIDIG_COMP_CNT: 0
; COMPUTE_PGM_RSRC3_GFX90A:ACCUM_OFFSET: 17
; COMPUTE_PGM_RSRC3_GFX90A:TG_SPLIT: 0
	.section	.text._ZN4vllm25paged_attention_v1_kernelI14__hip_bfloat16hLi112ELi16ELi128ELNS_18Fp8KVCacheDataTypeE1ELb1EEEvPT_PKS3_PKT0_S9_ifPKiSB_iPKfiiiSD_SD_iiiii,"axG",@progbits,_ZN4vllm25paged_attention_v1_kernelI14__hip_bfloat16hLi112ELi16ELi128ELNS_18Fp8KVCacheDataTypeE1ELb1EEEvPT_PKS3_PKT0_S9_ifPKiSB_iPKfiiiSD_SD_iiiii,comdat
	.protected	_ZN4vllm25paged_attention_v1_kernelI14__hip_bfloat16hLi112ELi16ELi128ELNS_18Fp8KVCacheDataTypeE1ELb1EEEvPT_PKS3_PKT0_S9_ifPKiSB_iPKfiiiSD_SD_iiiii ; -- Begin function _ZN4vllm25paged_attention_v1_kernelI14__hip_bfloat16hLi112ELi16ELi128ELNS_18Fp8KVCacheDataTypeE1ELb1EEEvPT_PKS3_PKT0_S9_ifPKiSB_iPKfiiiSD_SD_iiiii
	.globl	_ZN4vllm25paged_attention_v1_kernelI14__hip_bfloat16hLi112ELi16ELi128ELNS_18Fp8KVCacheDataTypeE1ELb1EEEvPT_PKS3_PKT0_S9_ifPKiSB_iPKfiiiSD_SD_iiiii
	.p2align	8
	.type	_ZN4vllm25paged_attention_v1_kernelI14__hip_bfloat16hLi112ELi16ELi128ELNS_18Fp8KVCacheDataTypeE1ELb1EEEvPT_PKS3_PKT0_S9_ifPKiSB_iPKfiiiSD_SD_iiiii,@function
_ZN4vllm25paged_attention_v1_kernelI14__hip_bfloat16hLi112ELi16ELi128ELNS_18Fp8KVCacheDataTypeE1ELb1EEEvPT_PKS3_PKT0_S9_ifPKiSB_iPKfiiiSD_SD_iiiii: ; @_ZN4vllm25paged_attention_v1_kernelI14__hip_bfloat16hLi112ELi16ELi128ELNS_18Fp8KVCacheDataTypeE1ELb1EEEvPT_PKS3_PKT0_S9_ifPKiSB_iPKfiiiSD_SD_iiiii
; %bb.0:
	s_load_dword s5, s[0:1], 0x80
	s_load_dwordx2 s[6:7], s[0:1], 0x30
	s_load_dwordx2 s[36:37], s[0:1], 0x20
	s_mov_b32 s10, s3
	s_ashr_i32 s11, s3, 31
	s_lshl_b64 s[8:9], s[10:11], 2
	s_waitcnt lgkmcnt(0)
	s_add_u32 s6, s6, s8
	s_addc_u32 s7, s7, s9
	s_abs_i32 s3, s36
	v_cvt_f32_u32_e32 v1, s3
	s_sub_i32 s11, 0, s3
	s_abs_i32 s9, s5
	s_xor_b32 s8, s5, s36
	v_rcp_iflag_f32_e32 v1, v1
	s_ashr_i32 s8, s8, 31
	s_mov_b32 s44, 0
	v_mul_f32_e32 v1, 0x4f7ffffe, v1
	v_cvt_u32_f32_e32 v1, v1
	s_nop 0
	v_readfirstlane_b32 s12, v1
	s_mul_i32 s11, s11, s12
	s_mul_hi_u32 s11, s12, s11
	s_add_i32 s12, s12, s11
	s_mul_hi_u32 s11, s9, s12
	s_mul_i32 s12, s11, s3
	s_sub_i32 s9, s9, s12
	s_add_i32 s12, s11, 1
	s_sub_i32 s13, s9, s3
	s_cmp_ge_u32 s9, s3
	s_cselect_b32 s11, s12, s11
	s_cselect_b32 s9, s13, s9
	s_add_i32 s12, s11, 1
	s_cmp_ge_u32 s9, s3
	s_cselect_b32 s3, s12, s11
	s_xor_b32 s3, s3, s8
	s_sub_i32 s14, s3, s8
	s_abs_i32 s11, s14
	v_cvt_f32_u32_e32 v1, s11
	s_load_dwordx2 s[8:9], s[0:1], 0x40
	s_sub_i32 s3, 0, s11
	s_abs_i32 s12, s2
	v_rcp_iflag_f32_e32 v1, v1
	s_nop 0
	v_mul_f32_e32 v1, 0x4f7ffffe, v1
	v_cvt_u32_f32_e32 v1, v1
	s_nop 0
	v_readfirstlane_b32 s13, v1
	s_mul_i32 s3, s3, s13
	s_mul_hi_u32 s3, s13, s3
	s_add_i32 s13, s13, s3
	s_waitcnt lgkmcnt(0)
	s_cmp_eq_u64 s[8:9], 0
	s_mul_hi_u32 s13, s12, s13
	s_cbranch_scc1 .LBB294_2
; %bb.1:
	s_ashr_i32 s3, s2, 31
	s_lshl_b64 s[16:17], s[2:3], 2
	s_add_u32 s8, s8, s16
	s_addc_u32 s9, s9, s17
	s_load_dword s44, s[8:9], 0x0
.LBB294_2:
	s_load_dword s33, s[6:7], 0x0
	s_load_dwordx4 s[16:19], s[0:1], 0x48
	s_ashr_i32 s8, s2, 31
	s_ashr_i32 s9, s14, 31
	v_and_b32_e32 v2, 3, v0
	s_mul_i32 s24, s2, 0x70
	v_cmp_gt_u32_e32 vcc, 56, v0
	s_and_saveexec_b64 s[6:7], vcc
	s_cbranch_execz .LBB294_4
; %bb.3:
	s_load_dwordx2 s[14:15], s[0:1], 0x8
	s_waitcnt lgkmcnt(0)
	s_mul_i32 s20, s16, s10
	s_ashr_i32 s21, s20, 31
	s_lshl_b64 s[20:21], s[20:21], 1
	v_lshlrev_b32_e32 v1, 2, v0
	s_add_u32 s3, s14, s20
	s_addc_u32 s16, s15, s21
	s_ashr_i32 s25, s24, 31
	s_lshl_b64 s[14:15], s[24:25], 1
	s_add_u32 s14, s3, s14
	s_addc_u32 s15, s16, s15
	global_load_dword v1, v1, s[14:15]
	v_and_b32_e32 v3, 0x3fc, v0
	v_mad_u32_u24 v3, v2, 56, v3
	s_waitcnt vmcnt(0)
	ds_write_b32 v3, v1
.LBB294_4:
	s_or_b64 exec, exec, s[6:7]
	s_mul_i32 s7, s13, s11
	s_sub_i32 s7, s12, s7
	s_xor_b32 s6, s8, s9
	s_add_i32 s8, s13, 1
	s_sub_i32 s9, s7, s11
	s_load_dwordx4 s[20:23], s[0:1], 0x68
	s_load_dword s3, s[0:1], 0x78
	s_cmp_ge_u32 s7, s11
	s_cselect_b32 s8, s8, s13
	s_cselect_b32 s7, s9, s7
	s_add_i32 s9, s8, 1
	s_cmp_ge_u32 s7, s11
	s_cselect_b32 s7, s9, s8
	s_waitcnt lgkmcnt(0)
	s_abs_i32 s25, s23
	v_cvt_f32_u32_e32 v1, s25
	s_xor_b32 s7, s7, s6
	s_sub_i32 s43, s7, s6
	s_sub_i32 s6, 0, s25
	v_rcp_iflag_f32_e32 v1, v1
	s_add_i32 s11, s33, -1
	s_abs_i32 s8, s11
	v_mul_f32_e32 v1, 0x4f7ffffe, v1
	v_cvt_u32_f32_e32 v1, v1
	s_barrier
	v_readfirstlane_b32 s42, v1
	s_mul_i32 s6, s6, s42
	s_mul_hi_u32 s6, s42, s6
	s_add_i32 s42, s42, s6
	s_cmp_lt_i32 s3, 0
	s_mul_hi_u32 s9, s8, s42
	s_cbranch_scc0 .LBB294_6
; %bb.5:
	s_mul_i32 s6, s20, s36
	s_add_i32 s6, s43, s6
	s_mul_i32 s6, s6, s3
	s_sub_i32 s36, 1, s6
	s_mov_b64 s[6:7], 0
	s_branch .LBB294_7
.LBB294_6:
	s_mov_b64 s[6:7], -1
                                        ; implicit-def: $sgpr36
.LBB294_7:
	s_load_dwordx2 s[28:29], s[0:1], 0x28
	s_ashr_i32 s16, s11, 31
	s_andn2_b64 vcc, exec, s[6:7]
	s_ashr_i32 s23, s23, 31
	s_cbranch_vccnz .LBB294_9
; %bb.8:
	s_mul_i32 s6, s5, s20
	s_add_i32 s2, s6, s2
	s_mul_i32 s2, s2, s3
	s_add_i32 s36, s2, 1
.LBB294_9:
	s_load_dword s2, s[0:1], 0x38
	s_load_dwordx2 s[26:27], s[0:1], 0x0
	s_load_dwordx2 s[34:35], s[0:1], 0x18
	s_load_dword s11, s[0:1], 0x88
	s_load_dwordx4 s[12:15], s[0:1], 0x58
	s_mul_i32 s3, s9, s25
	s_waitcnt lgkmcnt(0)
	s_mul_i32 s30, s2, s10
	s_sub_i32 s3, s8, s3
	s_ashr_i32 s31, s30, 31
	s_xor_b32 s2, s16, s23
	s_add_i32 s6, s9, 1
	s_sub_i32 s7, s3, s25
	s_cmp_ge_u32 s3, s25
	s_cselect_b32 s6, s6, s9
	s_cselect_b32 s3, s7, s3
	s_add_i32 s7, s6, 1
	s_cmp_ge_u32 s3, s25
	s_cselect_b32 s3, s7, s6
	s_xor_b32 s3, s3, s2
	s_sub_i32 s16, s3, s2
	s_add_i32 s2, s33, 15
	s_ashr_i32 s3, s2, 31
	s_lshr_b32 s3, s3, 28
	s_add_i32 s2, s2, s3
	s_ashr_i32 s20, s2, 4
	v_lshrrev_b32_e32 v1, 6, v0
	v_cmp_le_i32_e64 s[6:7], s20, v1
	v_cmp_gt_i32_e32 vcc, s20, v1
	v_mov_b32_e32 v10, 0xff7fffff
	s_mul_i32 s43, s43, s18
	v_lshrrev_b32_e32 v6, 4, v0
	v_lshlrev_b32_e32 v24, 4, v1
	v_mbcnt_lo_u32_b32 v7, -1, 0
	s_and_saveexec_b64 s[18:19], vcc
	s_cbranch_execz .LBB294_21
; %bb.10:
	s_load_dwordx2 s[0:1], s[0:1], 0x10
	s_sub_i32 s45, s16, s21
	s_ashr_i32 s2, s43, 31
	v_bfe_u32 v8, v0, 2, 4
	v_mov_b32_e32 v5, 0
	s_waitcnt lgkmcnt(0)
	s_add_u32 s0, s0, s43
	s_addc_u32 s1, s1, s2
	s_abs_i32 s46, s22
	v_cvt_f32_u32_e32 v3, s46
	v_lshlrev_b32_e32 v4, 4, v8
	v_lshl_add_u64 v[12:13], s[0:1], 0, v[4:5]
	s_sub_i32 s0, 0, s46
	v_rcp_iflag_f32_e32 v3, v3
	v_cmp_eq_u32_e32 vcc, 0, v2
	v_mul_u32_u24_e32 v9, 56, v2
	v_lshlrev_b32_e32 v4, 1, v2
	v_mul_f32_e32 v3, 0x4f7ffffe, v3
	v_cvt_u32_f32_e32 v3, v3
	v_subrev_u32_e32 v10, s33, v8
	v_mbcnt_hi_u32_b32 v16, -1, v7
	s_mov_b32 s47, s17
	v_mul_lo_u32 v2, s0, v3
	v_mul_hi_u32 v2, v3, v2
	v_add_u32_e32 v11, v3, v2
	v_lshl_add_u64 v[2:3], v[12:13], 0, v[4:5]
	s_lshl_b64 s[0:1], s[30:31], 2
	v_add_u32_e32 v13, 1, v10
	v_lshlrev_b32_e32 v10, 2, v8
	s_add_u32 s0, s28, s0
	v_lshl_or_b32 v10, v1, 6, v10
	v_and_b32_e32 v4, 60, v6
	s_addc_u32 s1, s29, s1
	v_add_u32_e32 v14, 0xf0, v10
	v_and_b32_e32 v10, 64, v16
	v_cmp_neq_f32_e64 s[2:3], s44, 0
	v_lshl_add_u64 v[4:5], s[0:1], 0, v[4:5]
	v_lshlrev_b32_e32 v12, 4, v1
	v_mov_b32_e32 v15, 0xff7fffff
	s_mov_b64 s[38:39], 0
	s_mov_b32 s48, 0xffff
	v_add_u32_e32 v17, 64, v10
	v_xor_b32_e32 v18, 2, v16
	v_xor_b32_e32 v19, 1, v16
	v_mov_b32_e32 v10, 0xff7fffff
	v_mov_b32_e32 v20, v1
	s_branch .LBB294_13
.LBB294_11:                             ;   in Loop: Header=BB294_13 Depth=1
	s_or_b64 exec, exec, s[40:41]
.LBB294_12:                             ;   in Loop: Header=BB294_13 Depth=1
	s_or_b64 exec, exec, s[8:9]
	v_add_u32_e32 v20, 2, v20
	v_cmp_le_i32_e64 s[0:1], s20, v20
	v_lshl_add_u64 v[4:5], v[4:5], 0, 8
	v_add_u32_e32 v12, 32, v12
	s_or_b64 s[38:39], s[0:1], s[38:39]
	v_add_u32_e32 v14, 0x80, v14
	s_andn2_b64 exec, exec, s[38:39]
	s_cbranch_execz .LBB294_20
.LBB294_13:                             ; =>This Inner Loop Header: Depth=1
	v_mul_hi_u32 v21, v12, s42
	s_waitcnt lgkmcnt(0)
	v_mul_lo_u32 v22, v21, s25
	v_sub_u32_e32 v22, v12, v22
	v_add_u32_e32 v23, 1, v21
	v_cmp_le_u32_e64 s[0:1], s25, v22
	s_nop 1
	v_cndmask_b32_e64 v21, v21, v23, s[0:1]
	v_subrev_u32_e32 v23, s25, v22
	v_cndmask_b32_e64 v22, v22, v23, s[0:1]
	v_add_u32_e32 v23, 1, v21
	v_cmp_le_u32_e64 s[0:1], s25, v22
	s_nop 1
	v_cndmask_b32_e64 v21, v21, v23, s[0:1]
	v_xor_b32_e32 v21, s23, v21
	v_subrev_u32_e32 v21, s23, v21
	v_add_u32_e32 v22, s36, v21
	v_sub_u32_e32 v25, 0, v22
	v_ashrrev_i32_e32 v23, 31, v22
	v_max_i32_e32 v22, v22, v25
	v_mul_hi_u32 v25, v22, v11
	v_mul_lo_u32 v25, v25, s46
	v_sub_u32_e32 v22, v22, v25
	v_subrev_u32_e32 v25, s46, v22
	v_cmp_le_u32_e64 s[0:1], s46, v22
	v_cmp_ge_i32_e64 s[8:9], s45, v21
	s_nop 0
	v_cndmask_b32_e64 v22, v22, v25, s[0:1]
	v_subrev_u32_e32 v25, s46, v22
	v_cmp_le_u32_e64 s[0:1], s46, v22
	s_nop 1
	v_cndmask_b32_e64 v22, v22, v25, s[0:1]
	v_xor_b32_e32 v22, v22, v23
	v_sub_u32_e32 v22, v22, v23
	v_cmp_ne_u32_e64 s[0:1], 0, v22
	s_and_b64 s[0:1], s[0:1], s[8:9]
	s_and_saveexec_b64 s[8:9], s[0:1]
	s_xor_b64 s[0:1], exec, s[8:9]
	s_cbranch_execz .LBB294_17
; %bb.14:                               ;   in Loop: Header=BB294_13 Depth=1
	s_and_saveexec_b64 s[8:9], vcc
; %bb.15:                               ;   in Loop: Header=BB294_13 Depth=1
	ds_write_b32 v14, v15
; %bb.16:                               ;   in Loop: Header=BB294_13 Depth=1
	s_or_b64 exec, exec, s[8:9]
.LBB294_17:                             ;   in Loop: Header=BB294_13 Depth=1
	s_andn2_saveexec_b64 s[8:9], s[0:1]
	s_cbranch_execz .LBB294_12
; %bb.18:                               ;   in Loop: Header=BB294_13 Depth=1
	global_load_dword v21, v[4:5], off
	s_waitcnt vmcnt(0)
	v_mad_i64_i32 v[22:23], s[0:1], v21, s47, v[2:3]
	global_load_ushort v25, v[22:23], off
	global_load_ushort v38, v[22:23], off offset:8
	global_load_ushort v39, v[22:23], off offset:256
	;; [unrolled: 1-line block ×13, first 2 shown]
	ds_read2_b64 v[26:29], v9 offset1:1
	ds_read2_b64 v[30:33], v9 offset0:2 offset1:3
	ds_read2_b64 v[34:37], v9 offset0:4 offset1:5
	ds_read_b64 v[22:23], v9 offset:48
	s_load_dword s40, s[12:13], 0x0
	v_cmp_lt_i32_e64 s[0:1], v18, v17
	s_waitcnt lgkmcnt(0)
	v_lshlrev_b32_e32 v53, 16, v27
	v_and_b32_e32 v27, 0xffff0000, v27
	v_lshlrev_b32_e32 v52, 16, v26
	v_and_b32_e32 v26, 0xffff0000, v26
	;; [unrolled: 2-line block ×14, first 2 shown]
	v_cndmask_b32_e64 v51, v16, v18, s[0:1]
	s_waitcnt vmcnt(13)
	v_and_b32_sdwa v65, s48, v25 dst_sel:DWORD dst_unused:UNUSED_PAD src0_sel:DWORD src1_sel:BYTE_0
	s_waitcnt vmcnt(12)
	v_and_b32_sdwa v66, s48, v38 dst_sel:DWORD dst_unused:UNUSED_PAD src0_sel:DWORD src1_sel:BYTE_0
	v_lshrrev_b16_e32 v38, 8, v38
	v_lshrrev_b16_e32 v25, 8, v25
	v_cvt_f32_fp8_e32 v66, v66
	v_cvt_f32_fp8_e32 v38, v38
	s_waitcnt vmcnt(11)
	v_and_b32_sdwa v67, s48, v39 dst_sel:DWORD dst_unused:UNUSED_PAD src0_sel:DWORD src1_sel:BYTE_0
	v_lshrrev_b16_e32 v39, 8, v39
	v_cvt_f32_fp8_e32 v65, v65
	v_cvt_f32_fp8_e32 v25, v25
	s_waitcnt vmcnt(10)
	v_and_b32_sdwa v68, s48, v40 dst_sel:DWORD dst_unused:UNUSED_PAD src0_sel:DWORD src1_sel:BYTE_0
	;; [unrolled: 5-line block ×4, first 2 shown]
	v_lshrrev_b16_e32 v42, 8, v42
	v_cvt_f32_fp8_e32 v69, v69
	v_cvt_f32_fp8_e32 v41, v41
	v_mul_f32_e32 v66, s40, v66
	v_mul_f32_e32 v38, s40, v38
	s_waitcnt vmcnt(7)
	v_and_b32_sdwa v71, s48, v43 dst_sel:DWORD dst_unused:UNUSED_PAD src0_sel:DWORD src1_sel:BYTE_0
	v_lshrrev_b16_e32 v43, 8, v43
	v_cvt_f32_fp8_e32 v70, v70
	v_cvt_f32_fp8_e32 v42, v42
	v_mul_f32_e32 v65, s40, v65
	v_mul_f32_e32 v25, s40, v25
	v_cvt_pk_bf16_f32 v66, v66, s0
	v_cvt_pk_bf16_f32 v38, v38, s0
	s_waitcnt vmcnt(6)
	v_and_b32_sdwa v72, s48, v44 dst_sel:DWORD dst_unused:UNUSED_PAD src0_sel:DWORD src1_sel:BYTE_0
	v_lshrrev_b16_e32 v44, 8, v44
	v_cvt_f32_fp8_e32 v71, v71
	v_cvt_f32_fp8_e32 v43, v43
	v_mul_f32_e32 v67, s40, v67
	v_mul_f32_e32 v39, s40, v39
	v_cvt_pk_bf16_f32 v65, v65, s0
	v_cvt_pk_bf16_f32 v25, v25, s0
	v_lshlrev_b32_e32 v66, 16, v66
	v_lshlrev_b32_e32 v38, 16, v38
	s_waitcnt vmcnt(5)
	v_and_b32_sdwa v73, s48, v45 dst_sel:DWORD dst_unused:UNUSED_PAD src0_sel:DWORD src1_sel:BYTE_0
	v_lshrrev_b16_e32 v45, 8, v45
	v_cvt_f32_fp8_e32 v72, v72
	v_cvt_f32_fp8_e32 v44, v44
	v_mul_f32_e32 v68, s40, v68
	v_mul_f32_e32 v40, s40, v40
	v_cvt_pk_bf16_f32 v67, v67, s0
	v_cvt_pk_bf16_f32 v39, v39, s0
	v_lshlrev_b32_e32 v65, 16, v65
	v_lshlrev_b32_e32 v25, 16, v25
	v_mul_f32_e32 v53, v53, v66
	v_mul_f32_e32 v27, v27, v38
	s_waitcnt vmcnt(4)
	v_and_b32_sdwa v74, s48, v46 dst_sel:DWORD dst_unused:UNUSED_PAD src0_sel:DWORD src1_sel:BYTE_0
	v_lshrrev_b16_e32 v46, 8, v46
	v_cvt_f32_fp8_e32 v73, v73
	v_cvt_f32_fp8_e32 v45, v45
	v_mul_f32_e32 v69, s40, v69
	v_mul_f32_e32 v41, s40, v41
	v_cvt_pk_bf16_f32 v68, v68, s0
	v_cvt_pk_bf16_f32 v40, v40, s0
	v_fmac_f32_e32 v53, v52, v65
	v_fmac_f32_e32 v27, v26, v25
	v_lshlrev_b32_e32 v38, 16, v67
	v_lshlrev_b32_e32 v39, 16, v39
	s_waitcnt vmcnt(3)
	v_and_b32_sdwa v75, s48, v47 dst_sel:DWORD dst_unused:UNUSED_PAD src0_sel:DWORD src1_sel:BYTE_0
	v_lshrrev_b16_e32 v47, 8, v47
	v_cvt_f32_fp8_e32 v74, v74
	v_cvt_f32_fp8_e32 v46, v46
	v_mul_f32_e32 v70, s40, v70
	v_mul_f32_e32 v42, s40, v42
	v_cvt_pk_bf16_f32 v69, v69, s0
	v_cvt_pk_bf16_f32 v41, v41, s0
	v_fmac_f32_e32 v53, v54, v38
	v_fmac_f32_e32 v27, v28, v39
	v_lshlrev_b32_e32 v28, 16, v68
	v_lshlrev_b32_e32 v38, 16, v40
	;; [unrolled: 13-line block ×5, first 2 shown]
	v_cvt_f32_fp8_e32 v78, v78
	v_cvt_f32_fp8_e32 v50, v50
	v_mul_f32_e32 v74, s40, v74
	v_mul_f32_e32 v46, s40, v46
	v_cvt_pk_bf16_f32 v73, v73, s0
	v_cvt_pk_bf16_f32 v45, v45, s0
	v_fmac_f32_e32 v53, v58, v28
	v_fmac_f32_e32 v27, v32, v29
	v_lshlrev_b32_e32 v28, 16, v72
	v_lshlrev_b32_e32 v29, 16, v44
	v_mul_f32_e32 v75, s40, v75
	v_mul_f32_e32 v47, s40, v47
	v_cvt_pk_bf16_f32 v74, v74, s0
	v_cvt_pk_bf16_f32 v46, v46, s0
	v_fmac_f32_e32 v53, v59, v28
	v_fmac_f32_e32 v27, v33, v29
	v_lshlrev_b32_e32 v28, 16, v73
	v_lshlrev_b32_e32 v29, 16, v45
	;; [unrolled: 8-line block ×5, first 2 shown]
	v_cvt_pk_bf16_f32 v78, v78, s0
	v_cvt_pk_bf16_f32 v25, v50, s0
	v_fmac_f32_e32 v53, v63, v28
	v_fmac_f32_e32 v27, v37, v29
	v_lshlrev_b32_e32 v28, 16, v77
	v_lshlrev_b32_e32 v29, 16, v49
	v_fmac_f32_e32 v53, v64, v28
	v_fmac_f32_e32 v27, v22, v29
	v_lshlrev_b32_e32 v22, 16, v78
	v_lshlrev_b32_e32 v25, 16, v25
	v_fmac_f32_e32 v53, v21, v22
	v_fmac_f32_e32 v27, v23, v25
	v_lshlrev_b32_e32 v26, 2, v51
	v_add_f32_e32 v21, v53, v27
	ds_bpermute_b32 v22, v26, v21
	v_cmp_lt_i32_e64 s[0:1], v19, v17
	s_waitcnt lgkmcnt(0)
	v_add_f32_e32 v21, v21, v22
	v_cndmask_b32_e64 v23, v16, v19, s[0:1]
	v_lshlrev_b32_e32 v23, 2, v23
	ds_bpermute_b32 v22, v23, v21
	s_and_saveexec_b64 s[40:41], vcc
	s_cbranch_execz .LBB294_11
; %bb.19:                               ;   in Loop: Header=BB294_13 Depth=1
	v_add_u32_e32 v23, v13, v12
	v_cvt_f32_i32_e32 v23, v23
	s_waitcnt lgkmcnt(0)
	v_add_f32_e32 v21, v21, v22
	v_add_u32_e32 v25, v8, v12
	v_cmp_gt_i32_e64 s[0:1], s33, v25
	v_mul_f32_e32 v22, s44, v23
	v_cndmask_b32_e64 v22, 0, v22, s[2:3]
	v_fmac_f32_e32 v22, s37, v21
	v_cndmask_b32_e64 v21, 0, v22, s[0:1]
	ds_write_b32 v14, v21
	v_max_f32_e32 v21, v10, v10
	v_max_f32_e32 v21, v21, v22
	v_cndmask_b32_e64 v10, v10, v21, s[0:1]
	s_branch .LBB294_11
.LBB294_20:
	s_or_b64 exec, exec, s[38:39]
.LBB294_21:
	s_or_b64 exec, exec, s[18:19]
	v_mbcnt_hi_u32_b32 v2, -1, v7
	v_and_b32_e32 v12, 64, v2
	v_add_u32_e32 v3, 64, v12
	v_xor_b32_e32 v4, 32, v2
	v_cmp_lt_i32_e32 vcc, v4, v3
	v_xor_b32_e32 v8, 16, v2
	v_max_f32_e32 v7, v10, v10
	v_cndmask_b32_e32 v4, v2, v4, vcc
	v_lshlrev_b32_e32 v5, 2, v4
	ds_bpermute_b32 v4, v5, v10
	v_cmp_lt_i32_e32 vcc, v8, v3
	v_xor_b32_e32 v9, 8, v2
	v_xor_b32_e32 v11, 4, v2
	s_waitcnt lgkmcnt(0)
	v_max_f32_e32 v4, v4, v4
	v_max_f32_e32 v4, v7, v4
	v_cndmask_b32_e32 v7, v2, v8, vcc
	v_lshlrev_b32_e32 v7, 2, v7
	ds_bpermute_b32 v8, v7, v4
	v_cmp_lt_i32_e32 vcc, v9, v3
	s_waitcnt lgkmcnt(0)
	v_max_f32_e32 v8, v8, v8
	v_max_f32_e32 v4, v4, v8
	v_cndmask_b32_e32 v8, v2, v9, vcc
	v_lshlrev_b32_e32 v10, 2, v8
	ds_bpermute_b32 v8, v10, v4
	v_cmp_lt_i32_e32 vcc, v11, v3
	s_waitcnt lgkmcnt(0)
	v_max_f32_e32 v8, v8, v8
	v_max_f32_e32 v9, v4, v8
	v_cndmask_b32_e32 v4, v2, v11, vcc
	v_lshlrev_b32_e32 v11, 2, v4
	ds_bpermute_b32 v13, v11, v9
	v_and_b32_e32 v4, 63, v0
	v_cmp_eq_u32_e32 vcc, 0, v4
	v_lshlrev_b32_e32 v8, 2, v1
	s_and_saveexec_b64 s[0:1], vcc
	s_cbranch_execz .LBB294_23
; %bb.22:
	s_waitcnt lgkmcnt(0)
	v_max_f32_e32 v13, v13, v13
	v_max_f32_e32 v9, v9, v9
	;; [unrolled: 1-line block ×3, first 2 shown]
	ds_write_b32 v8, v9 offset:224
.LBB294_23:
	s_or_b64 exec, exec, s[0:1]
	v_cmp_gt_u32_e64 s[0:1], 2, v4
	s_waitcnt lgkmcnt(0)
	v_mov_b32_e32 v13, 0xff7fffff
	v_lshlrev_b32_e32 v9, 2, v4
	s_barrier
	s_and_saveexec_b64 s[2:3], s[0:1]
; %bb.24:
	ds_read_b32 v13, v9 offset:224
; %bb.25:
	s_or_b64 exec, exec, s[2:3]
	v_xor_b32_e32 v14, 1, v2
	v_cmp_lt_i32_e64 s[2:3], v14, v3
	v_lshlrev_b32_e32 v12, 2, v12
	s_nop 0
	v_cndmask_b32_e64 v14, v2, v14, s[2:3]
	v_lshlrev_b32_e32 v25, 2, v14
	s_waitcnt lgkmcnt(0)
	ds_bpermute_b32 v14, v25, v13
	v_max_f32_e32 v13, v13, v13
	s_lshl_b32 s2, s20, 4
	s_min_i32 s37, s2, s33
	v_cmp_gt_i32_e64 s[2:3], s37, v0
	s_waitcnt lgkmcnt(0)
	v_max_f32_e32 v14, v14, v14
	v_max_f32_e32 v13, v13, v14
	ds_bpermute_b32 v13, v12, v13
	v_mov_b32_e32 v12, 0
	s_and_saveexec_b64 s[12:13], s[2:3]
	s_cbranch_execz .LBB294_29
; %bb.26:
	v_mov_b32_e32 v12, 0xf0
	v_lshl_add_u32 v14, v0, 2, v12
	v_mov_b32_e32 v12, 0
	s_mov_b64 s[18:19], 0
	v_mov_b32_e32 v15, v0
.LBB294_27:                             ; =>This Inner Loop Header: Depth=1
	ds_read_b32 v16, v14
	v_add_u32_e32 v15, 0x80, v15
	v_cmp_le_i32_e64 s[8:9], s37, v15
	s_or_b64 s[18:19], s[8:9], s[18:19]
	s_waitcnt lgkmcnt(0)
	v_sub_f32_e32 v16, v16, v13
	v_mul_f32_e32 v16, 0x3fb8aa3b, v16
	v_exp_f32_e32 v16, v16
	ds_write_b32 v14, v16
	v_add_f32_e32 v12, v12, v16
	v_add_u32_e32 v14, 0x200, v14
	s_andn2_b64 exec, exec, s[18:19]
	s_cbranch_execnz .LBB294_27
; %bb.28:
	s_or_b64 exec, exec, s[18:19]
.LBB294_29:
	s_or_b64 exec, exec, s[12:13]
	ds_bpermute_b32 v5, v5, v12
	s_waitcnt lgkmcnt(0)
	v_add_f32_e32 v5, v12, v5
	ds_bpermute_b32 v7, v7, v5
	s_waitcnt lgkmcnt(0)
	v_add_f32_e32 v5, v5, v7
	ds_bpermute_b32 v7, v10, v5
	v_xor_b32_e32 v10, 2, v2
	v_cmp_lt_i32_e64 s[8:9], v10, v3
	s_waitcnt lgkmcnt(0)
	v_add_f32_e32 v5, v5, v7
	ds_bpermute_b32 v7, v11, v5
	v_cndmask_b32_e64 v3, v2, v10, s[8:9]
	v_lshlrev_b32_e32 v3, 2, v3
	s_waitcnt lgkmcnt(0)
	v_add_f32_e32 v5, v5, v7
	ds_bpermute_b32 v3, v3, v5
	s_waitcnt lgkmcnt(0)
	v_add_f32_e32 v3, v5, v3
	ds_bpermute_b32 v5, v25, v3
	s_waitcnt lgkmcnt(0)
	v_add_f32_e32 v3, v3, v5
	s_and_saveexec_b64 s[8:9], vcc
; %bb.30:
	ds_write_b32 v8, v3 offset:232
; %bb.31:
	s_or_b64 exec, exec, s[8:9]
	s_waitcnt lgkmcnt(0)
	s_barrier
	s_and_saveexec_b64 s[8:9], s[0:1]
; %bb.32:
	ds_read_b32 v3, v9 offset:232
; %bb.33:
	s_or_b64 exec, exec, s[8:9]
	s_waitcnt lgkmcnt(0)
	ds_bpermute_b32 v5, v25, v3
	v_lshlrev_b32_e32 v2, 2, v2
	v_and_b32_e32 v2, 0x100, v2
	s_waitcnt lgkmcnt(0)
	v_add_f32_e32 v3, v3, v5
	ds_bpermute_b32 v2, v2, v3
	s_and_saveexec_b64 s[0:1], s[2:3]
	s_cbranch_execz .LBB294_46
; %bb.34:
	s_waitcnt lgkmcnt(0)
	v_add_f32_e32 v2, 0x358637bd, v2
	v_div_scale_f32 v3, s[2:3], v2, v2, 1.0
	v_rcp_f32_e32 v5, v3
	v_div_scale_f32 v7, vcc, 1.0, v2, 1.0
	s_movk_i32 s2, 0x7f
	v_fma_f32 v8, -v3, v5, 1.0
	v_fmac_f32_e32 v5, v8, v5
	v_mul_f32_e32 v8, v7, v5
	v_fma_f32 v9, -v3, v8, v7
	v_fmac_f32_e32 v8, v9, v5
	v_fma_f32 v3, -v3, v8, v7
	v_div_fmas_f32 v3, v3, v5, v8
	v_xad_u32 v5, v0, -1, s37
	v_div_fixup_f32 v2, v3, v2, 1.0
	v_cmp_lt_u32_e32 vcc, s2, v5
	s_mov_b64 s[8:9], -1
	v_mov_b32_e32 v3, v0
	s_and_saveexec_b64 s[2:3], vcc
	s_cbranch_execz .LBB294_43
; %bb.35:
	v_lshrrev_b32_e32 v5, 7, v5
	v_add_u32_e32 v8, -1, v5
	v_lshrrev_b32_e32 v7, 1, v8
	v_mov_b32_e32 v3, v2
	v_add_u32_e32 v7, 1, v7
	v_cmp_lt_u32_e32 vcc, 13, v8
	v_mov_b32_e32 v10, 0
	s_and_saveexec_b64 s[8:9], vcc
	s_cbranch_execz .LBB294_39
; %bb.36:
	v_mov_b32_e32 v9, 0xf0
	v_and_b32_e32 v8, -8, v7
	v_lshl_add_u32 v9, v0, 2, v9
	s_mov_b32 s18, 0
	s_mov_b64 s[12:13], 0
.LBB294_37:                             ; =>This Inner Loop Header: Depth=1
	ds_read2st64_b32 v[10:11], v9 offset1:2
	ds_read2st64_b32 v[12:13], v9 offset0:4 offset1:6
	ds_read2st64_b32 v[14:15], v9 offset0:8 offset1:10
	;; [unrolled: 1-line block ×3, first 2 shown]
	v_add_u32_e32 v8, -8, v8
	s_waitcnt lgkmcnt(3)
	v_pk_mul_f32 v[10:11], v[2:3], v[10:11]
	s_waitcnt lgkmcnt(2)
	v_pk_mul_f32 v[12:13], v[2:3], v[12:13]
	ds_write2st64_b32 v9, v10, v11 offset1:2
	ds_write2st64_b32 v9, v12, v13 offset0:4 offset1:6
	ds_read2st64_b32 v[12:13], v9 offset0:16 offset1:18
	s_waitcnt lgkmcnt(4)
	v_pk_mul_f32 v[10:11], v[2:3], v[14:15]
	ds_write2st64_b32 v9, v10, v11 offset0:8 offset1:10
	s_waitcnt lgkmcnt(4)
	v_pk_mul_f32 v[10:11], v[2:3], v[16:17]
	ds_write2st64_b32 v9, v10, v11 offset0:12 offset1:14
	ds_read2st64_b32 v[10:11], v9 offset0:20 offset1:22
	s_waitcnt lgkmcnt(3)
	v_pk_mul_f32 v[12:13], v[2:3], v[12:13]
	ds_read2st64_b32 v[14:15], v9 offset0:24 offset1:26
	ds_write2st64_b32 v9, v12, v13 offset0:16 offset1:18
	ds_read2st64_b32 v[12:13], v9 offset0:28 offset1:30
	s_waitcnt lgkmcnt(3)
	v_pk_mul_f32 v[10:11], v[2:3], v[10:11]
	ds_write2st64_b32 v9, v10, v11 offset0:20 offset1:22
	s_waitcnt lgkmcnt(3)
	v_pk_mul_f32 v[10:11], v[2:3], v[14:15]
	ds_write2st64_b32 v9, v10, v11 offset0:24 offset1:26
	s_waitcnt lgkmcnt(2)
	v_pk_mul_f32 v[10:11], v[2:3], v[12:13]
	s_add_i32 s18, s18, 16
	v_cmp_eq_u32_e32 vcc, 0, v8
	ds_write2st64_b32 v9, v10, v11 offset0:28 offset1:30
	v_add_u32_e32 v9, 0x2000, v9
	s_or_b64 s[12:13], vcc, s[12:13]
	v_mov_b32_e32 v10, s18
	s_andn2_b64 exec, exec, s[12:13]
	s_cbranch_execnz .LBB294_37
; %bb.38:
	s_or_b64 exec, exec, s[12:13]
.LBB294_39:
	s_or_b64 exec, exec, s[8:9]
	v_and_b32_e32 v7, 7, v7
	v_cmp_ne_u32_e32 vcc, 0, v7
	s_and_saveexec_b64 s[8:9], vcc
	s_cbranch_execz .LBB294_42
; %bb.40:
	v_lshlrev_b32_e32 v8, 9, v10
	v_lshlrev_b32_e32 v9, 2, v0
	s_movk_i32 s12, 0xf0
	v_add3_u32 v8, v8, v9, s12
	s_mov_b64 s[12:13], 0
.LBB294_41:                             ; =>This Inner Loop Header: Depth=1
	ds_read2st64_b32 v[10:11], v8 offset1:2
	v_add_u32_e32 v7, -1, v7
	v_cmp_eq_u32_e32 vcc, 0, v7
	s_or_b64 s[12:13], vcc, s[12:13]
	s_waitcnt lgkmcnt(0)
	v_pk_mul_f32 v[10:11], v[2:3], v[10:11]
	ds_write2st64_b32 v8, v10, v11 offset1:2
	v_add_u32_e32 v8, 0x400, v8
	s_andn2_b64 exec, exec, s[12:13]
	s_cbranch_execnz .LBB294_41
.LBB294_42:
	s_or_b64 exec, exec, s[8:9]
	v_add_u32_e32 v5, 1, v5
	v_and_b32_e32 v7, 0x3fffffe, v5
	v_cmp_ne_u32_e32 vcc, v5, v7
	v_lshl_add_u32 v3, v7, 7, v0
	s_orn2_b64 s[8:9], vcc, exec
.LBB294_43:
	s_or_b64 exec, exec, s[2:3]
	s_and_b64 exec, exec, s[8:9]
	s_cbranch_execz .LBB294_46
; %bb.44:
	v_mov_b32_e32 v5, 0xf0
	v_lshl_add_u32 v5, v3, 2, v5
	s_mov_b64 s[2:3], 0
.LBB294_45:                             ; =>This Inner Loop Header: Depth=1
	ds_read_b32 v7, v5
	v_add_u32_e32 v3, 0x80, v3
	v_cmp_le_i32_e32 vcc, s37, v3
	s_or_b64 s[2:3], vcc, s[2:3]
	s_waitcnt lgkmcnt(0)
	v_mul_f32_e32 v7, v2, v7
	ds_write_b32 v5, v7
	v_add_u32_e32 v5, 0x200, v5
	s_andn2_b64 exec, exec, s[2:3]
	s_cbranch_execnz .LBB294_45
.LBB294_46:
	s_or_b64 exec, exec, s[0:1]
	v_lshrrev_b32_e32 v26, 1, v4
	s_waitcnt lgkmcnt(0)
	s_barrier
	s_and_saveexec_b64 s[0:1], s[6:7]
	s_xor_b64 s[0:1], exec, s[0:1]
; %bb.47:
	v_lshrrev_b32_e32 v26, 1, v4
                                        ; implicit-def: $vgpr24
                                        ; implicit-def: $vgpr1
                                        ; implicit-def: $vgpr6
; %bb.48:
	s_or_saveexec_b64 s[6:7], s[0:1]
	v_mov_b32_e32 v11, 0
	v_and_b32_e32 v27, 1, v0
	v_mov_b32_e32 v10, 0
	v_mov_b32_e32 v13, 0
	;; [unrolled: 1-line block ×3, first 2 shown]
	s_xor_b64 exec, exec, s[6:7]
	s_cbranch_execz .LBB294_64
; %bb.49:
	s_sub_i32 s21, s16, s21
	s_ashr_i32 s0, s43, 31
	s_add_u32 s8, s34, s43
	v_lshlrev_b32_e32 v2, 3, v0
	s_addc_u32 s9, s35, s0
	s_abs_i32 s22, s22
	v_and_b32_e32 v28, 8, v2
	v_cvt_f32_u32_e32 v2, s22
	v_or_b32_e32 v3, 0x60, v26
	s_movk_i32 s0, 0x70
	v_cmp_gt_u32_e32 vcc, s0, v3
	v_rcp_iflag_f32_e32 v2, v2
	s_sub_i32 s0, 0, s22
	s_add_i32 s34, s20, -1
	v_lshl_or_b32 v16, v3, 4, v28
	v_mul_f32_e32 v2, 0x4f7ffffe, v2
	v_cvt_u32_f32_e32 v2, v2
	v_mov_b32_e32 v15, 0
	s_mov_b32 s37, s17
	v_lshl_or_b32 v14, v26, 4, v28
	v_mul_lo_u32 v3, s0, v2
	s_lshl_b64 s[0:1], s[30:31], 2
	v_mul_hi_u32 v3, v2, v3
	s_add_u32 s0, s28, s0
	v_add_u32_e32 v29, v2, v3
	v_and_b32_e32 v2, 60, v6
	v_mov_b32_e32 v3, v15
	s_addc_u32 s1, s29, s1
	v_lshl_add_u64 v[18:19], s[0:1], 0, v[2:3]
	v_lshlrev_b32_e32 v2, 5, v27
	v_lshl_or_b32 v2, v1, 6, v2
	v_mov_b32_e32 v17, v15
	v_add_u32_e32 v30, 0xf0, v2
	s_mov_b64 s[12:13], 0
	v_mov_b32_e32 v12, v15
	v_mov_b32_e32 v13, v15
	;; [unrolled: 1-line block ×4, first 2 shown]
	s_branch .LBB294_53
.LBB294_50:                             ;   in Loop: Header=BB294_53 Depth=1
	s_or_b64 exec, exec, s[18:19]
	v_and_b32_e32 v39, 0xffff0000, v7
	v_lshlrev_b32_e32 v55, 16, v55
	v_mul_f32_e32 v39, v39, v55
	v_lshlrev_b32_e32 v55, 16, v7
	v_lshlrev_b32_e32 v54, 16, v54
	v_mul_f32_e32 v54, v55, v54
	v_and_b32_e32 v55, 0xffff0000, v6
	v_lshlrev_b32_e32 v21, 16, v21
	v_mul_f32_e32 v21, v55, v21
	v_lshlrev_b32_e32 v55, 16, v6
	v_lshlrev_b32_e32 v20, 16, v20
	v_mul_f32_e32 v20, v55, v20
	v_and_b32_e32 v55, 0xffff0000, v3
	v_lshlrev_b32_e32 v9, 16, v9
	v_mul_f32_e32 v9, v55, v9
	v_lshlrev_b32_e32 v55, 16, v3
	v_lshlrev_b32_e32 v8, 16, v8
	v_mul_f32_e32 v8, v55, v8
	v_and_b32_e32 v55, 0xffff0000, v2
	v_lshlrev_b32_e32 v5, 16, v5
	v_cvt_pk_bf16_f32 v39, v39, s0
	v_cvt_pk_bf16_f32 v54, v54, s0
	;; [unrolled: 1-line block ×4, first 2 shown]
	v_mul_f32_e32 v5, v55, v5
	v_lshlrev_b32_e32 v55, 16, v2
	v_lshlrev_b32_e32 v4, 16, v4
	v_cvt_pk_bf16_f32 v9, v9, s0
	v_cvt_pk_bf16_f32 v8, v8, s0
	v_mul_f32_e32 v4, v55, v4
	v_lshlrev_b32_e32 v54, 16, v54
	v_lshlrev_b32_e32 v39, 16, v39
	;; [unrolled: 1-line block ×4, first 2 shown]
	v_cvt_pk_bf16_f32 v5, v5, s0
	v_cvt_pk_bf16_f32 v4, v4, s0
	v_lshlrev_b32_e32 v8, 16, v8
	v_lshlrev_b32_e32 v9, 16, v9
	v_add_f32_e32 v39, v39, v54
	v_add_f32_e32 v20, v21, v20
	v_lshlrev_b32_e32 v4, 16, v4
	v_lshlrev_b32_e32 v5, 16, v5
	v_add_f32_e32 v20, v20, v39
	v_add_f32_e32 v8, v9, v8
	;; [unrolled: 1-line block ×6, first 2 shown]
.LBB294_51:                             ;   in Loop: Header=BB294_53 Depth=1
	s_or_b64 exec, exec, s[2:3]
	v_and_b32_e32 v4, 0xffff0000, v7
	v_lshlrev_b32_e32 v5, 16, v53
	v_lshlrev_b32_e32 v7, 16, v7
	;; [unrolled: 1-line block ×3, first 2 shown]
	v_mul_f32_e32 v5, v4, v5
	v_mul_f32_e32 v8, v7, v8
	v_and_b32_e32 v9, 0xffff0000, v6
	v_lshlrev_b32_e32 v20, 16, v51
	v_lshlrev_b32_e32 v6, 16, v6
	;; [unrolled: 1-line block ×3, first 2 shown]
	v_cvt_pk_bf16_f32 v5, v5, s0
	v_cvt_pk_bf16_f32 v8, v8, s0
	v_mul_f32_e32 v20, v9, v20
	v_mul_f32_e32 v21, v6, v21
	v_cvt_pk_bf16_f32 v20, v20, s0
	v_cvt_pk_bf16_f32 v21, v21, s0
	v_and_b32_e32 v39, 0xffff0000, v3
	v_lshlrev_b32_e32 v49, 16, v49
	v_lshlrev_b32_e32 v3, 16, v3
	;; [unrolled: 1-line block ×5, first 2 shown]
	v_mul_f32_e32 v49, v39, v49
	v_mul_f32_e32 v48, v3, v48
	v_add_f32_e32 v5, v8, v5
	v_lshlrev_b32_e32 v8, 16, v21
	v_lshlrev_b32_e32 v20, 16, v20
	v_cvt_pk_bf16_f32 v49, v49, s0
	v_cvt_pk_bf16_f32 v48, v48, s0
	v_and_b32_e32 v50, 0xffff0000, v2
	v_lshlrev_b32_e32 v23, 16, v23
	v_lshlrev_b32_e32 v2, 16, v2
	v_lshlrev_b32_e32 v22, 16, v22
	v_add_f32_e32 v8, v8, v20
	v_mul_f32_e32 v23, v50, v23
	v_mul_f32_e32 v22, v2, v22
	v_add_f32_e32 v5, v8, v5
	v_lshlrev_b32_e32 v8, 16, v48
	v_lshlrev_b32_e32 v20, 16, v49
	v_cvt_pk_bf16_f32 v23, v23, s0
	v_cvt_pk_bf16_f32 v22, v22, s0
	v_add_f32_e32 v8, v8, v20
	v_add_f32_e32 v5, v8, v5
	v_lshlrev_b32_e32 v8, 16, v22
	v_lshlrev_b32_e32 v20, 16, v23
	v_add_f32_e32 v8, v8, v20
	v_add_f32_e32 v5, v8, v5
	;; [unrolled: 1-line block ×3, first 2 shown]
	v_lshlrev_b32_e32 v5, 16, v47
	v_lshlrev_b32_e32 v8, 16, v46
	v_mul_f32_e32 v5, v4, v5
	v_mul_f32_e32 v8, v7, v8
	v_lshlrev_b32_e32 v20, 16, v45
	v_lshlrev_b32_e32 v21, 16, v44
	v_cvt_pk_bf16_f32 v5, v5, s0
	v_cvt_pk_bf16_f32 v8, v8, s0
	v_mul_f32_e32 v20, v9, v20
	v_mul_f32_e32 v21, v6, v21
	v_cvt_pk_bf16_f32 v20, v20, s0
	v_cvt_pk_bf16_f32 v21, v21, s0
	v_lshlrev_b32_e32 v22, 16, v43
	v_lshlrev_b32_e32 v23, 16, v42
	;; [unrolled: 1-line block ×4, first 2 shown]
	v_mul_f32_e32 v22, v39, v22
	v_mul_f32_e32 v23, v3, v23
	v_add_f32_e32 v5, v8, v5
	v_lshlrev_b32_e32 v8, 16, v21
	v_lshlrev_b32_e32 v20, 16, v20
	v_cvt_pk_bf16_f32 v22, v22, s0
	v_cvt_pk_bf16_f32 v23, v23, s0
	v_lshlrev_b32_e32 v41, 16, v41
	v_lshlrev_b32_e32 v40, 16, v40
	v_add_f32_e32 v8, v8, v20
	v_mul_f32_e32 v41, v50, v41
	v_mul_f32_e32 v40, v2, v40
	v_add_f32_e32 v5, v8, v5
	v_lshlrev_b32_e32 v8, 16, v23
	v_lshlrev_b32_e32 v20, 16, v22
	v_cvt_pk_bf16_f32 v41, v41, s0
	v_cvt_pk_bf16_f32 v40, v40, s0
	v_add_f32_e32 v8, v8, v20
	v_add_f32_e32 v5, v8, v5
	v_lshlrev_b32_e32 v8, 16, v40
	v_lshlrev_b32_e32 v20, 16, v41
	v_add_f32_e32 v8, v8, v20
	v_add_f32_e32 v5, v8, v5
	;; [unrolled: 1-line block ×3, first 2 shown]
	v_lshlrev_b32_e32 v5, 16, v38
	v_mul_f32_e32 v4, v4, v5
	v_lshlrev_b32_e32 v5, 16, v37
	v_mul_f32_e32 v5, v7, v5
	v_lshlrev_b32_e32 v7, 16, v36
	v_lshlrev_b32_e32 v8, 16, v35
	v_cvt_pk_bf16_f32 v4, v4, s0
	v_cvt_pk_bf16_f32 v5, v5, s0
	v_mul_f32_e32 v7, v9, v7
	v_mul_f32_e32 v6, v6, v8
	v_cvt_pk_bf16_f32 v7, v7, s0
	v_cvt_pk_bf16_f32 v6, v6, s0
	v_lshlrev_b32_e32 v8, 16, v34
	v_lshlrev_b32_e32 v9, 16, v33
	;; [unrolled: 1-line block ×4, first 2 shown]
	v_mul_f32_e32 v8, v39, v8
	v_mul_f32_e32 v3, v3, v9
	v_add_f32_e32 v4, v5, v4
	v_lshlrev_b32_e32 v5, 16, v6
	v_lshlrev_b32_e32 v6, 16, v7
	v_cvt_pk_bf16_f32 v8, v8, s0
	v_cvt_pk_bf16_f32 v3, v3, s0
	v_lshlrev_b32_e32 v9, 16, v32
	v_lshlrev_b32_e32 v20, 16, v31
	v_add_f32_e32 v5, v5, v6
	v_mul_f32_e32 v9, v50, v9
	v_mul_f32_e32 v2, v2, v20
	v_add_f32_e32 v4, v5, v4
	v_lshlrev_b32_e32 v3, 16, v3
	v_lshlrev_b32_e32 v5, 16, v8
	v_cvt_pk_bf16_f32 v9, v9, s0
	v_cvt_pk_bf16_f32 v2, v2, s0
	v_add_f32_e32 v3, v3, v5
	v_add_f32_e32 v3, v3, v4
	v_lshlrev_b32_e32 v2, 16, v2
	v_lshlrev_b32_e32 v4, 16, v9
	v_add_f32_e32 v2, v2, v4
	v_add_f32_e32 v2, v2, v3
	;; [unrolled: 1-line block ×3, first 2 shown]
.LBB294_52:                             ;   in Loop: Header=BB294_53 Depth=1
	s_or_b64 exec, exec, s[16:17]
	v_add_u32_e32 v1, 2, v1
	v_cmp_le_i32_e64 s[0:1], s20, v1
	v_lshl_add_u64 v[18:19], v[18:19], 0, 8
	v_add_u32_e32 v24, 32, v24
	s_or_b64 s[12:13], s[0:1], s[12:13]
	v_add_u32_e32 v30, 0x80, v30
	s_andn2_b64 exec, exec, s[12:13]
	s_cbranch_execz .LBB294_63
.LBB294_53:                             ; =>This Inner Loop Header: Depth=1
	v_mul_hi_u32 v2, v24, s42
	v_mul_lo_u32 v3, v2, s25
	v_sub_u32_e32 v3, v24, v3
	v_add_u32_e32 v4, 1, v2
	v_cmp_le_u32_e64 s[0:1], s25, v3
	s_nop 1
	v_cndmask_b32_e64 v2, v2, v4, s[0:1]
	v_subrev_u32_e32 v4, s25, v3
	v_cndmask_b32_e64 v3, v3, v4, s[0:1]
	v_add_u32_e32 v4, 1, v2
	v_cmp_le_u32_e64 s[0:1], s25, v3
	s_nop 1
	v_cndmask_b32_e64 v2, v2, v4, s[0:1]
	v_xor_b32_e32 v2, s23, v2
	v_subrev_u32_e32 v2, s23, v2
	v_add_u32_e32 v3, s36, v2
	v_sub_u32_e32 v5, 0, v3
	v_ashrrev_i32_e32 v4, 31, v3
	v_max_i32_e32 v3, v3, v5
	v_mul_hi_u32 v5, v3, v29
	v_mul_lo_u32 v5, v5, s22
	v_sub_u32_e32 v3, v3, v5
	v_subrev_u32_e32 v5, s22, v3
	v_cmp_le_u32_e64 s[0:1], s22, v3
	v_cmp_lt_i32_e64 s[2:3], s21, v2
	s_nop 0
	v_cndmask_b32_e64 v3, v3, v5, s[0:1]
	v_subrev_u32_e32 v5, s22, v3
	v_cmp_le_u32_e64 s[0:1], s22, v3
	s_nop 1
	v_cndmask_b32_e64 v3, v3, v5, s[0:1]
	v_xor_b32_e32 v3, v3, v4
	v_sub_u32_e32 v3, v3, v4
	v_cmp_eq_u32_e64 s[0:1], 0, v3
	s_or_b64 s[0:1], s[0:1], s[2:3]
	s_and_saveexec_b64 s[16:17], s[0:1]
	s_cbranch_execz .LBB294_52
; %bb.54:                               ;   in Loop: Header=BB294_53 Depth=1
	global_load_dword v4, v[18:19], off
	v_mov_b64_e32 v[2:3], s[8:9]
	v_add_u32_e32 v39, v28, v24
	s_waitcnt vmcnt(0)
	v_mad_i64_i32 v[20:21], s[0:1], v4, s37, v[2:3]
	v_lshl_add_u64 v[22:23], v[20:21], 0, v[14:15]
	global_load_dwordx2 v[32:33], v[22:23], off
	ds_read2_b64 v[6:9], v30 offset1:1
	ds_read2_b64 v[2:5], v30 offset0:2 offset1:3
	s_load_dword s28, s[14:15], 0x0
	v_cmp_eq_u32_e64 s[0:1], s34, v1
	s_waitcnt vmcnt(0)
	v_and_b32_e32 v31, 0xff, v32
	v_bfe_u32 v34, v32, 8, 8
	v_bfe_u32 v35, v32, 16, 8
	v_lshrrev_b32_e32 v32, 24, v32
	v_and_b32_e32 v36, 0xff, v33
	v_bfe_u32 v37, v33, 8, 8
	v_bfe_u32 v38, v33, 16, 8
	v_lshrrev_b32_e32 v33, 24, v33
	v_cvt_f32_fp8_e32 v31, v31
	v_cvt_f32_fp8_e32 v34, v34
	;; [unrolled: 1-line block ×8, first 2 shown]
	s_waitcnt lgkmcnt(0)
	v_mul_f32_e32 v31, s28, v31
	v_mul_f32_e32 v34, s28, v34
	;; [unrolled: 1-line block ×8, first 2 shown]
	v_cvt_pk_bf16_f32 v37, v31, s0
	v_cvt_pk_bf16_f32 v38, v34, s0
	;; [unrolled: 1-line block ×8, first 2 shown]
	s_and_saveexec_b64 s[18:19], s[0:1]
	s_cbranch_execz .LBB294_56
; %bb.55:                               ;   in Loop: Header=BB294_53 Depth=1
	v_cmp_gt_i32_e64 s[2:3], s33, v39
	v_add_u32_e32 v40, 1, v39
	s_nop 0
	v_cndmask_b32_e64 v37, 0, v37, s[2:3]
	v_cmp_gt_i32_e64 s[2:3], s33, v40
	v_add_u32_e32 v40, 2, v39
	s_nop 0
	v_cndmask_b32_e64 v38, 0, v38, s[2:3]
	;; [unrolled: 4-line block ×7, first 2 shown]
	v_cmp_gt_i32_e64 s[2:3], s33, v40
	s_nop 1
	v_cndmask_b32_e64 v32, 0, v32, s[2:3]
.LBB294_56:                             ;   in Loop: Header=BB294_53 Depth=1
	s_or_b64 exec, exec, s[18:19]
	global_load_dwordx2 v[40:41], v[22:23], off offset:512
	s_waitcnt vmcnt(0)
	v_and_b32_e32 v42, 0xff, v40
	v_bfe_u32 v43, v40, 8, 8
	v_bfe_u32 v44, v40, 16, 8
	v_lshrrev_b32_e32 v40, 24, v40
	v_and_b32_e32 v45, 0xff, v41
	v_bfe_u32 v46, v41, 8, 8
	v_bfe_u32 v47, v41, 16, 8
	v_lshrrev_b32_e32 v41, 24, v41
	v_cvt_f32_fp8_e32 v42, v42
	v_cvt_f32_fp8_e32 v43, v43
	;; [unrolled: 1-line block ×8, first 2 shown]
	v_mul_f32_e32 v42, s28, v42
	v_mul_f32_e32 v43, s28, v43
	;; [unrolled: 1-line block ×8, first 2 shown]
	v_cvt_pk_bf16_f32 v46, v42, s0
	v_cvt_pk_bf16_f32 v47, v43, s0
	;; [unrolled: 1-line block ×8, first 2 shown]
	s_and_saveexec_b64 s[18:19], s[0:1]
	s_cbranch_execz .LBB294_58
; %bb.57:                               ;   in Loop: Header=BB294_53 Depth=1
	v_cmp_gt_i32_e64 s[2:3], s33, v39
	v_add_u32_e32 v48, 1, v39
	s_nop 0
	v_cndmask_b32_e64 v46, 0, v46, s[2:3]
	v_cmp_gt_i32_e64 s[2:3], s33, v48
	v_add_u32_e32 v48, 2, v39
	s_nop 0
	v_cndmask_b32_e64 v47, 0, v47, s[2:3]
	;; [unrolled: 4-line block ×7, first 2 shown]
	v_cmp_gt_i32_e64 s[2:3], s33, v48
	s_nop 1
	v_cndmask_b32_e64 v41, 0, v41, s[2:3]
.LBB294_58:                             ;   in Loop: Header=BB294_53 Depth=1
	s_or_b64 exec, exec, s[18:19]
	global_load_dwordx2 v[22:23], v[22:23], off offset:1024
	s_waitcnt vmcnt(0)
	v_and_b32_e32 v48, 0xff, v22
	v_bfe_u32 v49, v22, 8, 8
	v_bfe_u32 v50, v22, 16, 8
	v_lshrrev_b32_e32 v22, 24, v22
	v_and_b32_e32 v51, 0xff, v23
	v_bfe_u32 v52, v23, 8, 8
	v_bfe_u32 v53, v23, 16, 8
	v_lshrrev_b32_e32 v23, 24, v23
	v_cvt_f32_fp8_e32 v48, v48
	v_cvt_f32_fp8_e32 v49, v49
	v_cvt_f32_fp8_e32 v50, v50
	v_cvt_f32_fp8_e32 v22, v22
	v_cvt_f32_fp8_e32 v51, v51
	v_cvt_f32_fp8_e32 v52, v52
	v_cvt_f32_fp8_e32 v53, v53
	v_cvt_f32_fp8_e32 v23, v23
	v_mul_f32_e32 v48, s28, v48
	v_mul_f32_e32 v49, s28, v49
	;; [unrolled: 1-line block ×8, first 2 shown]
	v_cvt_pk_bf16_f32 v52, v48, s0
	v_cvt_pk_bf16_f32 v53, v49, s0
	;; [unrolled: 1-line block ×8, first 2 shown]
	s_and_saveexec_b64 s[18:19], s[0:1]
	s_cbranch_execz .LBB294_60
; %bb.59:                               ;   in Loop: Header=BB294_53 Depth=1
	v_cmp_gt_i32_e64 s[2:3], s33, v39
	v_add_u32_e32 v54, 1, v39
	s_nop 0
	v_cndmask_b32_e64 v52, 0, v52, s[2:3]
	v_cmp_gt_i32_e64 s[2:3], s33, v54
	v_add_u32_e32 v54, 2, v39
	s_nop 0
	v_cndmask_b32_e64 v53, 0, v53, s[2:3]
	;; [unrolled: 4-line block ×7, first 2 shown]
	v_cmp_gt_i32_e64 s[2:3], s33, v54
	s_nop 1
	v_cndmask_b32_e64 v23, 0, v23, s[2:3]
.LBB294_60:                             ;   in Loop: Header=BB294_53 Depth=1
	s_or_b64 exec, exec, s[18:19]
	v_cvt_pk_bf16_f32 v7, v6, v7
	v_cvt_pk_bf16_f32 v6, v8, v9
	;; [unrolled: 1-line block ×4, first 2 shown]
	s_and_saveexec_b64 s[2:3], vcc
	s_cbranch_execz .LBB294_51
; %bb.61:                               ;   in Loop: Header=BB294_53 Depth=1
	v_lshl_add_u64 v[4:5], v[20:21], 0, v[16:17]
	global_load_dwordx2 v[4:5], v[4:5], off
	s_waitcnt vmcnt(0)
	v_and_b32_e32 v8, 0xff, v4
	v_bfe_u32 v9, v4, 8, 8
	v_bfe_u32 v20, v4, 16, 8
	v_lshrrev_b32_e32 v4, 24, v4
	v_and_b32_e32 v21, 0xff, v5
	v_bfe_u32 v54, v5, 8, 8
	v_bfe_u32 v55, v5, 16, 8
	v_lshrrev_b32_e32 v5, 24, v5
	v_cvt_f32_fp8_e32 v8, v8
	v_cvt_f32_fp8_e32 v9, v9
	;; [unrolled: 1-line block ×8, first 2 shown]
	v_mul_f32_e32 v8, s28, v8
	v_mul_f32_e32 v9, s28, v9
	;; [unrolled: 1-line block ×8, first 2 shown]
	v_cvt_pk_bf16_f32 v54, v8, s0
	v_cvt_pk_bf16_f32 v55, v9, s0
	;; [unrolled: 1-line block ×8, first 2 shown]
	s_and_saveexec_b64 s[18:19], s[0:1]
	s_cbranch_execz .LBB294_50
; %bb.62:                               ;   in Loop: Header=BB294_53 Depth=1
	v_cmp_gt_i32_e64 s[0:1], s33, v39
	v_add_u32_e32 v56, 1, v39
	s_nop 0
	v_cndmask_b32_e64 v54, 0, v54, s[0:1]
	v_cmp_gt_i32_e64 s[0:1], s33, v56
	v_add_u32_e32 v56, 2, v39
	s_nop 0
	v_cndmask_b32_e64 v55, 0, v55, s[0:1]
	;; [unrolled: 4-line block ×5, first 2 shown]
	v_cmp_gt_i32_e64 s[0:1], s33, v56
	v_add_u32_e32 v56, 6, v39
	v_add_u32_e32 v39, 7, v39
	v_cndmask_b32_e64 v9, 0, v9, s[0:1]
	v_cmp_gt_i32_e64 s[0:1], s33, v56
	s_nop 1
	v_cndmask_b32_e64 v4, 0, v4, s[0:1]
	v_cmp_gt_i32_e64 s[0:1], s33, v39
	s_nop 1
	v_cndmask_b32_e64 v5, 0, v5, s[0:1]
	s_branch .LBB294_50
.LBB294_63:
	s_or_b64 exec, exec, s[12:13]
.LBB294_64:
	s_or_b64 exec, exec, s[6:7]
	ds_bpermute_b32 v2, v25, v12
	ds_bpermute_b32 v3, v25, v13
	;; [unrolled: 1-line block ×4, first 2 shown]
	v_and_b32_e32 v1, 0x3c0, v0
	v_cmp_eq_u32_e64 s[0:1], 64, v1
	s_waitcnt lgkmcnt(2)
	v_pk_add_f32 v[4:5], v[12:13], v[2:3]
	v_cmp_eq_u32_e32 vcc, 0, v27
	s_waitcnt lgkmcnt(0)
	v_pk_add_f32 v[2:3], v[10:11], v[6:7]
	s_barrier
	s_and_saveexec_b64 s[2:3], s[0:1]
	s_cbranch_execz .LBB294_69
; %bb.65:
	s_and_saveexec_b64 s[0:1], vcc
	s_cbranch_execz .LBB294_67
; %bb.66:
	v_mov_b32_e32 v1, 0xf0
	v_lshl_add_u32 v1, v26, 2, v1
	ds_write2_b32 v1, v4, v5 offset1:32
	ds_write_b32 v1, v2 offset:256
.LBB294_67:
	s_or_b64 exec, exec, s[0:1]
	v_or_b32_e32 v1, 0x60, v26
	s_movk_i32 s0, 0x70
	v_cmp_gt_u32_e64 s[0:1], s0, v1
	s_and_b64 s[0:1], vcc, s[0:1]
	s_and_b64 exec, exec, s[0:1]
; %bb.68:
	v_mov_b32_e32 v1, 0xf0
	v_lshl_add_u32 v1, v26, 2, v1
	ds_write_b32 v1, v3 offset:384
.LBB294_69:
	s_or_b64 exec, exec, s[2:3]
	v_cmp_gt_u32_e64 s[0:1], 64, v0
	v_lshrrev_b32_e32 v0, 1, v0
	s_waitcnt lgkmcnt(0)
	s_barrier
	s_and_saveexec_b64 s[6:7], s[0:1]
	s_cbranch_execz .LBB294_79
; %bb.70:
	s_and_saveexec_b64 s[2:3], vcc
	s_cbranch_execz .LBB294_72
; %bb.71:
	v_mov_b32_e32 v1, 0xf0
	v_lshl_add_u32 v1, v0, 2, v1
	ds_read_b32 v1, v1
	s_waitcnt lgkmcnt(0)
	v_add_f32_e32 v4, v4, v1
.LBB294_72:
	s_or_b64 exec, exec, s[2:3]
	v_or_b32_e32 v1, 32, v0
	s_movk_i32 s8, 0x70
	v_cmp_gt_u32_e64 s[2:3], s8, v1
	s_and_b64 s[12:13], vcc, s[2:3]
	s_and_saveexec_b64 s[2:3], s[12:13]
	s_cbranch_execz .LBB294_74
; %bb.73:
	v_mov_b32_e32 v1, 0xf0
	v_lshl_add_u32 v1, v0, 2, v1
	ds_read_b32 v1, v1 offset:128
	s_waitcnt lgkmcnt(0)
	v_add_f32_e32 v5, v5, v1
.LBB294_74:
	s_or_b64 exec, exec, s[2:3]
	v_or_b32_e32 v1, 64, v0
	v_cmp_gt_u32_e64 s[2:3], s8, v1
	s_and_b64 s[8:9], vcc, s[2:3]
	s_and_saveexec_b64 s[2:3], s[8:9]
	s_cbranch_execz .LBB294_76
; %bb.75:
	v_mov_b32_e32 v1, 0xf0
	v_lshl_add_u32 v1, v0, 2, v1
	ds_read_b32 v1, v1 offset:256
	s_waitcnt lgkmcnt(0)
	v_add_f32_e32 v2, v2, v1
.LBB294_76:
	s_or_b64 exec, exec, s[2:3]
	v_or_b32_e32 v1, 0x60, v0
	s_movk_i32 s2, 0x70
	v_cmp_gt_u32_e64 s[2:3], s2, v1
	s_and_b64 s[8:9], vcc, s[2:3]
	s_and_saveexec_b64 s[2:3], s[8:9]
	s_cbranch_execz .LBB294_78
; %bb.77:
	v_mov_b32_e32 v1, 0xf0
	v_lshl_add_u32 v1, v0, 2, v1
	ds_read_b32 v1, v1 offset:384
	s_waitcnt lgkmcnt(0)
	v_add_f32_e32 v3, v3, v1
.LBB294_78:
	s_or_b64 exec, exec, s[2:3]
.LBB294_79:
	s_or_b64 exec, exec, s[6:7]
	s_barrier
	s_and_saveexec_b64 s[2:3], s[0:1]
	s_cbranch_execz .LBB294_88
; %bb.80:
	s_mul_i32 s0, s10, s11
	s_mul_i32 s0, s0, s5
	s_mulk_i32 s0, 0x70
	s_ashr_i32 s1, s0, 31
	s_lshl_b64 s[0:1], s[0:1], 1
	s_add_u32 s2, s26, s0
	s_mul_i32 s0, s11, s24
	s_addc_u32 s3, s27, s1
	s_ashr_i32 s1, s0, 31
	s_lshl_b64 s[0:1], s[0:1], 1
	s_add_u32 s2, s2, s0
	s_mul_i32 s0, s4, 0x70
	s_addc_u32 s3, s3, s1
	s_ashr_i32 s1, s0, 31
	s_lshl_b64 s[0:1], s[0:1], 1
	s_add_u32 s2, s2, s0
	s_movk_i32 s5, 0x70
	s_addc_u32 s3, s3, s1
	v_lshlrev_b32_e32 v1, 1, v0
	s_and_saveexec_b64 s[0:1], vcc
	s_cbranch_execz .LBB294_82
; %bb.81:
	v_cvt_pk_bf16_f32 v4, v4, s0
	global_store_short v1, v4, s[2:3]
.LBB294_82:
	s_or_b64 exec, exec, s[0:1]
	v_or_b32_e32 v4, 32, v0
	v_cmp_gt_u32_e64 s[0:1], s5, v4
	s_and_b64 s[4:5], vcc, s[0:1]
	s_and_saveexec_b64 s[0:1], s[4:5]
	s_cbranch_execz .LBB294_84
; %bb.83:
	v_cvt_pk_bf16_f32 v4, v5, s0
	global_store_short v1, v4, s[2:3] offset:64
.LBB294_84:
	s_or_b64 exec, exec, s[0:1]
	v_or_b32_e32 v4, 64, v0
	s_movk_i32 s4, 0x70
	v_cmp_gt_u32_e64 s[0:1], s4, v4
	s_and_b64 s[6:7], vcc, s[0:1]
	s_and_saveexec_b64 s[0:1], s[6:7]
	s_cbranch_execz .LBB294_86
; %bb.85:
	v_cvt_pk_bf16_f32 v2, v2, s0
	global_store_short v1, v2, s[2:3] offset:128
.LBB294_86:
	s_or_b64 exec, exec, s[0:1]
	v_or_b32_e32 v0, 0x60, v0
	v_cmp_gt_u32_e64 s[0:1], s4, v0
	s_and_b64 s[0:1], vcc, s[0:1]
	s_and_b64 exec, exec, s[0:1]
	s_cbranch_execz .LBB294_88
; %bb.87:
	v_cvt_pk_bf16_f32 v0, v3, s0
	global_store_short v1, v0, s[2:3] offset:192
.LBB294_88:
	s_endpgm
	.section	.rodata,"a",@progbits
	.p2align	6, 0x0
	.amdhsa_kernel _ZN4vllm25paged_attention_v1_kernelI14__hip_bfloat16hLi112ELi16ELi128ELNS_18Fp8KVCacheDataTypeE1ELb1EEEvPT_PKS3_PKT0_S9_ifPKiSB_iPKfiiiSD_SD_iiiii
		.amdhsa_group_segment_fixed_size 240
		.amdhsa_private_segment_fixed_size 0
		.amdhsa_kernarg_size 384
		.amdhsa_user_sgpr_count 2
		.amdhsa_user_sgpr_dispatch_ptr 0
		.amdhsa_user_sgpr_queue_ptr 0
		.amdhsa_user_sgpr_kernarg_segment_ptr 1
		.amdhsa_user_sgpr_dispatch_id 0
		.amdhsa_user_sgpr_kernarg_preload_length 0
		.amdhsa_user_sgpr_kernarg_preload_offset 0
		.amdhsa_user_sgpr_private_segment_size 0
		.amdhsa_uses_dynamic_stack 0
		.amdhsa_enable_private_segment 0
		.amdhsa_system_sgpr_workgroup_id_x 1
		.amdhsa_system_sgpr_workgroup_id_y 1
		.amdhsa_system_sgpr_workgroup_id_z 1
		.amdhsa_system_sgpr_workgroup_info 0
		.amdhsa_system_vgpr_workitem_id 0
		.amdhsa_next_free_vgpr 79
		.amdhsa_next_free_sgpr 49
		.amdhsa_accum_offset 80
		.amdhsa_reserve_vcc 1
		.amdhsa_float_round_mode_32 0
		.amdhsa_float_round_mode_16_64 0
		.amdhsa_float_denorm_mode_32 3
		.amdhsa_float_denorm_mode_16_64 3
		.amdhsa_dx10_clamp 1
		.amdhsa_ieee_mode 1
		.amdhsa_fp16_overflow 0
		.amdhsa_tg_split 0
		.amdhsa_exception_fp_ieee_invalid_op 0
		.amdhsa_exception_fp_denorm_src 0
		.amdhsa_exception_fp_ieee_div_zero 0
		.amdhsa_exception_fp_ieee_overflow 0
		.amdhsa_exception_fp_ieee_underflow 0
		.amdhsa_exception_fp_ieee_inexact 0
		.amdhsa_exception_int_div_zero 0
	.end_amdhsa_kernel
	.section	.text._ZN4vllm25paged_attention_v1_kernelI14__hip_bfloat16hLi112ELi16ELi128ELNS_18Fp8KVCacheDataTypeE1ELb1EEEvPT_PKS3_PKT0_S9_ifPKiSB_iPKfiiiSD_SD_iiiii,"axG",@progbits,_ZN4vllm25paged_attention_v1_kernelI14__hip_bfloat16hLi112ELi16ELi128ELNS_18Fp8KVCacheDataTypeE1ELb1EEEvPT_PKS3_PKT0_S9_ifPKiSB_iPKfiiiSD_SD_iiiii,comdat
.Lfunc_end294:
	.size	_ZN4vllm25paged_attention_v1_kernelI14__hip_bfloat16hLi112ELi16ELi128ELNS_18Fp8KVCacheDataTypeE1ELb1EEEvPT_PKS3_PKT0_S9_ifPKiSB_iPKfiiiSD_SD_iiiii, .Lfunc_end294-_ZN4vllm25paged_attention_v1_kernelI14__hip_bfloat16hLi112ELi16ELi128ELNS_18Fp8KVCacheDataTypeE1ELb1EEEvPT_PKS3_PKT0_S9_ifPKiSB_iPKfiiiSD_SD_iiiii
                                        ; -- End function
	.set _ZN4vllm25paged_attention_v1_kernelI14__hip_bfloat16hLi112ELi16ELi128ELNS_18Fp8KVCacheDataTypeE1ELb1EEEvPT_PKS3_PKT0_S9_ifPKiSB_iPKfiiiSD_SD_iiiii.num_vgpr, 79
	.set _ZN4vllm25paged_attention_v1_kernelI14__hip_bfloat16hLi112ELi16ELi128ELNS_18Fp8KVCacheDataTypeE1ELb1EEEvPT_PKS3_PKT0_S9_ifPKiSB_iPKfiiiSD_SD_iiiii.num_agpr, 0
	.set _ZN4vllm25paged_attention_v1_kernelI14__hip_bfloat16hLi112ELi16ELi128ELNS_18Fp8KVCacheDataTypeE1ELb1EEEvPT_PKS3_PKT0_S9_ifPKiSB_iPKfiiiSD_SD_iiiii.numbered_sgpr, 49
	.set _ZN4vllm25paged_attention_v1_kernelI14__hip_bfloat16hLi112ELi16ELi128ELNS_18Fp8KVCacheDataTypeE1ELb1EEEvPT_PKS3_PKT0_S9_ifPKiSB_iPKfiiiSD_SD_iiiii.num_named_barrier, 0
	.set _ZN4vllm25paged_attention_v1_kernelI14__hip_bfloat16hLi112ELi16ELi128ELNS_18Fp8KVCacheDataTypeE1ELb1EEEvPT_PKS3_PKT0_S9_ifPKiSB_iPKfiiiSD_SD_iiiii.private_seg_size, 0
	.set _ZN4vllm25paged_attention_v1_kernelI14__hip_bfloat16hLi112ELi16ELi128ELNS_18Fp8KVCacheDataTypeE1ELb1EEEvPT_PKS3_PKT0_S9_ifPKiSB_iPKfiiiSD_SD_iiiii.uses_vcc, 1
	.set _ZN4vllm25paged_attention_v1_kernelI14__hip_bfloat16hLi112ELi16ELi128ELNS_18Fp8KVCacheDataTypeE1ELb1EEEvPT_PKS3_PKT0_S9_ifPKiSB_iPKfiiiSD_SD_iiiii.uses_flat_scratch, 0
	.set _ZN4vllm25paged_attention_v1_kernelI14__hip_bfloat16hLi112ELi16ELi128ELNS_18Fp8KVCacheDataTypeE1ELb1EEEvPT_PKS3_PKT0_S9_ifPKiSB_iPKfiiiSD_SD_iiiii.has_dyn_sized_stack, 0
	.set _ZN4vllm25paged_attention_v1_kernelI14__hip_bfloat16hLi112ELi16ELi128ELNS_18Fp8KVCacheDataTypeE1ELb1EEEvPT_PKS3_PKT0_S9_ifPKiSB_iPKfiiiSD_SD_iiiii.has_recursion, 0
	.set _ZN4vllm25paged_attention_v1_kernelI14__hip_bfloat16hLi112ELi16ELi128ELNS_18Fp8KVCacheDataTypeE1ELb1EEEvPT_PKS3_PKT0_S9_ifPKiSB_iPKfiiiSD_SD_iiiii.has_indirect_call, 0
	.section	.AMDGPU.csdata,"",@progbits
; Kernel info:
; codeLenInByte = 7864
; TotalNumSgprs: 55
; NumVgprs: 79
; NumAgprs: 0
; TotalNumVgprs: 79
; ScratchSize: 0
; MemoryBound: 0
; FloatMode: 240
; IeeeMode: 1
; LDSByteSize: 240 bytes/workgroup (compile time only)
; SGPRBlocks: 6
; VGPRBlocks: 9
; NumSGPRsForWavesPerEU: 55
; NumVGPRsForWavesPerEU: 79
; AccumOffset: 80
; Occupancy: 6
; WaveLimiterHint : 1
; COMPUTE_PGM_RSRC2:SCRATCH_EN: 0
; COMPUTE_PGM_RSRC2:USER_SGPR: 2
; COMPUTE_PGM_RSRC2:TRAP_HANDLER: 0
; COMPUTE_PGM_RSRC2:TGID_X_EN: 1
; COMPUTE_PGM_RSRC2:TGID_Y_EN: 1
; COMPUTE_PGM_RSRC2:TGID_Z_EN: 1
; COMPUTE_PGM_RSRC2:TIDIG_COMP_CNT: 0
; COMPUTE_PGM_RSRC3_GFX90A:ACCUM_OFFSET: 19
; COMPUTE_PGM_RSRC3_GFX90A:TG_SPLIT: 0
	.section	.text._ZN4vllm25paged_attention_v1_kernelI14__hip_bfloat16hLi120ELi16ELi128ELNS_18Fp8KVCacheDataTypeE1ELb1EEEvPT_PKS3_PKT0_S9_ifPKiSB_iPKfiiiSD_SD_iiiii,"axG",@progbits,_ZN4vllm25paged_attention_v1_kernelI14__hip_bfloat16hLi120ELi16ELi128ELNS_18Fp8KVCacheDataTypeE1ELb1EEEvPT_PKS3_PKT0_S9_ifPKiSB_iPKfiiiSD_SD_iiiii,comdat
	.protected	_ZN4vllm25paged_attention_v1_kernelI14__hip_bfloat16hLi120ELi16ELi128ELNS_18Fp8KVCacheDataTypeE1ELb1EEEvPT_PKS3_PKT0_S9_ifPKiSB_iPKfiiiSD_SD_iiiii ; -- Begin function _ZN4vllm25paged_attention_v1_kernelI14__hip_bfloat16hLi120ELi16ELi128ELNS_18Fp8KVCacheDataTypeE1ELb1EEEvPT_PKS3_PKT0_S9_ifPKiSB_iPKfiiiSD_SD_iiiii
	.globl	_ZN4vllm25paged_attention_v1_kernelI14__hip_bfloat16hLi120ELi16ELi128ELNS_18Fp8KVCacheDataTypeE1ELb1EEEvPT_PKS3_PKT0_S9_ifPKiSB_iPKfiiiSD_SD_iiiii
	.p2align	8
	.type	_ZN4vllm25paged_attention_v1_kernelI14__hip_bfloat16hLi120ELi16ELi128ELNS_18Fp8KVCacheDataTypeE1ELb1EEEvPT_PKS3_PKT0_S9_ifPKiSB_iPKfiiiSD_SD_iiiii,@function
_ZN4vllm25paged_attention_v1_kernelI14__hip_bfloat16hLi120ELi16ELi128ELNS_18Fp8KVCacheDataTypeE1ELb1EEEvPT_PKS3_PKT0_S9_ifPKiSB_iPKfiiiSD_SD_iiiii: ; @_ZN4vllm25paged_attention_v1_kernelI14__hip_bfloat16hLi120ELi16ELi128ELNS_18Fp8KVCacheDataTypeE1ELb1EEEvPT_PKS3_PKT0_S9_ifPKiSB_iPKfiiiSD_SD_iiiii
; %bb.0:
	s_load_dword s5, s[0:1], 0x80
	s_load_dwordx2 s[6:7], s[0:1], 0x30
	s_load_dwordx2 s[36:37], s[0:1], 0x20
	s_mov_b32 s10, s3
	s_ashr_i32 s11, s3, 31
	s_lshl_b64 s[8:9], s[10:11], 2
	s_waitcnt lgkmcnt(0)
	s_add_u32 s6, s6, s8
	s_addc_u32 s7, s7, s9
	s_abs_i32 s3, s36
	v_cvt_f32_u32_e32 v1, s3
	s_sub_i32 s11, 0, s3
	s_abs_i32 s9, s5
	s_xor_b32 s8, s5, s36
	v_rcp_iflag_f32_e32 v1, v1
	s_ashr_i32 s8, s8, 31
	s_mov_b32 s44, 0
	v_mul_f32_e32 v1, 0x4f7ffffe, v1
	v_cvt_u32_f32_e32 v1, v1
	s_nop 0
	v_readfirstlane_b32 s12, v1
	s_mul_i32 s11, s11, s12
	s_mul_hi_u32 s11, s12, s11
	s_add_i32 s12, s12, s11
	s_mul_hi_u32 s11, s9, s12
	s_mul_i32 s12, s11, s3
	s_sub_i32 s9, s9, s12
	s_add_i32 s12, s11, 1
	s_sub_i32 s13, s9, s3
	s_cmp_ge_u32 s9, s3
	s_cselect_b32 s11, s12, s11
	s_cselect_b32 s9, s13, s9
	s_add_i32 s12, s11, 1
	s_cmp_ge_u32 s9, s3
	s_cselect_b32 s3, s12, s11
	s_xor_b32 s3, s3, s8
	s_sub_i32 s14, s3, s8
	s_abs_i32 s11, s14
	v_cvt_f32_u32_e32 v1, s11
	s_load_dwordx2 s[8:9], s[0:1], 0x40
	s_sub_i32 s3, 0, s11
	s_abs_i32 s12, s2
	v_rcp_iflag_f32_e32 v1, v1
	s_nop 0
	v_mul_f32_e32 v1, 0x4f7ffffe, v1
	v_cvt_u32_f32_e32 v1, v1
	s_nop 0
	v_readfirstlane_b32 s13, v1
	s_mul_i32 s3, s3, s13
	s_mul_hi_u32 s3, s13, s3
	s_add_i32 s13, s13, s3
	s_waitcnt lgkmcnt(0)
	s_cmp_eq_u64 s[8:9], 0
	s_mul_hi_u32 s13, s12, s13
	s_cbranch_scc1 .LBB295_2
; %bb.1:
	s_ashr_i32 s3, s2, 31
	s_lshl_b64 s[16:17], s[2:3], 2
	s_add_u32 s8, s8, s16
	s_addc_u32 s9, s9, s17
	s_load_dword s44, s[8:9], 0x0
.LBB295_2:
	s_load_dword s33, s[6:7], 0x0
	s_load_dwordx4 s[16:19], s[0:1], 0x48
	s_ashr_i32 s8, s2, 31
	s_ashr_i32 s9, s14, 31
	v_and_b32_e32 v2, 3, v0
	s_mul_i32 s24, s2, 0x78
	v_cmp_gt_u32_e32 vcc, 60, v0
	s_and_saveexec_b64 s[6:7], vcc
	s_cbranch_execz .LBB295_4
; %bb.3:
	s_load_dwordx2 s[14:15], s[0:1], 0x8
	s_waitcnt lgkmcnt(0)
	s_mul_i32 s20, s16, s10
	s_ashr_i32 s21, s20, 31
	s_lshl_b64 s[20:21], s[20:21], 1
	v_lshlrev_b32_e32 v1, 2, v0
	s_add_u32 s3, s14, s20
	s_addc_u32 s16, s15, s21
	s_ashr_i32 s25, s24, 31
	s_lshl_b64 s[14:15], s[24:25], 1
	s_add_u32 s14, s3, s14
	s_addc_u32 s15, s16, s15
	global_load_dword v1, v1, s[14:15]
	v_and_b32_e32 v3, 0x3fc, v0
	v_mad_u32_u24 v3, v2, 60, v3
	s_waitcnt vmcnt(0)
	ds_write_b32 v3, v1
.LBB295_4:
	s_or_b64 exec, exec, s[6:7]
	s_mul_i32 s7, s13, s11
	s_sub_i32 s7, s12, s7
	s_xor_b32 s6, s8, s9
	s_add_i32 s8, s13, 1
	s_sub_i32 s9, s7, s11
	s_load_dwordx4 s[20:23], s[0:1], 0x68
	s_load_dword s3, s[0:1], 0x78
	s_cmp_ge_u32 s7, s11
	s_cselect_b32 s8, s8, s13
	s_cselect_b32 s7, s9, s7
	s_add_i32 s9, s8, 1
	s_cmp_ge_u32 s7, s11
	s_cselect_b32 s7, s9, s8
	s_waitcnt lgkmcnt(0)
	s_abs_i32 s25, s23
	v_cvt_f32_u32_e32 v1, s25
	s_xor_b32 s7, s7, s6
	s_sub_i32 s43, s7, s6
	s_sub_i32 s6, 0, s25
	v_rcp_iflag_f32_e32 v1, v1
	s_add_i32 s11, s33, -1
	s_abs_i32 s8, s11
	v_mul_f32_e32 v1, 0x4f7ffffe, v1
	v_cvt_u32_f32_e32 v1, v1
	s_barrier
	v_readfirstlane_b32 s42, v1
	s_mul_i32 s6, s6, s42
	s_mul_hi_u32 s6, s42, s6
	s_add_i32 s42, s42, s6
	s_cmp_lt_i32 s3, 0
	s_mul_hi_u32 s9, s8, s42
	s_cbranch_scc0 .LBB295_6
; %bb.5:
	s_mul_i32 s6, s20, s36
	s_add_i32 s6, s43, s6
	s_mul_i32 s6, s6, s3
	s_sub_i32 s36, 1, s6
	s_mov_b64 s[6:7], 0
	s_branch .LBB295_7
.LBB295_6:
	s_mov_b64 s[6:7], -1
                                        ; implicit-def: $sgpr36
.LBB295_7:
	s_load_dwordx2 s[28:29], s[0:1], 0x28
	s_ashr_i32 s16, s11, 31
	s_andn2_b64 vcc, exec, s[6:7]
	s_ashr_i32 s23, s23, 31
	s_cbranch_vccnz .LBB295_9
; %bb.8:
	s_mul_i32 s6, s5, s20
	s_add_i32 s2, s6, s2
	s_mul_i32 s2, s2, s3
	s_add_i32 s36, s2, 1
.LBB295_9:
	s_load_dword s2, s[0:1], 0x38
	s_load_dwordx2 s[26:27], s[0:1], 0x0
	s_load_dwordx2 s[34:35], s[0:1], 0x18
	s_load_dword s11, s[0:1], 0x88
	s_load_dwordx4 s[12:15], s[0:1], 0x58
	s_mul_i32 s3, s9, s25
	s_waitcnt lgkmcnt(0)
	s_mul_i32 s30, s2, s10
	s_sub_i32 s3, s8, s3
	s_ashr_i32 s31, s30, 31
	s_xor_b32 s2, s16, s23
	s_add_i32 s6, s9, 1
	s_sub_i32 s7, s3, s25
	s_cmp_ge_u32 s3, s25
	s_cselect_b32 s6, s6, s9
	s_cselect_b32 s3, s7, s3
	s_add_i32 s7, s6, 1
	s_cmp_ge_u32 s3, s25
	s_cselect_b32 s3, s7, s6
	s_xor_b32 s3, s3, s2
	s_sub_i32 s16, s3, s2
	s_add_i32 s2, s33, 15
	s_ashr_i32 s3, s2, 31
	s_lshr_b32 s3, s3, 28
	s_add_i32 s2, s2, s3
	s_ashr_i32 s20, s2, 4
	v_lshrrev_b32_e32 v1, 6, v0
	v_cmp_le_i32_e64 s[6:7], s20, v1
	v_cmp_gt_i32_e32 vcc, s20, v1
	v_mov_b32_e32 v22, 0xff7fffff
	s_mul_i32 s43, s43, s18
	v_lshrrev_b32_e32 v18, 4, v0
	v_lshlrev_b32_e32 v24, 4, v1
	v_mbcnt_lo_u32_b32 v19, -1, 0
	s_and_saveexec_b64 s[18:19], vcc
	s_cbranch_execz .LBB295_21
; %bb.10:
	s_load_dwordx2 s[0:1], s[0:1], 0x10
	s_sub_i32 s45, s16, s21
	s_ashr_i32 s2, s43, 31
	v_bfe_u32 v20, v0, 2, 4
	v_mov_b32_e32 v5, 0
	s_waitcnt lgkmcnt(0)
	s_add_u32 s0, s0, s43
	s_addc_u32 s1, s1, s2
	s_abs_i32 s46, s22
	v_cvt_f32_u32_e32 v3, s46
	v_lshlrev_b32_e32 v4, 4, v20
	v_lshl_add_u64 v[6:7], s[0:1], 0, v[4:5]
	s_sub_i32 s0, 0, s46
	v_rcp_iflag_f32_e32 v3, v3
	v_cmp_eq_u32_e32 vcc, 0, v2
	v_mul_u32_u24_e32 v21, 60, v2
	v_lshlrev_b32_e32 v4, 1, v2
	v_mul_f32_e32 v3, 0x4f7ffffe, v3
	v_cvt_u32_f32_e32 v3, v3
	v_mbcnt_hi_u32_b32 v29, -1, v19
	s_mov_b32 s47, s17
	v_cmp_neq_f32_e64 s[2:3], s44, 0
	v_mul_lo_u32 v2, s0, v3
	v_mul_hi_u32 v2, v3, v2
	v_add_u32_e32 v23, v3, v2
	v_lshl_add_u64 v[2:3], v[6:7], 0, v[4:5]
	v_subrev_u32_e32 v6, s33, v20
	s_lshl_b64 s[0:1], s[30:31], 2
	v_add_u32_e32 v26, 1, v6
	v_lshlrev_b32_e32 v6, 2, v20
	s_add_u32 s0, s28, s0
	v_lshl_or_b32 v6, v1, 6, v6
	v_and_b32_e32 v4, 60, v18
	s_addc_u32 s1, s29, s1
	v_add_u32_e32 v27, 0x100, v6
	v_and_b32_e32 v6, 64, v29
	v_lshl_add_u64 v[4:5], s[0:1], 0, v[4:5]
	v_lshlrev_b32_e32 v25, 4, v1
	v_mov_b32_e32 v28, 0xff7fffff
	s_mov_b64 s[38:39], 0
	s_mov_b32 s48, 0xffff
	v_add_u32_e32 v30, 64, v6
	v_xor_b32_e32 v31, 2, v29
	v_xor_b32_e32 v32, 1, v29
	v_mov_b32_e32 v22, 0xff7fffff
	v_mov_b32_e32 v33, v1
	s_branch .LBB295_13
.LBB295_11:                             ;   in Loop: Header=BB295_13 Depth=1
	s_or_b64 exec, exec, s[40:41]
.LBB295_12:                             ;   in Loop: Header=BB295_13 Depth=1
	s_or_b64 exec, exec, s[8:9]
	v_add_u32_e32 v33, 2, v33
	v_cmp_le_i32_e64 s[0:1], s20, v33
	v_lshl_add_u64 v[4:5], v[4:5], 0, 8
	v_add_u32_e32 v25, 32, v25
	s_or_b64 s[38:39], s[0:1], s[38:39]
	v_add_u32_e32 v27, 0x80, v27
	s_andn2_b64 exec, exec, s[38:39]
	s_cbranch_execz .LBB295_20
.LBB295_13:                             ; =>This Inner Loop Header: Depth=1
	v_mul_hi_u32 v6, v25, s42
	s_waitcnt lgkmcnt(0)
	v_mul_lo_u32 v7, v6, s25
	v_sub_u32_e32 v7, v25, v7
	v_add_u32_e32 v8, 1, v6
	v_cmp_le_u32_e64 s[0:1], s25, v7
	s_nop 1
	v_cndmask_b32_e64 v6, v6, v8, s[0:1]
	v_subrev_u32_e32 v8, s25, v7
	v_cndmask_b32_e64 v7, v7, v8, s[0:1]
	v_add_u32_e32 v8, 1, v6
	v_cmp_le_u32_e64 s[0:1], s25, v7
	s_nop 1
	v_cndmask_b32_e64 v6, v6, v8, s[0:1]
	v_xor_b32_e32 v6, s23, v6
	v_subrev_u32_e32 v6, s23, v6
	v_add_u32_e32 v7, s36, v6
	v_sub_u32_e32 v9, 0, v7
	v_ashrrev_i32_e32 v8, 31, v7
	v_max_i32_e32 v7, v7, v9
	v_mul_hi_u32 v9, v7, v23
	v_mul_lo_u32 v9, v9, s46
	v_sub_u32_e32 v7, v7, v9
	v_subrev_u32_e32 v9, s46, v7
	v_cmp_le_u32_e64 s[0:1], s46, v7
	v_cmp_ge_i32_e64 s[8:9], s45, v6
	s_nop 0
	v_cndmask_b32_e64 v7, v7, v9, s[0:1]
	v_subrev_u32_e32 v9, s46, v7
	v_cmp_le_u32_e64 s[0:1], s46, v7
	s_nop 1
	v_cndmask_b32_e64 v7, v7, v9, s[0:1]
	v_xor_b32_e32 v7, v7, v8
	v_sub_u32_e32 v7, v7, v8
	v_cmp_ne_u32_e64 s[0:1], 0, v7
	s_and_b64 s[0:1], s[0:1], s[8:9]
	s_and_saveexec_b64 s[8:9], s[0:1]
	s_xor_b64 s[0:1], exec, s[8:9]
	s_cbranch_execz .LBB295_17
; %bb.14:                               ;   in Loop: Header=BB295_13 Depth=1
	s_and_saveexec_b64 s[8:9], vcc
; %bb.15:                               ;   in Loop: Header=BB295_13 Depth=1
	ds_write_b32 v27, v28
; %bb.16:                               ;   in Loop: Header=BB295_13 Depth=1
	s_or_b64 exec, exec, s[8:9]
.LBB295_17:                             ;   in Loop: Header=BB295_13 Depth=1
	s_andn2_saveexec_b64 s[8:9], s[0:1]
	s_cbranch_execz .LBB295_12
; %bb.18:                               ;   in Loop: Header=BB295_13 Depth=1
	global_load_dword v6, v[4:5], off
	s_waitcnt vmcnt(0)
	v_mad_i64_i32 v[16:17], s[0:1], v6, s47, v[2:3]
	global_load_ushort v52, v[16:17], off
	global_load_ushort v53, v[16:17], off offset:8
	global_load_ushort v54, v[16:17], off offset:256
	;; [unrolled: 1-line block ×13, first 2 shown]
	ds_read2_b32 v[48:49], v21 offset1:1
	ds_read2_b32 v[50:51], v21 offset0:2 offset1:3
	ds_read2_b32 v[14:15], v21 offset0:4 offset1:5
	;; [unrolled: 1-line block ×6, first 2 shown]
	ds_read_b32 v45, v21 offset:56
	global_load_ushort v16, v[16:17], off offset:1792
	s_load_dword s40, s[12:13], 0x0
	v_cmp_lt_i32_e64 s[0:1], v31, v30
	s_waitcnt lgkmcnt(0)
	v_lshlrev_b32_e32 v67, 16, v49
	v_and_b32_e32 v49, 0xffff0000, v49
	v_lshlrev_b32_e32 v66, 16, v48
	v_and_b32_e32 v48, 0xffff0000, v48
	;; [unrolled: 2-line block ×15, first 2 shown]
	v_cndmask_b32_e64 v47, v29, v31, s[0:1]
	v_lshlrev_b32_e32 v47, 2, v47
	s_waitcnt vmcnt(14)
	v_and_b32_sdwa v17, s48, v52 dst_sel:DWORD dst_unused:UNUSED_PAD src0_sel:DWORD src1_sel:BYTE_0
	s_waitcnt vmcnt(13)
	v_and_b32_sdwa v69, s48, v53 dst_sel:DWORD dst_unused:UNUSED_PAD src0_sel:DWORD src1_sel:BYTE_0
	v_lshrrev_b16_e32 v53, 8, v53
	v_lshrrev_b16_e32 v52, 8, v52
	v_cvt_f32_fp8_e32 v69, v69
	v_cvt_f32_fp8_e32 v53, v53
	s_waitcnt vmcnt(12)
	v_and_b32_sdwa v70, s48, v54 dst_sel:DWORD dst_unused:UNUSED_PAD src0_sel:DWORD src1_sel:BYTE_0
	v_lshrrev_b16_e32 v54, 8, v54
	v_cvt_f32_fp8_e32 v17, v17
	v_cvt_f32_fp8_e32 v52, v52
	s_waitcnt vmcnt(11)
	v_and_b32_sdwa v71, s48, v55 dst_sel:DWORD dst_unused:UNUSED_PAD src0_sel:DWORD src1_sel:BYTE_0
	v_lshrrev_b16_e32 v55, 8, v55
	v_cvt_f32_fp8_e32 v70, v70
	v_cvt_f32_fp8_e32 v54, v54
	s_waitcnt vmcnt(10)
	v_and_b32_sdwa v72, s48, v56 dst_sel:DWORD dst_unused:UNUSED_PAD src0_sel:DWORD src1_sel:BYTE_0
	v_lshrrev_b16_e32 v56, 8, v56
	v_cvt_f32_fp8_e32 v71, v71
	v_cvt_f32_fp8_e32 v55, v55
	s_waitcnt vmcnt(9)
	v_and_b32_sdwa v73, s48, v57 dst_sel:DWORD dst_unused:UNUSED_PAD src0_sel:DWORD src1_sel:BYTE_0
	v_lshrrev_b16_e32 v57, 8, v57
	v_cvt_f32_fp8_e32 v72, v72
	v_cvt_f32_fp8_e32 v56, v56
	v_mul_f32_e32 v69, s40, v69
	v_mul_f32_e32 v53, s40, v53
	s_waitcnt vmcnt(8)
	v_and_b32_sdwa v74, s48, v58 dst_sel:DWORD dst_unused:UNUSED_PAD src0_sel:DWORD src1_sel:BYTE_0
	v_lshrrev_b16_e32 v58, 8, v58
	v_cvt_f32_fp8_e32 v73, v73
	v_cvt_f32_fp8_e32 v57, v57
	v_mul_f32_e32 v17, s40, v17
	v_mul_f32_e32 v52, s40, v52
	v_cvt_pk_bf16_f32 v69, v69, s0
	v_cvt_pk_bf16_f32 v53, v53, s0
	s_waitcnt vmcnt(7)
	v_and_b32_sdwa v75, s48, v59 dst_sel:DWORD dst_unused:UNUSED_PAD src0_sel:DWORD src1_sel:BYTE_0
	v_lshrrev_b16_e32 v59, 8, v59
	v_cvt_f32_fp8_e32 v74, v74
	v_cvt_f32_fp8_e32 v58, v58
	v_mul_f32_e32 v70, s40, v70
	v_mul_f32_e32 v54, s40, v54
	v_cvt_pk_bf16_f32 v17, v17, s0
	v_cvt_pk_bf16_f32 v52, v52, s0
	v_lshlrev_b32_e32 v69, 16, v69
	v_lshlrev_b32_e32 v53, 16, v53
	s_waitcnt vmcnt(6)
	v_and_b32_sdwa v76, s48, v60 dst_sel:DWORD dst_unused:UNUSED_PAD src0_sel:DWORD src1_sel:BYTE_0
	v_lshrrev_b16_e32 v60, 8, v60
	v_cvt_f32_fp8_e32 v75, v75
	v_cvt_f32_fp8_e32 v59, v59
	v_mul_f32_e32 v71, s40, v71
	v_mul_f32_e32 v55, s40, v55
	v_cvt_pk_bf16_f32 v70, v70, s0
	v_cvt_pk_bf16_f32 v54, v54, s0
	v_lshlrev_b32_e32 v17, 16, v17
	v_lshlrev_b32_e32 v52, 16, v52
	v_mul_f32_e32 v67, v67, v69
	v_mul_f32_e32 v49, v49, v53
	s_waitcnt vmcnt(5)
	v_and_b32_sdwa v77, s48, v61 dst_sel:DWORD dst_unused:UNUSED_PAD src0_sel:DWORD src1_sel:BYTE_0
	v_lshrrev_b16_e32 v61, 8, v61
	v_cvt_f32_fp8_e32 v76, v76
	v_cvt_f32_fp8_e32 v60, v60
	v_mul_f32_e32 v72, s40, v72
	v_mul_f32_e32 v56, s40, v56
	v_cvt_pk_bf16_f32 v71, v71, s0
	v_cvt_pk_bf16_f32 v55, v55, s0
	v_lshlrev_b32_e32 v70, 16, v70
	v_lshlrev_b32_e32 v54, 16, v54
	v_fmac_f32_e32 v67, v66, v17
	v_fmac_f32_e32 v49, v48, v52
	s_waitcnt vmcnt(4)
	v_and_b32_sdwa v78, s48, v62 dst_sel:DWORD dst_unused:UNUSED_PAD src0_sel:DWORD src1_sel:BYTE_0
	v_lshrrev_b16_e32 v62, 8, v62
	v_cvt_f32_fp8_e32 v77, v77
	v_cvt_f32_fp8_e32 v61, v61
	v_mul_f32_e32 v73, s40, v73
	v_mul_f32_e32 v57, s40, v57
	v_cvt_pk_bf16_f32 v72, v72, s0
	v_cvt_pk_bf16_f32 v56, v56, s0
	v_fmac_f32_e32 v67, v68, v70
	v_fmac_f32_e32 v49, v50, v54
	v_lshlrev_b32_e32 v50, 16, v71
	v_lshlrev_b32_e32 v52, 16, v55
	s_waitcnt vmcnt(3)
	v_and_b32_sdwa v79, s48, v63 dst_sel:DWORD dst_unused:UNUSED_PAD src0_sel:DWORD src1_sel:BYTE_0
	v_lshrrev_b16_e32 v63, 8, v63
	v_cvt_f32_fp8_e32 v78, v78
	v_cvt_f32_fp8_e32 v62, v62
	v_mul_f32_e32 v74, s40, v74
	v_mul_f32_e32 v58, s40, v58
	v_cvt_pk_bf16_f32 v73, v73, s0
	v_cvt_pk_bf16_f32 v57, v57, s0
	v_fmac_f32_e32 v67, v46, v50
	v_fmac_f32_e32 v49, v51, v52
	v_lshlrev_b32_e32 v46, 16, v72
	v_lshlrev_b32_e32 v50, 16, v56
	;; [unrolled: 13-line block ×4, first 2 shown]
	v_cvt_f32_fp8_e32 v81, v81
	v_cvt_f32_fp8_e32 v65, v65
	v_mul_f32_e32 v77, s40, v77
	v_mul_f32_e32 v61, s40, v61
	v_cvt_pk_bf16_f32 v76, v76, s0
	v_cvt_pk_bf16_f32 v60, v60, s0
	s_waitcnt vmcnt(0)
	v_and_b32_sdwa v17, s48, v16 dst_sel:DWORD dst_unused:UNUSED_PAD src0_sel:DWORD src1_sel:BYTE_0
	v_lshrrev_b16_e32 v16, 8, v16
	v_fmac_f32_e32 v67, v42, v14
	v_fmac_f32_e32 v49, v12, v15
	v_lshlrev_b32_e32 v12, 16, v75
	v_lshlrev_b32_e32 v14, 16, v59
	v_mul_f32_e32 v78, s40, v78
	v_mul_f32_e32 v62, s40, v62
	v_cvt_pk_bf16_f32 v77, v77, s0
	v_cvt_pk_bf16_f32 v61, v61, s0
	v_cvt_f32_fp8_e32 v17, v17
	v_cvt_f32_fp8_e32 v16, v16
	v_fmac_f32_e32 v67, v41, v12
	v_fmac_f32_e32 v49, v13, v14
	v_lshlrev_b32_e32 v12, 16, v76
	v_lshlrev_b32_e32 v13, 16, v60
	v_mul_f32_e32 v79, s40, v79
	v_mul_f32_e32 v63, s40, v63
	v_cvt_pk_bf16_f32 v78, v78, s0
	v_cvt_pk_bf16_f32 v62, v62, s0
	v_fmac_f32_e32 v67, v40, v12
	v_fmac_f32_e32 v49, v10, v13
	v_lshlrev_b32_e32 v10, 16, v77
	v_lshlrev_b32_e32 v12, 16, v61
	v_mul_f32_e32 v80, s40, v80
	v_mul_f32_e32 v64, s40, v64
	v_cvt_pk_bf16_f32 v79, v79, s0
	v_cvt_pk_bf16_f32 v63, v63, s0
	;; [unrolled: 8-line block ×3, first 2 shown]
	v_fmac_f32_e32 v67, v38, v10
	v_fmac_f32_e32 v49, v8, v11
	v_lshlrev_b32_e32 v8, 16, v79
	v_lshlrev_b32_e32 v10, 16, v63
	v_cvt_pk_bf16_f32 v81, v81, s0
	v_cvt_pk_bf16_f32 v48, v65, s0
	v_mul_f32_e32 v17, s40, v17
	v_mul_f32_e32 v16, s40, v16
	v_fmac_f32_e32 v67, v37, v8
	v_fmac_f32_e32 v49, v9, v10
	v_lshlrev_b32_e32 v8, 16, v80
	v_lshlrev_b32_e32 v9, 16, v64
	v_cvt_pk_bf16_f32 v17, v17, s0
	v_cvt_pk_bf16_f32 v16, v16, s0
	v_fmac_f32_e32 v67, v36, v8
	v_fmac_f32_e32 v49, v6, v9
	v_lshlrev_b32_e32 v6, 16, v81
	v_lshlrev_b32_e32 v8, 16, v48
	v_fmac_f32_e32 v67, v35, v6
	v_fmac_f32_e32 v49, v7, v8
	v_lshlrev_b32_e32 v6, 16, v17
	v_lshlrev_b32_e32 v7, 16, v16
	v_fmac_f32_e32 v67, v34, v6
	v_fmac_f32_e32 v49, v45, v7
	v_add_f32_e32 v6, v67, v49
	ds_bpermute_b32 v7, v47, v6
	v_cmp_lt_i32_e64 s[0:1], v32, v30
	s_waitcnt lgkmcnt(0)
	v_add_f32_e32 v6, v6, v7
	v_cndmask_b32_e64 v8, v29, v32, s[0:1]
	v_lshlrev_b32_e32 v8, 2, v8
	ds_bpermute_b32 v7, v8, v6
	s_and_saveexec_b64 s[40:41], vcc
	s_cbranch_execz .LBB295_11
; %bb.19:                               ;   in Loop: Header=BB295_13 Depth=1
	v_add_u32_e32 v8, v26, v25
	v_cvt_f32_i32_e32 v8, v8
	s_waitcnt lgkmcnt(0)
	v_add_f32_e32 v6, v6, v7
	v_add_u32_e32 v9, v20, v25
	v_cmp_gt_i32_e64 s[0:1], s33, v9
	v_mul_f32_e32 v7, s44, v8
	v_cndmask_b32_e64 v7, 0, v7, s[2:3]
	v_fmac_f32_e32 v7, s37, v6
	v_cndmask_b32_e64 v6, 0, v7, s[0:1]
	ds_write_b32 v27, v6
	v_max_f32_e32 v6, v22, v22
	v_max_f32_e32 v6, v6, v7
	v_cndmask_b32_e64 v22, v22, v6, s[0:1]
	s_branch .LBB295_11
.LBB295_20:
	s_or_b64 exec, exec, s[38:39]
.LBB295_21:
	s_or_b64 exec, exec, s[18:19]
	v_mbcnt_hi_u32_b32 v2, -1, v19
	v_and_b32_e32 v11, 64, v2
	v_add_u32_e32 v3, 64, v11
	v_xor_b32_e32 v4, 32, v2
	v_cmp_lt_i32_e32 vcc, v4, v3
	s_waitcnt lgkmcnt(0)
	v_xor_b32_e32 v7, 16, v2
	v_max_f32_e32 v6, v22, v22
	v_cndmask_b32_e32 v4, v2, v4, vcc
	v_lshlrev_b32_e32 v5, 2, v4
	ds_bpermute_b32 v4, v5, v22
	v_cmp_lt_i32_e32 vcc, v7, v3
	v_xor_b32_e32 v8, 8, v2
	v_xor_b32_e32 v10, 4, v2
	s_waitcnt lgkmcnt(0)
	v_max_f32_e32 v4, v4, v4
	v_max_f32_e32 v4, v6, v4
	v_cndmask_b32_e32 v6, v2, v7, vcc
	v_lshlrev_b32_e32 v6, 2, v6
	ds_bpermute_b32 v7, v6, v4
	v_cmp_lt_i32_e32 vcc, v8, v3
	s_waitcnt lgkmcnt(0)
	v_max_f32_e32 v7, v7, v7
	v_max_f32_e32 v4, v4, v7
	v_cndmask_b32_e32 v7, v2, v8, vcc
	v_lshlrev_b32_e32 v9, 2, v7
	ds_bpermute_b32 v7, v9, v4
	v_cmp_lt_i32_e32 vcc, v10, v3
	s_waitcnt lgkmcnt(0)
	v_max_f32_e32 v7, v7, v7
	v_max_f32_e32 v8, v4, v7
	v_cndmask_b32_e32 v4, v2, v10, vcc
	v_lshlrev_b32_e32 v10, 2, v4
	ds_bpermute_b32 v12, v10, v8
	v_and_b32_e32 v4, 63, v0
	v_cmp_eq_u32_e32 vcc, 0, v4
	v_lshlrev_b32_e32 v7, 2, v1
	s_and_saveexec_b64 s[0:1], vcc
	s_cbranch_execz .LBB295_23
; %bb.22:
	s_waitcnt lgkmcnt(0)
	v_max_f32_e32 v12, v12, v12
	v_max_f32_e32 v8, v8, v8
	;; [unrolled: 1-line block ×3, first 2 shown]
	ds_write_b32 v7, v8 offset:240
.LBB295_23:
	s_or_b64 exec, exec, s[0:1]
	v_cmp_gt_u32_e64 s[0:1], 2, v4
	s_waitcnt lgkmcnt(0)
	v_mov_b32_e32 v12, 0xff7fffff
	v_lshlrev_b32_e32 v8, 2, v4
	s_barrier
	s_and_saveexec_b64 s[2:3], s[0:1]
; %bb.24:
	ds_read_b32 v12, v8 offset:240
; %bb.25:
	s_or_b64 exec, exec, s[2:3]
	v_xor_b32_e32 v13, 1, v2
	v_cmp_lt_i32_e64 s[2:3], v13, v3
	v_lshlrev_b32_e32 v11, 2, v11
	s_nop 0
	v_cndmask_b32_e64 v13, v2, v13, s[2:3]
	v_lshlrev_b32_e32 v25, 2, v13
	s_waitcnt lgkmcnt(0)
	ds_bpermute_b32 v13, v25, v12
	v_max_f32_e32 v12, v12, v12
	s_lshl_b32 s2, s20, 4
	s_min_i32 s37, s2, s33
	v_cmp_gt_i32_e64 s[2:3], s37, v0
	s_waitcnt lgkmcnt(0)
	v_max_f32_e32 v13, v13, v13
	v_max_f32_e32 v12, v12, v13
	ds_bpermute_b32 v12, v11, v12
	v_mov_b32_e32 v11, 0
	s_and_saveexec_b64 s[12:13], s[2:3]
	s_cbranch_execz .LBB295_29
; %bb.26:
	v_mov_b32_e32 v11, 0x100
	v_lshl_add_u32 v13, v0, 2, v11
	v_mov_b32_e32 v11, 0
	s_mov_b64 s[18:19], 0
	v_mov_b32_e32 v14, v0
.LBB295_27:                             ; =>This Inner Loop Header: Depth=1
	ds_read_b32 v15, v13
	v_add_u32_e32 v14, 0x80, v14
	v_cmp_le_i32_e64 s[8:9], s37, v14
	s_or_b64 s[18:19], s[8:9], s[18:19]
	s_waitcnt lgkmcnt(0)
	v_sub_f32_e32 v15, v15, v12
	v_mul_f32_e32 v15, 0x3fb8aa3b, v15
	v_exp_f32_e32 v15, v15
	ds_write_b32 v13, v15
	v_add_f32_e32 v11, v11, v15
	v_add_u32_e32 v13, 0x200, v13
	s_andn2_b64 exec, exec, s[18:19]
	s_cbranch_execnz .LBB295_27
; %bb.28:
	s_or_b64 exec, exec, s[18:19]
.LBB295_29:
	s_or_b64 exec, exec, s[12:13]
	ds_bpermute_b32 v5, v5, v11
	s_waitcnt lgkmcnt(0)
	v_add_f32_e32 v5, v11, v5
	ds_bpermute_b32 v6, v6, v5
	s_waitcnt lgkmcnt(0)
	v_add_f32_e32 v5, v5, v6
	ds_bpermute_b32 v6, v9, v5
	v_xor_b32_e32 v9, 2, v2
	v_cmp_lt_i32_e64 s[8:9], v9, v3
	s_waitcnt lgkmcnt(0)
	v_add_f32_e32 v5, v5, v6
	ds_bpermute_b32 v6, v10, v5
	v_cndmask_b32_e64 v3, v2, v9, s[8:9]
	v_lshlrev_b32_e32 v3, 2, v3
	s_waitcnt lgkmcnt(0)
	v_add_f32_e32 v5, v5, v6
	ds_bpermute_b32 v3, v3, v5
	s_waitcnt lgkmcnt(0)
	v_add_f32_e32 v3, v5, v3
	ds_bpermute_b32 v5, v25, v3
	s_waitcnt lgkmcnt(0)
	v_add_f32_e32 v3, v3, v5
	s_and_saveexec_b64 s[8:9], vcc
; %bb.30:
	ds_write_b32 v7, v3 offset:248
; %bb.31:
	s_or_b64 exec, exec, s[8:9]
	s_waitcnt lgkmcnt(0)
	s_barrier
	s_and_saveexec_b64 s[8:9], s[0:1]
; %bb.32:
	ds_read_b32 v3, v8 offset:248
; %bb.33:
	s_or_b64 exec, exec, s[8:9]
	s_waitcnt lgkmcnt(0)
	ds_bpermute_b32 v5, v25, v3
	v_lshlrev_b32_e32 v2, 2, v2
	v_and_b32_e32 v2, 0x100, v2
	s_waitcnt lgkmcnt(0)
	v_add_f32_e32 v3, v3, v5
	ds_bpermute_b32 v2, v2, v3
	s_and_saveexec_b64 s[0:1], s[2:3]
	s_cbranch_execz .LBB295_46
; %bb.34:
	s_waitcnt lgkmcnt(0)
	v_add_f32_e32 v2, 0x358637bd, v2
	v_div_scale_f32 v3, s[2:3], v2, v2, 1.0
	v_rcp_f32_e32 v5, v3
	v_div_scale_f32 v6, vcc, 1.0, v2, 1.0
	s_movk_i32 s2, 0x7f
	v_fma_f32 v7, -v3, v5, 1.0
	v_fmac_f32_e32 v5, v7, v5
	v_mul_f32_e32 v7, v6, v5
	v_fma_f32 v8, -v3, v7, v6
	v_fmac_f32_e32 v7, v8, v5
	v_fma_f32 v3, -v3, v7, v6
	v_div_fmas_f32 v3, v3, v5, v7
	v_xad_u32 v5, v0, -1, s37
	v_div_fixup_f32 v2, v3, v2, 1.0
	v_cmp_lt_u32_e32 vcc, s2, v5
	s_mov_b64 s[8:9], -1
	v_mov_b32_e32 v3, v0
	s_and_saveexec_b64 s[2:3], vcc
	s_cbranch_execz .LBB295_43
; %bb.35:
	v_lshrrev_b32_e32 v5, 7, v5
	v_add_u32_e32 v7, -1, v5
	v_lshrrev_b32_e32 v6, 1, v7
	v_mov_b32_e32 v3, v2
	v_add_u32_e32 v6, 1, v6
	v_cmp_lt_u32_e32 vcc, 13, v7
	v_mov_b32_e32 v9, 0
	s_and_saveexec_b64 s[8:9], vcc
	s_cbranch_execz .LBB295_39
; %bb.36:
	v_mov_b32_e32 v8, 0x100
	v_and_b32_e32 v7, -8, v6
	v_lshl_add_u32 v8, v0, 2, v8
	s_mov_b32 s18, 0
	s_mov_b64 s[12:13], 0
.LBB295_37:                             ; =>This Inner Loop Header: Depth=1
	ds_read2st64_b32 v[10:11], v8 offset1:2
	ds_read2st64_b32 v[12:13], v8 offset0:4 offset1:6
	ds_read2st64_b32 v[14:15], v8 offset0:8 offset1:10
	;; [unrolled: 1-line block ×3, first 2 shown]
	v_add_u32_e32 v7, -8, v7
	s_waitcnt lgkmcnt(3)
	v_pk_mul_f32 v[10:11], v[2:3], v[10:11]
	s_waitcnt lgkmcnt(2)
	v_pk_mul_f32 v[12:13], v[2:3], v[12:13]
	ds_write2st64_b32 v8, v10, v11 offset1:2
	ds_write2st64_b32 v8, v12, v13 offset0:4 offset1:6
	ds_read2st64_b32 v[12:13], v8 offset0:16 offset1:18
	s_waitcnt lgkmcnt(4)
	v_pk_mul_f32 v[10:11], v[2:3], v[14:15]
	ds_write2st64_b32 v8, v10, v11 offset0:8 offset1:10
	s_waitcnt lgkmcnt(4)
	v_pk_mul_f32 v[10:11], v[2:3], v[16:17]
	ds_write2st64_b32 v8, v10, v11 offset0:12 offset1:14
	ds_read2st64_b32 v[10:11], v8 offset0:20 offset1:22
	s_waitcnt lgkmcnt(3)
	v_pk_mul_f32 v[12:13], v[2:3], v[12:13]
	ds_read2st64_b32 v[14:15], v8 offset0:24 offset1:26
	ds_write2st64_b32 v8, v12, v13 offset0:16 offset1:18
	ds_read2st64_b32 v[12:13], v8 offset0:28 offset1:30
	s_waitcnt lgkmcnt(3)
	v_pk_mul_f32 v[10:11], v[2:3], v[10:11]
	ds_write2st64_b32 v8, v10, v11 offset0:20 offset1:22
	s_waitcnt lgkmcnt(3)
	v_pk_mul_f32 v[10:11], v[2:3], v[14:15]
	ds_write2st64_b32 v8, v10, v11 offset0:24 offset1:26
	s_waitcnt lgkmcnt(2)
	v_pk_mul_f32 v[10:11], v[2:3], v[12:13]
	s_add_i32 s18, s18, 16
	v_cmp_eq_u32_e32 vcc, 0, v7
	ds_write2st64_b32 v8, v10, v11 offset0:28 offset1:30
	v_add_u32_e32 v8, 0x2000, v8
	s_or_b64 s[12:13], vcc, s[12:13]
	v_mov_b32_e32 v9, s18
	s_andn2_b64 exec, exec, s[12:13]
	s_cbranch_execnz .LBB295_37
; %bb.38:
	s_or_b64 exec, exec, s[12:13]
.LBB295_39:
	s_or_b64 exec, exec, s[8:9]
	v_and_b32_e32 v6, 7, v6
	v_cmp_ne_u32_e32 vcc, 0, v6
	s_and_saveexec_b64 s[8:9], vcc
	s_cbranch_execz .LBB295_42
; %bb.40:
	v_lshlrev_b32_e32 v7, 9, v9
	v_lshlrev_b32_e32 v8, 2, v0
	s_movk_i32 s12, 0x100
	v_add3_u32 v7, v7, v8, s12
	s_mov_b64 s[12:13], 0
.LBB295_41:                             ; =>This Inner Loop Header: Depth=1
	ds_read2st64_b32 v[8:9], v7 offset1:2
	v_add_u32_e32 v6, -1, v6
	v_cmp_eq_u32_e32 vcc, 0, v6
	s_or_b64 s[12:13], vcc, s[12:13]
	s_waitcnt lgkmcnt(0)
	v_pk_mul_f32 v[8:9], v[2:3], v[8:9]
	ds_write2st64_b32 v7, v8, v9 offset1:2
	v_add_u32_e32 v7, 0x400, v7
	s_andn2_b64 exec, exec, s[12:13]
	s_cbranch_execnz .LBB295_41
.LBB295_42:
	s_or_b64 exec, exec, s[8:9]
	v_add_u32_e32 v5, 1, v5
	v_and_b32_e32 v6, 0x3fffffe, v5
	v_cmp_ne_u32_e32 vcc, v5, v6
	v_lshl_add_u32 v3, v6, 7, v0
	s_orn2_b64 s[8:9], vcc, exec
.LBB295_43:
	s_or_b64 exec, exec, s[2:3]
	s_and_b64 exec, exec, s[8:9]
	s_cbranch_execz .LBB295_46
; %bb.44:
	v_mov_b32_e32 v5, 0x100
	v_lshl_add_u32 v5, v3, 2, v5
	s_mov_b64 s[2:3], 0
.LBB295_45:                             ; =>This Inner Loop Header: Depth=1
	ds_read_b32 v6, v5
	v_add_u32_e32 v3, 0x80, v3
	v_cmp_le_i32_e32 vcc, s37, v3
	s_or_b64 s[2:3], vcc, s[2:3]
	s_waitcnt lgkmcnt(0)
	v_mul_f32_e32 v6, v2, v6
	ds_write_b32 v5, v6
	v_add_u32_e32 v5, 0x200, v5
	s_andn2_b64 exec, exec, s[2:3]
	s_cbranch_execnz .LBB295_45
.LBB295_46:
	s_or_b64 exec, exec, s[0:1]
	v_lshrrev_b32_e32 v26, 1, v4
	s_waitcnt lgkmcnt(0)
	s_barrier
	s_and_saveexec_b64 s[0:1], s[6:7]
	s_xor_b64 s[0:1], exec, s[0:1]
; %bb.47:
	v_lshrrev_b32_e32 v26, 1, v4
                                        ; implicit-def: $vgpr24
                                        ; implicit-def: $vgpr1
                                        ; implicit-def: $vgpr18
; %bb.48:
	s_or_saveexec_b64 s[6:7], s[0:1]
	v_mov_b32_e32 v11, 0
	v_and_b32_e32 v27, 1, v0
	v_mov_b32_e32 v10, 0
	v_mov_b32_e32 v13, 0
	v_mov_b32_e32 v12, 0
	s_xor_b64 exec, exec, s[6:7]
	s_cbranch_execz .LBB295_64
; %bb.49:
	s_sub_i32 s21, s16, s21
	s_ashr_i32 s0, s43, 31
	s_add_u32 s8, s34, s43
	v_lshlrev_b32_e32 v2, 3, v0
	s_addc_u32 s9, s35, s0
	s_abs_i32 s22, s22
	v_and_b32_e32 v28, 8, v2
	v_cvt_f32_u32_e32 v2, s22
	v_or_b32_e32 v3, 0x60, v26
	s_movk_i32 s0, 0x78
	v_cmp_gt_u32_e32 vcc, s0, v3
	v_rcp_iflag_f32_e32 v2, v2
	s_sub_i32 s0, 0, s22
	s_add_i32 s34, s20, -1
	v_lshl_or_b32 v16, v3, 4, v28
	v_mul_f32_e32 v2, 0x4f7ffffe, v2
	v_cvt_u32_f32_e32 v2, v2
	v_mov_b32_e32 v15, 0
	s_mov_b32 s37, s17
	v_lshl_or_b32 v14, v26, 4, v28
	v_mul_lo_u32 v3, s0, v2
	s_lshl_b64 s[0:1], s[30:31], 2
	v_mul_hi_u32 v3, v2, v3
	s_add_u32 s0, s28, s0
	v_add_u32_e32 v29, v2, v3
	v_and_b32_e32 v2, 60, v18
	v_mov_b32_e32 v3, v15
	s_addc_u32 s1, s29, s1
	v_lshl_add_u64 v[18:19], s[0:1], 0, v[2:3]
	v_lshlrev_b32_e32 v2, 5, v27
	v_lshl_or_b32 v2, v1, 6, v2
	v_mov_b32_e32 v17, v15
	v_add_u32_e32 v30, 0x100, v2
	s_mov_b64 s[12:13], 0
	v_mov_b32_e32 v12, v15
	v_mov_b32_e32 v13, v15
	;; [unrolled: 1-line block ×4, first 2 shown]
	s_branch .LBB295_53
.LBB295_50:                             ;   in Loop: Header=BB295_53 Depth=1
	s_or_b64 exec, exec, s[18:19]
	v_and_b32_e32 v39, 0xffff0000, v7
	v_lshlrev_b32_e32 v55, 16, v55
	v_mul_f32_e32 v39, v39, v55
	v_lshlrev_b32_e32 v55, 16, v7
	v_lshlrev_b32_e32 v54, 16, v54
	v_mul_f32_e32 v54, v55, v54
	v_and_b32_e32 v55, 0xffff0000, v6
	v_lshlrev_b32_e32 v21, 16, v21
	v_mul_f32_e32 v21, v55, v21
	v_lshlrev_b32_e32 v55, 16, v6
	v_lshlrev_b32_e32 v20, 16, v20
	v_mul_f32_e32 v20, v55, v20
	;; [unrolled: 6-line block ×3, first 2 shown]
	v_and_b32_e32 v55, 0xffff0000, v2
	v_lshlrev_b32_e32 v5, 16, v5
	v_cvt_pk_bf16_f32 v39, v39, s0
	v_cvt_pk_bf16_f32 v54, v54, s0
	;; [unrolled: 1-line block ×4, first 2 shown]
	v_mul_f32_e32 v5, v55, v5
	v_lshlrev_b32_e32 v55, 16, v2
	v_lshlrev_b32_e32 v4, 16, v4
	v_cvt_pk_bf16_f32 v9, v9, s0
	v_cvt_pk_bf16_f32 v8, v8, s0
	v_mul_f32_e32 v4, v55, v4
	v_lshlrev_b32_e32 v54, 16, v54
	v_lshlrev_b32_e32 v39, 16, v39
	;; [unrolled: 1-line block ×4, first 2 shown]
	v_cvt_pk_bf16_f32 v5, v5, s0
	v_cvt_pk_bf16_f32 v4, v4, s0
	v_lshlrev_b32_e32 v8, 16, v8
	v_lshlrev_b32_e32 v9, 16, v9
	v_add_f32_e32 v39, v39, v54
	v_add_f32_e32 v20, v21, v20
	v_lshlrev_b32_e32 v4, 16, v4
	v_lshlrev_b32_e32 v5, 16, v5
	v_add_f32_e32 v20, v20, v39
	v_add_f32_e32 v8, v9, v8
	;; [unrolled: 1-line block ×6, first 2 shown]
.LBB295_51:                             ;   in Loop: Header=BB295_53 Depth=1
	s_or_b64 exec, exec, s[2:3]
	v_and_b32_e32 v4, 0xffff0000, v7
	v_lshlrev_b32_e32 v5, 16, v53
	v_lshlrev_b32_e32 v7, 16, v7
	;; [unrolled: 1-line block ×3, first 2 shown]
	v_mul_f32_e32 v5, v4, v5
	v_mul_f32_e32 v8, v7, v8
	v_and_b32_e32 v9, 0xffff0000, v6
	v_lshlrev_b32_e32 v20, 16, v51
	v_lshlrev_b32_e32 v6, 16, v6
	;; [unrolled: 1-line block ×3, first 2 shown]
	v_cvt_pk_bf16_f32 v5, v5, s0
	v_cvt_pk_bf16_f32 v8, v8, s0
	v_mul_f32_e32 v20, v9, v20
	v_mul_f32_e32 v21, v6, v21
	v_cvt_pk_bf16_f32 v20, v20, s0
	v_cvt_pk_bf16_f32 v21, v21, s0
	v_and_b32_e32 v39, 0xffff0000, v3
	v_lshlrev_b32_e32 v49, 16, v49
	v_lshlrev_b32_e32 v3, 16, v3
	;; [unrolled: 1-line block ×5, first 2 shown]
	v_mul_f32_e32 v49, v39, v49
	v_mul_f32_e32 v48, v3, v48
	v_add_f32_e32 v5, v8, v5
	v_lshlrev_b32_e32 v8, 16, v21
	v_lshlrev_b32_e32 v20, 16, v20
	v_cvt_pk_bf16_f32 v49, v49, s0
	v_cvt_pk_bf16_f32 v48, v48, s0
	v_and_b32_e32 v50, 0xffff0000, v2
	v_lshlrev_b32_e32 v23, 16, v23
	v_lshlrev_b32_e32 v2, 16, v2
	;; [unrolled: 1-line block ×3, first 2 shown]
	v_add_f32_e32 v8, v8, v20
	v_mul_f32_e32 v23, v50, v23
	v_mul_f32_e32 v22, v2, v22
	v_add_f32_e32 v5, v8, v5
	v_lshlrev_b32_e32 v8, 16, v48
	v_lshlrev_b32_e32 v20, 16, v49
	v_cvt_pk_bf16_f32 v23, v23, s0
	v_cvt_pk_bf16_f32 v22, v22, s0
	v_add_f32_e32 v8, v8, v20
	v_add_f32_e32 v5, v8, v5
	v_lshlrev_b32_e32 v8, 16, v22
	v_lshlrev_b32_e32 v20, 16, v23
	v_add_f32_e32 v8, v8, v20
	v_add_f32_e32 v5, v8, v5
	;; [unrolled: 1-line block ×3, first 2 shown]
	v_lshlrev_b32_e32 v5, 16, v47
	v_lshlrev_b32_e32 v8, 16, v46
	v_mul_f32_e32 v5, v4, v5
	v_mul_f32_e32 v8, v7, v8
	v_lshlrev_b32_e32 v20, 16, v45
	v_lshlrev_b32_e32 v21, 16, v44
	v_cvt_pk_bf16_f32 v5, v5, s0
	v_cvt_pk_bf16_f32 v8, v8, s0
	v_mul_f32_e32 v20, v9, v20
	v_mul_f32_e32 v21, v6, v21
	v_cvt_pk_bf16_f32 v20, v20, s0
	v_cvt_pk_bf16_f32 v21, v21, s0
	v_lshlrev_b32_e32 v22, 16, v43
	v_lshlrev_b32_e32 v23, 16, v42
	;; [unrolled: 1-line block ×4, first 2 shown]
	v_mul_f32_e32 v22, v39, v22
	v_mul_f32_e32 v23, v3, v23
	v_add_f32_e32 v5, v8, v5
	v_lshlrev_b32_e32 v8, 16, v21
	v_lshlrev_b32_e32 v20, 16, v20
	v_cvt_pk_bf16_f32 v22, v22, s0
	v_cvt_pk_bf16_f32 v23, v23, s0
	v_lshlrev_b32_e32 v41, 16, v41
	v_lshlrev_b32_e32 v40, 16, v40
	v_add_f32_e32 v8, v8, v20
	v_mul_f32_e32 v41, v50, v41
	v_mul_f32_e32 v40, v2, v40
	v_add_f32_e32 v5, v8, v5
	v_lshlrev_b32_e32 v8, 16, v23
	v_lshlrev_b32_e32 v20, 16, v22
	v_cvt_pk_bf16_f32 v41, v41, s0
	v_cvt_pk_bf16_f32 v40, v40, s0
	v_add_f32_e32 v8, v8, v20
	v_add_f32_e32 v5, v8, v5
	v_lshlrev_b32_e32 v8, 16, v40
	v_lshlrev_b32_e32 v20, 16, v41
	v_add_f32_e32 v8, v8, v20
	v_add_f32_e32 v5, v8, v5
	v_add_f32_e32 v13, v13, v5
	v_lshlrev_b32_e32 v5, 16, v38
	v_mul_f32_e32 v4, v4, v5
	v_lshlrev_b32_e32 v5, 16, v37
	v_mul_f32_e32 v5, v7, v5
	v_lshlrev_b32_e32 v7, 16, v36
	v_lshlrev_b32_e32 v8, 16, v35
	v_cvt_pk_bf16_f32 v4, v4, s0
	v_cvt_pk_bf16_f32 v5, v5, s0
	v_mul_f32_e32 v7, v9, v7
	v_mul_f32_e32 v6, v6, v8
	v_cvt_pk_bf16_f32 v7, v7, s0
	v_cvt_pk_bf16_f32 v6, v6, s0
	v_lshlrev_b32_e32 v8, 16, v34
	v_lshlrev_b32_e32 v9, 16, v33
	;; [unrolled: 1-line block ×4, first 2 shown]
	v_mul_f32_e32 v8, v39, v8
	v_mul_f32_e32 v3, v3, v9
	v_add_f32_e32 v4, v5, v4
	v_lshlrev_b32_e32 v5, 16, v6
	v_lshlrev_b32_e32 v6, 16, v7
	v_cvt_pk_bf16_f32 v8, v8, s0
	v_cvt_pk_bf16_f32 v3, v3, s0
	v_lshlrev_b32_e32 v9, 16, v32
	v_lshlrev_b32_e32 v20, 16, v31
	v_add_f32_e32 v5, v5, v6
	v_mul_f32_e32 v9, v50, v9
	v_mul_f32_e32 v2, v2, v20
	v_add_f32_e32 v4, v5, v4
	v_lshlrev_b32_e32 v3, 16, v3
	v_lshlrev_b32_e32 v5, 16, v8
	v_cvt_pk_bf16_f32 v9, v9, s0
	v_cvt_pk_bf16_f32 v2, v2, s0
	v_add_f32_e32 v3, v3, v5
	v_add_f32_e32 v3, v3, v4
	v_lshlrev_b32_e32 v2, 16, v2
	v_lshlrev_b32_e32 v4, 16, v9
	v_add_f32_e32 v2, v2, v4
	v_add_f32_e32 v2, v2, v3
	;; [unrolled: 1-line block ×3, first 2 shown]
.LBB295_52:                             ;   in Loop: Header=BB295_53 Depth=1
	s_or_b64 exec, exec, s[16:17]
	v_add_u32_e32 v1, 2, v1
	v_cmp_le_i32_e64 s[0:1], s20, v1
	v_lshl_add_u64 v[18:19], v[18:19], 0, 8
	v_add_u32_e32 v24, 32, v24
	s_or_b64 s[12:13], s[0:1], s[12:13]
	v_add_u32_e32 v30, 0x80, v30
	s_andn2_b64 exec, exec, s[12:13]
	s_cbranch_execz .LBB295_63
.LBB295_53:                             ; =>This Inner Loop Header: Depth=1
	v_mul_hi_u32 v2, v24, s42
	v_mul_lo_u32 v3, v2, s25
	v_sub_u32_e32 v3, v24, v3
	v_add_u32_e32 v4, 1, v2
	v_cmp_le_u32_e64 s[0:1], s25, v3
	s_nop 1
	v_cndmask_b32_e64 v2, v2, v4, s[0:1]
	v_subrev_u32_e32 v4, s25, v3
	v_cndmask_b32_e64 v3, v3, v4, s[0:1]
	v_add_u32_e32 v4, 1, v2
	v_cmp_le_u32_e64 s[0:1], s25, v3
	s_nop 1
	v_cndmask_b32_e64 v2, v2, v4, s[0:1]
	v_xor_b32_e32 v2, s23, v2
	v_subrev_u32_e32 v2, s23, v2
	v_add_u32_e32 v3, s36, v2
	v_sub_u32_e32 v5, 0, v3
	v_ashrrev_i32_e32 v4, 31, v3
	v_max_i32_e32 v3, v3, v5
	v_mul_hi_u32 v5, v3, v29
	v_mul_lo_u32 v5, v5, s22
	v_sub_u32_e32 v3, v3, v5
	v_subrev_u32_e32 v5, s22, v3
	v_cmp_le_u32_e64 s[0:1], s22, v3
	v_cmp_lt_i32_e64 s[2:3], s21, v2
	s_nop 0
	v_cndmask_b32_e64 v3, v3, v5, s[0:1]
	v_subrev_u32_e32 v5, s22, v3
	v_cmp_le_u32_e64 s[0:1], s22, v3
	s_nop 1
	v_cndmask_b32_e64 v3, v3, v5, s[0:1]
	v_xor_b32_e32 v3, v3, v4
	v_sub_u32_e32 v3, v3, v4
	v_cmp_eq_u32_e64 s[0:1], 0, v3
	s_or_b64 s[0:1], s[0:1], s[2:3]
	s_and_saveexec_b64 s[16:17], s[0:1]
	s_cbranch_execz .LBB295_52
; %bb.54:                               ;   in Loop: Header=BB295_53 Depth=1
	global_load_dword v4, v[18:19], off
	v_mov_b64_e32 v[2:3], s[8:9]
	v_add_u32_e32 v39, v28, v24
	s_waitcnt vmcnt(0)
	v_mad_i64_i32 v[20:21], s[0:1], v4, s37, v[2:3]
	v_lshl_add_u64 v[22:23], v[20:21], 0, v[14:15]
	global_load_dwordx2 v[32:33], v[22:23], off
	ds_read2_b64 v[6:9], v30 offset1:1
	ds_read2_b64 v[2:5], v30 offset0:2 offset1:3
	s_load_dword s28, s[14:15], 0x0
	v_cmp_eq_u32_e64 s[0:1], s34, v1
	s_waitcnt vmcnt(0)
	v_and_b32_e32 v31, 0xff, v32
	v_bfe_u32 v34, v32, 8, 8
	v_bfe_u32 v35, v32, 16, 8
	v_lshrrev_b32_e32 v32, 24, v32
	v_and_b32_e32 v36, 0xff, v33
	v_bfe_u32 v37, v33, 8, 8
	v_bfe_u32 v38, v33, 16, 8
	v_lshrrev_b32_e32 v33, 24, v33
	v_cvt_f32_fp8_e32 v31, v31
	v_cvt_f32_fp8_e32 v34, v34
	;; [unrolled: 1-line block ×8, first 2 shown]
	s_waitcnt lgkmcnt(0)
	v_mul_f32_e32 v31, s28, v31
	v_mul_f32_e32 v34, s28, v34
	;; [unrolled: 1-line block ×8, first 2 shown]
	v_cvt_pk_bf16_f32 v37, v31, s0
	v_cvt_pk_bf16_f32 v38, v34, s0
	;; [unrolled: 1-line block ×8, first 2 shown]
	s_and_saveexec_b64 s[18:19], s[0:1]
	s_cbranch_execz .LBB295_56
; %bb.55:                               ;   in Loop: Header=BB295_53 Depth=1
	v_cmp_gt_i32_e64 s[2:3], s33, v39
	v_add_u32_e32 v40, 1, v39
	s_nop 0
	v_cndmask_b32_e64 v37, 0, v37, s[2:3]
	v_cmp_gt_i32_e64 s[2:3], s33, v40
	v_add_u32_e32 v40, 2, v39
	s_nop 0
	v_cndmask_b32_e64 v38, 0, v38, s[2:3]
	;; [unrolled: 4-line block ×7, first 2 shown]
	v_cmp_gt_i32_e64 s[2:3], s33, v40
	s_nop 1
	v_cndmask_b32_e64 v32, 0, v32, s[2:3]
.LBB295_56:                             ;   in Loop: Header=BB295_53 Depth=1
	s_or_b64 exec, exec, s[18:19]
	global_load_dwordx2 v[40:41], v[22:23], off offset:512
	s_waitcnt vmcnt(0)
	v_and_b32_e32 v42, 0xff, v40
	v_bfe_u32 v43, v40, 8, 8
	v_bfe_u32 v44, v40, 16, 8
	v_lshrrev_b32_e32 v40, 24, v40
	v_and_b32_e32 v45, 0xff, v41
	v_bfe_u32 v46, v41, 8, 8
	v_bfe_u32 v47, v41, 16, 8
	v_lshrrev_b32_e32 v41, 24, v41
	v_cvt_f32_fp8_e32 v42, v42
	v_cvt_f32_fp8_e32 v43, v43
	;; [unrolled: 1-line block ×8, first 2 shown]
	v_mul_f32_e32 v42, s28, v42
	v_mul_f32_e32 v43, s28, v43
	;; [unrolled: 1-line block ×8, first 2 shown]
	v_cvt_pk_bf16_f32 v46, v42, s0
	v_cvt_pk_bf16_f32 v47, v43, s0
	;; [unrolled: 1-line block ×8, first 2 shown]
	s_and_saveexec_b64 s[18:19], s[0:1]
	s_cbranch_execz .LBB295_58
; %bb.57:                               ;   in Loop: Header=BB295_53 Depth=1
	v_cmp_gt_i32_e64 s[2:3], s33, v39
	v_add_u32_e32 v48, 1, v39
	s_nop 0
	v_cndmask_b32_e64 v46, 0, v46, s[2:3]
	v_cmp_gt_i32_e64 s[2:3], s33, v48
	v_add_u32_e32 v48, 2, v39
	s_nop 0
	v_cndmask_b32_e64 v47, 0, v47, s[2:3]
	;; [unrolled: 4-line block ×7, first 2 shown]
	v_cmp_gt_i32_e64 s[2:3], s33, v48
	s_nop 1
	v_cndmask_b32_e64 v41, 0, v41, s[2:3]
.LBB295_58:                             ;   in Loop: Header=BB295_53 Depth=1
	s_or_b64 exec, exec, s[18:19]
	global_load_dwordx2 v[22:23], v[22:23], off offset:1024
	s_waitcnt vmcnt(0)
	v_and_b32_e32 v48, 0xff, v22
	v_bfe_u32 v49, v22, 8, 8
	v_bfe_u32 v50, v22, 16, 8
	v_lshrrev_b32_e32 v22, 24, v22
	v_and_b32_e32 v51, 0xff, v23
	v_bfe_u32 v52, v23, 8, 8
	v_bfe_u32 v53, v23, 16, 8
	v_lshrrev_b32_e32 v23, 24, v23
	v_cvt_f32_fp8_e32 v48, v48
	v_cvt_f32_fp8_e32 v49, v49
	;; [unrolled: 1-line block ×8, first 2 shown]
	v_mul_f32_e32 v48, s28, v48
	v_mul_f32_e32 v49, s28, v49
	v_mul_f32_e32 v50, s28, v50
	v_mul_f32_e32 v22, s28, v22
	v_mul_f32_e32 v54, s28, v51
	v_mul_f32_e32 v55, s28, v52
	v_mul_f32_e32 v56, s28, v53
	v_mul_f32_e32 v23, s28, v23
	v_cvt_pk_bf16_f32 v52, v48, s0
	v_cvt_pk_bf16_f32 v53, v49, s0
	;; [unrolled: 1-line block ×8, first 2 shown]
	s_and_saveexec_b64 s[18:19], s[0:1]
	s_cbranch_execz .LBB295_60
; %bb.59:                               ;   in Loop: Header=BB295_53 Depth=1
	v_cmp_gt_i32_e64 s[2:3], s33, v39
	v_add_u32_e32 v54, 1, v39
	s_nop 0
	v_cndmask_b32_e64 v52, 0, v52, s[2:3]
	v_cmp_gt_i32_e64 s[2:3], s33, v54
	v_add_u32_e32 v54, 2, v39
	s_nop 0
	v_cndmask_b32_e64 v53, 0, v53, s[2:3]
	;; [unrolled: 4-line block ×7, first 2 shown]
	v_cmp_gt_i32_e64 s[2:3], s33, v54
	s_nop 1
	v_cndmask_b32_e64 v23, 0, v23, s[2:3]
.LBB295_60:                             ;   in Loop: Header=BB295_53 Depth=1
	s_or_b64 exec, exec, s[18:19]
	v_cvt_pk_bf16_f32 v7, v6, v7
	v_cvt_pk_bf16_f32 v6, v8, v9
	;; [unrolled: 1-line block ×4, first 2 shown]
	s_and_saveexec_b64 s[2:3], vcc
	s_cbranch_execz .LBB295_51
; %bb.61:                               ;   in Loop: Header=BB295_53 Depth=1
	v_lshl_add_u64 v[4:5], v[20:21], 0, v[16:17]
	global_load_dwordx2 v[4:5], v[4:5], off
	s_waitcnt vmcnt(0)
	v_and_b32_e32 v8, 0xff, v4
	v_bfe_u32 v9, v4, 8, 8
	v_bfe_u32 v20, v4, 16, 8
	v_lshrrev_b32_e32 v4, 24, v4
	v_and_b32_e32 v21, 0xff, v5
	v_bfe_u32 v54, v5, 8, 8
	v_bfe_u32 v55, v5, 16, 8
	v_lshrrev_b32_e32 v5, 24, v5
	v_cvt_f32_fp8_e32 v8, v8
	v_cvt_f32_fp8_e32 v9, v9
	;; [unrolled: 1-line block ×8, first 2 shown]
	v_mul_f32_e32 v8, s28, v8
	v_mul_f32_e32 v9, s28, v9
	;; [unrolled: 1-line block ×8, first 2 shown]
	v_cvt_pk_bf16_f32 v54, v8, s0
	v_cvt_pk_bf16_f32 v55, v9, s0
	;; [unrolled: 1-line block ×8, first 2 shown]
	s_and_saveexec_b64 s[18:19], s[0:1]
	s_cbranch_execz .LBB295_50
; %bb.62:                               ;   in Loop: Header=BB295_53 Depth=1
	v_cmp_gt_i32_e64 s[0:1], s33, v39
	v_add_u32_e32 v56, 1, v39
	s_nop 0
	v_cndmask_b32_e64 v54, 0, v54, s[0:1]
	v_cmp_gt_i32_e64 s[0:1], s33, v56
	v_add_u32_e32 v56, 2, v39
	s_nop 0
	v_cndmask_b32_e64 v55, 0, v55, s[0:1]
	;; [unrolled: 4-line block ×5, first 2 shown]
	v_cmp_gt_i32_e64 s[0:1], s33, v56
	v_add_u32_e32 v56, 6, v39
	v_add_u32_e32 v39, 7, v39
	v_cndmask_b32_e64 v9, 0, v9, s[0:1]
	v_cmp_gt_i32_e64 s[0:1], s33, v56
	s_nop 1
	v_cndmask_b32_e64 v4, 0, v4, s[0:1]
	v_cmp_gt_i32_e64 s[0:1], s33, v39
	s_nop 1
	v_cndmask_b32_e64 v5, 0, v5, s[0:1]
	s_branch .LBB295_50
.LBB295_63:
	s_or_b64 exec, exec, s[12:13]
.LBB295_64:
	s_or_b64 exec, exec, s[6:7]
	ds_bpermute_b32 v2, v25, v12
	ds_bpermute_b32 v3, v25, v13
	ds_bpermute_b32 v6, v25, v10
	ds_bpermute_b32 v7, v25, v11
	v_and_b32_e32 v1, 0x3c0, v0
	v_cmp_eq_u32_e64 s[0:1], 64, v1
	s_waitcnt lgkmcnt(2)
	v_pk_add_f32 v[4:5], v[12:13], v[2:3]
	v_cmp_eq_u32_e32 vcc, 0, v27
	s_waitcnt lgkmcnt(0)
	v_pk_add_f32 v[2:3], v[10:11], v[6:7]
	s_barrier
	s_and_saveexec_b64 s[2:3], s[0:1]
	s_cbranch_execz .LBB295_69
; %bb.65:
	s_and_saveexec_b64 s[0:1], vcc
	s_cbranch_execz .LBB295_67
; %bb.66:
	v_mov_b32_e32 v1, 0x100
	v_lshl_add_u32 v1, v26, 2, v1
	ds_write2_b32 v1, v4, v5 offset1:32
	ds_write_b32 v1, v2 offset:256
.LBB295_67:
	s_or_b64 exec, exec, s[0:1]
	v_or_b32_e32 v1, 0x60, v26
	s_movk_i32 s0, 0x78
	v_cmp_gt_u32_e64 s[0:1], s0, v1
	s_and_b64 s[0:1], vcc, s[0:1]
	s_and_b64 exec, exec, s[0:1]
; %bb.68:
	v_mov_b32_e32 v1, 0x100
	v_lshl_add_u32 v1, v26, 2, v1
	ds_write_b32 v1, v3 offset:384
.LBB295_69:
	s_or_b64 exec, exec, s[2:3]
	v_cmp_gt_u32_e64 s[0:1], 64, v0
	v_lshrrev_b32_e32 v0, 1, v0
	s_waitcnt lgkmcnt(0)
	s_barrier
	s_and_saveexec_b64 s[6:7], s[0:1]
	s_cbranch_execz .LBB295_79
; %bb.70:
	s_and_saveexec_b64 s[2:3], vcc
	s_cbranch_execz .LBB295_72
; %bb.71:
	v_mov_b32_e32 v1, 0x100
	v_lshl_add_u32 v1, v0, 2, v1
	ds_read_b32 v1, v1
	s_waitcnt lgkmcnt(0)
	v_add_f32_e32 v4, v4, v1
.LBB295_72:
	s_or_b64 exec, exec, s[2:3]
	v_or_b32_e32 v1, 32, v0
	s_movk_i32 s8, 0x78
	v_cmp_gt_u32_e64 s[2:3], s8, v1
	s_and_b64 s[12:13], vcc, s[2:3]
	s_and_saveexec_b64 s[2:3], s[12:13]
	s_cbranch_execz .LBB295_74
; %bb.73:
	v_mov_b32_e32 v1, 0x100
	v_lshl_add_u32 v1, v0, 2, v1
	ds_read_b32 v1, v1 offset:128
	s_waitcnt lgkmcnt(0)
	v_add_f32_e32 v5, v5, v1
.LBB295_74:
	s_or_b64 exec, exec, s[2:3]
	v_or_b32_e32 v1, 64, v0
	v_cmp_gt_u32_e64 s[2:3], s8, v1
	s_and_b64 s[8:9], vcc, s[2:3]
	s_and_saveexec_b64 s[2:3], s[8:9]
	s_cbranch_execz .LBB295_76
; %bb.75:
	v_mov_b32_e32 v1, 0x100
	v_lshl_add_u32 v1, v0, 2, v1
	ds_read_b32 v1, v1 offset:256
	s_waitcnt lgkmcnt(0)
	v_add_f32_e32 v2, v2, v1
.LBB295_76:
	s_or_b64 exec, exec, s[2:3]
	v_or_b32_e32 v1, 0x60, v0
	s_movk_i32 s2, 0x78
	v_cmp_gt_u32_e64 s[2:3], s2, v1
	s_and_b64 s[8:9], vcc, s[2:3]
	s_and_saveexec_b64 s[2:3], s[8:9]
	s_cbranch_execz .LBB295_78
; %bb.77:
	v_mov_b32_e32 v1, 0x100
	v_lshl_add_u32 v1, v0, 2, v1
	ds_read_b32 v1, v1 offset:384
	s_waitcnt lgkmcnt(0)
	v_add_f32_e32 v3, v3, v1
.LBB295_78:
	s_or_b64 exec, exec, s[2:3]
.LBB295_79:
	s_or_b64 exec, exec, s[6:7]
	s_barrier
	s_and_saveexec_b64 s[2:3], s[0:1]
	s_cbranch_execz .LBB295_88
; %bb.80:
	s_mul_i32 s0, s10, s11
	s_mul_i32 s0, s0, s5
	s_mulk_i32 s0, 0x78
	s_ashr_i32 s1, s0, 31
	s_lshl_b64 s[0:1], s[0:1], 1
	s_add_u32 s2, s26, s0
	s_mul_i32 s0, s11, s24
	s_addc_u32 s3, s27, s1
	s_ashr_i32 s1, s0, 31
	s_lshl_b64 s[0:1], s[0:1], 1
	s_add_u32 s2, s2, s0
	s_mul_i32 s0, s4, 0x78
	s_addc_u32 s3, s3, s1
	s_ashr_i32 s1, s0, 31
	s_lshl_b64 s[0:1], s[0:1], 1
	s_add_u32 s2, s2, s0
	s_movk_i32 s5, 0x78
	s_addc_u32 s3, s3, s1
	v_lshlrev_b32_e32 v1, 1, v0
	s_and_saveexec_b64 s[0:1], vcc
	s_cbranch_execz .LBB295_82
; %bb.81:
	v_cvt_pk_bf16_f32 v4, v4, s0
	global_store_short v1, v4, s[2:3]
.LBB295_82:
	s_or_b64 exec, exec, s[0:1]
	v_or_b32_e32 v4, 32, v0
	v_cmp_gt_u32_e64 s[0:1], s5, v4
	s_and_b64 s[4:5], vcc, s[0:1]
	s_and_saveexec_b64 s[0:1], s[4:5]
	s_cbranch_execz .LBB295_84
; %bb.83:
	v_cvt_pk_bf16_f32 v4, v5, s0
	global_store_short v1, v4, s[2:3] offset:64
.LBB295_84:
	s_or_b64 exec, exec, s[0:1]
	v_or_b32_e32 v4, 64, v0
	s_movk_i32 s4, 0x78
	v_cmp_gt_u32_e64 s[0:1], s4, v4
	s_and_b64 s[6:7], vcc, s[0:1]
	s_and_saveexec_b64 s[0:1], s[6:7]
	s_cbranch_execz .LBB295_86
; %bb.85:
	v_cvt_pk_bf16_f32 v2, v2, s0
	global_store_short v1, v2, s[2:3] offset:128
.LBB295_86:
	s_or_b64 exec, exec, s[0:1]
	v_or_b32_e32 v0, 0x60, v0
	v_cmp_gt_u32_e64 s[0:1], s4, v0
	s_and_b64 s[0:1], vcc, s[0:1]
	s_and_b64 exec, exec, s[0:1]
	s_cbranch_execz .LBB295_88
; %bb.87:
	v_cvt_pk_bf16_f32 v0, v3, s0
	global_store_short v1, v0, s[2:3] offset:192
.LBB295_88:
	s_endpgm
	.section	.rodata,"a",@progbits
	.p2align	6, 0x0
	.amdhsa_kernel _ZN4vllm25paged_attention_v1_kernelI14__hip_bfloat16hLi120ELi16ELi128ELNS_18Fp8KVCacheDataTypeE1ELb1EEEvPT_PKS3_PKT0_S9_ifPKiSB_iPKfiiiSD_SD_iiiii
		.amdhsa_group_segment_fixed_size 256
		.amdhsa_private_segment_fixed_size 0
		.amdhsa_kernarg_size 384
		.amdhsa_user_sgpr_count 2
		.amdhsa_user_sgpr_dispatch_ptr 0
		.amdhsa_user_sgpr_queue_ptr 0
		.amdhsa_user_sgpr_kernarg_segment_ptr 1
		.amdhsa_user_sgpr_dispatch_id 0
		.amdhsa_user_sgpr_kernarg_preload_length 0
		.amdhsa_user_sgpr_kernarg_preload_offset 0
		.amdhsa_user_sgpr_private_segment_size 0
		.amdhsa_uses_dynamic_stack 0
		.amdhsa_enable_private_segment 0
		.amdhsa_system_sgpr_workgroup_id_x 1
		.amdhsa_system_sgpr_workgroup_id_y 1
		.amdhsa_system_sgpr_workgroup_id_z 1
		.amdhsa_system_sgpr_workgroup_info 0
		.amdhsa_system_vgpr_workitem_id 0
		.amdhsa_next_free_vgpr 82
		.amdhsa_next_free_sgpr 49
		.amdhsa_accum_offset 84
		.amdhsa_reserve_vcc 1
		.amdhsa_float_round_mode_32 0
		.amdhsa_float_round_mode_16_64 0
		.amdhsa_float_denorm_mode_32 3
		.amdhsa_float_denorm_mode_16_64 3
		.amdhsa_dx10_clamp 1
		.amdhsa_ieee_mode 1
		.amdhsa_fp16_overflow 0
		.amdhsa_tg_split 0
		.amdhsa_exception_fp_ieee_invalid_op 0
		.amdhsa_exception_fp_denorm_src 0
		.amdhsa_exception_fp_ieee_div_zero 0
		.amdhsa_exception_fp_ieee_overflow 0
		.amdhsa_exception_fp_ieee_underflow 0
		.amdhsa_exception_fp_ieee_inexact 0
		.amdhsa_exception_int_div_zero 0
	.end_amdhsa_kernel
	.section	.text._ZN4vllm25paged_attention_v1_kernelI14__hip_bfloat16hLi120ELi16ELi128ELNS_18Fp8KVCacheDataTypeE1ELb1EEEvPT_PKS3_PKT0_S9_ifPKiSB_iPKfiiiSD_SD_iiiii,"axG",@progbits,_ZN4vllm25paged_attention_v1_kernelI14__hip_bfloat16hLi120ELi16ELi128ELNS_18Fp8KVCacheDataTypeE1ELb1EEEvPT_PKS3_PKT0_S9_ifPKiSB_iPKfiiiSD_SD_iiiii,comdat
.Lfunc_end295:
	.size	_ZN4vllm25paged_attention_v1_kernelI14__hip_bfloat16hLi120ELi16ELi128ELNS_18Fp8KVCacheDataTypeE1ELb1EEEvPT_PKS3_PKT0_S9_ifPKiSB_iPKfiiiSD_SD_iiiii, .Lfunc_end295-_ZN4vllm25paged_attention_v1_kernelI14__hip_bfloat16hLi120ELi16ELi128ELNS_18Fp8KVCacheDataTypeE1ELb1EEEvPT_PKS3_PKT0_S9_ifPKiSB_iPKfiiiSD_SD_iiiii
                                        ; -- End function
	.set _ZN4vllm25paged_attention_v1_kernelI14__hip_bfloat16hLi120ELi16ELi128ELNS_18Fp8KVCacheDataTypeE1ELb1EEEvPT_PKS3_PKT0_S9_ifPKiSB_iPKfiiiSD_SD_iiiii.num_vgpr, 82
	.set _ZN4vllm25paged_attention_v1_kernelI14__hip_bfloat16hLi120ELi16ELi128ELNS_18Fp8KVCacheDataTypeE1ELb1EEEvPT_PKS3_PKT0_S9_ifPKiSB_iPKfiiiSD_SD_iiiii.num_agpr, 0
	.set _ZN4vllm25paged_attention_v1_kernelI14__hip_bfloat16hLi120ELi16ELi128ELNS_18Fp8KVCacheDataTypeE1ELb1EEEvPT_PKS3_PKT0_S9_ifPKiSB_iPKfiiiSD_SD_iiiii.numbered_sgpr, 49
	.set _ZN4vllm25paged_attention_v1_kernelI14__hip_bfloat16hLi120ELi16ELi128ELNS_18Fp8KVCacheDataTypeE1ELb1EEEvPT_PKS3_PKT0_S9_ifPKiSB_iPKfiiiSD_SD_iiiii.num_named_barrier, 0
	.set _ZN4vllm25paged_attention_v1_kernelI14__hip_bfloat16hLi120ELi16ELi128ELNS_18Fp8KVCacheDataTypeE1ELb1EEEvPT_PKS3_PKT0_S9_ifPKiSB_iPKfiiiSD_SD_iiiii.private_seg_size, 0
	.set _ZN4vllm25paged_attention_v1_kernelI14__hip_bfloat16hLi120ELi16ELi128ELNS_18Fp8KVCacheDataTypeE1ELb1EEEvPT_PKS3_PKT0_S9_ifPKiSB_iPKfiiiSD_SD_iiiii.uses_vcc, 1
	.set _ZN4vllm25paged_attention_v1_kernelI14__hip_bfloat16hLi120ELi16ELi128ELNS_18Fp8KVCacheDataTypeE1ELb1EEEvPT_PKS3_PKT0_S9_ifPKiSB_iPKfiiiSD_SD_iiiii.uses_flat_scratch, 0
	.set _ZN4vllm25paged_attention_v1_kernelI14__hip_bfloat16hLi120ELi16ELi128ELNS_18Fp8KVCacheDataTypeE1ELb1EEEvPT_PKS3_PKT0_S9_ifPKiSB_iPKfiiiSD_SD_iiiii.has_dyn_sized_stack, 0
	.set _ZN4vllm25paged_attention_v1_kernelI14__hip_bfloat16hLi120ELi16ELi128ELNS_18Fp8KVCacheDataTypeE1ELb1EEEvPT_PKS3_PKT0_S9_ifPKiSB_iPKfiiiSD_SD_iiiii.has_recursion, 0
	.set _ZN4vllm25paged_attention_v1_kernelI14__hip_bfloat16hLi120ELi16ELi128ELNS_18Fp8KVCacheDataTypeE1ELb1EEEvPT_PKS3_PKT0_S9_ifPKiSB_iPKfiiiSD_SD_iiiii.has_indirect_call, 0
	.section	.AMDGPU.csdata,"",@progbits
; Kernel info:
; codeLenInByte = 7984
; TotalNumSgprs: 55
; NumVgprs: 82
; NumAgprs: 0
; TotalNumVgprs: 82
; ScratchSize: 0
; MemoryBound: 0
; FloatMode: 240
; IeeeMode: 1
; LDSByteSize: 256 bytes/workgroup (compile time only)
; SGPRBlocks: 6
; VGPRBlocks: 10
; NumSGPRsForWavesPerEU: 55
; NumVGPRsForWavesPerEU: 82
; AccumOffset: 84
; Occupancy: 5
; WaveLimiterHint : 1
; COMPUTE_PGM_RSRC2:SCRATCH_EN: 0
; COMPUTE_PGM_RSRC2:USER_SGPR: 2
; COMPUTE_PGM_RSRC2:TRAP_HANDLER: 0
; COMPUTE_PGM_RSRC2:TGID_X_EN: 1
; COMPUTE_PGM_RSRC2:TGID_Y_EN: 1
; COMPUTE_PGM_RSRC2:TGID_Z_EN: 1
; COMPUTE_PGM_RSRC2:TIDIG_COMP_CNT: 0
; COMPUTE_PGM_RSRC3_GFX90A:ACCUM_OFFSET: 20
; COMPUTE_PGM_RSRC3_GFX90A:TG_SPLIT: 0
	.section	.text._ZN4vllm25paged_attention_v1_kernelI14__hip_bfloat16hLi128ELi16ELi128ELNS_18Fp8KVCacheDataTypeE1ELb1EEEvPT_PKS3_PKT0_S9_ifPKiSB_iPKfiiiSD_SD_iiiii,"axG",@progbits,_ZN4vllm25paged_attention_v1_kernelI14__hip_bfloat16hLi128ELi16ELi128ELNS_18Fp8KVCacheDataTypeE1ELb1EEEvPT_PKS3_PKT0_S9_ifPKiSB_iPKfiiiSD_SD_iiiii,comdat
	.protected	_ZN4vllm25paged_attention_v1_kernelI14__hip_bfloat16hLi128ELi16ELi128ELNS_18Fp8KVCacheDataTypeE1ELb1EEEvPT_PKS3_PKT0_S9_ifPKiSB_iPKfiiiSD_SD_iiiii ; -- Begin function _ZN4vllm25paged_attention_v1_kernelI14__hip_bfloat16hLi128ELi16ELi128ELNS_18Fp8KVCacheDataTypeE1ELb1EEEvPT_PKS3_PKT0_S9_ifPKiSB_iPKfiiiSD_SD_iiiii
	.globl	_ZN4vllm25paged_attention_v1_kernelI14__hip_bfloat16hLi128ELi16ELi128ELNS_18Fp8KVCacheDataTypeE1ELb1EEEvPT_PKS3_PKT0_S9_ifPKiSB_iPKfiiiSD_SD_iiiii
	.p2align	8
	.type	_ZN4vllm25paged_attention_v1_kernelI14__hip_bfloat16hLi128ELi16ELi128ELNS_18Fp8KVCacheDataTypeE1ELb1EEEvPT_PKS3_PKT0_S9_ifPKiSB_iPKfiiiSD_SD_iiiii,@function
_ZN4vllm25paged_attention_v1_kernelI14__hip_bfloat16hLi128ELi16ELi128ELNS_18Fp8KVCacheDataTypeE1ELb1EEEvPT_PKS3_PKT0_S9_ifPKiSB_iPKfiiiSD_SD_iiiii: ; @_ZN4vllm25paged_attention_v1_kernelI14__hip_bfloat16hLi128ELi16ELi128ELNS_18Fp8KVCacheDataTypeE1ELb1EEEvPT_PKS3_PKT0_S9_ifPKiSB_iPKfiiiSD_SD_iiiii
; %bb.0:
	s_load_dword s5, s[0:1], 0x80
	s_load_dwordx2 s[6:7], s[0:1], 0x30
	s_load_dwordx2 s[38:39], s[0:1], 0x20
	s_mov_b32 s24, s3
	s_ashr_i32 s25, s3, 31
	s_lshl_b64 s[8:9], s[24:25], 2
	s_waitcnt lgkmcnt(0)
	s_add_u32 s6, s6, s8
	s_addc_u32 s7, s7, s9
	s_abs_i32 s3, s38
	v_cvt_f32_u32_e32 v1, s3
	s_sub_i32 s10, 0, s3
	s_abs_i32 s9, s5
	s_xor_b32 s8, s5, s38
	v_rcp_iflag_f32_e32 v1, v1
	s_ashr_i32 s8, s8, 31
	s_mov_b32 s46, 0
	v_mul_f32_e32 v1, 0x4f7ffffe, v1
	v_cvt_u32_f32_e32 v1, v1
	s_nop 0
	v_readfirstlane_b32 s11, v1
	s_mul_i32 s10, s10, s11
	s_mul_hi_u32 s10, s11, s10
	s_add_i32 s11, s11, s10
	s_mul_hi_u32 s10, s9, s11
	s_mul_i32 s11, s10, s3
	s_sub_i32 s9, s9, s11
	s_add_i32 s11, s10, 1
	s_sub_i32 s12, s9, s3
	s_cmp_ge_u32 s9, s3
	s_cselect_b32 s10, s11, s10
	s_cselect_b32 s9, s12, s9
	s_add_i32 s11, s10, 1
	s_cmp_ge_u32 s9, s3
	s_cselect_b32 s3, s11, s10
	s_xor_b32 s3, s3, s8
	s_sub_i32 s14, s3, s8
	s_abs_i32 s10, s14
	v_cvt_f32_u32_e32 v1, s10
	s_load_dwordx2 s[8:9], s[0:1], 0x40
	s_sub_i32 s3, 0, s10
	s_abs_i32 s11, s2
	v_rcp_iflag_f32_e32 v1, v1
	s_nop 0
	v_mul_f32_e32 v1, 0x4f7ffffe, v1
	v_cvt_u32_f32_e32 v1, v1
	s_nop 0
	v_readfirstlane_b32 s12, v1
	s_mul_i32 s3, s3, s12
	s_mul_hi_u32 s3, s12, s3
	s_add_i32 s12, s12, s3
	s_waitcnt lgkmcnt(0)
	s_cmp_eq_u64 s[8:9], 0
	s_mul_hi_u32 s12, s11, s12
	s_cbranch_scc1 .LBB296_2
; %bb.1:
	s_ashr_i32 s3, s2, 31
	s_lshl_b64 s[16:17], s[2:3], 2
	s_add_u32 s8, s8, s16
	s_addc_u32 s9, s9, s17
	s_load_dword s46, s[8:9], 0x0
.LBB296_2:
	s_load_dword s25, s[6:7], 0x0
	s_load_dwordx4 s[16:19], s[0:1], 0x48
	s_ashr_i32 s13, s2, 31
	s_ashr_i32 s14, s14, 31
	v_and_b32_e32 v2, 3, v0
	s_lshl_b32 s26, s2, 7
	v_cmp_gt_u32_e64 s[6:7], 64, v0
	s_and_saveexec_b64 s[8:9], s[6:7]
	s_cbranch_execz .LBB296_4
; %bb.3:
	s_load_dwordx2 s[20:21], s[0:1], 0x8
	s_waitcnt lgkmcnt(0)
	s_mul_i32 s22, s16, s24
	s_ashr_i32 s23, s22, 31
	s_lshl_b64 s[22:23], s[22:23], 1
	v_lshlrev_b32_e32 v1, 2, v0
	s_add_u32 s3, s20, s22
	s_addc_u32 s15, s21, s23
	s_ashr_i32 s27, s26, 31
	s_lshl_b64 s[20:21], s[26:27], 1
	s_add_u32 s20, s3, s20
	s_addc_u32 s21, s15, s21
	global_load_dword v1, v1, s[20:21]
	v_and_b32_e32 v3, 0x3fc, v0
	v_lshl_add_u32 v3, v2, 6, v3
	s_waitcnt vmcnt(0)
	ds_write_b32 v3, v1
.LBB296_4:
	s_or_b64 exec, exec, s[8:9]
	s_mul_i32 s9, s12, s10
	s_sub_i32 s9, s11, s9
	s_xor_b32 s8, s13, s14
	s_add_i32 s11, s12, 1
	s_sub_i32 s13, s9, s10
	s_load_dwordx4 s[20:23], s[0:1], 0x68
	s_load_dword s3, s[0:1], 0x78
	s_cmp_ge_u32 s9, s10
	s_cselect_b32 s11, s11, s12
	s_cselect_b32 s9, s13, s9
	s_add_i32 s12, s11, 1
	s_cmp_ge_u32 s9, s10
	s_cselect_b32 s9, s12, s11
	s_waitcnt lgkmcnt(0)
	s_abs_i32 s27, s23
	v_cvt_f32_u32_e32 v1, s27
	s_xor_b32 s9, s9, s8
	s_sub_i32 s45, s9, s8
	s_sub_i32 s8, 0, s27
	v_rcp_iflag_f32_e32 v1, v1
	s_add_i32 s12, s25, -1
	s_abs_i32 s10, s12
	v_mul_f32_e32 v1, 0x4f7ffffe, v1
	v_cvt_u32_f32_e32 v1, v1
	s_barrier
	v_readfirstlane_b32 s33, v1
	s_mul_i32 s8, s8, s33
	s_mul_hi_u32 s8, s33, s8
	s_add_i32 s33, s33, s8
	s_cmp_lt_i32 s3, 0
	s_mul_hi_u32 s11, s10, s33
	s_cbranch_scc0 .LBB296_6
; %bb.5:
	s_mul_i32 s8, s20, s38
	s_add_i32 s8, s45, s8
	s_mul_i32 s8, s8, s3
	s_sub_i32 s38, 1, s8
	s_mov_b64 s[8:9], 0
	s_branch .LBB296_7
.LBB296_6:
	s_mov_b64 s[8:9], -1
                                        ; implicit-def: $sgpr38
.LBB296_7:
	s_load_dwordx2 s[30:31], s[0:1], 0x28
	s_ashr_i32 s19, s12, 31
	s_andn2_b64 vcc, exec, s[8:9]
	s_ashr_i32 s23, s23, 31
	s_cbranch_vccnz .LBB296_9
; %bb.8:
	s_mul_i32 s8, s5, s20
	s_add_i32 s2, s8, s2
	s_mul_i32 s2, s2, s3
	s_add_i32 s38, s2, 1
.LBB296_9:
	s_load_dword s2, s[0:1], 0x38
	s_load_dwordx2 s[28:29], s[0:1], 0x0
	s_load_dwordx2 s[36:37], s[0:1], 0x18
	s_load_dword s16, s[0:1], 0x88
	s_load_dwordx4 s[12:15], s[0:1], 0x58
	s_mul_i32 s3, s11, s27
	s_waitcnt lgkmcnt(0)
	s_mul_i32 s34, s2, s24
	s_sub_i32 s3, s10, s3
	s_ashr_i32 s35, s34, 31
	s_xor_b32 s2, s19, s23
	s_add_i32 s8, s11, 1
	s_sub_i32 s9, s3, s27
	s_cmp_ge_u32 s3, s27
	s_cselect_b32 s8, s8, s11
	s_cselect_b32 s3, s9, s3
	s_add_i32 s9, s8, 1
	s_cmp_ge_u32 s3, s27
	s_cselect_b32 s3, s9, s8
	s_xor_b32 s3, s3, s2
	s_sub_i32 s44, s3, s2
	s_add_i32 s2, s25, 15
	s_ashr_i32 s3, s2, 31
	s_lshr_b32 s3, s3, 28
	s_add_i32 s2, s2, s3
	s_ashr_i32 s20, s2, 4
	v_lshrrev_b32_e32 v1, 6, v0
	v_cmp_gt_i32_e64 s[2:3], s20, v1
	v_mov_b32_e32 v12, 0xff7fffff
	s_mul_i32 s45, s45, s18
	v_lshrrev_b32_e32 v8, 4, v0
	v_lshlrev_b32_e32 v20, 4, v1
	v_mbcnt_lo_u32_b32 v9, -1, 0
	s_and_saveexec_b64 s[18:19], s[2:3]
	s_cbranch_execz .LBB296_21
; %bb.10:
	s_load_dwordx2 s[0:1], s[0:1], 0x10
	s_sub_i32 s47, s44, s21
	s_ashr_i32 s9, s45, 31
	v_bfe_u32 v10, v0, 2, 4
	v_mov_b32_e32 v5, 0
	s_waitcnt lgkmcnt(0)
	s_add_u32 s8, s0, s45
	s_addc_u32 s9, s1, s9
	s_abs_i32 s48, s22
	v_cvt_f32_u32_e32 v3, s48
	v_lshlrev_b32_e32 v4, 4, v10
	v_lshl_add_u64 v[6:7], s[8:9], 0, v[4:5]
	s_sub_i32 s8, 0, s48
	v_rcp_iflag_f32_e32 v3, v3
	v_cmp_eq_u32_e32 vcc, 0, v2
	v_lshlrev_b32_e32 v11, 6, v2
	v_lshlrev_b32_e32 v4, 1, v2
	v_mul_f32_e32 v3, 0x4f7ffffe, v3
	v_cvt_u32_f32_e32 v3, v3
	v_mbcnt_hi_u32_b32 v18, -1, v9
	s_mov_b32 s49, s17
	v_cmp_neq_f32_e64 s[0:1], s46, 0
	v_mul_lo_u32 v2, s8, v3
	v_mul_hi_u32 v2, v3, v2
	v_add_u32_e32 v13, v3, v2
	v_lshl_add_u64 v[2:3], v[6:7], 0, v[4:5]
	v_subrev_u32_e32 v6, s25, v10
	s_lshl_b64 s[8:9], s[34:35], 2
	v_add_u32_e32 v15, 1, v6
	v_lshlrev_b32_e32 v6, 2, v10
	s_add_u32 s8, s30, s8
	v_lshl_or_b32 v6, v1, 6, v6
	v_and_b32_e32 v4, 60, v8
	s_addc_u32 s9, s31, s9
	v_add_u32_e32 v16, 0x110, v6
	v_and_b32_e32 v6, 64, v18
	v_lshl_add_u64 v[4:5], s[8:9], 0, v[4:5]
	v_lshlrev_b32_e32 v14, 4, v1
	v_mov_b32_e32 v17, 0xff7fffff
	s_mov_b64 s[40:41], 0
	s_mov_b32 s50, 0xffff
	v_add_u32_e32 v19, 64, v6
	v_xor_b32_e32 v21, 2, v18
	v_xor_b32_e32 v22, 1, v18
	v_mov_b32_e32 v12, 0xff7fffff
	v_mov_b32_e32 v23, v1
	s_branch .LBB296_13
.LBB296_11:                             ;   in Loop: Header=BB296_13 Depth=1
	s_or_b64 exec, exec, s[42:43]
.LBB296_12:                             ;   in Loop: Header=BB296_13 Depth=1
	s_or_b64 exec, exec, s[10:11]
	v_add_u32_e32 v23, 2, v23
	v_cmp_le_i32_e64 s[8:9], s20, v23
	v_lshl_add_u64 v[4:5], v[4:5], 0, 8
	v_add_u32_e32 v14, 32, v14
	s_or_b64 s[40:41], s[8:9], s[40:41]
	v_add_u32_e32 v16, 0x80, v16
	s_andn2_b64 exec, exec, s[40:41]
	s_cbranch_execz .LBB296_20
.LBB296_13:                             ; =>This Inner Loop Header: Depth=1
	v_mul_hi_u32 v6, v14, s33
	s_waitcnt lgkmcnt(0)
	v_mul_lo_u32 v7, v6, s27
	v_sub_u32_e32 v7, v14, v7
	v_add_u32_e32 v24, 1, v6
	v_cmp_le_u32_e64 s[8:9], s27, v7
	s_nop 1
	v_cndmask_b32_e64 v6, v6, v24, s[8:9]
	v_subrev_u32_e32 v24, s27, v7
	v_cndmask_b32_e64 v7, v7, v24, s[8:9]
	v_add_u32_e32 v24, 1, v6
	v_cmp_le_u32_e64 s[8:9], s27, v7
	s_nop 1
	v_cndmask_b32_e64 v6, v6, v24, s[8:9]
	v_xor_b32_e32 v6, s23, v6
	v_subrev_u32_e32 v6, s23, v6
	v_add_u32_e32 v7, s38, v6
	v_sub_u32_e32 v25, 0, v7
	v_ashrrev_i32_e32 v24, 31, v7
	v_max_i32_e32 v7, v7, v25
	v_mul_hi_u32 v25, v7, v13
	v_mul_lo_u32 v25, v25, s48
	v_sub_u32_e32 v7, v7, v25
	v_subrev_u32_e32 v25, s48, v7
	v_cmp_le_u32_e64 s[8:9], s48, v7
	v_cmp_ge_i32_e64 s[10:11], s47, v6
	s_nop 0
	v_cndmask_b32_e64 v7, v7, v25, s[8:9]
	v_subrev_u32_e32 v25, s48, v7
	v_cmp_le_u32_e64 s[8:9], s48, v7
	s_nop 1
	v_cndmask_b32_e64 v7, v7, v25, s[8:9]
	v_xor_b32_e32 v7, v7, v24
	v_sub_u32_e32 v7, v7, v24
	v_cmp_ne_u32_e64 s[8:9], 0, v7
	s_and_b64 s[8:9], s[8:9], s[10:11]
	s_and_saveexec_b64 s[10:11], s[8:9]
	s_xor_b64 s[8:9], exec, s[10:11]
	s_cbranch_execz .LBB296_17
; %bb.14:                               ;   in Loop: Header=BB296_13 Depth=1
	s_and_saveexec_b64 s[10:11], vcc
; %bb.15:                               ;   in Loop: Header=BB296_13 Depth=1
	ds_write_b32 v16, v17
; %bb.16:                               ;   in Loop: Header=BB296_13 Depth=1
	s_or_b64 exec, exec, s[10:11]
.LBB296_17:                             ;   in Loop: Header=BB296_13 Depth=1
	s_andn2_saveexec_b64 s[10:11], s[8:9]
	s_cbranch_execz .LBB296_12
; %bb.18:                               ;   in Loop: Header=BB296_13 Depth=1
	global_load_dword v6, v[4:5], off
	s_waitcnt vmcnt(0)
	v_mad_i64_i32 v[6:7], s[8:9], v6, s49, v[2:3]
	global_load_ushort v49, v[6:7], off
	global_load_ushort v62, v[6:7], off offset:8
	global_load_ushort v63, v[6:7], off offset:256
	;; [unrolled: 1-line block ×12, first 2 shown]
	ds_read_b128 v[40:43], v11
	ds_read_b128 v[50:53], v11 offset:16
	ds_read_b128 v[54:57], v11 offset:32
	;; [unrolled: 1-line block ×3, first 2 shown]
	s_load_dword s42, s[12:13], 0x0
	s_waitcnt lgkmcnt(0)
	v_lshlrev_b32_e32 v48, 16, v42
	v_lshlrev_b32_e32 v32, 16, v53
	;; [unrolled: 1-line block ×3, first 2 shown]
	v_and_b32_e32 v46, 0xffff0000, v53
	v_and_b32_e32 v44, 0xffff0000, v54
	global_load_ushort v53, v[6:7], off offset:1544
	global_load_ushort v54, v[6:7], off offset:1792
	s_nop 0
	global_load_ushort v6, v[6:7], off offset:1800
	v_lshlrev_b32_e32 v45, 16, v43
	v_lshlrev_b32_e32 v30, 16, v55
	;; [unrolled: 1-line block ×3, first 2 shown]
	v_and_b32_e32 v77, 0xffff0000, v42
	v_and_b32_e32 v78, 0xffff0000, v43
	;; [unrolled: 1-line block ×4, first 2 shown]
	v_lshlrev_b32_e32 v47, 16, v40
	v_lshlrev_b32_e32 v74, 16, v41
	;; [unrolled: 1-line block ×4, first 2 shown]
	v_and_b32_e32 v75, 0xffff0000, v40
	v_and_b32_e32 v76, 0xffff0000, v41
	;; [unrolled: 1-line block ×4, first 2 shown]
	v_lshlrev_b32_e32 v26, 16, v59
	v_lshlrev_b32_e32 v25, 16, v60
	v_and_b32_e32 v39, 0xffff0000, v59
	v_and_b32_e32 v37, 0xffff0000, v60
	v_lshlrev_b32_e32 v24, 16, v61
	v_and_b32_e32 v34, 0xffff0000, v61
	v_lshlrev_b32_e32 v38, 16, v50
	;; [unrolled: 2-line block ×4, first 2 shown]
	v_and_b32_e32 v52, 0xffff0000, v52
	v_cmp_lt_i32_e64 s[8:9], v21, v19
	s_waitcnt vmcnt(15)
	v_and_b32_sdwa v7, s50, v49 dst_sel:DWORD dst_unused:UNUSED_PAD src0_sel:DWORD src1_sel:BYTE_0
	s_waitcnt vmcnt(14)
	v_and_b32_sdwa v55, s50, v62 dst_sel:DWORD dst_unused:UNUSED_PAD src0_sel:DWORD src1_sel:BYTE_0
	v_lshrrev_b16_e32 v56, 8, v62
	v_lshrrev_b16_e32 v49, 8, v49
	v_cvt_f32_fp8_e32 v55, v55
	v_cvt_f32_fp8_e32 v56, v56
	s_waitcnt vmcnt(13)
	v_and_b32_sdwa v57, s50, v63 dst_sel:DWORD dst_unused:UNUSED_PAD src0_sel:DWORD src1_sel:BYTE_0
	v_lshrrev_b16_e32 v58, 8, v63
	v_cvt_f32_fp8_e32 v7, v7
	v_cvt_f32_fp8_e32 v49, v49
	s_waitcnt vmcnt(12)
	v_and_b32_sdwa v59, s50, v64 dst_sel:DWORD dst_unused:UNUSED_PAD src0_sel:DWORD src1_sel:BYTE_0
	;; [unrolled: 5-line block ×4, first 2 shown]
	v_lshrrev_b16_e32 v64, 8, v66
	v_cvt_f32_fp8_e32 v61, v61
	v_cvt_f32_fp8_e32 v62, v62
	v_mul_f32_e32 v55, s42, v55
	v_mul_f32_e32 v56, s42, v56
	s_waitcnt vmcnt(9)
	v_and_b32_sdwa v65, s50, v67 dst_sel:DWORD dst_unused:UNUSED_PAD src0_sel:DWORD src1_sel:BYTE_0
	v_lshrrev_b16_e32 v66, 8, v67
	v_cvt_f32_fp8_e32 v63, v63
	v_cvt_f32_fp8_e32 v64, v64
	v_mul_f32_e32 v7, s42, v7
	v_mul_f32_e32 v49, s42, v49
	v_cvt_pk_bf16_f32 v55, v55, s0
	v_cvt_pk_bf16_f32 v56, v56, s0
	s_waitcnt vmcnt(8)
	v_and_b32_sdwa v67, s50, v68 dst_sel:DWORD dst_unused:UNUSED_PAD src0_sel:DWORD src1_sel:BYTE_0
	v_lshrrev_b16_e32 v68, 8, v68
	v_cvt_f32_fp8_e32 v65, v65
	v_cvt_f32_fp8_e32 v66, v66
	v_mul_f32_e32 v57, s42, v57
	v_mul_f32_e32 v58, s42, v58
	v_cvt_pk_bf16_f32 v7, v7, s0
	v_cvt_pk_bf16_f32 v49, v49, s0
	v_lshlrev_b32_e32 v55, 16, v55
	v_lshlrev_b32_e32 v56, 16, v56
	s_waitcnt vmcnt(7)
	v_and_b32_sdwa v79, s50, v69 dst_sel:DWORD dst_unused:UNUSED_PAD src0_sel:DWORD src1_sel:BYTE_0
	v_lshrrev_b16_e32 v69, 8, v69
	v_cvt_f32_fp8_e32 v67, v67
	v_cvt_f32_fp8_e32 v68, v68
	v_mul_f32_e32 v59, s42, v59
	v_mul_f32_e32 v60, s42, v60
	v_cvt_pk_bf16_f32 v57, v57, s0
	v_cvt_pk_bf16_f32 v58, v58, s0
	v_lshlrev_b32_e32 v7, 16, v7
	v_lshlrev_b32_e32 v49, 16, v49
	v_mul_f32_e32 v55, v74, v55
	v_mul_f32_e32 v56, v76, v56
	s_waitcnt vmcnt(6)
	v_and_b32_sdwa v80, s50, v70 dst_sel:DWORD dst_unused:UNUSED_PAD src0_sel:DWORD src1_sel:BYTE_0
	v_lshrrev_b16_e32 v70, 8, v70
	v_cvt_f32_fp8_e32 v79, v79
	v_cvt_f32_fp8_e32 v69, v69
	v_mul_f32_e32 v61, s42, v61
	v_mul_f32_e32 v62, s42, v62
	v_cvt_pk_bf16_f32 v59, v59, s0
	v_cvt_pk_bf16_f32 v60, v60, s0
	v_lshlrev_b32_e32 v57, 16, v57
	v_lshlrev_b32_e32 v58, 16, v58
	v_fmac_f32_e32 v55, v47, v7
	v_fmac_f32_e32 v56, v75, v49
	s_waitcnt vmcnt(5)
	v_and_b32_sdwa v81, s50, v71 dst_sel:DWORD dst_unused:UNUSED_PAD src0_sel:DWORD src1_sel:BYTE_0
	v_lshrrev_b16_e32 v71, 8, v71
	v_cvt_f32_fp8_e32 v80, v80
	v_cvt_f32_fp8_e32 v70, v70
	v_mul_f32_e32 v63, s42, v63
	v_mul_f32_e32 v64, s42, v64
	v_cvt_pk_bf16_f32 v61, v61, s0
	v_cvt_pk_bf16_f32 v62, v62, s0
	v_lshlrev_b32_e32 v59, 16, v59
	v_fmac_f32_e32 v55, v48, v57
	v_fmac_f32_e32 v56, v77, v58
	v_lshlrev_b32_e32 v49, 16, v60
	s_waitcnt vmcnt(4)
	v_and_b32_sdwa v82, s50, v72 dst_sel:DWORD dst_unused:UNUSED_PAD src0_sel:DWORD src1_sel:BYTE_0
	v_lshrrev_b16_e32 v72, 8, v72
	v_cvt_f32_fp8_e32 v81, v81
	v_cvt_f32_fp8_e32 v71, v71
	v_mul_f32_e32 v65, s42, v65
	v_mul_f32_e32 v66, s42, v66
	v_cvt_pk_bf16_f32 v63, v63, s0
	v_cvt_pk_bf16_f32 v64, v64, s0
	v_fmac_f32_e32 v55, v45, v59
	v_fmac_f32_e32 v56, v78, v49
	v_lshlrev_b32_e32 v57, 16, v61
	v_lshlrev_b32_e32 v58, 16, v62
	s_waitcnt vmcnt(3)
	v_and_b32_sdwa v83, s50, v73 dst_sel:DWORD dst_unused:UNUSED_PAD src0_sel:DWORD src1_sel:BYTE_0
	v_lshrrev_b16_e32 v73, 8, v73
	v_cvt_f32_fp8_e32 v82, v82
	v_cvt_f32_fp8_e32 v72, v72
	v_mul_f32_e32 v67, s42, v67
	v_mul_f32_e32 v68, s42, v68
	v_cvt_pk_bf16_f32 v65, v65, s0
	v_cvt_pk_bf16_f32 v66, v66, s0
	v_fmac_f32_e32 v55, v38, v57
	v_fmac_f32_e32 v56, v50, v58
	v_lshlrev_b32_e32 v38, 16, v63
	v_lshlrev_b32_e32 v50, 16, v64
	v_cvt_f32_fp8_e32 v83, v83
	v_cvt_f32_fp8_e32 v73, v73
	v_mul_f32_e32 v79, s42, v79
	v_mul_f32_e32 v69, s42, v69
	v_cvt_pk_bf16_f32 v67, v67, s0
	v_cvt_pk_bf16_f32 v68, v68, s0
	s_waitcnt vmcnt(2)
	v_and_b32_sdwa v47, s50, v53 dst_sel:DWORD dst_unused:UNUSED_PAD src0_sel:DWORD src1_sel:BYTE_0
	v_lshrrev_b16_e32 v48, 8, v53
	v_fmac_f32_e32 v55, v35, v38
	v_fmac_f32_e32 v56, v51, v50
	v_lshlrev_b32_e32 v35, 16, v65
	v_lshlrev_b32_e32 v38, 16, v66
	v_mul_f32_e32 v80, s42, v80
	v_mul_f32_e32 v70, s42, v70
	v_cvt_pk_bf16_f32 v79, v79, s0
	v_cvt_pk_bf16_f32 v69, v69, s0
	v_cvt_f32_fp8_e32 v47, v47
	v_cvt_f32_fp8_e32 v48, v48
	s_waitcnt vmcnt(1)
	v_and_b32_sdwa v49, s50, v54 dst_sel:DWORD dst_unused:UNUSED_PAD src0_sel:DWORD src1_sel:BYTE_0
	v_lshrrev_b16_e32 v53, 8, v54
	v_fmac_f32_e32 v55, v33, v35
	v_fmac_f32_e32 v56, v52, v38
	v_lshlrev_b32_e32 v33, 16, v67
	v_lshlrev_b32_e32 v35, 16, v68
	v_mul_f32_e32 v81, s42, v81
	v_mul_f32_e32 v71, s42, v71
	v_cvt_pk_bf16_f32 v80, v80, s0
	v_cvt_pk_bf16_f32 v70, v70, s0
	v_cvt_f32_fp8_e32 v49, v49
	v_cvt_f32_fp8_e32 v53, v53
	;; [unrolled: 13-line block ×3, first 2 shown]
	v_fmac_f32_e32 v55, v31, v32
	v_fmac_f32_e32 v56, v44, v33
	v_lshlrev_b32_e32 v31, 16, v80
	v_lshlrev_b32_e32 v32, 16, v70
	v_mul_f32_e32 v83, s42, v83
	v_cvt_pk_bf16_f32 v82, v82, s0
	v_cvt_pk_bf16_f32 v72, v72, s0
	v_mul_f32_e32 v45, s42, v73
	v_fmac_f32_e32 v55, v30, v31
	v_fmac_f32_e32 v56, v43, v32
	v_lshlrev_b32_e32 v30, 16, v81
	v_lshlrev_b32_e32 v31, 16, v71
	v_cvt_pk_bf16_f32 v7, v83, s0
	v_cvt_pk_bf16_f32 v45, v45, s0
	v_mul_f32_e32 v47, s42, v47
	v_mul_f32_e32 v48, s42, v48
	v_fmac_f32_e32 v55, v29, v30
	v_fmac_f32_e32 v56, v42, v31
	v_lshlrev_b32_e32 v29, 16, v82
	v_lshlrev_b32_e32 v30, 16, v72
	v_cvt_pk_bf16_f32 v47, v47, s0
	v_cvt_pk_bf16_f32 v48, v48, s0
	v_mul_f32_e32 v49, s42, v49
	v_mul_f32_e32 v53, s42, v53
	v_fmac_f32_e32 v55, v28, v29
	v_fmac_f32_e32 v56, v41, v30
	v_lshlrev_b32_e32 v7, 16, v7
	v_lshlrev_b32_e32 v28, 16, v45
	v_cvt_pk_bf16_f32 v49, v49, s0
	v_cvt_pk_bf16_f32 v53, v53, s0
	v_mul_f32_e32 v54, s42, v54
	v_mul_f32_e32 v6, s42, v6
	v_fmac_f32_e32 v55, v27, v7
	v_fmac_f32_e32 v56, v40, v28
	v_lshlrev_b32_e32 v7, 16, v47
	v_lshlrev_b32_e32 v27, 16, v48
	v_cvt_pk_bf16_f32 v54, v54, s0
	v_cvt_pk_bf16_f32 v6, v6, s0
	v_fmac_f32_e32 v55, v26, v7
	v_fmac_f32_e32 v56, v39, v27
	v_lshlrev_b32_e32 v7, 16, v49
	v_lshlrev_b32_e32 v26, 16, v53
	v_fmac_f32_e32 v55, v25, v7
	v_fmac_f32_e32 v56, v37, v26
	v_lshlrev_b32_e32 v7, 16, v54
	v_lshlrev_b32_e32 v6, 16, v6
	v_cndmask_b32_e64 v36, v18, v21, s[8:9]
	v_fmac_f32_e32 v55, v24, v7
	v_fmac_f32_e32 v56, v34, v6
	v_lshlrev_b32_e32 v36, 2, v36
	v_add_f32_e32 v6, v55, v56
	ds_bpermute_b32 v7, v36, v6
	v_cmp_lt_i32_e64 s[8:9], v22, v19
	s_waitcnt lgkmcnt(0)
	v_add_f32_e32 v6, v6, v7
	v_cndmask_b32_e64 v24, v18, v22, s[8:9]
	v_lshlrev_b32_e32 v24, 2, v24
	ds_bpermute_b32 v7, v24, v6
	s_and_saveexec_b64 s[42:43], vcc
	s_cbranch_execz .LBB296_11
; %bb.19:                               ;   in Loop: Header=BB296_13 Depth=1
	v_add_u32_e32 v24, v15, v14
	v_cvt_f32_i32_e32 v24, v24
	s_waitcnt lgkmcnt(0)
	v_add_f32_e32 v6, v6, v7
	v_add_u32_e32 v25, v10, v14
	v_cmp_gt_i32_e64 s[8:9], s25, v25
	v_mul_f32_e32 v7, s46, v24
	v_cndmask_b32_e64 v7, 0, v7, s[0:1]
	v_fmac_f32_e32 v7, s39, v6
	v_cndmask_b32_e64 v6, 0, v7, s[8:9]
	ds_write_b32 v16, v6
	v_max_f32_e32 v6, v12, v12
	v_max_f32_e32 v6, v6, v7
	v_cndmask_b32_e64 v12, v12, v6, s[8:9]
	s_branch .LBB296_11
.LBB296_20:
	s_or_b64 exec, exec, s[40:41]
.LBB296_21:
	s_or_b64 exec, exec, s[18:19]
	v_mbcnt_hi_u32_b32 v2, -1, v9
	v_and_b32_e32 v11, 64, v2
	v_add_u32_e32 v3, 64, v11
	v_xor_b32_e32 v4, 32, v2
	v_cmp_lt_i32_e32 vcc, v4, v3
	s_waitcnt lgkmcnt(0)
	v_xor_b32_e32 v7, 16, v2
	v_max_f32_e32 v6, v12, v12
	v_cndmask_b32_e32 v4, v2, v4, vcc
	v_lshlrev_b32_e32 v4, 2, v4
	ds_bpermute_b32 v5, v4, v12
	v_cmp_lt_i32_e32 vcc, v7, v3
	v_xor_b32_e32 v9, 8, v2
	v_xor_b32_e32 v10, 4, v2
	v_and_b32_e32 v21, 63, v0
	s_waitcnt lgkmcnt(0)
	v_max_f32_e32 v5, v5, v5
	v_max_f32_e32 v6, v6, v5
	v_cndmask_b32_e32 v5, v2, v7, vcc
	v_lshlrev_b32_e32 v5, 2, v5
	ds_bpermute_b32 v7, v5, v6
	v_cmp_lt_i32_e32 vcc, v9, v3
	s_waitcnt lgkmcnt(0)
	v_max_f32_e32 v7, v7, v7
	v_max_f32_e32 v6, v6, v7
	v_cndmask_b32_e32 v7, v2, v9, vcc
	v_lshlrev_b32_e32 v9, 2, v7
	ds_bpermute_b32 v7, v9, v6
	v_cmp_lt_i32_e32 vcc, v10, v3
	s_waitcnt lgkmcnt(0)
	v_max_f32_e32 v7, v7, v7
	v_max_f32_e32 v7, v6, v7
	v_cndmask_b32_e32 v6, v2, v10, vcc
	v_lshlrev_b32_e32 v10, 2, v6
	ds_bpermute_b32 v12, v10, v7
	v_cmp_eq_u32_e32 vcc, 0, v21
	v_lshlrev_b32_e32 v6, 2, v1
	s_and_saveexec_b64 s[0:1], vcc
	s_cbranch_execz .LBB296_23
; %bb.22:
	s_waitcnt lgkmcnt(0)
	v_max_f32_e32 v12, v12, v12
	v_max_f32_e32 v7, v7, v7
	;; [unrolled: 1-line block ×3, first 2 shown]
	ds_write_b32 v6, v7 offset:256
.LBB296_23:
	s_or_b64 exec, exec, s[0:1]
	v_cmp_gt_u32_e64 s[0:1], 2, v21
	s_waitcnt lgkmcnt(0)
	v_mov_b32_e32 v12, 0xff7fffff
	v_lshlrev_b32_e32 v7, 2, v21
	s_barrier
	s_and_saveexec_b64 s[8:9], s[0:1]
; %bb.24:
	ds_read_b32 v12, v7 offset:256
; %bb.25:
	s_or_b64 exec, exec, s[8:9]
	v_xor_b32_e32 v13, 1, v2
	v_cmp_lt_i32_e64 s[8:9], v13, v3
	v_lshlrev_b32_e32 v11, 2, v11
	s_nop 0
	v_cndmask_b32_e64 v13, v2, v13, s[8:9]
	v_lshlrev_b32_e32 v22, 2, v13
	s_waitcnt lgkmcnt(0)
	ds_bpermute_b32 v13, v22, v12
	v_max_f32_e32 v12, v12, v12
	s_lshl_b32 s8, s20, 4
	s_min_i32 s39, s8, s25
	v_cmp_gt_i32_e64 s[8:9], s39, v0
	s_waitcnt lgkmcnt(0)
	v_max_f32_e32 v13, v13, v13
	v_max_f32_e32 v12, v12, v13
	ds_bpermute_b32 v12, v11, v12
	v_mov_b32_e32 v11, 0
	s_and_saveexec_b64 s[12:13], s[8:9]
	s_cbranch_execz .LBB296_29
; %bb.26:
	v_mov_b32_e32 v11, 0x110
	v_lshl_add_u32 v13, v0, 2, v11
	v_mov_b32_e32 v11, 0
	s_mov_b64 s[18:19], 0
	v_mov_b32_e32 v14, v0
.LBB296_27:                             ; =>This Inner Loop Header: Depth=1
	ds_read_b32 v15, v13
	v_add_u32_e32 v14, 0x80, v14
	v_cmp_le_i32_e64 s[10:11], s39, v14
	s_or_b64 s[18:19], s[10:11], s[18:19]
	s_waitcnt lgkmcnt(0)
	v_sub_f32_e32 v15, v15, v12
	v_mul_f32_e32 v15, 0x3fb8aa3b, v15
	v_exp_f32_e32 v15, v15
	ds_write_b32 v13, v15
	v_add_f32_e32 v11, v11, v15
	v_add_u32_e32 v13, 0x200, v13
	s_andn2_b64 exec, exec, s[18:19]
	s_cbranch_execnz .LBB296_27
; %bb.28:
	s_or_b64 exec, exec, s[18:19]
.LBB296_29:
	s_or_b64 exec, exec, s[12:13]
	ds_bpermute_b32 v4, v4, v11
	s_waitcnt lgkmcnt(0)
	v_add_f32_e32 v4, v11, v4
	ds_bpermute_b32 v5, v5, v4
	s_waitcnt lgkmcnt(0)
	v_add_f32_e32 v4, v4, v5
	ds_bpermute_b32 v5, v9, v4
	v_xor_b32_e32 v9, 2, v2
	v_cmp_lt_i32_e64 s[10:11], v9, v3
	s_waitcnt lgkmcnt(0)
	v_add_f32_e32 v4, v4, v5
	ds_bpermute_b32 v5, v10, v4
	v_cndmask_b32_e64 v3, v2, v9, s[10:11]
	v_lshlrev_b32_e32 v3, 2, v3
	s_waitcnt lgkmcnt(0)
	v_add_f32_e32 v4, v4, v5
	ds_bpermute_b32 v3, v3, v4
	s_waitcnt lgkmcnt(0)
	v_add_f32_e32 v3, v4, v3
	ds_bpermute_b32 v4, v22, v3
	s_waitcnt lgkmcnt(0)
	v_add_f32_e32 v3, v3, v4
	s_and_saveexec_b64 s[10:11], vcc
; %bb.30:
	ds_write_b32 v6, v3 offset:264
; %bb.31:
	s_or_b64 exec, exec, s[10:11]
	s_waitcnt lgkmcnt(0)
	s_barrier
	s_and_saveexec_b64 s[10:11], s[0:1]
; %bb.32:
	ds_read_b32 v3, v7 offset:264
; %bb.33:
	s_or_b64 exec, exec, s[10:11]
	s_waitcnt lgkmcnt(0)
	ds_bpermute_b32 v4, v22, v3
	v_lshlrev_b32_e32 v2, 2, v2
	v_and_b32_e32 v2, 0x100, v2
	s_waitcnt lgkmcnt(0)
	v_add_f32_e32 v3, v3, v4
	ds_bpermute_b32 v2, v2, v3
	s_and_saveexec_b64 s[0:1], s[8:9]
	s_cbranch_execz .LBB296_46
; %bb.34:
	s_waitcnt lgkmcnt(0)
	v_add_f32_e32 v2, 0x358637bd, v2
	v_div_scale_f32 v3, s[8:9], v2, v2, 1.0
	v_rcp_f32_e32 v4, v3
	v_div_scale_f32 v5, vcc, 1.0, v2, 1.0
	s_movk_i32 s8, 0x7f
	v_fma_f32 v6, -v3, v4, 1.0
	v_fmac_f32_e32 v4, v6, v4
	v_mul_f32_e32 v6, v5, v4
	v_fma_f32 v7, -v3, v6, v5
	v_fmac_f32_e32 v6, v7, v4
	v_fma_f32 v3, -v3, v6, v5
	v_div_fmas_f32 v3, v3, v4, v6
	v_xad_u32 v4, v0, -1, s39
	v_div_fixup_f32 v2, v3, v2, 1.0
	v_cmp_lt_u32_e32 vcc, s8, v4
	s_mov_b64 s[10:11], -1
	v_mov_b32_e32 v3, v0
	s_and_saveexec_b64 s[8:9], vcc
	s_cbranch_execz .LBB296_43
; %bb.35:
	v_lshrrev_b32_e32 v4, 7, v4
	v_add_u32_e32 v6, -1, v4
	v_lshrrev_b32_e32 v5, 1, v6
	v_mov_b32_e32 v3, v2
	v_add_u32_e32 v5, 1, v5
	v_cmp_lt_u32_e32 vcc, 13, v6
	v_mov_b32_e32 v9, 0
	s_and_saveexec_b64 s[10:11], vcc
	s_cbranch_execz .LBB296_39
; %bb.36:
	v_mov_b32_e32 v7, 0x110
	v_and_b32_e32 v6, -8, v5
	v_lshl_add_u32 v7, v0, 2, v7
	s_mov_b32 s18, 0
	s_mov_b64 s[12:13], 0
.LBB296_37:                             ; =>This Inner Loop Header: Depth=1
	ds_read2st64_b32 v[10:11], v7 offset1:2
	ds_read2st64_b32 v[12:13], v7 offset0:4 offset1:6
	ds_read2st64_b32 v[14:15], v7 offset0:8 offset1:10
	;; [unrolled: 1-line block ×3, first 2 shown]
	v_add_u32_e32 v6, -8, v6
	s_waitcnt lgkmcnt(3)
	v_pk_mul_f32 v[10:11], v[2:3], v[10:11]
	s_waitcnt lgkmcnt(2)
	v_pk_mul_f32 v[12:13], v[2:3], v[12:13]
	ds_write2st64_b32 v7, v10, v11 offset1:2
	ds_write2st64_b32 v7, v12, v13 offset0:4 offset1:6
	ds_read2st64_b32 v[12:13], v7 offset0:16 offset1:18
	s_waitcnt lgkmcnt(4)
	v_pk_mul_f32 v[10:11], v[2:3], v[14:15]
	ds_write2st64_b32 v7, v10, v11 offset0:8 offset1:10
	s_waitcnt lgkmcnt(4)
	v_pk_mul_f32 v[10:11], v[2:3], v[16:17]
	ds_write2st64_b32 v7, v10, v11 offset0:12 offset1:14
	ds_read2st64_b32 v[10:11], v7 offset0:20 offset1:22
	s_waitcnt lgkmcnt(3)
	v_pk_mul_f32 v[12:13], v[2:3], v[12:13]
	ds_read2st64_b32 v[14:15], v7 offset0:24 offset1:26
	ds_write2st64_b32 v7, v12, v13 offset0:16 offset1:18
	ds_read2st64_b32 v[12:13], v7 offset0:28 offset1:30
	s_waitcnt lgkmcnt(3)
	v_pk_mul_f32 v[10:11], v[2:3], v[10:11]
	ds_write2st64_b32 v7, v10, v11 offset0:20 offset1:22
	s_waitcnt lgkmcnt(3)
	v_pk_mul_f32 v[10:11], v[2:3], v[14:15]
	ds_write2st64_b32 v7, v10, v11 offset0:24 offset1:26
	s_waitcnt lgkmcnt(2)
	v_pk_mul_f32 v[10:11], v[2:3], v[12:13]
	s_add_i32 s18, s18, 16
	v_cmp_eq_u32_e32 vcc, 0, v6
	ds_write2st64_b32 v7, v10, v11 offset0:28 offset1:30
	v_add_u32_e32 v7, 0x2000, v7
	s_or_b64 s[12:13], vcc, s[12:13]
	v_mov_b32_e32 v9, s18
	s_andn2_b64 exec, exec, s[12:13]
	s_cbranch_execnz .LBB296_37
; %bb.38:
	s_or_b64 exec, exec, s[12:13]
.LBB296_39:
	s_or_b64 exec, exec, s[10:11]
	v_and_b32_e32 v5, 7, v5
	v_cmp_ne_u32_e32 vcc, 0, v5
	s_and_saveexec_b64 s[10:11], vcc
	s_cbranch_execz .LBB296_42
; %bb.40:
	v_lshlrev_b32_e32 v6, 9, v9
	v_lshlrev_b32_e32 v7, 2, v0
	s_movk_i32 s12, 0x110
	v_add3_u32 v6, v6, v7, s12
	s_mov_b64 s[12:13], 0
.LBB296_41:                             ; =>This Inner Loop Header: Depth=1
	ds_read2st64_b32 v[10:11], v6 offset1:2
	v_add_u32_e32 v5, -1, v5
	v_cmp_eq_u32_e32 vcc, 0, v5
	s_or_b64 s[12:13], vcc, s[12:13]
	s_waitcnt lgkmcnt(0)
	v_pk_mul_f32 v[10:11], v[2:3], v[10:11]
	ds_write2st64_b32 v6, v10, v11 offset1:2
	v_add_u32_e32 v6, 0x400, v6
	s_andn2_b64 exec, exec, s[12:13]
	s_cbranch_execnz .LBB296_41
.LBB296_42:
	s_or_b64 exec, exec, s[10:11]
	v_add_u32_e32 v4, 1, v4
	v_and_b32_e32 v5, 0x3fffffe, v4
	v_cmp_ne_u32_e32 vcc, v4, v5
	v_lshl_add_u32 v3, v5, 7, v0
	s_orn2_b64 s[10:11], vcc, exec
.LBB296_43:
	s_or_b64 exec, exec, s[8:9]
	s_and_b64 exec, exec, s[10:11]
	s_cbranch_execz .LBB296_46
; %bb.44:
	v_mov_b32_e32 v4, 0x110
	v_lshl_add_u32 v4, v3, 2, v4
	s_mov_b64 s[8:9], 0
.LBB296_45:                             ; =>This Inner Loop Header: Depth=1
	ds_read_b32 v5, v4
	v_add_u32_e32 v3, 0x80, v3
	v_cmp_le_i32_e32 vcc, s39, v3
	s_or_b64 s[8:9], vcc, s[8:9]
	s_waitcnt lgkmcnt(0)
	v_mul_f32_e32 v5, v2, v5
	ds_write_b32 v4, v5
	v_add_u32_e32 v4, 0x200, v4
	s_andn2_b64 exec, exec, s[8:9]
	s_cbranch_execnz .LBB296_45
.LBB296_46:
	s_or_b64 exec, exec, s[0:1]
	v_mov_b32_e32 v11, 0
	v_and_b32_e32 v23, 1, v0
	v_mov_b32_e32 v10, v11
	v_mov_b32_e32 v13, v11
	;; [unrolled: 1-line block ×3, first 2 shown]
	s_waitcnt lgkmcnt(0)
	s_barrier
	s_and_saveexec_b64 s[8:9], s[2:3]
	s_cbranch_execz .LBB296_60
; %bb.47:
	s_sub_i32 s18, s44, s21
	s_ashr_i32 s1, s45, 31
	s_add_u32 s0, s36, s45
	s_addc_u32 s1, s37, s1
	s_abs_i32 s19, s22
	v_cvt_f32_u32_e32 v2, s19
	v_lshlrev_b32_e32 v3, 3, v0
	v_and_b32_e32 v12, 0x1f8, v3
	v_mov_b32_e32 v13, 0
	v_rcp_iflag_f32_e32 v2, v2
	v_lshl_add_u64 v[14:15], s[0:1], 0, v[12:13]
	s_sub_i32 s0, 0, s19
	v_and_b32_e32 v24, 8, v3
	v_mul_f32_e32 v2, 0x4f7ffffe, v2
	v_cvt_u32_f32_e32 v2, v2
	s_add_i32 s21, s20, -1
	v_and_b32_e32 v12, 60, v8
	s_mov_b64 s[2:3], 0
	v_mul_lo_u32 v3, s0, v2
	v_mul_hi_u32 v3, v2, v3
	s_lshl_b64 s[0:1], s[34:35], 2
	v_add_u32_e32 v25, v2, v3
	s_add_u32 s0, s30, s0
	v_lshlrev_b32_e32 v2, 5, v23
	s_addc_u32 s1, s31, s1
	v_lshl_or_b32 v2, v1, 6, v2
	v_lshl_add_u64 v[16:17], s[0:1], 0, v[12:13]
	v_add_u32_e32 v26, 0x110, v2
	v_mov_b32_e32 v12, v13
	v_mov_b32_e32 v10, v13
	;; [unrolled: 1-line block ×3, first 2 shown]
	s_branch .LBB296_50
.LBB296_48:                             ;   in Loop: Header=BB296_50 Depth=1
	s_or_b64 exec, exec, s[0:1]
	v_cvt_pk_bf16_f32 v6, v6, s0
	v_cvt_pk_bf16_f32 v7, v7, s0
	;; [unrolled: 1-line block ×4, first 2 shown]
	v_lshlrev_b32_e32 v7, 16, v7
	v_lshlrev_b32_e32 v35, 16, v64
	;; [unrolled: 1-line block ×4, first 2 shown]
	v_mul_f32_e32 v35, v7, v35
	v_mul_f32_e32 v36, v6, v36
	v_lshlrev_b32_e32 v9, 16, v9
	v_lshlrev_b32_e32 v37, 16, v62
	;; [unrolled: 1-line block ×4, first 2 shown]
	v_cvt_pk_bf16_f32 v2, v2, s0
	v_cvt_pk_bf16_f32 v3, v3, s0
	;; [unrolled: 1-line block ×4, first 2 shown]
	v_mul_f32_e32 v37, v9, v37
	v_mul_f32_e32 v38, v8, v38
	v_lshlrev_b32_e32 v34, 16, v34
	v_lshlrev_b32_e32 v33, 16, v33
	;; [unrolled: 1-line block ×4, first 2 shown]
	v_cvt_pk_bf16_f32 v4, v4, s0
	v_cvt_pk_bf16_f32 v5, v5, s0
	;; [unrolled: 1-line block ×4, first 2 shown]
	v_lshlrev_b32_e32 v3, 16, v3
	v_lshlrev_b32_e32 v39, 16, v60
	;; [unrolled: 1-line block ×6, first 2 shown]
	v_mul_f32_e32 v34, v7, v34
	v_mul_f32_e32 v33, v6, v33
	;; [unrolled: 1-line block ×4, first 2 shown]
	v_lshlrev_b32_e32 v30, 16, v30
	v_lshlrev_b32_e32 v29, 16, v29
	v_mul_f32_e32 v39, v3, v39
	v_mul_f32_e32 v40, v2, v40
	v_lshlrev_b32_e32 v5, 16, v5
	v_lshlrev_b32_e32 v4, 16, v4
	v_add_f32_e32 v35, v36, v35
	v_lshlrev_b32_e32 v36, 16, v38
	v_lshlrev_b32_e32 v37, 16, v37
	v_cvt_pk_bf16_f32 v34, v34, s0
	v_cvt_pk_bf16_f32 v33, v33, s0
	;; [unrolled: 1-line block ×4, first 2 shown]
	v_mul_f32_e32 v30, v3, v30
	v_mul_f32_e32 v29, v2, v29
	v_lshlrev_b32_e32 v28, 16, v28
	v_lshlrev_b32_e32 v27, 16, v27
	v_cvt_pk_bf16_f32 v39, v39, s0
	v_cvt_pk_bf16_f32 v40, v40, s0
	v_lshlrev_b32_e32 v41, 16, v58
	v_lshlrev_b32_e32 v42, 16, v57
	v_add_f32_e32 v36, v36, v37
	v_cvt_pk_bf16_f32 v30, v30, s0
	v_cvt_pk_bf16_f32 v29, v29, s0
	v_mul_f32_e32 v28, v5, v28
	v_mul_f32_e32 v27, v4, v27
	v_lshlrev_b32_e32 v33, 16, v33
	v_lshlrev_b32_e32 v34, 16, v34
	v_lshlrev_b32_e32 v31, 16, v31
	v_lshlrev_b32_e32 v32, 16, v32
	v_mul_f32_e32 v41, v5, v41
	v_mul_f32_e32 v42, v4, v42
	v_add_f32_e32 v35, v36, v35
	v_lshlrev_b32_e32 v36, 16, v40
	v_lshlrev_b32_e32 v37, 16, v39
	v_cvt_pk_bf16_f32 v28, v28, s0
	v_cvt_pk_bf16_f32 v27, v27, s0
	v_add_f32_e32 v33, v33, v34
	v_add_f32_e32 v31, v31, v32
	v_lshlrev_b32_e32 v29, 16, v29
	v_lshlrev_b32_e32 v30, 16, v30
	v_cvt_pk_bf16_f32 v41, v41, s0
	v_cvt_pk_bf16_f32 v42, v42, s0
	v_add_f32_e32 v36, v36, v37
	v_add_f32_e32 v31, v31, v33
	;; [unrolled: 1-line block ×3, first 2 shown]
	v_lshlrev_b32_e32 v27, 16, v27
	v_lshlrev_b32_e32 v28, 16, v28
	v_add_f32_e32 v35, v36, v35
	v_lshlrev_b32_e32 v36, 16, v42
	v_lshlrev_b32_e32 v37, 16, v41
	v_add_f32_e32 v29, v29, v31
	v_add_f32_e32 v27, v27, v28
	v_add_f32_e32 v36, v36, v37
	v_add_f32_e32 v27, v27, v29
	v_add_f32_e32 v35, v36, v35
	v_lshlrev_b32_e32 v36, 16, v49
	v_add_f32_e32 v12, v12, v27
	v_lshlrev_b32_e32 v27, 16, v56
	v_add_f32_e32 v10, v10, v35
	v_lshlrev_b32_e32 v35, 16, v50
	v_mul_f32_e32 v36, v6, v36
	v_mul_f32_e32 v6, v6, v27
	v_lshlrev_b32_e32 v27, 16, v55
	v_mul_f32_e32 v35, v7, v35
	v_lshlrev_b32_e32 v38, 16, v47
	v_mul_f32_e32 v7, v7, v27
	v_lshlrev_b32_e32 v27, 16, v54
	v_lshlrev_b32_e32 v37, 16, v48
	v_mul_f32_e32 v38, v8, v38
	v_mul_f32_e32 v8, v8, v27
	v_lshlrev_b32_e32 v27, 16, v53
	v_mul_f32_e32 v37, v9, v37
	v_lshlrev_b32_e32 v40, 16, v45
	;; [unrolled: 2-line block ×3, first 2 shown]
	v_mul_f32_e32 v40, v2, v40
	v_mul_f32_e32 v2, v2, v27
	v_cvt_pk_bf16_f32 v27, v2, s0
	v_lshlrev_b32_e32 v2, 16, v51
	v_mul_f32_e32 v2, v3, v2
	v_cvt_pk_bf16_f32 v35, v35, s0
	v_cvt_pk_bf16_f32 v36, v36, s0
	;; [unrolled: 1-line block ×3, first 2 shown]
	v_lshlrev_b32_e32 v2, 16, v19
	v_cvt_pk_bf16_f32 v37, v37, s0
	v_cvt_pk_bf16_f32 v38, v38, s0
	v_lshlrev_b32_e32 v39, 16, v46
	v_lshlrev_b32_e32 v36, 16, v36
	;; [unrolled: 1-line block ×3, first 2 shown]
	v_mul_f32_e32 v2, v4, v2
	v_mul_f32_e32 v39, v3, v39
	v_add_f32_e32 v35, v36, v35
	v_lshlrev_b32_e32 v36, 16, v38
	v_lshlrev_b32_e32 v37, 16, v37
	v_cvt_pk_bf16_f32 v19, v2, s0
	v_lshlrev_b32_e32 v2, 16, v18
	v_cvt_pk_bf16_f32 v39, v39, s0
	v_cvt_pk_bf16_f32 v40, v40, s0
	v_lshlrev_b32_e32 v41, 16, v44
	v_lshlrev_b32_e32 v42, 16, v43
	v_add_f32_e32 v36, v36, v37
	v_cvt_pk_bf16_f32 v6, v6, s0
	v_cvt_pk_bf16_f32 v7, v7, s0
	;; [unrolled: 1-line block ×4, first 2 shown]
	v_mul_f32_e32 v2, v5, v2
	v_mul_f32_e32 v41, v5, v41
	;; [unrolled: 1-line block ×3, first 2 shown]
	v_add_f32_e32 v35, v36, v35
	v_lshlrev_b32_e32 v36, 16, v40
	v_lshlrev_b32_e32 v37, 16, v39
	v_cvt_pk_bf16_f32 v18, v2, s0
	v_lshlrev_b32_e32 v3, 16, v7
	v_lshlrev_b32_e32 v5, 16, v6
	;; [unrolled: 1-line block ×4, first 2 shown]
	v_cvt_pk_bf16_f32 v41, v41, s0
	v_cvt_pk_bf16_f32 v42, v42, s0
	v_add_f32_e32 v36, v36, v37
	v_pk_add_f32 v[2:3], v[4:5], v[2:3]
	v_lshlrev_b32_e32 v5, 16, v28
	v_lshlrev_b32_e32 v7, 16, v27
	;; [unrolled: 1-line block ×4, first 2 shown]
	v_add_f32_e32 v35, v36, v35
	v_lshlrev_b32_e32 v36, 16, v42
	v_lshlrev_b32_e32 v37, 16, v41
	v_pk_add_f32 v[4:5], v[6:7], v[4:5]
	v_add_f32_e32 v2, v2, v3
	v_add_f32_e32 v36, v36, v37
	;; [unrolled: 1-line block ×7, first 2 shown]
.LBB296_49:                             ;   in Loop: Header=BB296_50 Depth=1
	s_or_b64 exec, exec, s[10:11]
	v_add_u32_e32 v1, 2, v1
	v_cmp_le_i32_e32 vcc, s20, v1
	v_lshl_add_u64 v[16:17], v[16:17], 0, 8
	v_add_u32_e32 v20, 32, v20
	s_or_b64 s[2:3], vcc, s[2:3]
	v_add_u32_e32 v26, 0x80, v26
	s_andn2_b64 exec, exec, s[2:3]
	s_cbranch_execz .LBB296_59
.LBB296_50:                             ; =>This Inner Loop Header: Depth=1
	v_mul_hi_u32 v2, v20, s33
	v_mul_lo_u32 v3, v2, s27
	v_sub_u32_e32 v3, v20, v3
	v_add_u32_e32 v4, 1, v2
	v_cmp_le_u32_e32 vcc, s27, v3
	s_nop 1
	v_cndmask_b32_e32 v2, v2, v4, vcc
	v_subrev_u32_e32 v4, s27, v3
	v_cndmask_b32_e32 v3, v3, v4, vcc
	v_add_u32_e32 v4, 1, v2
	v_cmp_le_u32_e32 vcc, s27, v3
	s_nop 1
	v_cndmask_b32_e32 v2, v2, v4, vcc
	v_xor_b32_e32 v2, s23, v2
	v_subrev_u32_e32 v2, s23, v2
	v_add_u32_e32 v3, s38, v2
	v_sub_u32_e32 v5, 0, v3
	v_ashrrev_i32_e32 v4, 31, v3
	v_max_i32_e32 v3, v3, v5
	v_mul_hi_u32 v5, v3, v25
	v_mul_lo_u32 v5, v5, s19
	v_sub_u32_e32 v3, v3, v5
	v_subrev_u32_e32 v5, s19, v3
	v_cmp_le_u32_e32 vcc, s19, v3
	v_cmp_lt_i32_e64 s[0:1], s18, v2
	s_nop 0
	v_cndmask_b32_e32 v3, v3, v5, vcc
	v_subrev_u32_e32 v5, s19, v3
	v_cmp_le_u32_e32 vcc, s19, v3
	s_nop 1
	v_cndmask_b32_e32 v3, v3, v5, vcc
	v_xor_b32_e32 v3, v3, v4
	v_sub_u32_e32 v3, v3, v4
	v_cmp_eq_u32_e32 vcc, 0, v3
	s_or_b64 s[0:1], vcc, s[0:1]
	s_and_saveexec_b64 s[10:11], s[0:1]
	s_cbranch_execz .LBB296_49
; %bb.51:                               ;   in Loop: Header=BB296_50 Depth=1
	global_load_dword v2, v[16:17], off
	v_add_u32_e32 v35, v24, v20
	v_cmp_eq_u32_e32 vcc, s21, v1
	v_add_u32_e32 v41, 1, v35
	v_add_u32_e32 v40, 2, v35
	;; [unrolled: 1-line block ×6, first 2 shown]
	s_waitcnt vmcnt(0)
	v_mad_i64_i32 v[18:19], s[0:1], v2, s17, v[14:15]
	global_load_dwordx2 v[28:29], v[18:19], off
	ds_read2_b64 v[6:9], v26 offset1:1
	ds_read2_b64 v[2:5], v26 offset0:2 offset1:3
	s_load_dword s22, s[14:15], 0x0
	s_waitcnt vmcnt(0)
	v_and_b32_e32 v27, 0xff, v28
	v_bfe_u32 v30, v28, 8, 8
	v_bfe_u32 v31, v28, 16, 8
	v_lshrrev_b32_e32 v28, 24, v28
	v_and_b32_e32 v32, 0xff, v29
	v_bfe_u32 v33, v29, 8, 8
	v_bfe_u32 v34, v29, 16, 8
	v_lshrrev_b32_e32 v29, 24, v29
	v_cvt_f32_fp8_e32 v27, v27
	v_cvt_f32_fp8_e32 v30, v30
	;; [unrolled: 1-line block ×8, first 2 shown]
	s_waitcnt lgkmcnt(0)
	v_mul_f32_e32 v27, s22, v27
	v_mul_f32_e32 v30, s22, v30
	;; [unrolled: 1-line block ×8, first 2 shown]
	v_cvt_pk_bf16_f32 v33, v27, s0
	v_cvt_pk_bf16_f32 v34, v30, s0
	;; [unrolled: 1-line block ×8, first 2 shown]
	v_add_u32_e32 v42, 7, v35
	s_and_saveexec_b64 s[12:13], vcc
	s_cbranch_execz .LBB296_53
; %bb.52:                               ;   in Loop: Header=BB296_50 Depth=1
	v_cmp_gt_i32_e64 s[0:1], s25, v35
	s_nop 1
	v_cndmask_b32_e64 v33, 0, v33, s[0:1]
	v_cmp_gt_i32_e64 s[0:1], s25, v41
	s_nop 1
	v_cndmask_b32_e64 v34, 0, v34, s[0:1]
	v_cmp_gt_i32_e64 s[0:1], s25, v40
	s_nop 1
	v_cndmask_b32_e64 v31, 0, v31, s[0:1]
	v_cmp_gt_i32_e64 s[0:1], s25, v39
	s_nop 1
	v_cndmask_b32_e64 v32, 0, v32, s[0:1]
	v_cmp_gt_i32_e64 s[0:1], s25, v38
	s_nop 1
	v_cndmask_b32_e64 v29, 0, v29, s[0:1]
	v_cmp_gt_i32_e64 s[0:1], s25, v37
	s_nop 1
	v_cndmask_b32_e64 v30, 0, v30, s[0:1]
	v_cmp_gt_i32_e64 s[0:1], s25, v36
	s_nop 1
	v_cndmask_b32_e64 v27, 0, v27, s[0:1]
	v_cmp_gt_i32_e64 s[0:1], s25, v42
	s_nop 1
	v_cndmask_b32_e64 v28, 0, v28, s[0:1]
.LBB296_53:                             ;   in Loop: Header=BB296_50 Depth=1
	s_or_b64 exec, exec, s[12:13]
	global_load_dwordx2 v[44:45], v[18:19], off offset:512
	s_waitcnt vmcnt(0)
	v_and_b32_e32 v43, 0xff, v44
	v_bfe_u32 v46, v44, 8, 8
	v_bfe_u32 v47, v44, 16, 8
	v_lshrrev_b32_e32 v44, 24, v44
	v_and_b32_e32 v48, 0xff, v45
	v_bfe_u32 v49, v45, 8, 8
	v_bfe_u32 v50, v45, 16, 8
	v_lshrrev_b32_e32 v45, 24, v45
	v_cvt_f32_fp8_e32 v43, v43
	v_cvt_f32_fp8_e32 v46, v46
	v_cvt_f32_fp8_e32 v47, v47
	v_cvt_f32_fp8_e32 v44, v44
	v_cvt_f32_fp8_e32 v48, v48
	v_cvt_f32_fp8_e32 v49, v49
	v_cvt_f32_fp8_e32 v50, v50
	v_cvt_f32_fp8_e32 v45, v45
	v_mul_f32_e32 v43, s22, v43
	v_mul_f32_e32 v46, s22, v46
	v_mul_f32_e32 v47, s22, v47
	v_mul_f32_e32 v44, s22, v44
	v_mul_f32_e32 v51, s22, v48
	v_mul_f32_e32 v52, s22, v49
	v_mul_f32_e32 v53, s22, v50
	v_mul_f32_e32 v54, s22, v45
	v_cvt_pk_bf16_f32 v49, v43, s0
	v_cvt_pk_bf16_f32 v50, v46, s0
	v_cvt_pk_bf16_f32 v47, v47, s0
	v_cvt_pk_bf16_f32 v48, v44, s0
	v_cvt_pk_bf16_f32 v45, v51, s0
	v_cvt_pk_bf16_f32 v46, v52, s0
	v_cvt_pk_bf16_f32 v43, v53, s0
	v_cvt_pk_bf16_f32 v44, v54, s0
	s_and_saveexec_b64 s[12:13], vcc
	s_cbranch_execz .LBB296_55
; %bb.54:                               ;   in Loop: Header=BB296_50 Depth=1
	v_cmp_gt_i32_e64 s[0:1], s25, v35
	s_nop 1
	v_cndmask_b32_e64 v49, 0, v49, s[0:1]
	v_cmp_gt_i32_e64 s[0:1], s25, v41
	s_nop 1
	v_cndmask_b32_e64 v50, 0, v50, s[0:1]
	v_cmp_gt_i32_e64 s[0:1], s25, v40
	s_nop 1
	v_cndmask_b32_e64 v47, 0, v47, s[0:1]
	v_cmp_gt_i32_e64 s[0:1], s25, v39
	s_nop 1
	v_cndmask_b32_e64 v48, 0, v48, s[0:1]
	v_cmp_gt_i32_e64 s[0:1], s25, v38
	s_nop 1
	v_cndmask_b32_e64 v45, 0, v45, s[0:1]
	v_cmp_gt_i32_e64 s[0:1], s25, v37
	s_nop 1
	v_cndmask_b32_e64 v46, 0, v46, s[0:1]
	v_cmp_gt_i32_e64 s[0:1], s25, v36
	s_nop 1
	v_cndmask_b32_e64 v43, 0, v43, s[0:1]
	v_cmp_gt_i32_e64 s[0:1], s25, v42
	s_nop 1
	v_cndmask_b32_e64 v44, 0, v44, s[0:1]
.LBB296_55:                             ;   in Loop: Header=BB296_50 Depth=1
	s_or_b64 exec, exec, s[12:13]
	global_load_dwordx2 v[52:53], v[18:19], off offset:1024
	s_waitcnt vmcnt(0)
	v_and_b32_e32 v51, 0xff, v52
	v_bfe_u32 v54, v52, 8, 8
	v_bfe_u32 v55, v52, 16, 8
	v_lshrrev_b32_e32 v52, 24, v52
	v_and_b32_e32 v56, 0xff, v53
	v_bfe_u32 v57, v53, 8, 8
	v_bfe_u32 v58, v53, 16, 8
	v_lshrrev_b32_e32 v53, 24, v53
	v_cvt_f32_fp8_e32 v51, v51
	v_cvt_f32_fp8_e32 v54, v54
	v_cvt_f32_fp8_e32 v55, v55
	v_cvt_f32_fp8_e32 v52, v52
	v_cvt_f32_fp8_e32 v56, v56
	v_cvt_f32_fp8_e32 v57, v57
	v_cvt_f32_fp8_e32 v58, v58
	v_cvt_f32_fp8_e32 v53, v53
	v_mul_f32_e32 v51, s22, v51
	v_mul_f32_e32 v54, s22, v54
	v_mul_f32_e32 v55, s22, v55
	v_mul_f32_e32 v52, s22, v52
	v_mul_f32_e32 v56, s22, v56
	v_mul_f32_e32 v57, s22, v57
	v_mul_f32_e32 v58, s22, v58
	v_mul_f32_e32 v53, s22, v53
	v_cvt_pk_bf16_f32 v63, v51, s0
	v_cvt_pk_bf16_f32 v64, v54, s0
	v_cvt_pk_bf16_f32 v61, v55, s0
	v_cvt_pk_bf16_f32 v62, v52, s0
	v_cvt_pk_bf16_f32 v59, v56, s0
	v_cvt_pk_bf16_f32 v60, v57, s0
	v_cvt_pk_bf16_f32 v57, v58, s0
	v_cvt_pk_bf16_f32 v58, v53, s0
	s_and_saveexec_b64 s[12:13], vcc
	s_cbranch_execz .LBB296_57
; %bb.56:                               ;   in Loop: Header=BB296_50 Depth=1
	v_cmp_gt_i32_e64 s[0:1], s25, v35
	s_nop 1
	v_cndmask_b32_e64 v63, 0, v63, s[0:1]
	v_cmp_gt_i32_e64 s[0:1], s25, v41
	s_nop 1
	v_cndmask_b32_e64 v64, 0, v64, s[0:1]
	v_cmp_gt_i32_e64 s[0:1], s25, v40
	s_nop 1
	v_cndmask_b32_e64 v61, 0, v61, s[0:1]
	v_cmp_gt_i32_e64 s[0:1], s25, v39
	s_nop 1
	v_cndmask_b32_e64 v62, 0, v62, s[0:1]
	v_cmp_gt_i32_e64 s[0:1], s25, v38
	s_nop 1
	v_cndmask_b32_e64 v59, 0, v59, s[0:1]
	v_cmp_gt_i32_e64 s[0:1], s25, v37
	s_nop 1
	v_cndmask_b32_e64 v60, 0, v60, s[0:1]
	v_cmp_gt_i32_e64 s[0:1], s25, v36
	s_nop 1
	v_cndmask_b32_e64 v57, 0, v57, s[0:1]
	v_cmp_gt_i32_e64 s[0:1], s25, v42
	s_nop 1
	v_cndmask_b32_e64 v58, 0, v58, s[0:1]
.LBB296_57:                             ;   in Loop: Header=BB296_50 Depth=1
	s_or_b64 exec, exec, s[12:13]
	global_load_dwordx2 v[18:19], v[18:19], off offset:1536
	s_waitcnt vmcnt(0)
	v_and_b32_e32 v51, 0xff, v18
	v_bfe_u32 v52, v18, 8, 8
	v_bfe_u32 v53, v18, 16, 8
	v_lshrrev_b32_e32 v18, 24, v18
	v_and_b32_e32 v54, 0xff, v19
	v_bfe_u32 v55, v19, 8, 8
	v_bfe_u32 v56, v19, 16, 8
	v_lshrrev_b32_e32 v19, 24, v19
	v_cvt_f32_fp8_e32 v51, v51
	v_cvt_f32_fp8_e32 v52, v52
	v_cvt_f32_fp8_e32 v53, v53
	v_cvt_f32_fp8_e32 v18, v18
	v_cvt_f32_fp8_e32 v54, v54
	v_cvt_f32_fp8_e32 v55, v55
	v_cvt_f32_fp8_e32 v56, v56
	v_cvt_f32_fp8_e32 v19, v19
	v_mul_f32_e32 v51, s22, v51
	v_mul_f32_e32 v52, s22, v52
	v_mul_f32_e32 v53, s22, v53
	v_mul_f32_e32 v18, s22, v18
	v_mul_f32_e32 v65, s22, v54
	v_mul_f32_e32 v66, s22, v55
	v_mul_f32_e32 v67, s22, v56
	v_mul_f32_e32 v68, s22, v19
	v_cvt_pk_bf16_f32 v56, v51, s0
	v_cvt_pk_bf16_f32 v55, v52, s0
	v_cvt_pk_bf16_f32 v54, v53, s0
	v_cvt_pk_bf16_f32 v53, v18, s0
	v_cvt_pk_bf16_f32 v52, v65, s0
	v_cvt_pk_bf16_f32 v51, v66, s0
	v_cvt_pk_bf16_f32 v19, v67, s0
	v_cvt_pk_bf16_f32 v18, v68, s0
	s_and_saveexec_b64 s[0:1], vcc
	s_cbranch_execz .LBB296_48
; %bb.58:                               ;   in Loop: Header=BB296_50 Depth=1
	v_cmp_gt_i32_e32 vcc, s25, v35
	s_nop 1
	v_cndmask_b32_e32 v56, 0, v56, vcc
	v_cmp_gt_i32_e32 vcc, s25, v41
	s_nop 1
	v_cndmask_b32_e32 v55, 0, v55, vcc
	;; [unrolled: 3-line block ×8, first 2 shown]
	s_branch .LBB296_48
.LBB296_59:
	s_or_b64 exec, exec, s[2:3]
.LBB296_60:
	s_or_b64 exec, exec, s[8:9]
	ds_bpermute_b32 v2, v22, v12
	ds_bpermute_b32 v3, v22, v13
	;; [unrolled: 1-line block ×4, first 2 shown]
	v_and_b32_e32 v1, 0x3c1, v0
	v_cmp_ne_u32_e32 vcc, 64, v1
	s_waitcnt lgkmcnt(2)
	v_pk_add_f32 v[2:3], v[12:13], v[2:3]
	s_waitcnt lgkmcnt(0)
	s_barrier
	s_and_saveexec_b64 s[0:1], vcc
	s_xor_b64 s[0:1], exec, s[0:1]
; %bb.61:
                                        ; implicit-def: $vgpr21
; %bb.62:
	s_or_saveexec_b64 s[0:1], s[0:1]
	v_pk_add_f32 v[4:5], v[10:11], v[4:5]
	s_xor_b64 exec, exec, s[0:1]
	s_cbranch_execz .LBB296_64
; %bb.63:
	v_mov_b32_e32 v6, 0x110
	v_lshl_add_u32 v6, v21, 1, v6
	ds_write2_b32 v6, v2, v3 offset1:32
	ds_write2_b32 v6, v4, v5 offset0:64 offset1:96
.LBB296_64:
	s_or_b64 exec, exec, s[0:1]
	v_lshrrev_b32_e32 v0, 1, v0
	s_waitcnt lgkmcnt(0)
	s_barrier
	s_and_saveexec_b64 s[0:1], s[6:7]
	s_cbranch_execz .LBB296_71
; %bb.65:
	v_mov_b32_e32 v6, 0x110
	v_cmp_eq_u32_e32 vcc, 0, v23
	v_lshl_add_u32 v6, v0, 2, v6
	s_and_saveexec_b64 s[2:3], vcc
	s_cbranch_execnz .LBB296_74
; %bb.66:
	s_or_b64 exec, exec, s[2:3]
	s_and_saveexec_b64 s[2:3], vcc
	s_cbranch_execnz .LBB296_75
.LBB296_67:
	s_or_b64 exec, exec, s[2:3]
	s_and_saveexec_b64 s[2:3], vcc
	s_cbranch_execnz .LBB296_76
.LBB296_68:
	s_or_b64 exec, exec, s[2:3]
	s_and_saveexec_b64 s[2:3], vcc
	s_cbranch_execz .LBB296_70
.LBB296_69:
	ds_read_b32 v6, v6 offset:384
	s_waitcnt lgkmcnt(0)
	v_add_f32_e32 v5, v5, v6
.LBB296_70:
	s_or_b64 exec, exec, s[2:3]
.LBB296_71:
	s_or_b64 exec, exec, s[0:1]
	v_cmp_eq_u32_e32 vcc, 0, v1
	s_barrier
	s_and_saveexec_b64 s[0:1], vcc
	s_cbranch_execz .LBB296_73
; %bb.72:
	s_mul_i32 s0, s24, s16
	s_mul_i32 s0, s0, s5
	s_lshl_b32 s0, s0, 7
	s_ashr_i32 s1, s0, 31
	s_lshl_b64 s[0:1], s[0:1], 1
	s_add_u32 s2, s28, s0
	s_mul_i32 s0, s16, s26
	s_addc_u32 s3, s29, s1
	s_ashr_i32 s1, s0, 31
	s_lshl_b64 s[0:1], s[0:1], 1
	s_add_u32 s2, s2, s0
	s_addc_u32 s3, s3, s1
	s_lshl_b32 s0, s4, 7
	s_ashr_i32 s1, s0, 31
	s_lshl_b64 s[0:1], s[0:1], 1
	s_add_u32 s0, s2, s0
	s_addc_u32 s1, s3, s1
	v_lshlrev_b32_e32 v0, 1, v0
	v_cvt_pk_bf16_f32 v1, v2, s0
	global_store_short v0, v1, s[0:1]
	v_cvt_pk_bf16_f32 v1, v3, s0
	global_store_short v0, v1, s[0:1] offset:64
	v_cvt_pk_bf16_f32 v1, v4, s0
	global_store_short v0, v1, s[0:1] offset:128
	;; [unrolled: 2-line block ×3, first 2 shown]
.LBB296_73:
	s_endpgm
.LBB296_74:
	ds_read_b32 v7, v6
	s_waitcnt lgkmcnt(0)
	v_add_f32_e32 v2, v2, v7
	s_or_b64 exec, exec, s[2:3]
	s_and_saveexec_b64 s[2:3], vcc
	s_cbranch_execz .LBB296_67
.LBB296_75:
	ds_read_b32 v7, v6 offset:128
	s_waitcnt lgkmcnt(0)
	v_add_f32_e32 v3, v3, v7
	s_or_b64 exec, exec, s[2:3]
	s_and_saveexec_b64 s[2:3], vcc
	s_cbranch_execz .LBB296_68
.LBB296_76:
	ds_read_b32 v7, v6 offset:256
	s_waitcnt lgkmcnt(0)
	v_add_f32_e32 v4, v4, v7
	s_or_b64 exec, exec, s[2:3]
	s_and_saveexec_b64 s[2:3], vcc
	s_cbranch_execnz .LBB296_69
	s_branch .LBB296_70
	.section	.rodata,"a",@progbits
	.p2align	6, 0x0
	.amdhsa_kernel _ZN4vllm25paged_attention_v1_kernelI14__hip_bfloat16hLi128ELi16ELi128ELNS_18Fp8KVCacheDataTypeE1ELb1EEEvPT_PKS3_PKT0_S9_ifPKiSB_iPKfiiiSD_SD_iiiii
		.amdhsa_group_segment_fixed_size 272
		.amdhsa_private_segment_fixed_size 0
		.amdhsa_kernarg_size 384
		.amdhsa_user_sgpr_count 2
		.amdhsa_user_sgpr_dispatch_ptr 0
		.amdhsa_user_sgpr_queue_ptr 0
		.amdhsa_user_sgpr_kernarg_segment_ptr 1
		.amdhsa_user_sgpr_dispatch_id 0
		.amdhsa_user_sgpr_kernarg_preload_length 0
		.amdhsa_user_sgpr_kernarg_preload_offset 0
		.amdhsa_user_sgpr_private_segment_size 0
		.amdhsa_uses_dynamic_stack 0
		.amdhsa_enable_private_segment 0
		.amdhsa_system_sgpr_workgroup_id_x 1
		.amdhsa_system_sgpr_workgroup_id_y 1
		.amdhsa_system_sgpr_workgroup_id_z 1
		.amdhsa_system_sgpr_workgroup_info 0
		.amdhsa_system_vgpr_workitem_id 0
		.amdhsa_next_free_vgpr 84
		.amdhsa_next_free_sgpr 51
		.amdhsa_accum_offset 84
		.amdhsa_reserve_vcc 1
		.amdhsa_float_round_mode_32 0
		.amdhsa_float_round_mode_16_64 0
		.amdhsa_float_denorm_mode_32 3
		.amdhsa_float_denorm_mode_16_64 3
		.amdhsa_dx10_clamp 1
		.amdhsa_ieee_mode 1
		.amdhsa_fp16_overflow 0
		.amdhsa_tg_split 0
		.amdhsa_exception_fp_ieee_invalid_op 0
		.amdhsa_exception_fp_denorm_src 0
		.amdhsa_exception_fp_ieee_div_zero 0
		.amdhsa_exception_fp_ieee_overflow 0
		.amdhsa_exception_fp_ieee_underflow 0
		.amdhsa_exception_fp_ieee_inexact 0
		.amdhsa_exception_int_div_zero 0
	.end_amdhsa_kernel
	.section	.text._ZN4vllm25paged_attention_v1_kernelI14__hip_bfloat16hLi128ELi16ELi128ELNS_18Fp8KVCacheDataTypeE1ELb1EEEvPT_PKS3_PKT0_S9_ifPKiSB_iPKfiiiSD_SD_iiiii,"axG",@progbits,_ZN4vllm25paged_attention_v1_kernelI14__hip_bfloat16hLi128ELi16ELi128ELNS_18Fp8KVCacheDataTypeE1ELb1EEEvPT_PKS3_PKT0_S9_ifPKiSB_iPKfiiiSD_SD_iiiii,comdat
.Lfunc_end296:
	.size	_ZN4vllm25paged_attention_v1_kernelI14__hip_bfloat16hLi128ELi16ELi128ELNS_18Fp8KVCacheDataTypeE1ELb1EEEvPT_PKS3_PKT0_S9_ifPKiSB_iPKfiiiSD_SD_iiiii, .Lfunc_end296-_ZN4vllm25paged_attention_v1_kernelI14__hip_bfloat16hLi128ELi16ELi128ELNS_18Fp8KVCacheDataTypeE1ELb1EEEvPT_PKS3_PKT0_S9_ifPKiSB_iPKfiiiSD_SD_iiiii
                                        ; -- End function
	.set _ZN4vllm25paged_attention_v1_kernelI14__hip_bfloat16hLi128ELi16ELi128ELNS_18Fp8KVCacheDataTypeE1ELb1EEEvPT_PKS3_PKT0_S9_ifPKiSB_iPKfiiiSD_SD_iiiii.num_vgpr, 84
	.set _ZN4vllm25paged_attention_v1_kernelI14__hip_bfloat16hLi128ELi16ELi128ELNS_18Fp8KVCacheDataTypeE1ELb1EEEvPT_PKS3_PKT0_S9_ifPKiSB_iPKfiiiSD_SD_iiiii.num_agpr, 0
	.set _ZN4vllm25paged_attention_v1_kernelI14__hip_bfloat16hLi128ELi16ELi128ELNS_18Fp8KVCacheDataTypeE1ELb1EEEvPT_PKS3_PKT0_S9_ifPKiSB_iPKfiiiSD_SD_iiiii.numbered_sgpr, 51
	.set _ZN4vllm25paged_attention_v1_kernelI14__hip_bfloat16hLi128ELi16ELi128ELNS_18Fp8KVCacheDataTypeE1ELb1EEEvPT_PKS3_PKT0_S9_ifPKiSB_iPKfiiiSD_SD_iiiii.num_named_barrier, 0
	.set _ZN4vllm25paged_attention_v1_kernelI14__hip_bfloat16hLi128ELi16ELi128ELNS_18Fp8KVCacheDataTypeE1ELb1EEEvPT_PKS3_PKT0_S9_ifPKiSB_iPKfiiiSD_SD_iiiii.private_seg_size, 0
	.set _ZN4vllm25paged_attention_v1_kernelI14__hip_bfloat16hLi128ELi16ELi128ELNS_18Fp8KVCacheDataTypeE1ELb1EEEvPT_PKS3_PKT0_S9_ifPKiSB_iPKfiiiSD_SD_iiiii.uses_vcc, 1
	.set _ZN4vllm25paged_attention_v1_kernelI14__hip_bfloat16hLi128ELi16ELi128ELNS_18Fp8KVCacheDataTypeE1ELb1EEEvPT_PKS3_PKT0_S9_ifPKiSB_iPKfiiiSD_SD_iiiii.uses_flat_scratch, 0
	.set _ZN4vllm25paged_attention_v1_kernelI14__hip_bfloat16hLi128ELi16ELi128ELNS_18Fp8KVCacheDataTypeE1ELb1EEEvPT_PKS3_PKT0_S9_ifPKiSB_iPKfiiiSD_SD_iiiii.has_dyn_sized_stack, 0
	.set _ZN4vllm25paged_attention_v1_kernelI14__hip_bfloat16hLi128ELi16ELi128ELNS_18Fp8KVCacheDataTypeE1ELb1EEEvPT_PKS3_PKT0_S9_ifPKiSB_iPKfiiiSD_SD_iiiii.has_recursion, 0
	.set _ZN4vllm25paged_attention_v1_kernelI14__hip_bfloat16hLi128ELi16ELi128ELNS_18Fp8KVCacheDataTypeE1ELb1EEEvPT_PKS3_PKT0_S9_ifPKiSB_iPKfiiiSD_SD_iiiii.has_indirect_call, 0
	.section	.AMDGPU.csdata,"",@progbits
; Kernel info:
; codeLenInByte = 7492
; TotalNumSgprs: 57
; NumVgprs: 84
; NumAgprs: 0
; TotalNumVgprs: 84
; ScratchSize: 0
; MemoryBound: 0
; FloatMode: 240
; IeeeMode: 1
; LDSByteSize: 272 bytes/workgroup (compile time only)
; SGPRBlocks: 7
; VGPRBlocks: 10
; NumSGPRsForWavesPerEU: 57
; NumVGPRsForWavesPerEU: 84
; AccumOffset: 84
; Occupancy: 5
; WaveLimiterHint : 1
; COMPUTE_PGM_RSRC2:SCRATCH_EN: 0
; COMPUTE_PGM_RSRC2:USER_SGPR: 2
; COMPUTE_PGM_RSRC2:TRAP_HANDLER: 0
; COMPUTE_PGM_RSRC2:TGID_X_EN: 1
; COMPUTE_PGM_RSRC2:TGID_Y_EN: 1
; COMPUTE_PGM_RSRC2:TGID_Z_EN: 1
; COMPUTE_PGM_RSRC2:TIDIG_COMP_CNT: 0
; COMPUTE_PGM_RSRC3_GFX90A:ACCUM_OFFSET: 20
; COMPUTE_PGM_RSRC3_GFX90A:TG_SPLIT: 0
	.section	.text._ZN4vllm25paged_attention_v1_kernelI14__hip_bfloat16hLi192ELi16ELi128ELNS_18Fp8KVCacheDataTypeE1ELb1EEEvPT_PKS3_PKT0_S9_ifPKiSB_iPKfiiiSD_SD_iiiii,"axG",@progbits,_ZN4vllm25paged_attention_v1_kernelI14__hip_bfloat16hLi192ELi16ELi128ELNS_18Fp8KVCacheDataTypeE1ELb1EEEvPT_PKS3_PKT0_S9_ifPKiSB_iPKfiiiSD_SD_iiiii,comdat
	.protected	_ZN4vllm25paged_attention_v1_kernelI14__hip_bfloat16hLi192ELi16ELi128ELNS_18Fp8KVCacheDataTypeE1ELb1EEEvPT_PKS3_PKT0_S9_ifPKiSB_iPKfiiiSD_SD_iiiii ; -- Begin function _ZN4vllm25paged_attention_v1_kernelI14__hip_bfloat16hLi192ELi16ELi128ELNS_18Fp8KVCacheDataTypeE1ELb1EEEvPT_PKS3_PKT0_S9_ifPKiSB_iPKfiiiSD_SD_iiiii
	.globl	_ZN4vllm25paged_attention_v1_kernelI14__hip_bfloat16hLi192ELi16ELi128ELNS_18Fp8KVCacheDataTypeE1ELb1EEEvPT_PKS3_PKT0_S9_ifPKiSB_iPKfiiiSD_SD_iiiii
	.p2align	8
	.type	_ZN4vllm25paged_attention_v1_kernelI14__hip_bfloat16hLi192ELi16ELi128ELNS_18Fp8KVCacheDataTypeE1ELb1EEEvPT_PKS3_PKT0_S9_ifPKiSB_iPKfiiiSD_SD_iiiii,@function
_ZN4vllm25paged_attention_v1_kernelI14__hip_bfloat16hLi192ELi16ELi128ELNS_18Fp8KVCacheDataTypeE1ELb1EEEvPT_PKS3_PKT0_S9_ifPKiSB_iPKfiiiSD_SD_iiiii: ; @_ZN4vllm25paged_attention_v1_kernelI14__hip_bfloat16hLi192ELi16ELi128ELNS_18Fp8KVCacheDataTypeE1ELb1EEEvPT_PKS3_PKT0_S9_ifPKiSB_iPKfiiiSD_SD_iiiii
; %bb.0:
	s_load_dword s5, s[0:1], 0x80
	s_load_dwordx2 s[6:7], s[0:1], 0x30
	s_load_dwordx2 s[36:37], s[0:1], 0x20
	s_mov_b32 s10, s3
	s_ashr_i32 s11, s3, 31
	s_lshl_b64 s[8:9], s[10:11], 2
	s_waitcnt lgkmcnt(0)
	s_add_u32 s6, s6, s8
	s_addc_u32 s7, s7, s9
	s_abs_i32 s3, s36
	v_cvt_f32_u32_e32 v1, s3
	s_sub_i32 s11, 0, s3
	s_abs_i32 s9, s5
	s_xor_b32 s8, s5, s36
	v_rcp_iflag_f32_e32 v1, v1
	s_ashr_i32 s8, s8, 31
	s_mov_b32 s44, 0
	v_mul_f32_e32 v1, 0x4f7ffffe, v1
	v_cvt_u32_f32_e32 v1, v1
	s_nop 0
	v_readfirstlane_b32 s12, v1
	s_mul_i32 s11, s11, s12
	s_mul_hi_u32 s11, s12, s11
	s_add_i32 s12, s12, s11
	s_mul_hi_u32 s11, s9, s12
	s_mul_i32 s12, s11, s3
	s_sub_i32 s9, s9, s12
	s_add_i32 s12, s11, 1
	s_sub_i32 s13, s9, s3
	s_cmp_ge_u32 s9, s3
	s_cselect_b32 s11, s12, s11
	s_cselect_b32 s9, s13, s9
	s_add_i32 s12, s11, 1
	s_cmp_ge_u32 s9, s3
	s_cselect_b32 s3, s12, s11
	s_xor_b32 s3, s3, s8
	s_sub_i32 s14, s3, s8
	s_abs_i32 s11, s14
	v_cvt_f32_u32_e32 v1, s11
	s_load_dwordx2 s[8:9], s[0:1], 0x40
	s_sub_i32 s3, 0, s11
	s_abs_i32 s12, s2
	v_rcp_iflag_f32_e32 v1, v1
	s_nop 0
	v_mul_f32_e32 v1, 0x4f7ffffe, v1
	v_cvt_u32_f32_e32 v1, v1
	s_nop 0
	v_readfirstlane_b32 s13, v1
	s_mul_i32 s3, s3, s13
	s_mul_hi_u32 s3, s13, s3
	s_add_i32 s13, s13, s3
	s_waitcnt lgkmcnt(0)
	s_cmp_eq_u64 s[8:9], 0
	s_mul_hi_u32 s13, s12, s13
	s_cbranch_scc1 .LBB297_2
; %bb.1:
	s_ashr_i32 s3, s2, 31
	s_lshl_b64 s[16:17], s[2:3], 2
	s_add_u32 s8, s8, s16
	s_addc_u32 s9, s9, s17
	s_load_dword s44, s[8:9], 0x0
.LBB297_2:
	s_load_dword s33, s[6:7], 0x0
	s_load_dwordx4 s[16:19], s[0:1], 0x48
	s_movk_i32 s3, 0x60
	s_ashr_i32 s8, s2, 31
	s_ashr_i32 s9, s14, 31
	v_and_b32_e32 v2, 3, v0
	s_mul_i32 s24, s2, 0xc0
	v_cmp_gt_u32_e32 vcc, s3, v0
	s_and_saveexec_b64 s[6:7], vcc
	s_cbranch_execz .LBB297_4
; %bb.3:
	s_load_dwordx2 s[14:15], s[0:1], 0x8
	s_waitcnt lgkmcnt(0)
	s_mul_i32 s20, s16, s10
	s_ashr_i32 s21, s20, 31
	s_lshl_b64 s[20:21], s[20:21], 1
	v_lshlrev_b32_e32 v1, 2, v0
	s_add_u32 s16, s14, s20
	s_addc_u32 s19, s15, s21
	s_ashr_i32 s25, s24, 31
	s_lshl_b64 s[14:15], s[24:25], 1
	s_add_u32 s14, s16, s14
	s_addc_u32 s15, s19, s15
	global_load_dword v1, v1, s[14:15]
	v_and_b32_e32 v3, 0x3fc, v0
	v_mad_u32_u24 v3, v2, s3, v3
	s_waitcnt vmcnt(0)
	ds_write_b32 v3, v1
.LBB297_4:
	s_or_b64 exec, exec, s[6:7]
	s_mul_i32 s7, s13, s11
	s_sub_i32 s7, s12, s7
	s_xor_b32 s6, s8, s9
	s_add_i32 s8, s13, 1
	s_sub_i32 s9, s7, s11
	s_load_dwordx4 s[20:23], s[0:1], 0x68
	s_load_dword s3, s[0:1], 0x78
	s_cmp_ge_u32 s7, s11
	s_cselect_b32 s8, s8, s13
	s_cselect_b32 s7, s9, s7
	s_add_i32 s9, s8, 1
	s_cmp_ge_u32 s7, s11
	s_cselect_b32 s7, s9, s8
	s_waitcnt lgkmcnt(0)
	s_abs_i32 s16, s23
	v_cvt_f32_u32_e32 v1, s16
	s_xor_b32 s7, s7, s6
	s_sub_i32 s43, s7, s6
	s_sub_i32 s6, 0, s16
	v_rcp_iflag_f32_e32 v1, v1
	s_add_i32 s11, s33, -1
	s_abs_i32 s8, s11
	v_mul_f32_e32 v1, 0x4f7ffffe, v1
	v_cvt_u32_f32_e32 v1, v1
	s_barrier
	v_readfirstlane_b32 s25, v1
	s_mul_i32 s6, s6, s25
	s_mul_hi_u32 s6, s25, s6
	s_add_i32 s25, s25, s6
	s_cmp_lt_i32 s3, 0
	s_mul_hi_u32 s9, s8, s25
	s_cbranch_scc0 .LBB297_6
; %bb.5:
	s_mul_i32 s6, s20, s36
	s_add_i32 s6, s43, s6
	s_mul_i32 s6, s6, s3
	s_sub_i32 s36, 1, s6
	s_mov_b64 s[6:7], 0
	s_branch .LBB297_7
.LBB297_6:
	s_mov_b64 s[6:7], -1
                                        ; implicit-def: $sgpr36
.LBB297_7:
	s_load_dwordx2 s[28:29], s[0:1], 0x28
	s_ashr_i32 s19, s11, 31
	s_andn2_b64 vcc, exec, s[6:7]
	s_ashr_i32 s23, s23, 31
	s_cbranch_vccnz .LBB297_9
; %bb.8:
	s_mul_i32 s6, s5, s20
	s_add_i32 s2, s6, s2
	s_mul_i32 s2, s2, s3
	s_add_i32 s36, s2, 1
.LBB297_9:
	s_load_dword s2, s[0:1], 0x38
	s_load_dwordx2 s[26:27], s[0:1], 0x0
	s_load_dwordx2 s[34:35], s[0:1], 0x18
	s_load_dword s11, s[0:1], 0x88
	s_load_dwordx4 s[12:15], s[0:1], 0x58
	s_mul_i32 s3, s9, s16
	s_waitcnt lgkmcnt(0)
	s_mul_i32 s30, s2, s10
	s_sub_i32 s3, s8, s3
	s_ashr_i32 s31, s30, 31
	s_xor_b32 s2, s19, s23
	s_add_i32 s6, s9, 1
	s_sub_i32 s7, s3, s16
	s_cmp_ge_u32 s3, s16
	s_cselect_b32 s6, s6, s9
	s_cselect_b32 s3, s7, s3
	s_add_i32 s7, s6, 1
	s_cmp_ge_u32 s3, s16
	s_cselect_b32 s3, s7, s6
	s_xor_b32 s3, s3, s2
	s_sub_i32 s42, s3, s2
	s_add_i32 s2, s33, 15
	s_ashr_i32 s3, s2, 31
	s_lshr_b32 s3, s3, 28
	s_add_i32 s2, s2, s3
	s_ashr_i32 s20, s2, 4
	v_lshrrev_b32_e32 v1, 6, v0
	v_cmp_gt_i32_e64 s[6:7], s20, v1
	v_mov_b32_e32 v20, 0xff7fffff
	s_mul_i32 s43, s43, s18
	v_lshrrev_b32_e32 v18, 4, v0
	v_lshlrev_b32_e32 v22, 4, v1
	v_mbcnt_lo_u32_b32 v16, -1, 0
	s_and_saveexec_b64 s[18:19], s[6:7]
	s_cbranch_execz .LBB297_21
; %bb.10:
	s_load_dwordx2 s[0:1], s[0:1], 0x10
	s_sub_i32 s45, s42, s21
	s_ashr_i32 s2, s43, 31
	v_bfe_u32 v17, v0, 2, 4
	v_mov_b32_e32 v5, 0
	s_waitcnt lgkmcnt(0)
	s_add_u32 s0, s0, s43
	s_addc_u32 s1, s1, s2
	s_abs_i32 s46, s22
	v_cvt_f32_u32_e32 v3, s46
	v_lshlrev_b32_e32 v4, 4, v17
	v_lshl_add_u64 v[6:7], s[0:1], 0, v[4:5]
	s_sub_i32 s0, 0, s46
	v_rcp_iflag_f32_e32 v3, v3
	v_cmp_eq_u32_e32 vcc, 0, v2
	v_mul_u32_u24_e32 v19, 0x60, v2
	v_lshlrev_b32_e32 v4, 1, v2
	v_mul_f32_e32 v3, 0x4f7ffffe, v3
	v_cvt_u32_f32_e32 v3, v3
	v_mbcnt_hi_u32_b32 v27, -1, v16
	v_lshl_add_u64 v[10:11], v[6:7], 0, v[4:5]
	v_and_b32_e32 v4, 60, v18
	v_mul_lo_u32 v2, s0, v3
	v_mul_hi_u32 v2, v3, v2
	v_add_u32_e32 v21, v3, v2
	v_subrev_u32_e32 v2, s33, v17
	s_lshl_b64 s[0:1], s[30:31], 2
	v_add_u32_e32 v24, 1, v2
	v_lshlrev_b32_e32 v2, 2, v17
	s_add_u32 s0, s28, s0
	v_lshl_or_b32 v2, v1, 6, v2
	s_addc_u32 s1, s29, s1
	v_add_u32_e32 v25, 0x190, v2
	v_and_b32_e32 v2, 64, v27
	s_mov_b32 s47, s17
	v_cmp_neq_f32_e64 s[2:3], s44, 0
	v_lshl_add_u64 v[12:13], s[0:1], 0, v[4:5]
	v_lshlrev_b32_e32 v23, 4, v1
	v_mov_b32_e32 v26, 0xff7fffff
	s_mov_b64 s[38:39], 0
	s_mov_b32 s48, 0xffff
	v_add_u32_e32 v28, 64, v2
	v_xor_b32_e32 v29, 2, v27
	v_xor_b32_e32 v30, 1, v27
	v_mov_b32_e32 v20, 0xff7fffff
	v_mov_b32_e32 v31, v1
	s_branch .LBB297_13
.LBB297_11:                             ;   in Loop: Header=BB297_13 Depth=1
	s_or_b64 exec, exec, s[40:41]
.LBB297_12:                             ;   in Loop: Header=BB297_13 Depth=1
	s_or_b64 exec, exec, s[8:9]
	v_add_u32_e32 v31, 2, v31
	v_cmp_le_i32_e64 s[0:1], s20, v31
	v_lshl_add_u64 v[12:13], v[12:13], 0, 8
	v_add_u32_e32 v23, 32, v23
	s_or_b64 s[38:39], s[0:1], s[38:39]
	v_add_u32_e32 v25, 0x80, v25
	s_andn2_b64 exec, exec, s[38:39]
	s_cbranch_execz .LBB297_20
.LBB297_13:                             ; =>This Inner Loop Header: Depth=1
	v_mul_hi_u32 v2, v23, s25
	s_waitcnt lgkmcnt(0)
	v_mul_lo_u32 v3, v2, s16
	v_sub_u32_e32 v3, v23, v3
	v_add_u32_e32 v4, 1, v2
	v_cmp_le_u32_e64 s[0:1], s16, v3
	s_nop 1
	v_cndmask_b32_e64 v2, v2, v4, s[0:1]
	v_subrev_u32_e32 v4, s16, v3
	v_cndmask_b32_e64 v3, v3, v4, s[0:1]
	v_add_u32_e32 v4, 1, v2
	v_cmp_le_u32_e64 s[0:1], s16, v3
	s_nop 1
	v_cndmask_b32_e64 v2, v2, v4, s[0:1]
	v_xor_b32_e32 v2, s23, v2
	v_subrev_u32_e32 v2, s23, v2
	v_add_u32_e32 v3, s36, v2
	v_sub_u32_e32 v5, 0, v3
	v_ashrrev_i32_e32 v4, 31, v3
	v_max_i32_e32 v3, v3, v5
	v_mul_hi_u32 v5, v3, v21
	v_mul_lo_u32 v5, v5, s46
	v_sub_u32_e32 v3, v3, v5
	v_subrev_u32_e32 v5, s46, v3
	v_cmp_le_u32_e64 s[0:1], s46, v3
	v_cmp_ge_i32_e64 s[8:9], s45, v2
	s_nop 0
	v_cndmask_b32_e64 v3, v3, v5, s[0:1]
	v_subrev_u32_e32 v5, s46, v3
	v_cmp_le_u32_e64 s[0:1], s46, v3
	s_nop 1
	v_cndmask_b32_e64 v3, v3, v5, s[0:1]
	v_xor_b32_e32 v3, v3, v4
	v_sub_u32_e32 v3, v3, v4
	v_cmp_ne_u32_e64 s[0:1], 0, v3
	s_and_b64 s[0:1], s[0:1], s[8:9]
	s_and_saveexec_b64 s[8:9], s[0:1]
	s_xor_b64 s[0:1], exec, s[8:9]
	s_cbranch_execz .LBB297_17
; %bb.14:                               ;   in Loop: Header=BB297_13 Depth=1
	s_and_saveexec_b64 s[8:9], vcc
; %bb.15:                               ;   in Loop: Header=BB297_13 Depth=1
	ds_write_b32 v25, v26
; %bb.16:                               ;   in Loop: Header=BB297_13 Depth=1
	s_or_b64 exec, exec, s[8:9]
.LBB297_17:                             ;   in Loop: Header=BB297_13 Depth=1
	s_andn2_saveexec_b64 s[8:9], s[0:1]
	s_cbranch_execz .LBB297_12
; %bb.18:                               ;   in Loop: Header=BB297_13 Depth=1
	global_load_dword v2, v[12:13], off
	s_waitcnt vmcnt(0)
	v_mad_i64_i32 v[14:15], s[0:1], v2, s47, v[10:11]
	global_load_ushort v52, v[14:15], off offset:8
	global_load_ushort v70, v[14:15], off offset:256
	;; [unrolled: 1-line block ×7, first 2 shown]
	global_load_ushort v76, v[14:15], off
	ds_read_b128 v[6:9], v19
	ds_read_b128 v[2:5], v19 offset:16
	global_load_ushort v77, v[14:15], off offset:1024
	ds_read_b128 v[54:57], v19 offset:32
	ds_read_b128 v[58:61], v19 offset:48
	;; [unrolled: 1-line block ×4, first 2 shown]
	s_load_dword s40, s[12:13], 0x0
	s_waitcnt lgkmcnt(0)
	v_lshlrev_b32_e32 v80, 16, v8
	v_lshlrev_b32_e32 v81, 16, v9
	;; [unrolled: 1-line block ×10, first 2 shown]
	v_and_b32_e32 v90, 0xffff0000, v8
	v_and_b32_e32 v91, 0xffff0000, v9
	;; [unrolled: 1-line block ×10, first 2 shown]
	global_load_ushort v56, v[14:15], off offset:1032
	global_load_ushort v57, v[14:15], off offset:1280
	;; [unrolled: 1-line block ×8, first 2 shown]
	v_lshlrev_b32_e32 v79, 16, v7
	v_lshlrev_b32_e32 v37, 16, v64
	v_and_b32_e32 v89, 0xffff0000, v7
	v_and_b32_e32 v7, 0xffff0000, v64
	v_lshlrev_b32_e32 v78, 16, v6
	v_lshlrev_b32_e32 v36, 16, v65
	v_and_b32_e32 v88, 0xffff0000, v6
	v_and_b32_e32 v6, 0xffff0000, v65
	;; [unrolled: 4-line block ×3, first 2 shown]
	v_lshlrev_b32_e32 v82, 16, v2
	v_lshlrev_b32_e32 v85, 16, v5
	;; [unrolled: 1-line block ×4, first 2 shown]
	v_and_b32_e32 v92, 0xffff0000, v2
	v_and_b32_e32 v95, 0xffff0000, v5
	;; [unrolled: 1-line block ×4, first 2 shown]
	v_lshlrev_b32_e32 v83, 16, v3
	v_lshlrev_b32_e32 v33, 16, v68
	v_and_b32_e32 v93, 0xffff0000, v3
	v_and_b32_e32 v3, 0xffff0000, v68
	v_cmp_lt_i32_e64 s[0:1], v29, v28
	v_lshlrev_b32_e32 v86, 16, v54
	v_lshlrev_b32_e32 v87, 16, v55
	v_and_b32_e32 v54, 0xffff0000, v54
	v_and_b32_e32 v55, 0xffff0000, v55
	v_cndmask_b32_e64 v42, v27, v29, s[0:1]
	v_lshlrev_b32_e32 v42, 2, v42
	s_waitcnt vmcnt(16)
	v_and_b32_sdwa v64, s48, v52 dst_sel:DWORD dst_unused:UNUSED_PAD src0_sel:DWORD src1_sel:BYTE_0
	v_cvt_f32_fp8_e32 v64, v64
	v_lshrrev_b16_e32 v52, 8, v52
	s_waitcnt vmcnt(15)
	v_and_b32_sdwa v67, s48, v70 dst_sel:DWORD dst_unused:UNUSED_PAD src0_sel:DWORD src1_sel:BYTE_0
	s_waitcnt vmcnt(14)
	v_and_b32_sdwa v69, s48, v71 dst_sel:DWORD dst_unused:UNUSED_PAD src0_sel:DWORD src1_sel:BYTE_0
	v_cvt_f32_fp8_e32 v52, v52
	v_cvt_f32_fp8_e32 v67, v67
	s_waitcnt vmcnt(9)
	v_and_b32_sdwa v65, s48, v76 dst_sel:DWORD dst_unused:UNUSED_PAD src0_sel:DWORD src1_sel:BYTE_0
	v_cvt_f32_fp8_e32 v65, v65
	v_lshrrev_b16_e32 v66, 8, v76
	v_lshrrev_b16_e32 v68, 8, v70
	v_lshrrev_b16_e32 v70, 8, v71
	v_and_b32_sdwa v71, s48, v72 dst_sel:DWORD dst_unused:UNUSED_PAD src0_sel:DWORD src1_sel:BYTE_0
	v_cvt_f32_fp8_e32 v66, v66
	v_cvt_f32_fp8_e32 v69, v69
	;; [unrolled: 1-line block ×4, first 2 shown]
	v_mul_f32_e32 v64, s40, v64
	v_lshrrev_b16_e32 v72, 8, v72
	v_and_b32_sdwa v76, s48, v73 dst_sel:DWORD dst_unused:UNUSED_PAD src0_sel:DWORD src1_sel:BYTE_0
	v_cvt_f32_fp8_e32 v70, v70
	v_mul_f32_e32 v65, s40, v65
	v_cvt_pk_bf16_f32 v64, v64, s0
	v_lshrrev_b16_e32 v73, 8, v73
	v_and_b32_sdwa v96, s48, v74 dst_sel:DWORD dst_unused:UNUSED_PAD src0_sel:DWORD src1_sel:BYTE_0
	v_cvt_f32_fp8_e32 v72, v72
	v_cvt_f32_fp8_e32 v76, v76
	v_mul_f32_e32 v52, s40, v52
	v_mul_f32_e32 v67, s40, v67
	v_cvt_pk_bf16_f32 v65, v65, s0
	v_lshlrev_b32_e32 v64, 16, v64
	v_lshrrev_b16_e32 v74, 8, v74
	v_and_b32_sdwa v97, s48, v75 dst_sel:DWORD dst_unused:UNUSED_PAD src0_sel:DWORD src1_sel:BYTE_0
	v_cvt_f32_fp8_e32 v73, v73
	v_cvt_f32_fp8_e32 v96, v96
	v_mul_f32_e32 v66, s40, v66
	v_mul_f32_e32 v69, s40, v69
	v_cvt_pk_bf16_f32 v52, v52, s0
	v_cvt_pk_bf16_f32 v67, v67, s0
	v_lshlrev_b32_e32 v65, 16, v65
	v_mul_f32_e32 v64, v79, v64
	v_lshrrev_b16_e32 v75, 8, v75
	s_waitcnt vmcnt(8)
	v_and_b32_sdwa v98, s48, v77 dst_sel:DWORD dst_unused:UNUSED_PAD src0_sel:DWORD src1_sel:BYTE_0
	v_cvt_f32_fp8_e32 v74, v74
	v_cvt_f32_fp8_e32 v97, v97
	v_mul_f32_e32 v68, s40, v68
	v_mul_f32_e32 v71, s40, v71
	v_cvt_pk_bf16_f32 v66, v66, s0
	v_cvt_pk_bf16_f32 v69, v69, s0
	v_lshlrev_b32_e32 v52, 16, v52
	v_lshlrev_b32_e32 v67, 16, v67
	v_fmac_f32_e32 v64, v78, v65
	v_lshrrev_b16_e32 v77, 8, v77
	v_cvt_f32_fp8_e32 v75, v75
	v_cvt_f32_fp8_e32 v98, v98
	v_mul_f32_e32 v70, s40, v70
	v_cvt_pk_bf16_f32 v68, v68, s0
	v_cvt_pk_bf16_f32 v71, v71, s0
	v_lshlrev_b32_e32 v66, 16, v66
	v_lshlrev_b32_e32 v69, 16, v69
	v_mul_f32_e32 v52, v89, v52
	v_fmac_f32_e32 v64, v80, v67
	s_waitcnt vmcnt(7)
	v_and_b32_sdwa v65, s48, v56 dst_sel:DWORD dst_unused:UNUSED_PAD src0_sel:DWORD src1_sel:BYTE_0
	v_cvt_f32_fp8_e32 v77, v77
	v_mul_f32_e32 v72, s40, v72
	v_mul_f32_e32 v76, s40, v76
	v_cvt_pk_bf16_f32 v70, v70, s0
	v_lshlrev_b32_e32 v68, 16, v68
	v_lshlrev_b32_e32 v71, 16, v71
	v_fmac_f32_e32 v52, v88, v66
	v_fmac_f32_e32 v64, v81, v69
	v_cvt_f32_fp8_e32 v65, v65
	v_mul_f32_e32 v73, s40, v73
	v_mul_f32_e32 v96, s40, v96
	v_cvt_pk_bf16_f32 v72, v72, s0
	v_cvt_pk_bf16_f32 v76, v76, s0
	v_lshlrev_b32_e32 v70, 16, v70
	v_fmac_f32_e32 v52, v90, v68
	v_fmac_f32_e32 v64, v82, v71
	global_load_ushort v67, v[14:15], off offset:2056
	global_load_ushort v69, v[14:15], off offset:2304
	;; [unrolled: 1-line block ×3, first 2 shown]
	v_mul_f32_e32 v74, s40, v74
	v_mul_f32_e32 v97, s40, v97
	v_cvt_pk_bf16_f32 v73, v73, s0
	v_cvt_pk_bf16_f32 v96, v96, s0
	v_lshlrev_b32_e32 v72, 16, v72
	v_lshlrev_b32_e32 v76, 16, v76
	v_fmac_f32_e32 v52, v91, v70
	v_mul_f32_e32 v75, s40, v75
	v_mul_f32_e32 v98, s40, v98
	v_cvt_pk_bf16_f32 v74, v74, s0
	v_cvt_pk_bf16_f32 v97, v97, s0
	v_lshlrev_b32_e32 v73, 16, v73
	v_lshlrev_b32_e32 v96, 16, v96
	v_fmac_f32_e32 v52, v92, v72
	v_fmac_f32_e32 v64, v83, v76
	v_cvt_pk_bf16_f32 v75, v75, s0
	v_cvt_pk_bf16_f32 v98, v98, s0
	v_lshlrev_b32_e32 v74, 16, v74
	v_lshlrev_b32_e32 v97, 16, v97
	v_fmac_f32_e32 v52, v93, v73
	v_fmac_f32_e32 v64, v84, v96
	v_mul_f32_e32 v66, s40, v77
	v_mul_f32_e32 v65, s40, v65
	v_lshrrev_b16_e32 v56, 8, v56
	v_fmac_f32_e32 v52, v94, v74
	v_fmac_f32_e32 v64, v85, v97
	v_cvt_pk_bf16_f32 v66, v66, s0
	v_cvt_pk_bf16_f32 v65, v65, s0
	v_cvt_f32_fp8_e32 v56, v56
	v_lshlrev_b32_e32 v68, 16, v75
	v_lshlrev_b32_e32 v70, 16, v98
	v_fmac_f32_e32 v52, v95, v68
	v_fmac_f32_e32 v64, v86, v70
	v_lshlrev_b32_e32 v66, 16, v66
	v_lshlrev_b32_e32 v65, 16, v65
	v_fmac_f32_e32 v52, v54, v66
	global_load_ushort v54, v[14:15], off offset:2560
	v_fmac_f32_e32 v64, v87, v65
	global_load_ushort v65, v[14:15], off offset:2568
	v_mul_f32_e32 v56, s40, v56
	v_cvt_pk_bf16_f32 v56, v56, s0
	v_lshlrev_b32_e32 v56, 16, v56
	v_fmac_f32_e32 v52, v55, v56
	global_load_ushort v55, v[14:15], off offset:2816
	s_waitcnt vmcnt(12)
	v_and_b32_sdwa v68, s48, v57 dst_sel:DWORD dst_unused:UNUSED_PAD src0_sel:DWORD src1_sel:BYTE_0
	global_load_ushort v14, v[14:15], off offset:2824
	v_lshrrev_b16_e32 v57, 8, v57
	v_cvt_f32_fp8_e32 v57, v57
	s_waitcnt vmcnt(12)
	v_and_b32_sdwa v70, s48, v58 dst_sel:DWORD dst_unused:UNUSED_PAD src0_sel:DWORD src1_sel:BYTE_0
	v_cvt_f32_fp8_e32 v70, v70
	v_cvt_f32_fp8_e32 v68, v68
	v_mul_f32_e32 v57, s40, v57
	v_cvt_pk_bf16_f32 v57, v57, s0
	s_waitcnt vmcnt(10)
	v_and_b32_sdwa v72, s48, v60 dst_sel:DWORD dst_unused:UNUSED_PAD src0_sel:DWORD src1_sel:BYTE_0
	v_cvt_f32_fp8_e32 v72, v72
	v_lshlrev_b32_e32 v57, 16, v57
	v_mul_f32_e32 v70, s40, v70
	v_lshrrev_b16_e32 v58, 8, v58
	v_fmac_f32_e32 v52, v53, v57
	v_cvt_f32_fp8_e32 v58, v58
	v_cvt_pk_bf16_f32 v66, v70, s0
	v_and_b32_sdwa v70, s48, v59 dst_sel:DWORD dst_unused:UNUSED_PAD src0_sel:DWORD src1_sel:BYTE_0
	v_lshrrev_b16_e32 v59, 8, v59
	v_mul_f32_e32 v68, s40, v68
	v_cvt_f32_fp8_e32 v70, v70
	v_cvt_f32_fp8_e32 v59, v59
	v_lshrrev_b16_e32 v56, 8, v60
	v_cvt_pk_bf16_f32 v68, v68, s0
	v_cvt_f32_fp8_e32 v56, v56
	v_mul_f32_e32 v60, s40, v72
	s_waitcnt vmcnt(9)
	v_and_b32_sdwa v72, s48, v61 dst_sel:DWORD dst_unused:UNUSED_PAD src0_sel:DWORD src1_sel:BYTE_0
	v_lshrrev_b16_e32 v61, 8, v61
	v_cvt_f32_fp8_e32 v15, v72
	v_cvt_f32_fp8_e32 v61, v61
	s_waitcnt vmcnt(8)
	v_and_b32_sdwa v72, s48, v62 dst_sel:DWORD dst_unused:UNUSED_PAD src0_sel:DWORD src1_sel:BYTE_0
	v_lshrrev_b16_e32 v62, 8, v62
	v_lshlrev_b32_e32 v68, 16, v68
	v_mul_f32_e32 v58, s40, v58
	s_waitcnt vmcnt(5)
	v_and_b32_sdwa v53, s48, v69 dst_sel:DWORD dst_unused:UNUSED_PAD src0_sel:DWORD src1_sel:BYTE_0
	v_lshrrev_b16_e32 v57, 8, v69
	s_waitcnt vmcnt(4)
	v_and_b32_sdwa v69, s48, v71 dst_sel:DWORD dst_unused:UNUSED_PAD src0_sel:DWORD src1_sel:BYTE_0
	v_lshrrev_b16_e32 v71, 8, v71
	v_cvt_f32_fp8_e32 v71, v71
	v_cvt_f32_fp8_e32 v72, v72
	;; [unrolled: 1-line block ×3, first 2 shown]
	v_fmac_f32_e32 v64, v51, v68
	v_and_b32_sdwa v51, s48, v63 dst_sel:DWORD dst_unused:UNUSED_PAD src0_sel:DWORD src1_sel:BYTE_0
	v_lshrrev_b16_e32 v63, 8, v63
	v_mul_f32_e32 v71, s40, v71
	v_lshlrev_b32_e32 v66, 16, v66
	v_cvt_pk_bf16_f32 v58, v58, s0
	v_mul_f32_e32 v70, s40, v70
	v_mul_f32_e32 v59, s40, v59
	v_cvt_f32_fp8_e32 v51, v51
	v_cvt_f32_fp8_e32 v63, v63
	v_and_b32_sdwa v68, s48, v67 dst_sel:DWORD dst_unused:UNUSED_PAD src0_sel:DWORD src1_sel:BYTE_0
	v_lshrrev_b16_e32 v67, 8, v67
	v_fmac_f32_e32 v64, v49, v66
	v_cvt_pk_bf16_f32 v66, v71, s0
	v_cvt_pk_bf16_f32 v70, v70, s0
	;; [unrolled: 1-line block ×3, first 2 shown]
	v_mul_f32_e32 v56, s40, v56
	v_cvt_f32_fp8_e32 v68, v68
	v_cvt_f32_fp8_e32 v67, v67
	v_lshlrev_b32_e32 v58, 16, v58
	v_cvt_pk_bf16_f32 v60, v60, s0
	v_cvt_pk_bf16_f32 v56, v56, s0
	v_mul_f32_e32 v15, s40, v15
	v_mul_f32_e32 v61, s40, v61
	v_cvt_f32_fp8_e32 v53, v53
	v_cvt_f32_fp8_e32 v57, v57
	v_fmac_f32_e32 v52, v50, v58
	v_lshlrev_b32_e32 v70, 16, v70
	v_lshlrev_b32_e32 v59, 16, v59
	v_cvt_pk_bf16_f32 v15, v15, s0
	v_cvt_pk_bf16_f32 v61, v61, s0
	v_mul_f32_e32 v72, s40, v72
	v_mul_f32_e32 v62, s40, v62
	s_waitcnt vmcnt(2)
	v_and_b32_sdwa v71, s48, v65 dst_sel:DWORD dst_unused:UNUSED_PAD src0_sel:DWORD src1_sel:BYTE_0
	v_lshrrev_b16_e32 v65, 8, v65
	v_cvt_f32_fp8_e32 v65, v65
	v_cvt_f32_fp8_e32 v69, v69
	v_and_b32_sdwa v49, s48, v54 dst_sel:DWORD dst_unused:UNUSED_PAD src0_sel:DWORD src1_sel:BYTE_0
	v_lshrrev_b16_e32 v54, 8, v54
	v_fmac_f32_e32 v64, v44, v70
	v_fmac_f32_e32 v52, v48, v59
	v_lshlrev_b32_e32 v44, 16, v60
	v_lshlrev_b32_e32 v48, 16, v56
	v_cvt_pk_bf16_f32 v72, v72, s0
	v_cvt_pk_bf16_f32 v62, v62, s0
	v_mul_f32_e32 v51, s40, v51
	v_mul_f32_e32 v63, s40, v63
	v_cvt_f32_fp8_e32 v49, v49
	v_cvt_f32_fp8_e32 v54, v54
	v_fmac_f32_e32 v64, v43, v44
	v_fmac_f32_e32 v52, v47, v48
	v_lshlrev_b32_e32 v15, 16, v15
	v_lshlrev_b32_e32 v43, 16, v61
	v_cvt_pk_bf16_f32 v51, v51, s0
	v_cvt_pk_bf16_f32 v63, v63, s0
	v_mul_f32_e32 v68, s40, v68
	v_mul_f32_e32 v67, s40, v67
	v_cvt_f32_fp8_e32 v71, v71
	v_mul_f32_e32 v65, s40, v65
	s_waitcnt vmcnt(1)
	v_and_b32_sdwa v50, s48, v55 dst_sel:DWORD dst_unused:UNUSED_PAD src0_sel:DWORD src1_sel:BYTE_0
	v_lshrrev_b16_e32 v55, 8, v55
	v_fmac_f32_e32 v64, v41, v15
	v_fmac_f32_e32 v52, v46, v43
	v_lshlrev_b32_e32 v15, 16, v72
	v_lshlrev_b32_e32 v41, 16, v62
	v_cvt_pk_bf16_f32 v68, v68, s0
	v_cvt_pk_bf16_f32 v67, v67, s0
	v_mul_f32_e32 v53, s40, v53
	v_mul_f32_e32 v57, s40, v57
	v_cvt_f32_fp8_e32 v50, v50
	v_cvt_f32_fp8_e32 v55, v55
	v_cvt_pk_bf16_f32 v58, v65, s0
	s_waitcnt vmcnt(0)
	v_and_b32_sdwa v65, s48, v14 dst_sel:DWORD dst_unused:UNUSED_PAD src0_sel:DWORD src1_sel:BYTE_0
	v_lshrrev_b16_e32 v14, 8, v14
	v_fmac_f32_e32 v64, v40, v15
	v_fmac_f32_e32 v52, v45, v41
	v_lshlrev_b32_e32 v15, 16, v51
	v_lshlrev_b32_e32 v40, 16, v63
	v_cvt_pk_bf16_f32 v53, v53, s0
	v_cvt_pk_bf16_f32 v57, v57, s0
	v_mul_f32_e32 v69, s40, v69
	v_cvt_f32_fp8_e32 v65, v65
	v_cvt_f32_fp8_e32 v14, v14
	v_fmac_f32_e32 v64, v39, v15
	v_fmac_f32_e32 v52, v9, v40
	v_lshlrev_b32_e32 v9, 16, v68
	v_lshlrev_b32_e32 v15, 16, v67
	v_cvt_pk_bf16_f32 v69, v69, s0
	v_mul_f32_e32 v49, s40, v49
	v_mul_f32_e32 v54, s40, v54
	v_fmac_f32_e32 v64, v38, v9
	v_fmac_f32_e32 v52, v8, v15
	v_lshlrev_b32_e32 v8, 16, v53
	v_lshlrev_b32_e32 v9, 16, v57
	v_cvt_pk_bf16_f32 v49, v49, s0
	v_cvt_pk_bf16_f32 v54, v54, s0
	v_mul_f32_e32 v71, s40, v71
	v_fmac_f32_e32 v64, v37, v8
	v_fmac_f32_e32 v52, v7, v9
	v_lshlrev_b32_e32 v7, 16, v69
	v_lshlrev_b32_e32 v8, 16, v66
	v_cvt_pk_bf16_f32 v71, v71, s0
	v_mul_f32_e32 v50, s40, v50
	v_mul_f32_e32 v55, s40, v55
	v_fmac_f32_e32 v64, v36, v7
	v_fmac_f32_e32 v52, v6, v8
	v_lshlrev_b32_e32 v6, 16, v49
	v_lshlrev_b32_e32 v7, 16, v54
	v_cvt_pk_bf16_f32 v50, v50, s0
	v_cvt_pk_bf16_f32 v55, v55, s0
	v_mul_f32_e32 v65, s40, v65
	v_mul_f32_e32 v14, s40, v14
	v_fmac_f32_e32 v64, v35, v6
	v_fmac_f32_e32 v52, v5, v7
	v_lshlrev_b32_e32 v5, 16, v71
	v_lshlrev_b32_e32 v6, 16, v58
	v_cvt_pk_bf16_f32 v65, v65, s0
	v_cvt_pk_bf16_f32 v14, v14, s0
	v_fmac_f32_e32 v64, v34, v5
	v_fmac_f32_e32 v52, v4, v6
	v_lshlrev_b32_e32 v4, 16, v50
	v_lshlrev_b32_e32 v5, 16, v55
	v_fmac_f32_e32 v64, v33, v4
	v_fmac_f32_e32 v52, v3, v5
	v_lshlrev_b32_e32 v3, 16, v65
	v_lshlrev_b32_e32 v4, 16, v14
	v_fmac_f32_e32 v64, v32, v3
	v_fmac_f32_e32 v52, v2, v4
	v_add_f32_e32 v2, v64, v52
	ds_bpermute_b32 v3, v42, v2
	v_cmp_lt_i32_e64 s[0:1], v30, v28
	s_waitcnt lgkmcnt(0)
	v_add_f32_e32 v2, v2, v3
	v_cndmask_b32_e64 v4, v27, v30, s[0:1]
	v_lshlrev_b32_e32 v4, 2, v4
	ds_bpermute_b32 v3, v4, v2
	s_and_saveexec_b64 s[40:41], vcc
	s_cbranch_execz .LBB297_11
; %bb.19:                               ;   in Loop: Header=BB297_13 Depth=1
	v_add_u32_e32 v4, v24, v23
	v_cvt_f32_i32_e32 v4, v4
	s_waitcnt lgkmcnt(0)
	v_add_f32_e32 v2, v2, v3
	v_add_u32_e32 v5, v17, v23
	v_cmp_gt_i32_e64 s[0:1], s33, v5
	v_mul_f32_e32 v3, s44, v4
	v_cndmask_b32_e64 v3, 0, v3, s[2:3]
	v_fmac_f32_e32 v3, s37, v2
	v_cndmask_b32_e64 v2, 0, v3, s[0:1]
	ds_write_b32 v25, v2
	v_max_f32_e32 v2, v20, v20
	v_max_f32_e32 v2, v2, v3
	v_cndmask_b32_e64 v20, v20, v2, s[0:1]
	s_branch .LBB297_11
.LBB297_20:
	s_or_b64 exec, exec, s[38:39]
.LBB297_21:
	s_or_b64 exec, exec, s[18:19]
	v_mbcnt_hi_u32_b32 v2, -1, v16
	v_and_b32_e32 v10, 64, v2
	s_waitcnt lgkmcnt(0)
	v_add_u32_e32 v3, 64, v10
	v_xor_b32_e32 v4, 32, v2
	v_cmp_lt_i32_e32 vcc, v4, v3
	v_xor_b32_e32 v7, 16, v2
	v_max_f32_e32 v6, v20, v20
	v_cndmask_b32_e32 v4, v2, v4, vcc
	v_lshlrev_b32_e32 v4, 2, v4
	ds_bpermute_b32 v5, v4, v20
	v_cmp_lt_i32_e32 vcc, v7, v3
	v_xor_b32_e32 v8, 8, v2
	v_xor_b32_e32 v9, 4, v2
	v_and_b32_e32 v23, 63, v0
	s_waitcnt lgkmcnt(0)
	v_max_f32_e32 v5, v5, v5
	v_max_f32_e32 v6, v6, v5
	v_cndmask_b32_e32 v5, v2, v7, vcc
	v_lshlrev_b32_e32 v5, 2, v5
	ds_bpermute_b32 v7, v5, v6
	v_cmp_lt_i32_e32 vcc, v8, v3
	s_waitcnt lgkmcnt(0)
	v_max_f32_e32 v7, v7, v7
	v_max_f32_e32 v6, v6, v7
	v_cndmask_b32_e32 v7, v2, v8, vcc
	v_lshlrev_b32_e32 v8, 2, v7
	ds_bpermute_b32 v7, v8, v6
	v_cmp_lt_i32_e32 vcc, v9, v3
	s_waitcnt lgkmcnt(0)
	v_max_f32_e32 v7, v7, v7
	v_max_f32_e32 v7, v6, v7
	v_cndmask_b32_e32 v6, v2, v9, vcc
	v_lshlrev_b32_e32 v9, 2, v6
	ds_bpermute_b32 v11, v9, v7
	v_cmp_eq_u32_e32 vcc, 0, v23
	v_lshlrev_b32_e32 v6, 2, v1
	s_and_saveexec_b64 s[0:1], vcc
	s_cbranch_execz .LBB297_23
; %bb.22:
	s_waitcnt lgkmcnt(0)
	v_max_f32_e32 v11, v11, v11
	v_max_f32_e32 v7, v7, v7
	;; [unrolled: 1-line block ×3, first 2 shown]
	ds_write_b32 v6, v7 offset:384
.LBB297_23:
	s_or_b64 exec, exec, s[0:1]
	v_cmp_gt_u32_e64 s[0:1], 2, v23
	s_waitcnt lgkmcnt(0)
	v_mov_b32_e32 v11, 0xff7fffff
	v_lshlrev_b32_e32 v7, 2, v23
	s_barrier
	s_and_saveexec_b64 s[2:3], s[0:1]
; %bb.24:
	ds_read_b32 v11, v7 offset:384
; %bb.25:
	s_or_b64 exec, exec, s[2:3]
	v_xor_b32_e32 v12, 1, v2
	v_cmp_lt_i32_e64 s[2:3], v12, v3
	v_lshlrev_b32_e32 v10, 2, v10
	s_nop 0
	v_cndmask_b32_e64 v12, v2, v12, s[2:3]
	v_lshlrev_b32_e32 v24, 2, v12
	s_waitcnt lgkmcnt(0)
	ds_bpermute_b32 v12, v24, v11
	v_max_f32_e32 v11, v11, v11
	s_lshl_b32 s2, s20, 4
	s_min_i32 s37, s2, s33
	v_cmp_gt_i32_e64 s[2:3], s37, v0
	s_waitcnt lgkmcnt(0)
	v_max_f32_e32 v12, v12, v12
	v_max_f32_e32 v11, v11, v12
	ds_bpermute_b32 v11, v10, v11
	v_mov_b32_e32 v10, 0
	s_and_saveexec_b64 s[12:13], s[2:3]
	s_cbranch_execz .LBB297_29
; %bb.26:
	v_mov_b32_e32 v10, 0x190
	v_lshl_add_u32 v12, v0, 2, v10
	v_mov_b32_e32 v10, 0
	s_mov_b64 s[18:19], 0
	v_mov_b32_e32 v13, v0
.LBB297_27:                             ; =>This Inner Loop Header: Depth=1
	ds_read_b32 v14, v12
	v_add_u32_e32 v13, 0x80, v13
	v_cmp_le_i32_e64 s[8:9], s37, v13
	s_or_b64 s[18:19], s[8:9], s[18:19]
	s_waitcnt lgkmcnt(0)
	v_sub_f32_e32 v14, v14, v11
	v_mul_f32_e32 v14, 0x3fb8aa3b, v14
	v_exp_f32_e32 v14, v14
	ds_write_b32 v12, v14
	v_add_f32_e32 v10, v10, v14
	v_add_u32_e32 v12, 0x200, v12
	s_andn2_b64 exec, exec, s[18:19]
	s_cbranch_execnz .LBB297_27
; %bb.28:
	s_or_b64 exec, exec, s[18:19]
.LBB297_29:
	s_or_b64 exec, exec, s[12:13]
	ds_bpermute_b32 v4, v4, v10
	s_waitcnt lgkmcnt(0)
	v_add_f32_e32 v4, v10, v4
	ds_bpermute_b32 v5, v5, v4
	s_waitcnt lgkmcnt(0)
	v_add_f32_e32 v4, v4, v5
	ds_bpermute_b32 v5, v8, v4
	v_xor_b32_e32 v8, 2, v2
	v_cmp_lt_i32_e64 s[8:9], v8, v3
	s_waitcnt lgkmcnt(0)
	v_add_f32_e32 v4, v4, v5
	ds_bpermute_b32 v5, v9, v4
	v_cndmask_b32_e64 v3, v2, v8, s[8:9]
	v_lshlrev_b32_e32 v3, 2, v3
	s_waitcnt lgkmcnt(0)
	v_add_f32_e32 v4, v4, v5
	ds_bpermute_b32 v3, v3, v4
	s_waitcnt lgkmcnt(0)
	v_add_f32_e32 v3, v4, v3
	ds_bpermute_b32 v4, v24, v3
	s_waitcnt lgkmcnt(0)
	v_add_f32_e32 v3, v3, v4
	s_and_saveexec_b64 s[8:9], vcc
; %bb.30:
	ds_write_b32 v6, v3 offset:392
; %bb.31:
	s_or_b64 exec, exec, s[8:9]
	s_waitcnt lgkmcnt(0)
	s_barrier
	s_and_saveexec_b64 s[8:9], s[0:1]
; %bb.32:
	ds_read_b32 v3, v7 offset:392
; %bb.33:
	s_or_b64 exec, exec, s[8:9]
	s_waitcnt lgkmcnt(0)
	ds_bpermute_b32 v4, v24, v3
	v_lshlrev_b32_e32 v2, 2, v2
	v_and_b32_e32 v2, 0x100, v2
	s_waitcnt lgkmcnt(0)
	v_add_f32_e32 v3, v3, v4
	ds_bpermute_b32 v2, v2, v3
	s_and_saveexec_b64 s[0:1], s[2:3]
	s_cbranch_execz .LBB297_46
; %bb.34:
	s_waitcnt lgkmcnt(0)
	v_add_f32_e32 v2, 0x358637bd, v2
	v_div_scale_f32 v3, s[2:3], v2, v2, 1.0
	v_rcp_f32_e32 v4, v3
	v_div_scale_f32 v5, vcc, 1.0, v2, 1.0
	s_movk_i32 s2, 0x7f
	v_fma_f32 v6, -v3, v4, 1.0
	v_fmac_f32_e32 v4, v6, v4
	v_mul_f32_e32 v6, v5, v4
	v_fma_f32 v7, -v3, v6, v5
	v_fmac_f32_e32 v6, v7, v4
	v_fma_f32 v3, -v3, v6, v5
	v_div_fmas_f32 v3, v3, v4, v6
	v_xad_u32 v4, v0, -1, s37
	v_div_fixup_f32 v2, v3, v2, 1.0
	v_cmp_lt_u32_e32 vcc, s2, v4
	s_mov_b64 s[8:9], -1
	v_mov_b32_e32 v3, v0
	s_and_saveexec_b64 s[2:3], vcc
	s_cbranch_execz .LBB297_43
; %bb.35:
	v_lshrrev_b32_e32 v4, 7, v4
	v_add_u32_e32 v6, -1, v4
	v_lshrrev_b32_e32 v5, 1, v6
	v_mov_b32_e32 v3, v2
	v_add_u32_e32 v5, 1, v5
	v_cmp_lt_u32_e32 vcc, 13, v6
	v_mov_b32_e32 v8, 0
	s_and_saveexec_b64 s[8:9], vcc
	s_cbranch_execz .LBB297_39
; %bb.36:
	v_mov_b32_e32 v7, 0x190
	v_and_b32_e32 v6, -8, v5
	v_lshl_add_u32 v7, v0, 2, v7
	s_mov_b32 s18, 0
	s_mov_b64 s[12:13], 0
.LBB297_37:                             ; =>This Inner Loop Header: Depth=1
	ds_read2st64_b32 v[8:9], v7 offset1:2
	ds_read2st64_b32 v[10:11], v7 offset0:4 offset1:6
	ds_read2st64_b32 v[12:13], v7 offset0:8 offset1:10
	;; [unrolled: 1-line block ×3, first 2 shown]
	v_add_u32_e32 v6, -8, v6
	s_waitcnt lgkmcnt(3)
	v_pk_mul_f32 v[8:9], v[2:3], v[8:9]
	s_waitcnt lgkmcnt(2)
	v_pk_mul_f32 v[10:11], v[2:3], v[10:11]
	ds_write2st64_b32 v7, v8, v9 offset1:2
	ds_write2st64_b32 v7, v10, v11 offset0:4 offset1:6
	ds_read2st64_b32 v[10:11], v7 offset0:16 offset1:18
	s_waitcnt lgkmcnt(4)
	v_pk_mul_f32 v[8:9], v[2:3], v[12:13]
	ds_write2st64_b32 v7, v8, v9 offset0:8 offset1:10
	s_waitcnt lgkmcnt(4)
	v_pk_mul_f32 v[8:9], v[2:3], v[14:15]
	ds_write2st64_b32 v7, v8, v9 offset0:12 offset1:14
	ds_read2st64_b32 v[8:9], v7 offset0:20 offset1:22
	s_waitcnt lgkmcnt(3)
	v_pk_mul_f32 v[10:11], v[2:3], v[10:11]
	ds_read2st64_b32 v[12:13], v7 offset0:24 offset1:26
	ds_write2st64_b32 v7, v10, v11 offset0:16 offset1:18
	ds_read2st64_b32 v[10:11], v7 offset0:28 offset1:30
	s_waitcnt lgkmcnt(3)
	v_pk_mul_f32 v[8:9], v[2:3], v[8:9]
	ds_write2st64_b32 v7, v8, v9 offset0:20 offset1:22
	s_waitcnt lgkmcnt(3)
	v_pk_mul_f32 v[8:9], v[2:3], v[12:13]
	ds_write2st64_b32 v7, v8, v9 offset0:24 offset1:26
	s_waitcnt lgkmcnt(2)
	v_pk_mul_f32 v[8:9], v[2:3], v[10:11]
	s_add_i32 s18, s18, 16
	v_cmp_eq_u32_e32 vcc, 0, v6
	ds_write2st64_b32 v7, v8, v9 offset0:28 offset1:30
	v_add_u32_e32 v7, 0x2000, v7
	s_or_b64 s[12:13], vcc, s[12:13]
	v_mov_b32_e32 v8, s18
	s_andn2_b64 exec, exec, s[12:13]
	s_cbranch_execnz .LBB297_37
; %bb.38:
	s_or_b64 exec, exec, s[12:13]
.LBB297_39:
	s_or_b64 exec, exec, s[8:9]
	v_and_b32_e32 v5, 7, v5
	v_cmp_ne_u32_e32 vcc, 0, v5
	s_and_saveexec_b64 s[8:9], vcc
	s_cbranch_execz .LBB297_42
; %bb.40:
	v_lshlrev_b32_e32 v6, 9, v8
	v_lshlrev_b32_e32 v7, 2, v0
	s_movk_i32 s12, 0x190
	v_add3_u32 v6, v6, v7, s12
	s_mov_b64 s[12:13], 0
.LBB297_41:                             ; =>This Inner Loop Header: Depth=1
	ds_read2st64_b32 v[8:9], v6 offset1:2
	v_add_u32_e32 v5, -1, v5
	v_cmp_eq_u32_e32 vcc, 0, v5
	s_or_b64 s[12:13], vcc, s[12:13]
	s_waitcnt lgkmcnt(0)
	v_pk_mul_f32 v[8:9], v[2:3], v[8:9]
	ds_write2st64_b32 v6, v8, v9 offset1:2
	v_add_u32_e32 v6, 0x400, v6
	s_andn2_b64 exec, exec, s[12:13]
	s_cbranch_execnz .LBB297_41
.LBB297_42:
	s_or_b64 exec, exec, s[8:9]
	v_add_u32_e32 v4, 1, v4
	v_and_b32_e32 v5, 0x3fffffe, v4
	v_cmp_ne_u32_e32 vcc, v4, v5
	v_lshl_add_u32 v3, v5, 7, v0
	s_orn2_b64 s[8:9], vcc, exec
.LBB297_43:
	s_or_b64 exec, exec, s[2:3]
	s_and_b64 exec, exec, s[8:9]
	s_cbranch_execz .LBB297_46
; %bb.44:
	v_mov_b32_e32 v4, 0x190
	v_lshl_add_u32 v4, v3, 2, v4
	s_mov_b64 s[2:3], 0
.LBB297_45:                             ; =>This Inner Loop Header: Depth=1
	ds_read_b32 v5, v4
	v_add_u32_e32 v3, 0x80, v3
	v_cmp_le_i32_e32 vcc, s37, v3
	s_or_b64 s[2:3], vcc, s[2:3]
	s_waitcnt lgkmcnt(0)
	v_mul_f32_e32 v5, v2, v5
	ds_write_b32 v4, v5
	v_add_u32_e32 v4, 0x200, v4
	s_andn2_b64 exec, exec, s[2:3]
	s_cbranch_execnz .LBB297_45
.LBB297_46:
	s_or_b64 exec, exec, s[0:1]
	v_mov_b32_e32 v11, 0
	v_and_b32_e32 v25, 1, v0
	v_mov_b32_e32 v10, v11
	v_mov_b32_e32 v15, v11
	;; [unrolled: 1-line block ×5, first 2 shown]
	s_waitcnt lgkmcnt(0)
	s_barrier
	s_and_saveexec_b64 s[2:3], s[6:7]
	s_cbranch_execz .LBB297_64
; %bb.47:
	s_sub_i32 s18, s42, s21
	s_ashr_i32 s1, s43, 31
	s_add_u32 s0, s34, s43
	s_addc_u32 s1, s35, s1
	s_abs_i32 s19, s22
	v_cvt_f32_u32_e32 v2, s19
	v_lshlrev_b32_e32 v3, 3, v0
	v_and_b32_e32 v12, 0x1f8, v3
	v_mov_b32_e32 v13, 0
	v_rcp_iflag_f32_e32 v2, v2
	v_lshl_add_u64 v[16:17], s[0:1], 0, v[12:13]
	s_sub_i32 s0, 0, s19
	v_and_b32_e32 v26, 8, v3
	v_mul_f32_e32 v2, 0x4f7ffffe, v2
	v_cvt_u32_f32_e32 v2, v2
	s_add_i32 s21, s20, -1
	v_and_b32_e32 v12, 60, v18
	s_mov_b64 s[6:7], 0
	v_mul_lo_u32 v3, s0, v2
	v_mul_hi_u32 v3, v2, v3
	s_lshl_b64 s[0:1], s[30:31], 2
	v_add_u32_e32 v27, v2, v3
	s_add_u32 s0, s28, s0
	v_lshlrev_b32_e32 v2, 5, v25
	s_addc_u32 s1, s29, s1
	v_lshl_or_b32 v2, v1, 6, v2
	v_lshl_add_u64 v[18:19], s[0:1], 0, v[12:13]
	v_add_u32_e32 v28, 0x190, v2
	v_mov_b32_e32 v12, v13
	v_mov_b32_e32 v14, v13
	;; [unrolled: 1-line block ×5, first 2 shown]
	s_branch .LBB297_50
.LBB297_48:                             ;   in Loop: Header=BB297_50 Depth=1
	s_or_b64 exec, exec, s[0:1]
	v_cvt_pk_bf16_f32 v6, v6, s0
	v_cvt_pk_bf16_f32 v7, v7, s0
	v_cvt_pk_bf16_f32 v8, v8, s0
	v_cvt_pk_bf16_f32 v9, v9, s0
	v_lshlrev_b32_e32 v7, 16, v7
	v_lshlrev_b32_e32 v44, 16, v82
	v_lshlrev_b32_e32 v6, 16, v6
	v_lshlrev_b32_e32 v46, 16, v81
	v_mul_f32_e32 v44, v7, v44
	v_mul_f32_e32 v46, v6, v46
	v_lshlrev_b32_e32 v9, 16, v9
	v_lshlrev_b32_e32 v47, 16, v80
	;; [unrolled: 1-line block ×4, first 2 shown]
	v_cvt_pk_bf16_f32 v2, v2, s0
	v_cvt_pk_bf16_f32 v3, v3, s0
	;; [unrolled: 1-line block ×4, first 2 shown]
	v_mul_f32_e32 v47, v9, v47
	v_mul_f32_e32 v48, v8, v48
	v_cvt_pk_bf16_f32 v47, v47, s0
	v_cvt_pk_bf16_f32 v48, v48, s0
	v_lshlrev_b32_e32 v3, 16, v3
	v_lshlrev_b32_e32 v49, 16, v78
	;; [unrolled: 1-line block ×6, first 2 shown]
	v_cvt_pk_bf16_f32 v4, v4, s0
	v_cvt_pk_bf16_f32 v5, v5, s0
	v_mul_f32_e32 v49, v3, v49
	v_mul_f32_e32 v50, v2, v50
	v_add_f32_e32 v44, v46, v44
	v_lshlrev_b32_e32 v46, 16, v48
	v_lshlrev_b32_e32 v47, 16, v47
	v_cvt_pk_bf16_f32 v49, v49, s0
	v_cvt_pk_bf16_f32 v50, v50, s0
	v_lshlrev_b32_e32 v5, 16, v5
	v_lshlrev_b32_e32 v51, 16, v76
	;; [unrolled: 1-line block ×4, first 2 shown]
	v_add_f32_e32 v46, v46, v47
	v_mul_f32_e32 v51, v5, v51
	v_mul_f32_e32 v52, v4, v52
	v_add_f32_e32 v44, v46, v44
	v_lshlrev_b32_e32 v46, 16, v50
	v_lshlrev_b32_e32 v47, 16, v49
	v_cvt_pk_bf16_f32 v51, v51, s0
	v_cvt_pk_bf16_f32 v52, v52, s0
	v_add_f32_e32 v46, v46, v47
	v_add_f32_e32 v44, v46, v44
	v_lshlrev_b32_e32 v46, 16, v52
	v_lshlrev_b32_e32 v47, 16, v51
	v_add_f32_e32 v46, v46, v47
	v_add_f32_e32 v44, v46, v44
	;; [unrolled: 1-line block ×3, first 2 shown]
	v_lshlrev_b32_e32 v44, 16, v68
	v_lshlrev_b32_e32 v46, 16, v67
	v_mul_f32_e32 v44, v7, v44
	v_mul_f32_e32 v46, v6, v46
	v_lshlrev_b32_e32 v47, 16, v66
	v_lshlrev_b32_e32 v48, 16, v65
	v_cvt_pk_bf16_f32 v44, v44, s0
	v_cvt_pk_bf16_f32 v46, v46, s0
	v_mul_f32_e32 v47, v9, v47
	v_mul_f32_e32 v48, v8, v48
	v_cvt_pk_bf16_f32 v47, v47, s0
	v_cvt_pk_bf16_f32 v48, v48, s0
	v_lshlrev_b32_e32 v49, 16, v64
	v_lshlrev_b32_e32 v50, 16, v63
	;; [unrolled: 1-line block ×4, first 2 shown]
	v_mul_f32_e32 v49, v3, v49
	v_mul_f32_e32 v50, v2, v50
	v_add_f32_e32 v44, v46, v44
	v_lshlrev_b32_e32 v46, 16, v48
	v_lshlrev_b32_e32 v47, 16, v47
	v_cvt_pk_bf16_f32 v49, v49, s0
	v_cvt_pk_bf16_f32 v50, v50, s0
	v_lshlrev_b32_e32 v51, 16, v62
	v_lshlrev_b32_e32 v52, 16, v61
	v_add_f32_e32 v46, v46, v47
	v_mul_f32_e32 v51, v5, v51
	v_mul_f32_e32 v52, v4, v52
	v_add_f32_e32 v44, v46, v44
	v_lshlrev_b32_e32 v46, 16, v50
	v_lshlrev_b32_e32 v47, 16, v49
	v_cvt_pk_bf16_f32 v51, v51, s0
	v_cvt_pk_bf16_f32 v52, v52, s0
	v_add_f32_e32 v46, v46, v47
	v_add_f32_e32 v44, v46, v44
	v_lshlrev_b32_e32 v46, 16, v52
	v_lshlrev_b32_e32 v47, 16, v51
	v_add_f32_e32 v46, v46, v47
	v_add_f32_e32 v44, v46, v44
	;; [unrolled: 1-line block ×3, first 2 shown]
	v_lshlrev_b32_e32 v44, 16, v60
	v_lshlrev_b32_e32 v46, 16, v59
	v_mul_f32_e32 v44, v7, v44
	v_mul_f32_e32 v46, v6, v46
	v_lshlrev_b32_e32 v47, 16, v58
	v_lshlrev_b32_e32 v48, 16, v57
	v_cvt_pk_bf16_f32 v44, v44, s0
	v_cvt_pk_bf16_f32 v46, v46, s0
	v_mul_f32_e32 v47, v9, v47
	v_mul_f32_e32 v48, v8, v48
	v_lshlrev_b32_e32 v36, 16, v36
	v_lshlrev_b32_e32 v35, 16, v35
	;; [unrolled: 1-line block ×4, first 2 shown]
	v_cvt_pk_bf16_f32 v47, v47, s0
	v_cvt_pk_bf16_f32 v48, v48, s0
	v_lshlrev_b32_e32 v49, 16, v56
	v_lshlrev_b32_e32 v50, 16, v55
	;; [unrolled: 1-line block ×4, first 2 shown]
	v_mul_f32_e32 v36, v7, v36
	v_mul_f32_e32 v35, v6, v35
	;; [unrolled: 1-line block ×4, first 2 shown]
	v_lshlrev_b32_e32 v32, 16, v32
	v_lshlrev_b32_e32 v31, 16, v31
	v_mul_f32_e32 v49, v3, v49
	v_mul_f32_e32 v50, v2, v50
	v_add_f32_e32 v44, v46, v44
	v_lshlrev_b32_e32 v46, 16, v48
	v_lshlrev_b32_e32 v47, 16, v47
	v_cvt_pk_bf16_f32 v36, v36, s0
	v_cvt_pk_bf16_f32 v35, v35, s0
	;; [unrolled: 1-line block ×4, first 2 shown]
	v_mul_f32_e32 v32, v3, v32
	v_mul_f32_e32 v31, v2, v31
	v_lshlrev_b32_e32 v30, 16, v30
	v_lshlrev_b32_e32 v29, 16, v29
	v_cvt_pk_bf16_f32 v49, v49, s0
	v_cvt_pk_bf16_f32 v50, v50, s0
	v_lshlrev_b32_e32 v51, 16, v54
	v_lshlrev_b32_e32 v52, 16, v53
	v_add_f32_e32 v46, v46, v47
	v_cvt_pk_bf16_f32 v32, v32, s0
	v_cvt_pk_bf16_f32 v31, v31, s0
	v_mul_f32_e32 v30, v5, v30
	v_mul_f32_e32 v29, v4, v29
	v_lshlrev_b32_e32 v35, 16, v35
	v_lshlrev_b32_e32 v36, 16, v36
	;; [unrolled: 1-line block ×4, first 2 shown]
	v_mul_f32_e32 v51, v5, v51
	v_mul_f32_e32 v52, v4, v52
	v_add_f32_e32 v44, v46, v44
	v_lshlrev_b32_e32 v46, 16, v50
	v_lshlrev_b32_e32 v47, 16, v49
	v_cvt_pk_bf16_f32 v30, v30, s0
	v_cvt_pk_bf16_f32 v29, v29, s0
	v_add_f32_e32 v35, v35, v36
	v_add_f32_e32 v33, v33, v34
	v_lshlrev_b32_e32 v31, 16, v31
	v_lshlrev_b32_e32 v32, 16, v32
	v_cvt_pk_bf16_f32 v51, v51, s0
	v_cvt_pk_bf16_f32 v52, v52, s0
	v_add_f32_e32 v46, v46, v47
	v_add_f32_e32 v33, v33, v35
	;; [unrolled: 1-line block ×3, first 2 shown]
	v_lshlrev_b32_e32 v29, 16, v29
	v_lshlrev_b32_e32 v30, 16, v30
	v_add_f32_e32 v44, v46, v44
	v_lshlrev_b32_e32 v46, 16, v52
	v_lshlrev_b32_e32 v47, 16, v51
	v_add_f32_e32 v31, v31, v33
	v_add_f32_e32 v29, v29, v30
	;; [unrolled: 1-line block ×5, first 2 shown]
	v_lshlrev_b32_e32 v43, 16, v43
	v_add_f32_e32 v12, v12, v29
	v_lshlrev_b32_e32 v29, 16, v74
	v_add_f32_e32 v14, v14, v44
	v_lshlrev_b32_e32 v44, 16, v45
	v_mul_f32_e32 v43, v6, v43
	v_mul_f32_e32 v6, v6, v29
	v_lshlrev_b32_e32 v29, 16, v73
	v_mul_f32_e32 v44, v7, v44
	v_lshlrev_b32_e32 v41, 16, v41
	;; [unrolled: 2-line block ×3, first 2 shown]
	v_lshlrev_b32_e32 v42, 16, v42
	v_mul_f32_e32 v41, v8, v41
	v_mul_f32_e32 v8, v8, v29
	v_lshlrev_b32_e32 v29, 16, v71
	v_mul_f32_e32 v42, v9, v42
	v_lshlrev_b32_e32 v39, 16, v39
	;; [unrolled: 2-line block ×3, first 2 shown]
	v_mul_f32_e32 v39, v2, v39
	v_mul_f32_e32 v2, v2, v29
	v_cvt_pk_bf16_f32 v29, v2, s0
	v_lshlrev_b32_e32 v2, 16, v69
	v_mul_f32_e32 v2, v3, v2
	v_cvt_pk_bf16_f32 v30, v2, s0
	v_lshlrev_b32_e32 v2, 16, v21
	v_mul_f32_e32 v2, v4, v2
	v_lshlrev_b32_e32 v40, 16, v40
	v_cvt_pk_bf16_f32 v21, v2, s0
	v_lshlrev_b32_e32 v2, 16, v20
	v_cvt_pk_bf16_f32 v44, v44, s0
	v_cvt_pk_bf16_f32 v43, v43, s0
	;; [unrolled: 1-line block ×4, first 2 shown]
	v_mul_f32_e32 v40, v3, v40
	v_lshlrev_b32_e32 v38, 16, v38
	v_lshlrev_b32_e32 v37, 16, v37
	v_cvt_pk_bf16_f32 v6, v6, s0
	v_cvt_pk_bf16_f32 v7, v7, s0
	;; [unrolled: 1-line block ×4, first 2 shown]
	v_mul_f32_e32 v2, v5, v2
	v_cvt_pk_bf16_f32 v40, v40, s0
	v_cvt_pk_bf16_f32 v39, v39, s0
	v_mul_f32_e32 v38, v5, v38
	v_mul_f32_e32 v37, v4, v37
	v_lshlrev_b32_e32 v43, 16, v43
	v_lshlrev_b32_e32 v44, 16, v44
	v_lshlrev_b32_e32 v41, 16, v41
	v_lshlrev_b32_e32 v42, 16, v42
	v_cvt_pk_bf16_f32 v20, v2, s0
	v_lshlrev_b32_e32 v3, 16, v7
	v_lshlrev_b32_e32 v5, 16, v6
	;; [unrolled: 1-line block ×4, first 2 shown]
	v_cvt_pk_bf16_f32 v38, v38, s0
	v_cvt_pk_bf16_f32 v37, v37, s0
	v_add_f32_e32 v43, v43, v44
	v_add_f32_e32 v41, v41, v42
	v_lshlrev_b32_e32 v39, 16, v39
	v_lshlrev_b32_e32 v40, 16, v40
	v_pk_add_f32 v[2:3], v[4:5], v[2:3]
	v_lshlrev_b32_e32 v5, 16, v30
	v_lshlrev_b32_e32 v7, 16, v29
	;; [unrolled: 1-line block ×4, first 2 shown]
	v_add_f32_e32 v41, v41, v43
	v_add_f32_e32 v39, v39, v40
	v_lshlrev_b32_e32 v37, 16, v37
	v_lshlrev_b32_e32 v38, 16, v38
	v_pk_add_f32 v[4:5], v[6:7], v[4:5]
	v_add_f32_e32 v2, v2, v3
	v_add_f32_e32 v39, v39, v41
	;; [unrolled: 1-line block ×8, first 2 shown]
.LBB297_49:                             ;   in Loop: Header=BB297_50 Depth=1
	s_or_b64 exec, exec, s[8:9]
	v_add_u32_e32 v1, 2, v1
	v_cmp_le_i32_e32 vcc, s20, v1
	v_lshl_add_u64 v[18:19], v[18:19], 0, 8
	v_add_u32_e32 v22, 32, v22
	s_or_b64 s[6:7], vcc, s[6:7]
	v_add_u32_e32 v28, 0x80, v28
	s_andn2_b64 exec, exec, s[6:7]
	s_cbranch_execz .LBB297_63
.LBB297_50:                             ; =>This Inner Loop Header: Depth=1
	v_mul_hi_u32 v2, v22, s25
	v_mul_lo_u32 v3, v2, s16
	v_sub_u32_e32 v3, v22, v3
	v_add_u32_e32 v4, 1, v2
	v_cmp_le_u32_e32 vcc, s16, v3
	s_nop 1
	v_cndmask_b32_e32 v2, v2, v4, vcc
	v_subrev_u32_e32 v4, s16, v3
	v_cndmask_b32_e32 v3, v3, v4, vcc
	v_add_u32_e32 v4, 1, v2
	v_cmp_le_u32_e32 vcc, s16, v3
	s_nop 1
	v_cndmask_b32_e32 v2, v2, v4, vcc
	v_xor_b32_e32 v2, s23, v2
	v_subrev_u32_e32 v2, s23, v2
	v_add_u32_e32 v3, s36, v2
	v_sub_u32_e32 v5, 0, v3
	v_ashrrev_i32_e32 v4, 31, v3
	v_max_i32_e32 v3, v3, v5
	v_mul_hi_u32 v5, v3, v27
	v_mul_lo_u32 v5, v5, s19
	v_sub_u32_e32 v3, v3, v5
	v_subrev_u32_e32 v5, s19, v3
	v_cmp_le_u32_e32 vcc, s19, v3
	v_cmp_lt_i32_e64 s[0:1], s18, v2
	s_nop 0
	v_cndmask_b32_e32 v3, v3, v5, vcc
	v_subrev_u32_e32 v5, s19, v3
	v_cmp_le_u32_e32 vcc, s19, v3
	s_nop 1
	v_cndmask_b32_e32 v3, v3, v5, vcc
	v_xor_b32_e32 v3, v3, v4
	v_sub_u32_e32 v3, v3, v4
	v_cmp_eq_u32_e32 vcc, 0, v3
	s_or_b64 s[0:1], vcc, s[0:1]
	s_and_saveexec_b64 s[8:9], s[0:1]
	s_cbranch_execz .LBB297_49
; %bb.51:                               ;   in Loop: Header=BB297_50 Depth=1
	global_load_dword v2, v[18:19], off
	v_add_u32_e32 v44, v26, v22
	v_cmp_eq_u32_e32 vcc, s21, v1
	v_add_u32_e32 v51, 1, v44
	v_add_u32_e32 v50, 2, v44
	;; [unrolled: 1-line block ×7, first 2 shown]
	s_waitcnt vmcnt(0)
	v_mad_i64_i32 v[20:21], s[0:1], v2, s17, v[16:17]
	global_load_dwordx2 v[30:31], v[20:21], off
	ds_read2_b64 v[6:9], v28 offset1:1
	ds_read2_b64 v[2:5], v28 offset0:2 offset1:3
	s_load_dword s22, s[14:15], 0x0
	s_waitcnt vmcnt(0)
	v_and_b32_e32 v29, 0xff, v30
	v_bfe_u32 v32, v30, 8, 8
	v_bfe_u32 v33, v30, 16, 8
	v_lshrrev_b32_e32 v30, 24, v30
	v_and_b32_e32 v34, 0xff, v31
	v_bfe_u32 v35, v31, 8, 8
	v_bfe_u32 v36, v31, 16, 8
	v_lshrrev_b32_e32 v31, 24, v31
	v_cvt_f32_fp8_e32 v29, v29
	v_cvt_f32_fp8_e32 v32, v32
	;; [unrolled: 1-line block ×8, first 2 shown]
	s_waitcnt lgkmcnt(0)
	v_mul_f32_e32 v29, s22, v29
	v_mul_f32_e32 v32, s22, v32
	v_mul_f32_e32 v33, s22, v33
	v_mul_f32_e32 v30, s22, v30
	v_mul_f32_e32 v37, s22, v34
	v_mul_f32_e32 v38, s22, v35
	v_mul_f32_e32 v39, s22, v36
	v_mul_f32_e32 v40, s22, v31
	v_cvt_pk_bf16_f32 v35, v29, s0
	v_cvt_pk_bf16_f32 v36, v32, s0
	v_cvt_pk_bf16_f32 v33, v33, s0
	v_cvt_pk_bf16_f32 v34, v30, s0
	v_cvt_pk_bf16_f32 v31, v37, s0
	v_cvt_pk_bf16_f32 v32, v38, s0
	v_cvt_pk_bf16_f32 v29, v39, s0
	v_cvt_pk_bf16_f32 v30, v40, s0
	s_and_saveexec_b64 s[12:13], vcc
	s_cbranch_execz .LBB297_53
; %bb.52:                               ;   in Loop: Header=BB297_50 Depth=1
	v_cmp_gt_i32_e64 s[0:1], s33, v44
	s_nop 1
	v_cndmask_b32_e64 v35, 0, v35, s[0:1]
	v_cmp_gt_i32_e64 s[0:1], s33, v51
	s_nop 1
	v_cndmask_b32_e64 v36, 0, v36, s[0:1]
	v_cmp_gt_i32_e64 s[0:1], s33, v50
	s_nop 1
	v_cndmask_b32_e64 v33, 0, v33, s[0:1]
	v_cmp_gt_i32_e64 s[0:1], s33, v49
	s_nop 1
	v_cndmask_b32_e64 v34, 0, v34, s[0:1]
	v_cmp_gt_i32_e64 s[0:1], s33, v48
	s_nop 1
	v_cndmask_b32_e64 v31, 0, v31, s[0:1]
	v_cmp_gt_i32_e64 s[0:1], s33, v47
	s_nop 1
	v_cndmask_b32_e64 v32, 0, v32, s[0:1]
	v_cmp_gt_i32_e64 s[0:1], s33, v46
	s_nop 1
	v_cndmask_b32_e64 v29, 0, v29, s[0:1]
	v_cmp_gt_i32_e64 s[0:1], s33, v52
	s_nop 1
	v_cndmask_b32_e64 v30, 0, v30, s[0:1]
.LBB297_53:                             ;   in Loop: Header=BB297_50 Depth=1
	s_or_b64 exec, exec, s[12:13]
	global_load_dwordx2 v[38:39], v[20:21], off offset:512
	s_waitcnt vmcnt(0)
	v_and_b32_e32 v37, 0xff, v38
	v_bfe_u32 v40, v38, 8, 8
	v_bfe_u32 v41, v38, 16, 8
	v_lshrrev_b32_e32 v38, 24, v38
	v_and_b32_e32 v42, 0xff, v39
	v_bfe_u32 v43, v39, 8, 8
	v_bfe_u32 v45, v39, 16, 8
	v_lshrrev_b32_e32 v39, 24, v39
	v_cvt_f32_fp8_e32 v37, v37
	v_cvt_f32_fp8_e32 v40, v40
	v_cvt_f32_fp8_e32 v41, v41
	v_cvt_f32_fp8_e32 v38, v38
	v_cvt_f32_fp8_e32 v42, v42
	v_cvt_f32_fp8_e32 v43, v43
	v_cvt_f32_fp8_e32 v45, v45
	v_cvt_f32_fp8_e32 v39, v39
	v_mul_f32_e32 v37, s22, v37
	v_mul_f32_e32 v40, s22, v40
	v_mul_f32_e32 v41, s22, v41
	v_mul_f32_e32 v38, s22, v38
	v_mul_f32_e32 v53, s22, v42
	v_mul_f32_e32 v54, s22, v43
	v_mul_f32_e32 v55, s22, v45
	v_mul_f32_e32 v56, s22, v39
	v_cvt_pk_bf16_f32 v43, v37, s0
	v_cvt_pk_bf16_f32 v45, v40, s0
	v_cvt_pk_bf16_f32 v41, v41, s0
	v_cvt_pk_bf16_f32 v42, v38, s0
	v_cvt_pk_bf16_f32 v39, v53, s0
	v_cvt_pk_bf16_f32 v40, v54, s0
	v_cvt_pk_bf16_f32 v37, v55, s0
	v_cvt_pk_bf16_f32 v38, v56, s0
	s_and_saveexec_b64 s[12:13], vcc
	s_cbranch_execz .LBB297_55
; %bb.54:                               ;   in Loop: Header=BB297_50 Depth=1
	v_cmp_gt_i32_e64 s[0:1], s33, v44
	s_nop 1
	v_cndmask_b32_e64 v43, 0, v43, s[0:1]
	v_cmp_gt_i32_e64 s[0:1], s33, v51
	s_nop 1
	v_cndmask_b32_e64 v45, 0, v45, s[0:1]
	v_cmp_gt_i32_e64 s[0:1], s33, v50
	s_nop 1
	v_cndmask_b32_e64 v41, 0, v41, s[0:1]
	v_cmp_gt_i32_e64 s[0:1], s33, v49
	s_nop 1
	v_cndmask_b32_e64 v42, 0, v42, s[0:1]
	v_cmp_gt_i32_e64 s[0:1], s33, v48
	s_nop 1
	v_cndmask_b32_e64 v39, 0, v39, s[0:1]
	v_cmp_gt_i32_e64 s[0:1], s33, v47
	s_nop 1
	v_cndmask_b32_e64 v40, 0, v40, s[0:1]
	v_cmp_gt_i32_e64 s[0:1], s33, v46
	s_nop 1
	v_cndmask_b32_e64 v37, 0, v37, s[0:1]
	v_cmp_gt_i32_e64 s[0:1], s33, v52
	s_nop 1
	v_cndmask_b32_e64 v38, 0, v38, s[0:1]
.LBB297_55:                             ;   in Loop: Header=BB297_50 Depth=1
	s_or_b64 exec, exec, s[12:13]
	global_load_dwordx2 v[54:55], v[20:21], off offset:1024
	s_waitcnt vmcnt(0)
	v_and_b32_e32 v53, 0xff, v54
	v_bfe_u32 v56, v54, 8, 8
	v_bfe_u32 v57, v54, 16, 8
	v_lshrrev_b32_e32 v54, 24, v54
	v_and_b32_e32 v58, 0xff, v55
	v_bfe_u32 v59, v55, 8, 8
	v_bfe_u32 v60, v55, 16, 8
	v_lshrrev_b32_e32 v55, 24, v55
	v_cvt_f32_fp8_e32 v53, v53
	v_cvt_f32_fp8_e32 v56, v56
	v_cvt_f32_fp8_e32 v57, v57
	v_cvt_f32_fp8_e32 v54, v54
	v_cvt_f32_fp8_e32 v58, v58
	v_cvt_f32_fp8_e32 v59, v59
	v_cvt_f32_fp8_e32 v60, v60
	v_cvt_f32_fp8_e32 v55, v55
	;; [unrolled: 63-line block ×5, first 2 shown]
	v_mul_f32_e32 v69, s22, v69
	v_mul_f32_e32 v70, s22, v70
	v_mul_f32_e32 v71, s22, v71
	v_mul_f32_e32 v20, s22, v20
	v_mul_f32_e32 v83, s22, v72
	v_mul_f32_e32 v84, s22, v73
	v_mul_f32_e32 v85, s22, v74
	v_mul_f32_e32 v86, s22, v21
	v_cvt_pk_bf16_f32 v74, v69, s0
	v_cvt_pk_bf16_f32 v73, v70, s0
	;; [unrolled: 1-line block ×8, first 2 shown]
	s_and_saveexec_b64 s[0:1], vcc
	s_cbranch_execz .LBB297_48
; %bb.62:                               ;   in Loop: Header=BB297_50 Depth=1
	v_cmp_gt_i32_e32 vcc, s33, v44
	s_nop 1
	v_cndmask_b32_e32 v74, 0, v74, vcc
	v_cmp_gt_i32_e32 vcc, s33, v51
	s_nop 1
	v_cndmask_b32_e32 v73, 0, v73, vcc
	;; [unrolled: 3-line block ×8, first 2 shown]
	s_branch .LBB297_48
.LBB297_63:
	s_or_b64 exec, exec, s[6:7]
.LBB297_64:
	s_or_b64 exec, exec, s[2:3]
	ds_bpermute_b32 v2, v24, v12
	ds_bpermute_b32 v3, v24, v13
	;; [unrolled: 1-line block ×4, first 2 shown]
	v_and_b32_e32 v1, 0x3c1, v0
	v_cmp_ne_u32_e32 vcc, 64, v1
	s_waitcnt lgkmcnt(2)
	v_pk_add_f32 v[4:5], v[12:13], v[2:3]
	s_waitcnt lgkmcnt(0)
	v_pk_add_f32 v[2:3], v[14:15], v[6:7]
	ds_bpermute_b32 v6, v24, v10
	ds_bpermute_b32 v7, v24, v11
	s_barrier
	s_waitcnt lgkmcnt(0)
	s_and_saveexec_b64 s[0:1], vcc
	s_xor_b64 s[0:1], exec, s[0:1]
; %bb.65:
                                        ; implicit-def: $vgpr23
; %bb.66:
	s_or_saveexec_b64 s[0:1], s[0:1]
	v_pk_add_f32 v[6:7], v[10:11], v[6:7]
	s_xor_b64 exec, exec, s[0:1]
	s_cbranch_execz .LBB297_68
; %bb.67:
	v_mov_b32_e32 v8, 0x190
	v_lshl_add_u32 v8, v23, 1, v8
	ds_write2_b32 v8, v4, v5 offset1:32
	ds_write2_b32 v8, v2, v3 offset0:64 offset1:96
	ds_write2_b32 v8, v6, v7 offset0:128 offset1:160
.LBB297_68:
	s_or_b64 exec, exec, s[0:1]
	v_cmp_gt_u32_e32 vcc, 64, v0
	v_lshrrev_b32_e32 v0, 1, v0
	s_waitcnt lgkmcnt(0)
	s_barrier
	s_and_saveexec_b64 s[0:1], vcc
	s_cbranch_execz .LBB297_77
; %bb.69:
	v_mov_b32_e32 v8, 0x190
	v_cmp_eq_u32_e32 vcc, 0, v25
	v_lshl_add_u32 v8, v0, 2, v8
	s_and_saveexec_b64 s[2:3], vcc
	s_cbranch_execnz .LBB297_80
; %bb.70:
	s_or_b64 exec, exec, s[2:3]
	s_and_saveexec_b64 s[2:3], vcc
	s_cbranch_execnz .LBB297_81
.LBB297_71:
	s_or_b64 exec, exec, s[2:3]
	s_and_saveexec_b64 s[2:3], vcc
	s_cbranch_execnz .LBB297_82
.LBB297_72:
	s_or_b64 exec, exec, s[2:3]
	s_and_saveexec_b64 s[2:3], vcc
	s_cbranch_execnz .LBB297_83
.LBB297_73:
	s_or_b64 exec, exec, s[2:3]
	s_and_saveexec_b64 s[2:3], vcc
	s_cbranch_execnz .LBB297_84
.LBB297_74:
	s_or_b64 exec, exec, s[2:3]
	s_and_saveexec_b64 s[2:3], vcc
	s_cbranch_execz .LBB297_76
.LBB297_75:
	ds_read_b32 v8, v8 offset:640
	s_waitcnt lgkmcnt(0)
	v_add_f32_e32 v7, v7, v8
.LBB297_76:
	s_or_b64 exec, exec, s[2:3]
.LBB297_77:
	s_or_b64 exec, exec, s[0:1]
	v_cmp_eq_u32_e32 vcc, 0, v1
	s_barrier
	s_and_saveexec_b64 s[0:1], vcc
	s_cbranch_execz .LBB297_79
; %bb.78:
	s_mul_i32 s0, s10, s11
	s_mul_i32 s0, s0, s5
	s_mulk_i32 s0, 0xc0
	s_ashr_i32 s1, s0, 31
	s_lshl_b64 s[0:1], s[0:1], 1
	s_add_u32 s2, s26, s0
	s_mul_i32 s0, s11, s24
	s_addc_u32 s3, s27, s1
	s_ashr_i32 s1, s0, 31
	s_lshl_b64 s[0:1], s[0:1], 1
	s_add_u32 s2, s2, s0
	s_mul_i32 s0, s4, 0xc0
	s_addc_u32 s3, s3, s1
	s_ashr_i32 s1, s0, 31
	s_lshl_b64 s[0:1], s[0:1], 1
	s_add_u32 s0, s2, s0
	s_addc_u32 s1, s3, s1
	v_lshlrev_b32_e32 v0, 1, v0
	v_cvt_pk_bf16_f32 v1, v4, s0
	global_store_short v0, v1, s[0:1]
	v_cvt_pk_bf16_f32 v1, v5, s0
	global_store_short v0, v1, s[0:1] offset:64
	v_cvt_pk_bf16_f32 v1, v2, s0
	global_store_short v0, v1, s[0:1] offset:128
	;; [unrolled: 2-line block ×5, first 2 shown]
.LBB297_79:
	s_endpgm
.LBB297_80:
	ds_read_b32 v9, v8
	s_waitcnt lgkmcnt(0)
	v_add_f32_e32 v4, v4, v9
	s_or_b64 exec, exec, s[2:3]
	s_and_saveexec_b64 s[2:3], vcc
	s_cbranch_execz .LBB297_71
.LBB297_81:
	ds_read_b32 v9, v8 offset:128
	s_waitcnt lgkmcnt(0)
	v_add_f32_e32 v5, v5, v9
	s_or_b64 exec, exec, s[2:3]
	s_and_saveexec_b64 s[2:3], vcc
	s_cbranch_execz .LBB297_72
.LBB297_82:
	ds_read_b32 v9, v8 offset:256
	s_waitcnt lgkmcnt(0)
	v_add_f32_e32 v2, v2, v9
	s_or_b64 exec, exec, s[2:3]
	s_and_saveexec_b64 s[2:3], vcc
	s_cbranch_execz .LBB297_73
.LBB297_83:
	ds_read_b32 v9, v8 offset:384
	s_waitcnt lgkmcnt(0)
	v_add_f32_e32 v3, v3, v9
	s_or_b64 exec, exec, s[2:3]
	s_and_saveexec_b64 s[2:3], vcc
	s_cbranch_execz .LBB297_74
.LBB297_84:
	ds_read_b32 v9, v8 offset:512
	s_waitcnt lgkmcnt(0)
	v_add_f32_e32 v6, v6, v9
	s_or_b64 exec, exec, s[2:3]
	s_and_saveexec_b64 s[2:3], vcc
	s_cbranch_execnz .LBB297_75
	s_branch .LBB297_76
	.section	.rodata,"a",@progbits
	.p2align	6, 0x0
	.amdhsa_kernel _ZN4vllm25paged_attention_v1_kernelI14__hip_bfloat16hLi192ELi16ELi128ELNS_18Fp8KVCacheDataTypeE1ELb1EEEvPT_PKS3_PKT0_S9_ifPKiSB_iPKfiiiSD_SD_iiiii
		.amdhsa_group_segment_fixed_size 400
		.amdhsa_private_segment_fixed_size 0
		.amdhsa_kernarg_size 384
		.amdhsa_user_sgpr_count 2
		.amdhsa_user_sgpr_dispatch_ptr 0
		.amdhsa_user_sgpr_queue_ptr 0
		.amdhsa_user_sgpr_kernarg_segment_ptr 1
		.amdhsa_user_sgpr_dispatch_id 0
		.amdhsa_user_sgpr_kernarg_preload_length 0
		.amdhsa_user_sgpr_kernarg_preload_offset 0
		.amdhsa_user_sgpr_private_segment_size 0
		.amdhsa_uses_dynamic_stack 0
		.amdhsa_enable_private_segment 0
		.amdhsa_system_sgpr_workgroup_id_x 1
		.amdhsa_system_sgpr_workgroup_id_y 1
		.amdhsa_system_sgpr_workgroup_id_z 1
		.amdhsa_system_sgpr_workgroup_info 0
		.amdhsa_system_vgpr_workitem_id 0
		.amdhsa_next_free_vgpr 99
		.amdhsa_next_free_sgpr 49
		.amdhsa_accum_offset 100
		.amdhsa_reserve_vcc 1
		.amdhsa_float_round_mode_32 0
		.amdhsa_float_round_mode_16_64 0
		.amdhsa_float_denorm_mode_32 3
		.amdhsa_float_denorm_mode_16_64 3
		.amdhsa_dx10_clamp 1
		.amdhsa_ieee_mode 1
		.amdhsa_fp16_overflow 0
		.amdhsa_tg_split 0
		.amdhsa_exception_fp_ieee_invalid_op 0
		.amdhsa_exception_fp_denorm_src 0
		.amdhsa_exception_fp_ieee_div_zero 0
		.amdhsa_exception_fp_ieee_overflow 0
		.amdhsa_exception_fp_ieee_underflow 0
		.amdhsa_exception_fp_ieee_inexact 0
		.amdhsa_exception_int_div_zero 0
	.end_amdhsa_kernel
	.section	.text._ZN4vllm25paged_attention_v1_kernelI14__hip_bfloat16hLi192ELi16ELi128ELNS_18Fp8KVCacheDataTypeE1ELb1EEEvPT_PKS3_PKT0_S9_ifPKiSB_iPKfiiiSD_SD_iiiii,"axG",@progbits,_ZN4vllm25paged_attention_v1_kernelI14__hip_bfloat16hLi192ELi16ELi128ELNS_18Fp8KVCacheDataTypeE1ELb1EEEvPT_PKS3_PKT0_S9_ifPKiSB_iPKfiiiSD_SD_iiiii,comdat
.Lfunc_end297:
	.size	_ZN4vllm25paged_attention_v1_kernelI14__hip_bfloat16hLi192ELi16ELi128ELNS_18Fp8KVCacheDataTypeE1ELb1EEEvPT_PKS3_PKT0_S9_ifPKiSB_iPKfiiiSD_SD_iiiii, .Lfunc_end297-_ZN4vllm25paged_attention_v1_kernelI14__hip_bfloat16hLi192ELi16ELi128ELNS_18Fp8KVCacheDataTypeE1ELb1EEEvPT_PKS3_PKT0_S9_ifPKiSB_iPKfiiiSD_SD_iiiii
                                        ; -- End function
	.set _ZN4vllm25paged_attention_v1_kernelI14__hip_bfloat16hLi192ELi16ELi128ELNS_18Fp8KVCacheDataTypeE1ELb1EEEvPT_PKS3_PKT0_S9_ifPKiSB_iPKfiiiSD_SD_iiiii.num_vgpr, 99
	.set _ZN4vllm25paged_attention_v1_kernelI14__hip_bfloat16hLi192ELi16ELi128ELNS_18Fp8KVCacheDataTypeE1ELb1EEEvPT_PKS3_PKT0_S9_ifPKiSB_iPKfiiiSD_SD_iiiii.num_agpr, 0
	.set _ZN4vllm25paged_attention_v1_kernelI14__hip_bfloat16hLi192ELi16ELi128ELNS_18Fp8KVCacheDataTypeE1ELb1EEEvPT_PKS3_PKT0_S9_ifPKiSB_iPKfiiiSD_SD_iiiii.numbered_sgpr, 49
	.set _ZN4vllm25paged_attention_v1_kernelI14__hip_bfloat16hLi192ELi16ELi128ELNS_18Fp8KVCacheDataTypeE1ELb1EEEvPT_PKS3_PKT0_S9_ifPKiSB_iPKfiiiSD_SD_iiiii.num_named_barrier, 0
	.set _ZN4vllm25paged_attention_v1_kernelI14__hip_bfloat16hLi192ELi16ELi128ELNS_18Fp8KVCacheDataTypeE1ELb1EEEvPT_PKS3_PKT0_S9_ifPKiSB_iPKfiiiSD_SD_iiiii.private_seg_size, 0
	.set _ZN4vllm25paged_attention_v1_kernelI14__hip_bfloat16hLi192ELi16ELi128ELNS_18Fp8KVCacheDataTypeE1ELb1EEEvPT_PKS3_PKT0_S9_ifPKiSB_iPKfiiiSD_SD_iiiii.uses_vcc, 1
	.set _ZN4vllm25paged_attention_v1_kernelI14__hip_bfloat16hLi192ELi16ELi128ELNS_18Fp8KVCacheDataTypeE1ELb1EEEvPT_PKS3_PKT0_S9_ifPKiSB_iPKfiiiSD_SD_iiiii.uses_flat_scratch, 0
	.set _ZN4vllm25paged_attention_v1_kernelI14__hip_bfloat16hLi192ELi16ELi128ELNS_18Fp8KVCacheDataTypeE1ELb1EEEvPT_PKS3_PKT0_S9_ifPKiSB_iPKfiiiSD_SD_iiiii.has_dyn_sized_stack, 0
	.set _ZN4vllm25paged_attention_v1_kernelI14__hip_bfloat16hLi192ELi16ELi128ELNS_18Fp8KVCacheDataTypeE1ELb1EEEvPT_PKS3_PKT0_S9_ifPKiSB_iPKfiiiSD_SD_iiiii.has_recursion, 0
	.set _ZN4vllm25paged_attention_v1_kernelI14__hip_bfloat16hLi192ELi16ELi128ELNS_18Fp8KVCacheDataTypeE1ELb1EEEvPT_PKS3_PKT0_S9_ifPKiSB_iPKfiiiSD_SD_iiiii.has_indirect_call, 0
	.section	.AMDGPU.csdata,"",@progbits
; Kernel info:
; codeLenInByte = 9444
; TotalNumSgprs: 55
; NumVgprs: 99
; NumAgprs: 0
; TotalNumVgprs: 99
; ScratchSize: 0
; MemoryBound: 0
; FloatMode: 240
; IeeeMode: 1
; LDSByteSize: 400 bytes/workgroup (compile time only)
; SGPRBlocks: 6
; VGPRBlocks: 12
; NumSGPRsForWavesPerEU: 55
; NumVGPRsForWavesPerEU: 99
; AccumOffset: 100
; Occupancy: 4
; WaveLimiterHint : 1
; COMPUTE_PGM_RSRC2:SCRATCH_EN: 0
; COMPUTE_PGM_RSRC2:USER_SGPR: 2
; COMPUTE_PGM_RSRC2:TRAP_HANDLER: 0
; COMPUTE_PGM_RSRC2:TGID_X_EN: 1
; COMPUTE_PGM_RSRC2:TGID_Y_EN: 1
; COMPUTE_PGM_RSRC2:TGID_Z_EN: 1
; COMPUTE_PGM_RSRC2:TIDIG_COMP_CNT: 0
; COMPUTE_PGM_RSRC3_GFX90A:ACCUM_OFFSET: 24
; COMPUTE_PGM_RSRC3_GFX90A:TG_SPLIT: 0
	.section	.text._ZN4vllm25paged_attention_v1_kernelI14__hip_bfloat16hLi256ELi16ELi128ELNS_18Fp8KVCacheDataTypeE1ELb1EEEvPT_PKS3_PKT0_S9_ifPKiSB_iPKfiiiSD_SD_iiiii,"axG",@progbits,_ZN4vllm25paged_attention_v1_kernelI14__hip_bfloat16hLi256ELi16ELi128ELNS_18Fp8KVCacheDataTypeE1ELb1EEEvPT_PKS3_PKT0_S9_ifPKiSB_iPKfiiiSD_SD_iiiii,comdat
	.protected	_ZN4vllm25paged_attention_v1_kernelI14__hip_bfloat16hLi256ELi16ELi128ELNS_18Fp8KVCacheDataTypeE1ELb1EEEvPT_PKS3_PKT0_S9_ifPKiSB_iPKfiiiSD_SD_iiiii ; -- Begin function _ZN4vllm25paged_attention_v1_kernelI14__hip_bfloat16hLi256ELi16ELi128ELNS_18Fp8KVCacheDataTypeE1ELb1EEEvPT_PKS3_PKT0_S9_ifPKiSB_iPKfiiiSD_SD_iiiii
	.globl	_ZN4vllm25paged_attention_v1_kernelI14__hip_bfloat16hLi256ELi16ELi128ELNS_18Fp8KVCacheDataTypeE1ELb1EEEvPT_PKS3_PKT0_S9_ifPKiSB_iPKfiiiSD_SD_iiiii
	.p2align	8
	.type	_ZN4vllm25paged_attention_v1_kernelI14__hip_bfloat16hLi256ELi16ELi128ELNS_18Fp8KVCacheDataTypeE1ELb1EEEvPT_PKS3_PKT0_S9_ifPKiSB_iPKfiiiSD_SD_iiiii,@function
_ZN4vllm25paged_attention_v1_kernelI14__hip_bfloat16hLi256ELi16ELi128ELNS_18Fp8KVCacheDataTypeE1ELb1EEEvPT_PKS3_PKT0_S9_ifPKiSB_iPKfiiiSD_SD_iiiii: ; @_ZN4vllm25paged_attention_v1_kernelI14__hip_bfloat16hLi256ELi16ELi128ELNS_18Fp8KVCacheDataTypeE1ELb1EEEvPT_PKS3_PKT0_S9_ifPKiSB_iPKfiiiSD_SD_iiiii
; %bb.0:
	s_load_dword s5, s[0:1], 0x80
	s_load_dwordx2 s[6:7], s[0:1], 0x30
	s_load_dwordx2 s[36:37], s[0:1], 0x20
	s_mov_b32 s10, s3
	s_ashr_i32 s11, s3, 31
	s_lshl_b64 s[8:9], s[10:11], 2
	s_waitcnt lgkmcnt(0)
	s_add_u32 s6, s6, s8
	s_addc_u32 s7, s7, s9
	s_abs_i32 s3, s36
	v_cvt_f32_u32_e32 v1, s3
	s_sub_i32 s11, 0, s3
	s_abs_i32 s9, s5
	s_xor_b32 s8, s5, s36
	v_rcp_iflag_f32_e32 v1, v1
	s_ashr_i32 s8, s8, 31
	s_mov_b32 s44, 0
	v_mul_f32_e32 v1, 0x4f7ffffe, v1
	v_cvt_u32_f32_e32 v1, v1
	s_nop 0
	v_readfirstlane_b32 s12, v1
	s_mul_i32 s11, s11, s12
	s_mul_hi_u32 s11, s12, s11
	s_add_i32 s12, s12, s11
	s_mul_hi_u32 s11, s9, s12
	s_mul_i32 s12, s11, s3
	s_sub_i32 s9, s9, s12
	s_add_i32 s12, s11, 1
	s_sub_i32 s13, s9, s3
	s_cmp_ge_u32 s9, s3
	s_cselect_b32 s11, s12, s11
	s_cselect_b32 s9, s13, s9
	s_add_i32 s12, s11, 1
	s_cmp_ge_u32 s9, s3
	s_cselect_b32 s3, s12, s11
	s_xor_b32 s3, s3, s8
	s_sub_i32 s14, s3, s8
	s_abs_i32 s11, s14
	v_cvt_f32_u32_e32 v1, s11
	s_load_dwordx2 s[8:9], s[0:1], 0x40
	s_sub_i32 s3, 0, s11
	s_abs_i32 s12, s2
	v_rcp_iflag_f32_e32 v1, v1
	s_nop 0
	v_mul_f32_e32 v1, 0x4f7ffffe, v1
	v_cvt_u32_f32_e32 v1, v1
	s_nop 0
	v_readfirstlane_b32 s13, v1
	s_mul_i32 s3, s3, s13
	s_mul_hi_u32 s3, s13, s3
	s_add_i32 s13, s13, s3
	s_waitcnt lgkmcnt(0)
	s_cmp_eq_u64 s[8:9], 0
	s_mul_hi_u32 s13, s12, s13
	s_cbranch_scc1 .LBB298_2
; %bb.1:
	s_ashr_i32 s3, s2, 31
	s_lshl_b64 s[16:17], s[2:3], 2
	s_add_u32 s8, s8, s16
	s_addc_u32 s9, s9, s17
	s_load_dword s44, s[8:9], 0x0
.LBB298_2:
	s_load_dword s33, s[6:7], 0x0
	s_load_dwordx4 s[16:19], s[0:1], 0x48
	s_movk_i32 s3, 0x80
	s_ashr_i32 s8, s2, 31
	s_ashr_i32 s9, s14, 31
	v_and_b32_e32 v2, 3, v0
	s_lshl_b32 s24, s2, 8
	v_cmp_gt_u32_e32 vcc, s3, v0
	s_and_saveexec_b64 s[6:7], vcc
	s_cbranch_execz .LBB298_4
; %bb.3:
	s_load_dwordx2 s[14:15], s[0:1], 0x8
	s_waitcnt lgkmcnt(0)
	s_mul_i32 s20, s16, s10
	s_ashr_i32 s21, s20, 31
	s_lshl_b64 s[20:21], s[20:21], 1
	v_lshlrev_b32_e32 v1, 2, v0
	s_add_u32 s3, s14, s20
	s_addc_u32 s16, s15, s21
	s_ashr_i32 s25, s24, 31
	s_lshl_b64 s[14:15], s[24:25], 1
	s_add_u32 s14, s3, s14
	s_addc_u32 s15, s16, s15
	global_load_dword v1, v1, s[14:15]
	v_and_b32_e32 v3, 0x3fc, v0
	v_lshl_add_u32 v3, v2, 7, v3
	s_waitcnt vmcnt(0)
	ds_write_b32 v3, v1
.LBB298_4:
	s_or_b64 exec, exec, s[6:7]
	s_mul_i32 s7, s13, s11
	s_sub_i32 s7, s12, s7
	s_xor_b32 s6, s8, s9
	s_add_i32 s8, s13, 1
	s_sub_i32 s9, s7, s11
	s_load_dwordx4 s[20:23], s[0:1], 0x68
	s_load_dword s3, s[0:1], 0x78
	s_cmp_ge_u32 s7, s11
	s_cselect_b32 s8, s8, s13
	s_cselect_b32 s7, s9, s7
	s_add_i32 s9, s8, 1
	s_cmp_ge_u32 s7, s11
	s_cselect_b32 s7, s9, s8
	s_waitcnt lgkmcnt(0)
	s_abs_i32 s16, s23
	v_cvt_f32_u32_e32 v1, s16
	s_xor_b32 s7, s7, s6
	s_sub_i32 s43, s7, s6
	s_sub_i32 s6, 0, s16
	v_rcp_iflag_f32_e32 v1, v1
	s_add_i32 s11, s33, -1
	s_abs_i32 s8, s11
	v_mul_f32_e32 v1, 0x4f7ffffe, v1
	v_cvt_u32_f32_e32 v1, v1
	s_barrier
	v_readfirstlane_b32 s25, v1
	s_mul_i32 s6, s6, s25
	s_mul_hi_u32 s6, s25, s6
	s_add_i32 s25, s25, s6
	s_cmp_lt_i32 s3, 0
	s_mul_hi_u32 s9, s8, s25
	s_cbranch_scc0 .LBB298_6
; %bb.5:
	s_mul_i32 s6, s20, s36
	s_add_i32 s6, s43, s6
	s_mul_i32 s6, s6, s3
	s_sub_i32 s36, 1, s6
	s_mov_b64 s[6:7], 0
	s_branch .LBB298_7
.LBB298_6:
	s_mov_b64 s[6:7], -1
                                        ; implicit-def: $sgpr36
.LBB298_7:
	s_load_dwordx2 s[28:29], s[0:1], 0x28
	s_ashr_i32 s19, s11, 31
	s_andn2_b64 vcc, exec, s[6:7]
	s_ashr_i32 s23, s23, 31
	s_cbranch_vccnz .LBB298_9
; %bb.8:
	s_mul_i32 s6, s5, s20
	s_add_i32 s2, s6, s2
	s_mul_i32 s2, s2, s3
	s_add_i32 s36, s2, 1
.LBB298_9:
	s_load_dword s2, s[0:1], 0x38
	s_load_dwordx2 s[26:27], s[0:1], 0x0
	s_load_dwordx2 s[34:35], s[0:1], 0x18
	s_load_dword s11, s[0:1], 0x88
	s_load_dwordx4 s[12:15], s[0:1], 0x58
	s_mul_i32 s3, s9, s16
	s_waitcnt lgkmcnt(0)
	s_mul_i32 s30, s2, s10
	s_sub_i32 s3, s8, s3
	s_ashr_i32 s31, s30, 31
	s_xor_b32 s2, s19, s23
	s_add_i32 s6, s9, 1
	s_sub_i32 s7, s3, s16
	s_cmp_ge_u32 s3, s16
	s_cselect_b32 s6, s6, s9
	s_cselect_b32 s3, s7, s3
	s_add_i32 s7, s6, 1
	s_cmp_ge_u32 s3, s16
	s_cselect_b32 s3, s7, s6
	s_xor_b32 s3, s3, s2
	s_sub_i32 s42, s3, s2
	s_add_i32 s2, s33, 15
	s_ashr_i32 s3, s2, 31
	s_lshr_b32 s3, s3, 28
	s_add_i32 s2, s2, s3
	s_ashr_i32 s20, s2, 4
	v_lshrrev_b32_e32 v1, 6, v0
	v_cmp_gt_i32_e64 s[6:7], s20, v1
	v_mov_b32_e32 v19, 0xff7fffff
	s_mul_i32 s43, s43, s18
	v_lshrrev_b32_e32 v20, 4, v0
	v_lshlrev_b32_e32 v24, 4, v1
	v_mbcnt_lo_u32_b32 v16, -1, 0
	s_and_saveexec_b64 s[18:19], s[6:7]
	s_cbranch_execz .LBB298_21
; %bb.10:
	s_load_dwordx2 s[0:1], s[0:1], 0x10
	s_sub_i32 s45, s42, s21
	s_ashr_i32 s2, s43, 31
	v_bfe_u32 v17, v0, 2, 4
	v_mov_b32_e32 v5, 0
	s_waitcnt lgkmcnt(0)
	s_add_u32 s0, s0, s43
	s_addc_u32 s1, s1, s2
	s_abs_i32 s46, s22
	v_cvt_f32_u32_e32 v3, s46
	v_lshlrev_b32_e32 v4, 4, v17
	v_lshl_add_u64 v[6:7], s[0:1], 0, v[4:5]
	s_sub_i32 s0, 0, s46
	v_rcp_iflag_f32_e32 v3, v3
	v_cmp_eq_u32_e32 vcc, 0, v2
	v_lshlrev_b32_e32 v18, 7, v2
	v_lshlrev_b32_e32 v4, 1, v2
	v_mul_f32_e32 v3, 0x4f7ffffe, v3
	v_cvt_u32_f32_e32 v3, v3
	v_mbcnt_hi_u32_b32 v27, -1, v16
	v_lshl_add_u64 v[10:11], v[6:7], 0, v[4:5]
	v_and_b32_e32 v4, 60, v20
	v_mul_lo_u32 v2, s0, v3
	v_mul_hi_u32 v2, v3, v2
	v_add_u32_e32 v21, v3, v2
	v_subrev_u32_e32 v2, s33, v17
	s_lshl_b64 s[0:1], s[30:31], 2
	v_add_u32_e32 v23, 1, v2
	v_lshlrev_b32_e32 v2, 2, v17
	s_add_u32 s0, s28, s0
	v_lshl_or_b32 v2, v1, 6, v2
	s_addc_u32 s1, s29, s1
	v_add_u32_e32 v25, 0x210, v2
	v_and_b32_e32 v2, 64, v27
	s_mov_b32 s47, s17
	v_cmp_neq_f32_e64 s[2:3], s44, 0
	v_lshl_add_u64 v[12:13], s[0:1], 0, v[4:5]
	v_lshlrev_b32_e32 v22, 4, v1
	v_mov_b32_e32 v26, 0xff7fffff
	s_mov_b64 s[38:39], 0
	s_mov_b32 s48, 0xffff
	v_add_u32_e32 v28, 64, v2
	v_xor_b32_e32 v29, 2, v27
	v_xor_b32_e32 v30, 1, v27
	v_mov_b32_e32 v19, 0xff7fffff
	v_mov_b32_e32 v31, v1
	s_branch .LBB298_13
.LBB298_11:                             ;   in Loop: Header=BB298_13 Depth=1
	s_or_b64 exec, exec, s[40:41]
.LBB298_12:                             ;   in Loop: Header=BB298_13 Depth=1
	s_or_b64 exec, exec, s[8:9]
	v_add_u32_e32 v31, 2, v31
	v_cmp_le_i32_e64 s[0:1], s20, v31
	v_lshl_add_u64 v[12:13], v[12:13], 0, 8
	v_add_u32_e32 v22, 32, v22
	s_or_b64 s[38:39], s[0:1], s[38:39]
	v_add_u32_e32 v25, 0x80, v25
	s_andn2_b64 exec, exec, s[38:39]
	s_cbranch_execz .LBB298_20
.LBB298_13:                             ; =>This Inner Loop Header: Depth=1
	v_mul_hi_u32 v2, v22, s25
	s_waitcnt lgkmcnt(0)
	v_mul_lo_u32 v3, v2, s16
	v_sub_u32_e32 v3, v22, v3
	v_add_u32_e32 v4, 1, v2
	v_cmp_le_u32_e64 s[0:1], s16, v3
	s_nop 1
	v_cndmask_b32_e64 v2, v2, v4, s[0:1]
	v_subrev_u32_e32 v4, s16, v3
	v_cndmask_b32_e64 v3, v3, v4, s[0:1]
	v_add_u32_e32 v4, 1, v2
	v_cmp_le_u32_e64 s[0:1], s16, v3
	s_nop 1
	v_cndmask_b32_e64 v2, v2, v4, s[0:1]
	v_xor_b32_e32 v2, s23, v2
	v_subrev_u32_e32 v2, s23, v2
	v_add_u32_e32 v3, s36, v2
	v_sub_u32_e32 v5, 0, v3
	v_ashrrev_i32_e32 v4, 31, v3
	v_max_i32_e32 v3, v3, v5
	v_mul_hi_u32 v5, v3, v21
	v_mul_lo_u32 v5, v5, s46
	v_sub_u32_e32 v3, v3, v5
	v_subrev_u32_e32 v5, s46, v3
	v_cmp_le_u32_e64 s[0:1], s46, v3
	v_cmp_ge_i32_e64 s[8:9], s45, v2
	s_nop 0
	v_cndmask_b32_e64 v3, v3, v5, s[0:1]
	v_subrev_u32_e32 v5, s46, v3
	v_cmp_le_u32_e64 s[0:1], s46, v3
	s_nop 1
	v_cndmask_b32_e64 v3, v3, v5, s[0:1]
	v_xor_b32_e32 v3, v3, v4
	v_sub_u32_e32 v3, v3, v4
	v_cmp_ne_u32_e64 s[0:1], 0, v3
	s_and_b64 s[0:1], s[0:1], s[8:9]
	s_and_saveexec_b64 s[8:9], s[0:1]
	s_xor_b64 s[0:1], exec, s[8:9]
	s_cbranch_execz .LBB298_17
; %bb.14:                               ;   in Loop: Header=BB298_13 Depth=1
	s_and_saveexec_b64 s[8:9], vcc
; %bb.15:                               ;   in Loop: Header=BB298_13 Depth=1
	ds_write_b32 v25, v26
; %bb.16:                               ;   in Loop: Header=BB298_13 Depth=1
	s_or_b64 exec, exec, s[8:9]
.LBB298_17:                             ;   in Loop: Header=BB298_13 Depth=1
	s_andn2_saveexec_b64 s[8:9], s[0:1]
	s_cbranch_execz .LBB298_12
; %bb.18:                               ;   in Loop: Header=BB298_13 Depth=1
	global_load_dword v2, v[12:13], off
	s_waitcnt vmcnt(0)
	v_mad_i64_i32 v[14:15], s[0:1], v2, s47, v[10:11]
	global_load_ushort v45, v[14:15], off offset:8
	global_load_ushort v46, v[14:15], off offset:256
	;; [unrolled: 1-line block ×7, first 2 shown]
	global_load_ushort v83, v[14:15], off
	global_load_ushort v84, v[14:15], off offset:1024
	ds_read_b128 v[6:9], v18
	ds_read_b128 v[40:43], v18 offset:16
	ds_read_b128 v[62:65], v18 offset:32
	;; [unrolled: 1-line block ×5, first 2 shown]
	s_load_dword s40, s[12:13], 0x0
	ds_read_b128 v[2:5], v18 offset:96
	s_waitcnt lgkmcnt(0)
	v_lshlrev_b32_e32 v93, 16, v62
	v_lshlrev_b32_e32 v94, 16, v63
	;; [unrolled: 1-line block ×6, first 2 shown]
	v_and_b32_e32 v99, 0xffff0000, v62
	v_and_b32_e32 v100, 0xffff0000, v63
	v_and_b32_e32 v60, 0xffff0000, v65
	v_and_b32_e32 v57, 0xffff0000, v66
	v_and_b32_e32 v55, 0xffff0000, v67
	v_and_b32_e32 v53, 0xffff0000, v68
	global_load_ushort v67, v[14:15], off offset:1032
	global_load_ushort v68, v[14:15], off offset:1280
	;; [unrolled: 1-line block ×7, first 2 shown]
	v_lshlrev_b32_e32 v50, 16, v69
	v_and_b32_e32 v51, 0xffff0000, v69
	v_lshlrev_b32_e32 v48, 16, v70
	v_and_b32_e32 v49, 0xffff0000, v70
	v_lshlrev_b32_e32 v92, 16, v43
	v_lshlrev_b32_e32 v39, 16, v72
	v_and_b32_e32 v98, 0xffff0000, v43
	v_and_b32_e32 v43, 0xffff0000, v72
	v_lshlrev_b32_e32 v91, 16, v42
	v_lshlrev_b32_e32 v36, 16, v73
	v_and_b32_e32 v97, 0xffff0000, v42
	v_and_b32_e32 v42, 0xffff0000, v73
	v_lshlrev_b32_e32 v89, 16, v40
	v_lshlrev_b32_e32 v34, 16, v75
	v_and_b32_e32 v95, 0xffff0000, v40
	v_and_b32_e32 v40, 0xffff0000, v75
	v_lshlrev_b32_e32 v44, 16, v71
	v_lshlrev_b32_e32 v32, 16, v77
	v_and_b32_e32 v47, 0xffff0000, v71
	v_and_b32_e32 v37, 0xffff0000, v77
	v_lshlrev_b32_e32 v33, 16, v76
	v_and_b32_e32 v38, 0xffff0000, v76
	v_lshlrev_b32_e32 v86, 16, v7
	v_lshlrev_b32_e32 v90, 16, v41
	;; [unrolled: 1-line block ×3, first 2 shown]
	v_and_b32_e32 v96, 0xffff0000, v41
	v_and_b32_e32 v41, 0xffff0000, v74
	v_lshlrev_b32_e32 v85, 16, v6
	v_lshlrev_b32_e32 v87, 16, v8
	;; [unrolled: 1-line block ×3, first 2 shown]
	v_and_b32_e32 v7, 0xffff0000, v7
	v_and_b32_e32 v6, 0xffff0000, v6
	v_and_b32_e32 v8, 0xffff0000, v8
	v_and_b32_e32 v9, 0xffff0000, v9
	v_lshlrev_b32_e32 v61, 16, v64
	v_and_b32_e32 v64, 0xffff0000, v64
	s_waitcnt vmcnt(15)
	v_and_b32_sdwa v69, s48, v45 dst_sel:DWORD dst_unused:UNUSED_PAD src0_sel:DWORD src1_sel:BYTE_0
	v_lshrrev_b16_e32 v45, 8, v45
	v_cvt_f32_fp8_e32 v69, v69
	s_waitcnt vmcnt(14)
	v_and_b32_sdwa v72, s48, v46 dst_sel:DWORD dst_unused:UNUSED_PAD src0_sel:DWORD src1_sel:BYTE_0
	v_cvt_f32_fp8_e32 v45, v45
	s_waitcnt vmcnt(13)
	v_and_b32_sdwa v73, s48, v78 dst_sel:DWORD dst_unused:UNUSED_PAD src0_sel:DWORD src1_sel:BYTE_0
	;; [unrolled: 3-line block ×3, first 2 shown]
	v_cvt_f32_fp8_e32 v70, v70
	v_and_b32_sdwa v75, s48, v79 dst_sel:DWORD dst_unused:UNUSED_PAD src0_sel:DWORD src1_sel:BYTE_0
	v_cvt_f32_fp8_e32 v73, v73
	v_lshrrev_b16_e32 v71, 8, v83
	v_lshrrev_b16_e32 v46, 8, v46
	v_and_b32_sdwa v77, s48, v80 dst_sel:DWORD dst_unused:UNUSED_PAD src0_sel:DWORD src1_sel:BYTE_0
	v_cvt_f32_fp8_e32 v75, v75
	v_mul_f32_e32 v69, s40, v69
	v_lshrrev_b16_e32 v76, 8, v79
	v_and_b32_sdwa v79, s48, v81 dst_sel:DWORD dst_unused:UNUSED_PAD src0_sel:DWORD src1_sel:BYTE_0
	v_cvt_f32_fp8_e32 v71, v71
	v_cvt_f32_fp8_e32 v46, v46
	;; [unrolled: 1-line block ×3, first 2 shown]
	v_mul_f32_e32 v70, s40, v70
	v_mul_f32_e32 v45, s40, v45
	v_cvt_pk_bf16_f32 v69, v69, s0
	v_lshrrev_b16_e32 v74, 8, v78
	v_lshrrev_b16_e32 v78, 8, v80
	;; [unrolled: 1-line block ×3, first 2 shown]
	v_and_b32_sdwa v81, s48, v82 dst_sel:DWORD dst_unused:UNUSED_PAD src0_sel:DWORD src1_sel:BYTE_0
	v_cvt_f32_fp8_e32 v79, v79
	v_mul_f32_e32 v72, s40, v72
	v_cvt_pk_bf16_f32 v70, v70, s0
	v_cvt_pk_bf16_f32 v45, v45, s0
	v_lshlrev_b32_e32 v69, 16, v69
	s_waitcnt vmcnt(7)
	v_and_b32_sdwa v83, s48, v84 dst_sel:DWORD dst_unused:UNUSED_PAD src0_sel:DWORD src1_sel:BYTE_0
	v_cvt_f32_fp8_e32 v74, v74
	v_cvt_f32_fp8_e32 v81, v81
	v_mul_f32_e32 v73, s40, v73
	v_cvt_pk_bf16_f32 v72, v72, s0
	v_lshlrev_b32_e32 v70, 16, v70
	v_lshlrev_b32_e32 v101, 16, v45
	v_mul_f32_e32 v45, v86, v69
	v_cvt_f32_fp8_e32 v83, v83
	v_mul_f32_e32 v75, s40, v75
	v_cvt_pk_bf16_f32 v73, v73, s0
	v_lshlrev_b32_e32 v72, 16, v72
	v_fmac_f32_e32 v45, v85, v70
	v_mul_f32_e32 v71, s40, v71
	v_mul_f32_e32 v46, s40, v46
	v_mul_f32_e32 v77, s40, v77
	v_cvt_pk_bf16_f32 v75, v75, s0
	v_lshlrev_b32_e32 v73, 16, v73
	v_fmac_f32_e32 v45, v87, v72
	v_mul_f32_e32 v79, s40, v79
	v_cvt_pk_bf16_f32 v71, v71, s0
	v_cvt_pk_bf16_f32 v46, v46, s0
	v_cvt_pk_bf16_f32 v77, v77, s0
	v_lshlrev_b32_e32 v75, 16, v75
	v_fmac_f32_e32 v45, v88, v73
	v_mul_f32_e32 v74, s40, v74
	v_mul_f32_e32 v81, s40, v81
	v_cvt_pk_bf16_f32 v79, v79, s0
	v_lshlrev_b32_e32 v71, 16, v71
	v_lshlrev_b32_e32 v102, 16, v46
	;; [unrolled: 1-line block ×3, first 2 shown]
	v_mul_f32_e32 v46, v7, v101
	v_fmac_f32_e32 v45, v89, v75
	v_mul_f32_e32 v83, s40, v83
	v_cvt_pk_bf16_f32 v74, v74, s0
	v_cvt_pk_bf16_f32 v81, v81, s0
	v_lshlrev_b32_e32 v79, 16, v79
	v_fmac_f32_e32 v46, v6, v71
	v_fmac_f32_e32 v45, v90, v77
	v_cvt_f32_fp8_e32 v76, v76
	v_cvt_pk_bf16_f32 v83, v83, s0
	v_lshlrev_b32_e32 v74, 16, v74
	v_lshlrev_b32_e32 v81, 16, v81
	v_fmac_f32_e32 v46, v8, v102
	v_fmac_f32_e32 v45, v91, v79
	v_lshrrev_b16_e32 v82, 8, v82
	v_lshrrev_b16_e32 v84, 8, v84
	v_cvt_f32_fp8_e32 v78, v78
	v_fmac_f32_e32 v46, v9, v74
	v_fmac_f32_e32 v45, v92, v81
	s_waitcnt vmcnt(6)
	v_and_b32_sdwa v6, s48, v67 dst_sel:DWORD dst_unused:UNUSED_PAD src0_sel:DWORD src1_sel:BYTE_0
	v_lshrrev_b16_e32 v7, 8, v67
	global_load_ushort v67, v[14:15], off offset:2048
	global_load_ushort v70, v[14:15], off offset:2056
	v_lshlrev_b32_e32 v9, 16, v83
	v_cvt_f32_fp8_e32 v80, v80
	v_cvt_f32_fp8_e32 v82, v82
	;; [unrolled: 1-line block ×5, first 2 shown]
	v_fmac_f32_e32 v45, v93, v9
	s_waitcnt vmcnt(7)
	v_and_b32_sdwa v9, s48, v68 dst_sel:DWORD dst_unused:UNUSED_PAD src0_sel:DWORD src1_sel:BYTE_0
	v_cvt_f32_fp8_e32 v69, v9
	v_mul_f32_e32 v76, s40, v76
	v_mul_f32_e32 v78, s40, v78
	v_cvt_pk_bf16_f32 v76, v76, s0
	v_lshrrev_b16_e32 v68, 8, v68
	v_mul_f32_e32 v80, s40, v80
	v_mul_f32_e32 v82, s40, v82
	v_mul_f32_e32 v84, s40, v84
	v_cvt_pk_bf16_f32 v78, v78, s0
	v_lshlrev_b32_e32 v76, 16, v76
	v_mul_f32_e32 v6, s40, v6
	v_mul_f32_e32 v7, s40, v7
	v_cvt_f32_fp8_e32 v68, v68
	v_cvt_pk_bf16_f32 v80, v80, s0
	v_cvt_pk_bf16_f32 v82, v82, s0
	v_lshlrev_b32_e32 v78, 16, v78
	v_fmac_f32_e32 v46, v95, v76
	v_cvt_pk_bf16_f32 v8, v84, s0
	v_cvt_pk_bf16_f32 v6, v6, s0
	;; [unrolled: 1-line block ×3, first 2 shown]
	v_cmp_lt_i32_e64 s[0:1], v29, v28
	v_mul_f32_e32 v69, s40, v69
	v_lshlrev_b32_e32 v80, 16, v80
	v_fmac_f32_e32 v46, v96, v78
	v_lshlrev_b32_e32 v6, 16, v6
	v_cvt_pk_bf16_f32 v69, v69, s0
	v_lshlrev_b32_e32 v82, 16, v82
	v_fmac_f32_e32 v46, v97, v80
	v_fmac_f32_e32 v45, v94, v6
	v_lshlrev_b32_e32 v69, 16, v69
	v_fmac_f32_e32 v46, v98, v82
	v_lshlrev_b32_e32 v8, 16, v8
	v_fmac_f32_e32 v45, v61, v69
	s_waitcnt vmcnt(6)
	v_and_b32_sdwa v61, s48, v66 dst_sel:DWORD dst_unused:UNUSED_PAD src0_sel:DWORD src1_sel:BYTE_0
	v_mul_f32_e32 v68, s40, v68
	v_fmac_f32_e32 v46, v99, v8
	v_lshlrev_b32_e32 v7, 16, v7
	v_cvt_f32_fp8_e32 v61, v61
	v_cvt_pk_bf16_f32 v68, v68, s0
	v_fmac_f32_e32 v46, v100, v7
	v_lshlrev_b32_e32 v68, 16, v68
	global_load_ushort v69, v[14:15], off offset:2304
	v_fmac_f32_e32 v46, v64, v68
	s_waitcnt vmcnt(6)
	v_and_b32_sdwa v64, s48, v65 dst_sel:DWORD dst_unused:UNUSED_PAD src0_sel:DWORD src1_sel:BYTE_0
	global_load_ushort v68, v[14:15], off offset:2312
	v_lshrrev_b16_e32 v65, 8, v65
	v_cvt_f32_fp8_e32 v65, v65
	v_mul_f32_e32 v61, s40, v61
	v_cvt_pk_bf16_f32 v61, v61, s0
	v_lshlrev_b32_e32 v61, 16, v61
	v_fmac_f32_e32 v45, v58, v61
	v_mul_f32_e32 v61, s40, v65
	global_load_ushort v65, v[14:15], off offset:2560
	v_lshrrev_b16_e32 v66, 8, v66
	v_cvt_f32_fp8_e32 v66, v66
	v_cvt_f32_fp8_e32 v64, v64
	s_waitcnt vmcnt(7)
	v_and_b32_sdwa v58, s48, v63 dst_sel:DWORD dst_unused:UNUSED_PAD src0_sel:DWORD src1_sel:BYTE_0
	v_cvt_f32_fp8_e32 v58, v58
	v_mul_f32_e32 v66, s40, v66
	v_mul_f32_e32 v64, s40, v64
	v_cvt_pk_bf16_f32 v66, v66, s0
	v_cvt_pk_bf16_f32 v64, v64, s0
	;; [unrolled: 1-line block ×3, first 2 shown]
	v_lshrrev_b16_e32 v63, 8, v63
	v_lshlrev_b32_e32 v66, 16, v66
	v_lshlrev_b32_e32 v64, 16, v64
	v_cvt_f32_fp8_e32 v63, v63
	v_fmac_f32_e32 v46, v60, v66
	v_fmac_f32_e32 v45, v56, v64
	s_waitcnt vmcnt(5)
	v_and_b32_sdwa v56, s48, v59 dst_sel:DWORD dst_unused:UNUSED_PAD src0_sel:DWORD src1_sel:BYTE_0
	v_lshrrev_b16_e32 v59, 8, v59
	v_lshlrev_b32_e32 v61, 16, v61
	global_load_ushort v66, v[14:15], off offset:2568
	global_load_ushort v64, v[14:15], off offset:2816
	v_cvt_f32_fp8_e32 v59, v59
	v_fmac_f32_e32 v46, v57, v61
	global_load_ushort v57, v[14:15], off offset:2824
	s_waitcnt vmcnt(7)
	v_and_b32_sdwa v61, s48, v67 dst_sel:DWORD dst_unused:UNUSED_PAD src0_sel:DWORD src1_sel:BYTE_0
	v_lshrrev_b16_e32 v67, 8, v67
	v_cvt_f32_fp8_e32 v61, v61
	v_cvt_f32_fp8_e32 v67, v67
	v_mul_f32_e32 v58, s40, v58
	v_cvt_pk_bf16_f32 v58, v58, s0
	v_mul_f32_e32 v63, s40, v63
	v_and_b32_sdwa v60, s48, v62 dst_sel:DWORD dst_unused:UNUSED_PAD src0_sel:DWORD src1_sel:BYTE_0
	v_cvt_pk_bf16_f32 v63, v63, s0
	v_lshrrev_b16_e32 v62, 8, v62
	v_mul_f32_e32 v59, s40, v59
	v_lshlrev_b32_e32 v58, 16, v58
	v_cvt_f32_fp8_e32 v60, v60
	v_cvt_f32_fp8_e32 v62, v62
	v_fmac_f32_e32 v45, v54, v58
	v_cvt_pk_bf16_f32 v58, v59, s0
	v_mul_f32_e32 v59, s40, v61
	v_mul_f32_e32 v61, s40, v67
	s_waitcnt vmcnt(6)
	v_and_b32_sdwa v67, s48, v70 dst_sel:DWORD dst_unused:UNUSED_PAD src0_sel:DWORD src1_sel:BYTE_0
	v_lshrrev_b16_e32 v70, 8, v70
	v_lshlrev_b32_e32 v63, 16, v63
	global_load_ushort v54, v[14:15], off offset:3072
	v_fmac_f32_e32 v46, v55, v63
	global_load_ushort v55, v[14:15], off offset:3080
	v_cvt_f32_fp8_e32 v63, v70
	global_load_ushort v70, v[14:15], off offset:3328
	v_mul_f32_e32 v60, s40, v60
	v_mul_f32_e32 v62, s40, v62
	v_cvt_f32_fp8_e32 v56, v56
	v_cvt_pk_bf16_f32 v60, v60, s0
	v_cvt_pk_bf16_f32 v62, v62, s0
	v_lshlrev_b32_e32 v60, 16, v60
	v_lshlrev_b32_e32 v62, 16, v62
	v_fmac_f32_e32 v45, v52, v60
	v_fmac_f32_e32 v46, v53, v62
	v_mul_f32_e32 v56, s40, v56
	v_cvt_pk_bf16_f32 v56, v56, s0
	v_lshlrev_b32_e32 v56, 16, v56
	v_fmac_f32_e32 v45, v50, v56
	v_lshlrev_b32_e32 v58, 16, v58
	v_fmac_f32_e32 v46, v51, v58
	global_load_ushort v58, v[14:15], off offset:3840
	v_cvt_pk_bf16_f32 v61, v61, s0
	v_cvt_f32_fp8_e32 v67, v67
	s_waitcnt vmcnt(9)
	v_and_b32_sdwa v52, s48, v69 dst_sel:DWORD dst_unused:UNUSED_PAD src0_sel:DWORD src1_sel:BYTE_0
	v_lshrrev_b16_e32 v60, 8, v69
	global_load_ushort v69, v[14:15], off offset:3336
	s_waitcnt vmcnt(9)
	v_and_b32_sdwa v53, s48, v68 dst_sel:DWORD dst_unused:UNUSED_PAD src0_sel:DWORD src1_sel:BYTE_0
	v_lshrrev_b16_e32 v62, 8, v68
	global_load_ushort v68, v[14:15], off offset:3584
	v_lshlrev_b32_e32 v61, 16, v61
	v_fmac_f32_e32 v46, v49, v61
	v_cvt_f32_fp8_e32 v52, v52
	v_cvt_f32_fp8_e32 v60, v60
	;; [unrolled: 1-line block ×3, first 2 shown]
	s_waitcnt vmcnt(9)
	v_and_b32_sdwa v50, s48, v65 dst_sel:DWORD dst_unused:UNUSED_PAD src0_sel:DWORD src1_sel:BYTE_0
	v_lshrrev_b16_e32 v56, 8, v65
	global_load_ushort v65, v[14:15], off offset:3592
	v_cvt_f32_fp8_e32 v62, v62
	global_load_ushort v14, v[14:15], off offset:3848
	v_cvt_pk_bf16_f32 v59, v59, s0
	v_mul_f32_e32 v67, s40, v67
	v_cvt_f32_fp8_e32 v50, v50
	v_cvt_f32_fp8_e32 v56, v56
	v_cvt_pk_bf16_f32 v67, v67, s0
	v_mul_f32_e32 v63, s40, v63
	v_lshlrev_b32_e32 v59, 16, v59
	v_cvt_pk_bf16_f32 v63, v63, s0
	v_mul_f32_e32 v52, s40, v52
	v_mul_f32_e32 v60, s40, v60
	v_fmac_f32_e32 v45, v48, v59
	v_lshlrev_b32_e32 v67, 16, v67
	v_cvt_pk_bf16_f32 v52, v52, s0
	v_cvt_pk_bf16_f32 v60, v60, s0
	v_mul_f32_e32 v53, s40, v53
	s_waitcnt vmcnt(10)
	v_and_b32_sdwa v51, s48, v66 dst_sel:DWORD dst_unused:UNUSED_PAD src0_sel:DWORD src1_sel:BYTE_0
	s_waitcnt vmcnt(9)
	v_and_b32_sdwa v15, s48, v64 dst_sel:DWORD dst_unused:UNUSED_PAD src0_sel:DWORD src1_sel:BYTE_0
	v_lshrrev_b16_e32 v64, 8, v64
	v_cvt_f32_fp8_e32 v64, v64
	v_lshrrev_b16_e32 v66, 8, v66
	v_cvt_f32_fp8_e32 v51, v51
	v_cvt_f32_fp8_e32 v66, v66
	;; [unrolled: 1-line block ×3, first 2 shown]
	v_mul_f32_e32 v64, s40, v64
	s_waitcnt vmcnt(8)
	v_and_b32_sdwa v48, s48, v57 dst_sel:DWORD dst_unused:UNUSED_PAD src0_sel:DWORD src1_sel:BYTE_0
	v_lshrrev_b16_e32 v57, 8, v57
	v_mul_f32_e32 v62, s40, v62
	v_cvt_f32_fp8_e32 v48, v48
	v_cvt_f32_fp8_e32 v57, v57
	v_cvt_pk_bf16_f32 v59, v64, s0
	v_fmac_f32_e32 v45, v44, v67
	v_lshlrev_b32_e32 v63, 16, v63
	v_cvt_pk_bf16_f32 v53, v53, s0
	v_cvt_pk_bf16_f32 v62, v62, s0
	v_mul_f32_e32 v50, s40, v50
	v_mul_f32_e32 v56, s40, v56
	v_fmac_f32_e32 v46, v47, v63
	v_lshlrev_b32_e32 v52, 16, v52
	v_lshlrev_b32_e32 v60, 16, v60
	v_cvt_pk_bf16_f32 v50, v50, s0
	v_cvt_pk_bf16_f32 v56, v56, s0
	s_waitcnt vmcnt(7)
	v_and_b32_sdwa v64, s48, v54 dst_sel:DWORD dst_unused:UNUSED_PAD src0_sel:DWORD src1_sel:BYTE_0
	v_lshrrev_b16_e32 v54, 8, v54
	v_cvt_f32_fp8_e32 v64, v64
	v_cvt_f32_fp8_e32 v54, v54
	s_waitcnt vmcnt(5)
	v_and_b32_sdwa v61, s48, v70 dst_sel:DWORD dst_unused:UNUSED_PAD src0_sel:DWORD src1_sel:BYTE_0
	v_lshrrev_b16_e32 v70, 8, v70
	v_cvt_f32_fp8_e32 v70, v70
	v_and_b32_sdwa v49, s48, v55 dst_sel:DWORD dst_unused:UNUSED_PAD src0_sel:DWORD src1_sel:BYTE_0
	v_lshrrev_b16_e32 v55, 8, v55
	v_mul_f32_e32 v51, s40, v51
	v_mul_f32_e32 v70, s40, v70
	;; [unrolled: 1-line block ×3, first 2 shown]
	v_cvt_f32_fp8_e32 v49, v49
	v_cvt_f32_fp8_e32 v55, v55
	v_fmac_f32_e32 v45, v39, v52
	v_fmac_f32_e32 v46, v43, v60
	v_lshlrev_b32_e32 v43, 16, v53
	v_lshlrev_b32_e32 v53, 16, v62
	v_cvt_pk_bf16_f32 v51, v51, s0
	v_cvt_pk_bf16_f32 v66, v66, s0
	v_mul_f32_e32 v15, s40, v15
	v_cvt_f32_fp8_e32 v61, v61
	v_fmac_f32_e32 v45, v36, v43
	v_fmac_f32_e32 v46, v42, v53
	v_lshlrev_b32_e32 v36, 16, v50
	s_waitcnt vmcnt(3)
	v_and_b32_sdwa v44, s48, v69 dst_sel:DWORD dst_unused:UNUSED_PAD src0_sel:DWORD src1_sel:BYTE_0
	v_lshrrev_b16_e32 v67, 8, v69
	v_cvt_pk_bf16_f32 v69, v70, s0
	s_waitcnt vmcnt(2)
	v_and_b32_sdwa v70, s48, v68 dst_sel:DWORD dst_unused:UNUSED_PAD src0_sel:DWORD src1_sel:BYTE_0
	v_lshrrev_b16_e32 v68, 8, v68
	v_cvt_f32_fp8_e32 v68, v68
	v_lshlrev_b32_e32 v42, 16, v56
	v_cvt_pk_bf16_f32 v15, v15, s0
	v_mul_f32_e32 v48, s40, v48
	v_mul_f32_e32 v57, s40, v57
	v_cvt_f32_fp8_e32 v44, v44
	v_cvt_f32_fp8_e32 v67, v67
	v_fmac_f32_e32 v45, v35, v36
	v_fmac_f32_e32 v46, v41, v42
	v_lshlrev_b32_e32 v35, 16, v51
	v_lshlrev_b32_e32 v36, 16, v66
	v_cvt_pk_bf16_f32 v48, v48, s0
	v_cvt_pk_bf16_f32 v57, v57, s0
	v_mul_f32_e32 v64, s40, v64
	v_mul_f32_e32 v54, s40, v54
	v_cvt_f32_fp8_e32 v70, v70
	v_mul_f32_e32 v68, s40, v68
	s_waitcnt vmcnt(1)
	v_and_b32_sdwa v47, s48, v65 dst_sel:DWORD dst_unused:UNUSED_PAD src0_sel:DWORD src1_sel:BYTE_0
	v_lshrrev_b16_e32 v63, 8, v65
	v_fmac_f32_e32 v45, v34, v35
	v_fmac_f32_e32 v46, v40, v36
	v_lshlrev_b32_e32 v15, 16, v15
	v_lshlrev_b32_e32 v34, 16, v59
	ds_read_b128 v[6:9], v18 offset:112
	v_cvt_pk_bf16_f32 v64, v64, s0
	v_cvt_pk_bf16_f32 v54, v54, s0
	v_mul_f32_e32 v49, s40, v49
	v_mul_f32_e32 v55, s40, v55
	v_cvt_f32_fp8_e32 v47, v47
	v_cvt_f32_fp8_e32 v63, v63
	v_cvt_pk_bf16_f32 v65, v68, s0
	v_and_b32_sdwa v68, s48, v58 dst_sel:DWORD dst_unused:UNUSED_PAD src0_sel:DWORD src1_sel:BYTE_0
	v_lshrrev_b16_e32 v58, 8, v58
	v_fmac_f32_e32 v45, v33, v15
	v_fmac_f32_e32 v46, v38, v34
	v_lshlrev_b32_e32 v15, 16, v48
	v_lshlrev_b32_e32 v33, 16, v57
	;; [unrolled: 1-line block ×3, first 2 shown]
	v_cvt_pk_bf16_f32 v49, v49, s0
	v_cvt_pk_bf16_f32 v55, v55, s0
	v_mul_f32_e32 v61, s40, v61
	v_cvt_f32_fp8_e32 v68, v68
	v_cvt_f32_fp8_e32 v58, v58
	s_waitcnt vmcnt(0)
	v_and_b32_sdwa v39, s48, v14 dst_sel:DWORD dst_unused:UNUSED_PAD src0_sel:DWORD src1_sel:BYTE_0
	v_lshrrev_b16_e32 v14, 8, v14
	v_and_b32_e32 v2, 0xffff0000, v2
	v_fmac_f32_e32 v45, v32, v15
	v_fmac_f32_e32 v46, v37, v33
	v_lshlrev_b32_e32 v15, 16, v64
	v_lshlrev_b32_e32 v32, 16, v54
	v_cvt_pk_bf16_f32 v61, v61, s0
	v_mul_f32_e32 v44, s40, v44
	v_mul_f32_e32 v67, s40, v67
	v_cvt_f32_fp8_e32 v39, v39
	v_cvt_f32_fp8_e32 v14, v14
	v_fmac_f32_e32 v45, v71, v15
	v_fmac_f32_e32 v46, v2, v32
	v_lshlrev_b32_e32 v2, 16, v3
	v_and_b32_e32 v3, 0xffff0000, v3
	v_lshlrev_b32_e32 v15, 16, v49
	v_lshlrev_b32_e32 v32, 16, v55
	v_cvt_pk_bf16_f32 v44, v44, s0
	v_cvt_pk_bf16_f32 v67, v67, s0
	v_mul_f32_e32 v70, s40, v70
	v_fmac_f32_e32 v45, v15, v2
	v_fmac_f32_e32 v46, v32, v3
	v_lshlrev_b32_e32 v2, 16, v4
	v_and_b32_e32 v3, 0xffff0000, v4
	v_lshlrev_b32_e32 v4, 16, v61
	v_lshlrev_b32_e32 v15, 16, v69
	v_cvt_pk_bf16_f32 v70, v70, s0
	v_mul_f32_e32 v47, s40, v47
	v_mul_f32_e32 v63, s40, v63
	v_fmac_f32_e32 v45, v4, v2
	v_fmac_f32_e32 v46, v15, v3
	v_lshlrev_b32_e32 v2, 16, v5
	v_and_b32_e32 v3, 0xffff0000, v5
	v_lshlrev_b32_e32 v4, 16, v44
	v_lshlrev_b32_e32 v5, 16, v67
	v_cvt_pk_bf16_f32 v47, v47, s0
	v_cvt_pk_bf16_f32 v63, v63, s0
	v_mul_f32_e32 v68, s40, v68
	v_mul_f32_e32 v58, s40, v58
	v_fmac_f32_e32 v45, v4, v2
	v_fmac_f32_e32 v46, v5, v3
	s_waitcnt lgkmcnt(0)
	v_lshlrev_b32_e32 v2, 16, v6
	v_and_b32_e32 v3, 0xffff0000, v6
	v_lshlrev_b32_e32 v4, 16, v70
	v_lshlrev_b32_e32 v5, 16, v65
	v_cvt_pk_bf16_f32 v68, v68, s0
	v_cvt_pk_bf16_f32 v52, v58, s0
	v_mul_f32_e32 v39, s40, v39
	v_mul_f32_e32 v14, s40, v14
	v_fmac_f32_e32 v45, v4, v2
	v_fmac_f32_e32 v46, v5, v3
	v_lshlrev_b32_e32 v2, 16, v7
	v_and_b32_e32 v3, 0xffff0000, v7
	v_lshlrev_b32_e32 v4, 16, v47
	v_lshlrev_b32_e32 v5, 16, v63
	v_cvt_pk_bf16_f32 v39, v39, s0
	v_cvt_pk_bf16_f32 v14, v14, s0
	v_fmac_f32_e32 v45, v4, v2
	v_fmac_f32_e32 v46, v5, v3
	v_lshlrev_b32_e32 v2, 16, v8
	v_and_b32_e32 v3, 0xffff0000, v8
	v_lshlrev_b32_e32 v4, 16, v68
	v_lshlrev_b32_e32 v5, 16, v52
	v_fmac_f32_e32 v45, v4, v2
	v_fmac_f32_e32 v46, v5, v3
	v_lshlrev_b32_e32 v2, 16, v9
	v_and_b32_e32 v3, 0xffff0000, v9
	v_lshlrev_b32_e32 v4, 16, v39
	v_lshlrev_b32_e32 v5, 16, v14
	v_cndmask_b32_e64 v72, v27, v29, s[0:1]
	v_fmac_f32_e32 v45, v4, v2
	v_fmac_f32_e32 v46, v5, v3
	v_lshlrev_b32_e32 v58, 2, v72
	v_add_f32_e32 v2, v45, v46
	ds_bpermute_b32 v3, v58, v2
	v_cmp_lt_i32_e64 s[0:1], v30, v28
	s_waitcnt lgkmcnt(0)
	v_add_f32_e32 v2, v2, v3
	v_cndmask_b32_e64 v4, v27, v30, s[0:1]
	v_lshlrev_b32_e32 v4, 2, v4
	ds_bpermute_b32 v3, v4, v2
	s_and_saveexec_b64 s[40:41], vcc
	s_cbranch_execz .LBB298_11
; %bb.19:                               ;   in Loop: Header=BB298_13 Depth=1
	v_add_u32_e32 v4, v23, v22
	v_cvt_f32_i32_e32 v4, v4
	s_waitcnt lgkmcnt(0)
	v_add_f32_e32 v2, v2, v3
	v_add_u32_e32 v5, v17, v22
	v_cmp_gt_i32_e64 s[0:1], s33, v5
	v_mul_f32_e32 v3, s44, v4
	v_cndmask_b32_e64 v3, 0, v3, s[2:3]
	v_fmac_f32_e32 v3, s37, v2
	v_cndmask_b32_e64 v2, 0, v3, s[0:1]
	ds_write_b32 v25, v2
	v_max_f32_e32 v2, v19, v19
	v_max_f32_e32 v2, v2, v3
	v_cndmask_b32_e64 v19, v19, v2, s[0:1]
	s_branch .LBB298_11
.LBB298_20:
	s_or_b64 exec, exec, s[38:39]
.LBB298_21:
	s_or_b64 exec, exec, s[18:19]
	v_mbcnt_hi_u32_b32 v2, -1, v16
	v_and_b32_e32 v10, 64, v2
	s_waitcnt lgkmcnt(0)
	v_add_u32_e32 v3, 64, v10
	v_xor_b32_e32 v4, 32, v2
	v_cmp_lt_i32_e32 vcc, v4, v3
	v_xor_b32_e32 v7, 16, v2
	v_max_f32_e32 v6, v19, v19
	v_cndmask_b32_e32 v4, v2, v4, vcc
	v_lshlrev_b32_e32 v4, 2, v4
	ds_bpermute_b32 v5, v4, v19
	v_cmp_lt_i32_e32 vcc, v7, v3
	v_xor_b32_e32 v8, 8, v2
	v_xor_b32_e32 v9, 4, v2
	v_and_b32_e32 v25, 63, v0
	s_waitcnt lgkmcnt(0)
	v_max_f32_e32 v5, v5, v5
	v_max_f32_e32 v6, v6, v5
	v_cndmask_b32_e32 v5, v2, v7, vcc
	v_lshlrev_b32_e32 v5, 2, v5
	ds_bpermute_b32 v7, v5, v6
	v_cmp_lt_i32_e32 vcc, v8, v3
	s_waitcnt lgkmcnt(0)
	v_max_f32_e32 v7, v7, v7
	v_max_f32_e32 v6, v6, v7
	v_cndmask_b32_e32 v7, v2, v8, vcc
	v_lshlrev_b32_e32 v8, 2, v7
	ds_bpermute_b32 v7, v8, v6
	v_cmp_lt_i32_e32 vcc, v9, v3
	s_waitcnt lgkmcnt(0)
	v_max_f32_e32 v7, v7, v7
	v_max_f32_e32 v7, v6, v7
	v_cndmask_b32_e32 v6, v2, v9, vcc
	v_lshlrev_b32_e32 v9, 2, v6
	ds_bpermute_b32 v11, v9, v7
	v_cmp_eq_u32_e32 vcc, 0, v25
	v_lshlrev_b32_e32 v6, 2, v1
	s_and_saveexec_b64 s[0:1], vcc
	s_cbranch_execz .LBB298_23
; %bb.22:
	s_waitcnt lgkmcnt(0)
	v_max_f32_e32 v11, v11, v11
	v_max_f32_e32 v7, v7, v7
	;; [unrolled: 1-line block ×3, first 2 shown]
	ds_write_b32 v6, v7 offset:512
.LBB298_23:
	s_or_b64 exec, exec, s[0:1]
	v_cmp_gt_u32_e64 s[0:1], 2, v25
	s_waitcnt lgkmcnt(0)
	v_mov_b32_e32 v11, 0xff7fffff
	v_lshlrev_b32_e32 v7, 2, v25
	s_barrier
	s_and_saveexec_b64 s[2:3], s[0:1]
; %bb.24:
	ds_read_b32 v11, v7 offset:512
; %bb.25:
	s_or_b64 exec, exec, s[2:3]
	v_xor_b32_e32 v12, 1, v2
	v_cmp_lt_i32_e64 s[2:3], v12, v3
	v_lshlrev_b32_e32 v10, 2, v10
	s_nop 0
	v_cndmask_b32_e64 v12, v2, v12, s[2:3]
	v_lshlrev_b32_e32 v26, 2, v12
	s_waitcnt lgkmcnt(0)
	ds_bpermute_b32 v12, v26, v11
	v_max_f32_e32 v11, v11, v11
	s_lshl_b32 s2, s20, 4
	s_min_i32 s37, s2, s33
	v_cmp_gt_i32_e64 s[2:3], s37, v0
	s_waitcnt lgkmcnt(0)
	v_max_f32_e32 v12, v12, v12
	v_max_f32_e32 v11, v11, v12
	ds_bpermute_b32 v11, v10, v11
	v_mov_b32_e32 v10, 0
	s_and_saveexec_b64 s[12:13], s[2:3]
	s_cbranch_execz .LBB298_29
; %bb.26:
	v_mov_b32_e32 v10, 0x210
	v_lshl_add_u32 v12, v0, 2, v10
	v_mov_b32_e32 v10, 0
	s_mov_b64 s[18:19], 0
	v_mov_b32_e32 v13, v0
.LBB298_27:                             ; =>This Inner Loop Header: Depth=1
	ds_read_b32 v14, v12
	v_add_u32_e32 v13, 0x80, v13
	v_cmp_le_i32_e64 s[8:9], s37, v13
	s_or_b64 s[18:19], s[8:9], s[18:19]
	s_waitcnt lgkmcnt(0)
	v_sub_f32_e32 v14, v14, v11
	v_mul_f32_e32 v14, 0x3fb8aa3b, v14
	v_exp_f32_e32 v14, v14
	ds_write_b32 v12, v14
	v_add_f32_e32 v10, v10, v14
	v_add_u32_e32 v12, 0x200, v12
	s_andn2_b64 exec, exec, s[18:19]
	s_cbranch_execnz .LBB298_27
; %bb.28:
	s_or_b64 exec, exec, s[18:19]
.LBB298_29:
	s_or_b64 exec, exec, s[12:13]
	ds_bpermute_b32 v4, v4, v10
	s_waitcnt lgkmcnt(0)
	v_add_f32_e32 v4, v10, v4
	ds_bpermute_b32 v5, v5, v4
	s_waitcnt lgkmcnt(0)
	v_add_f32_e32 v4, v4, v5
	ds_bpermute_b32 v5, v8, v4
	v_xor_b32_e32 v8, 2, v2
	v_cmp_lt_i32_e64 s[8:9], v8, v3
	s_waitcnt lgkmcnt(0)
	v_add_f32_e32 v4, v4, v5
	ds_bpermute_b32 v5, v9, v4
	v_cndmask_b32_e64 v3, v2, v8, s[8:9]
	v_lshlrev_b32_e32 v3, 2, v3
	s_waitcnt lgkmcnt(0)
	v_add_f32_e32 v4, v4, v5
	ds_bpermute_b32 v3, v3, v4
	s_waitcnt lgkmcnt(0)
	v_add_f32_e32 v3, v4, v3
	ds_bpermute_b32 v4, v26, v3
	s_waitcnt lgkmcnt(0)
	v_add_f32_e32 v3, v3, v4
	s_and_saveexec_b64 s[8:9], vcc
; %bb.30:
	ds_write_b32 v6, v3 offset:520
; %bb.31:
	s_or_b64 exec, exec, s[8:9]
	s_waitcnt lgkmcnt(0)
	s_barrier
	s_and_saveexec_b64 s[8:9], s[0:1]
; %bb.32:
	ds_read_b32 v3, v7 offset:520
; %bb.33:
	s_or_b64 exec, exec, s[8:9]
	s_waitcnt lgkmcnt(0)
	ds_bpermute_b32 v4, v26, v3
	v_lshlrev_b32_e32 v2, 2, v2
	v_and_b32_e32 v2, 0x100, v2
	s_waitcnt lgkmcnt(0)
	v_add_f32_e32 v3, v3, v4
	ds_bpermute_b32 v2, v2, v3
	s_and_saveexec_b64 s[0:1], s[2:3]
	s_cbranch_execz .LBB298_46
; %bb.34:
	s_waitcnt lgkmcnt(0)
	v_add_f32_e32 v2, 0x358637bd, v2
	v_div_scale_f32 v3, s[2:3], v2, v2, 1.0
	v_rcp_f32_e32 v4, v3
	v_div_scale_f32 v5, vcc, 1.0, v2, 1.0
	s_movk_i32 s2, 0x7f
	v_fma_f32 v6, -v3, v4, 1.0
	v_fmac_f32_e32 v4, v6, v4
	v_mul_f32_e32 v6, v5, v4
	v_fma_f32 v7, -v3, v6, v5
	v_fmac_f32_e32 v6, v7, v4
	v_fma_f32 v3, -v3, v6, v5
	v_div_fmas_f32 v3, v3, v4, v6
	v_xad_u32 v4, v0, -1, s37
	v_div_fixup_f32 v2, v3, v2, 1.0
	v_cmp_lt_u32_e32 vcc, s2, v4
	s_mov_b64 s[8:9], -1
	v_mov_b32_e32 v3, v0
	s_and_saveexec_b64 s[2:3], vcc
	s_cbranch_execz .LBB298_43
; %bb.35:
	v_lshrrev_b32_e32 v4, 7, v4
	v_add_u32_e32 v6, -1, v4
	v_lshrrev_b32_e32 v5, 1, v6
	v_mov_b32_e32 v3, v2
	v_add_u32_e32 v5, 1, v5
	v_cmp_lt_u32_e32 vcc, 13, v6
	v_mov_b32_e32 v8, 0
	s_and_saveexec_b64 s[8:9], vcc
	s_cbranch_execz .LBB298_39
; %bb.36:
	v_mov_b32_e32 v7, 0x210
	v_and_b32_e32 v6, -8, v5
	v_lshl_add_u32 v7, v0, 2, v7
	s_mov_b32 s18, 0
	s_mov_b64 s[12:13], 0
.LBB298_37:                             ; =>This Inner Loop Header: Depth=1
	ds_read2st64_b32 v[8:9], v7 offset1:2
	ds_read2st64_b32 v[10:11], v7 offset0:4 offset1:6
	ds_read2st64_b32 v[12:13], v7 offset0:8 offset1:10
	;; [unrolled: 1-line block ×3, first 2 shown]
	v_add_u32_e32 v6, -8, v6
	s_waitcnt lgkmcnt(3)
	v_pk_mul_f32 v[8:9], v[2:3], v[8:9]
	s_waitcnt lgkmcnt(2)
	v_pk_mul_f32 v[10:11], v[2:3], v[10:11]
	ds_write2st64_b32 v7, v8, v9 offset1:2
	ds_write2st64_b32 v7, v10, v11 offset0:4 offset1:6
	ds_read2st64_b32 v[10:11], v7 offset0:16 offset1:18
	s_waitcnt lgkmcnt(4)
	v_pk_mul_f32 v[8:9], v[2:3], v[12:13]
	ds_write2st64_b32 v7, v8, v9 offset0:8 offset1:10
	s_waitcnt lgkmcnt(4)
	v_pk_mul_f32 v[8:9], v[2:3], v[14:15]
	ds_write2st64_b32 v7, v8, v9 offset0:12 offset1:14
	ds_read2st64_b32 v[8:9], v7 offset0:20 offset1:22
	s_waitcnt lgkmcnt(3)
	v_pk_mul_f32 v[10:11], v[2:3], v[10:11]
	ds_read2st64_b32 v[12:13], v7 offset0:24 offset1:26
	ds_write2st64_b32 v7, v10, v11 offset0:16 offset1:18
	ds_read2st64_b32 v[10:11], v7 offset0:28 offset1:30
	s_waitcnt lgkmcnt(3)
	v_pk_mul_f32 v[8:9], v[2:3], v[8:9]
	ds_write2st64_b32 v7, v8, v9 offset0:20 offset1:22
	s_waitcnt lgkmcnt(3)
	v_pk_mul_f32 v[8:9], v[2:3], v[12:13]
	ds_write2st64_b32 v7, v8, v9 offset0:24 offset1:26
	s_waitcnt lgkmcnt(2)
	v_pk_mul_f32 v[8:9], v[2:3], v[10:11]
	s_add_i32 s18, s18, 16
	v_cmp_eq_u32_e32 vcc, 0, v6
	ds_write2st64_b32 v7, v8, v9 offset0:28 offset1:30
	v_add_u32_e32 v7, 0x2000, v7
	s_or_b64 s[12:13], vcc, s[12:13]
	v_mov_b32_e32 v8, s18
	s_andn2_b64 exec, exec, s[12:13]
	s_cbranch_execnz .LBB298_37
; %bb.38:
	s_or_b64 exec, exec, s[12:13]
.LBB298_39:
	s_or_b64 exec, exec, s[8:9]
	v_and_b32_e32 v5, 7, v5
	v_cmp_ne_u32_e32 vcc, 0, v5
	s_and_saveexec_b64 s[8:9], vcc
	s_cbranch_execz .LBB298_42
; %bb.40:
	v_lshlrev_b32_e32 v6, 9, v8
	v_lshlrev_b32_e32 v7, 2, v0
	s_movk_i32 s12, 0x210
	v_add3_u32 v6, v6, v7, s12
	s_mov_b64 s[12:13], 0
.LBB298_41:                             ; =>This Inner Loop Header: Depth=1
	ds_read2st64_b32 v[8:9], v6 offset1:2
	v_add_u32_e32 v5, -1, v5
	v_cmp_eq_u32_e32 vcc, 0, v5
	s_or_b64 s[12:13], vcc, s[12:13]
	s_waitcnt lgkmcnt(0)
	v_pk_mul_f32 v[8:9], v[2:3], v[8:9]
	ds_write2st64_b32 v6, v8, v9 offset1:2
	v_add_u32_e32 v6, 0x400, v6
	s_andn2_b64 exec, exec, s[12:13]
	s_cbranch_execnz .LBB298_41
.LBB298_42:
	s_or_b64 exec, exec, s[8:9]
	v_add_u32_e32 v4, 1, v4
	v_and_b32_e32 v5, 0x3fffffe, v4
	v_cmp_ne_u32_e32 vcc, v4, v5
	v_lshl_add_u32 v3, v5, 7, v0
	s_orn2_b64 s[8:9], vcc, exec
.LBB298_43:
	s_or_b64 exec, exec, s[2:3]
	s_and_b64 exec, exec, s[8:9]
	s_cbranch_execz .LBB298_46
; %bb.44:
	v_mov_b32_e32 v4, 0x210
	v_lshl_add_u32 v4, v3, 2, v4
	s_mov_b64 s[2:3], 0
.LBB298_45:                             ; =>This Inner Loop Header: Depth=1
	ds_read_b32 v5, v4
	v_add_u32_e32 v3, 0x80, v3
	v_cmp_le_i32_e32 vcc, s37, v3
	s_or_b64 s[2:3], vcc, s[2:3]
	s_waitcnt lgkmcnt(0)
	v_mul_f32_e32 v5, v2, v5
	ds_write_b32 v4, v5
	v_add_u32_e32 v4, 0x200, v4
	s_andn2_b64 exec, exec, s[2:3]
	s_cbranch_execnz .LBB298_45
.LBB298_46:
	s_or_b64 exec, exec, s[0:1]
	v_mov_b32_e32 v11, 0
	v_and_b32_e32 v27, 1, v0
	v_mov_b32_e32 v10, v11
	v_mov_b32_e32 v15, v11
	;; [unrolled: 1-line block ×7, first 2 shown]
	s_waitcnt lgkmcnt(0)
	s_barrier
	s_and_saveexec_b64 s[2:3], s[6:7]
	s_cbranch_execz .LBB298_68
; %bb.47:
	s_sub_i32 s18, s42, s21
	s_ashr_i32 s1, s43, 31
	s_add_u32 s0, s34, s43
	s_addc_u32 s1, s35, s1
	s_abs_i32 s19, s22
	v_cvt_f32_u32_e32 v2, s19
	v_lshlrev_b32_e32 v3, 3, v0
	v_and_b32_e32 v12, 0x1f8, v3
	v_mov_b32_e32 v13, 0
	v_rcp_iflag_f32_e32 v2, v2
	v_lshl_add_u64 v[18:19], s[0:1], 0, v[12:13]
	s_sub_i32 s0, 0, s19
	v_and_b32_e32 v28, 8, v3
	v_mul_f32_e32 v2, 0x4f7ffffe, v2
	v_cvt_u32_f32_e32 v2, v2
	s_add_i32 s21, s20, -1
	v_and_b32_e32 v12, 60, v20
	s_mov_b64 s[6:7], 0
	v_mul_lo_u32 v3, s0, v2
	v_mul_hi_u32 v3, v2, v3
	s_lshl_b64 s[0:1], s[30:31], 2
	v_add_u32_e32 v29, v2, v3
	s_add_u32 s0, s28, s0
	v_lshlrev_b32_e32 v2, 5, v27
	s_addc_u32 s1, s29, s1
	v_lshl_or_b32 v2, v1, 6, v2
	v_lshl_add_u64 v[20:21], s[0:1], 0, v[12:13]
	v_add_u32_e32 v30, 0x210, v2
	v_mov_b32_e32 v12, v13
	v_mov_b32_e32 v16, v13
	;; [unrolled: 1-line block ×7, first 2 shown]
	s_branch .LBB298_50
.LBB298_48:                             ;   in Loop: Header=BB298_50 Depth=1
	s_or_b64 exec, exec, s[0:1]
	v_cvt_pk_bf16_f32 v7, v7, s0
	v_cvt_pk_bf16_f32 v47, v2, s0
	;; [unrolled: 1-line block ×3, first 2 shown]
	v_lshlrev_b32_e32 v2, 16, v7
	v_lshlrev_b32_e32 v3, 16, v100
	v_cvt_pk_bf16_f32 v6, v6, s0
	v_mul_f32_e32 v3, v2, v3
	v_cvt_pk_bf16_f32 v50, v3, s0
	v_lshlrev_b32_e32 v6, 16, v6
	v_lshlrev_b32_e32 v3, 16, v99
	v_cvt_pk_bf16_f32 v9, v9, s0
	v_mul_f32_e32 v3, v6, v3
	v_cvt_pk_bf16_f32 v49, v4, s0
	v_cvt_pk_bf16_f32 v51, v3, s0
	v_lshlrev_b32_e32 v3, 16, v9
	v_lshlrev_b32_e32 v4, 16, v98
	v_cvt_pk_bf16_f32 v8, v8, s0
	v_mul_f32_e32 v4, v3, v4
	v_cvt_pk_bf16_f32 v52, v4, s0
	v_lshlrev_b32_e32 v7, 16, v8
	v_lshlrev_b32_e32 v4, 16, v97
	v_mul_f32_e32 v4, v7, v4
	v_cvt_pk_bf16_f32 v53, v4, s0
	v_lshlrev_b32_e32 v4, 16, v48
	v_lshlrev_b32_e32 v8, 16, v96
	;; [unrolled: 4-line block ×3, first 2 shown]
	v_cvt_pk_bf16_f32 v5, v5, s0
	v_mul_f32_e32 v9, v8, v9
	v_cvt_pk_bf16_f32 v47, v9, s0
	v_lshlrev_b32_e32 v5, 16, v5
	v_lshlrev_b32_e32 v9, 16, v94
	v_mul_f32_e32 v9, v5, v9
	v_cvt_pk_bf16_f32 v61, v9, s0
	v_lshlrev_b32_e32 v9, 16, v49
	v_lshlrev_b32_e32 v49, 16, v93
	;; [unrolled: 1-line block ×4, first 2 shown]
	v_mul_f32_e32 v49, v9, v49
	v_add_f32_e32 v50, v51, v50
	v_lshlrev_b32_e32 v51, 16, v53
	v_lshlrev_b32_e32 v52, 16, v52
	v_cvt_pk_bf16_f32 v49, v49, s0
	v_add_f32_e32 v51, v51, v52
	v_lshlrev_b32_e32 v47, 16, v47
	v_lshlrev_b32_e32 v48, 16, v48
	v_add_f32_e32 v50, v51, v50
	v_add_f32_e32 v47, v47, v48
	v_lshlrev_b32_e32 v48, 16, v49
	v_lshlrev_b32_e32 v49, 16, v61
	v_add_f32_e32 v47, v47, v50
	v_add_f32_e32 v48, v48, v49
	;; [unrolled: 1-line block ×4, first 2 shown]
	v_lshlrev_b32_e32 v47, 16, v92
	v_lshlrev_b32_e32 v48, 16, v91
	v_mul_f32_e32 v47, v2, v47
	v_mul_f32_e32 v48, v6, v48
	v_lshlrev_b32_e32 v49, 16, v90
	v_lshlrev_b32_e32 v50, 16, v89
	v_cvt_pk_bf16_f32 v47, v47, s0
	v_cvt_pk_bf16_f32 v48, v48, s0
	v_mul_f32_e32 v49, v3, v49
	v_mul_f32_e32 v50, v7, v50
	v_cvt_pk_bf16_f32 v49, v49, s0
	v_cvt_pk_bf16_f32 v50, v50, s0
	v_lshlrev_b32_e32 v51, 16, v88
	v_lshlrev_b32_e32 v52, 16, v87
	;; [unrolled: 1-line block ×4, first 2 shown]
	v_mul_f32_e32 v51, v4, v51
	v_mul_f32_e32 v52, v8, v52
	v_add_f32_e32 v47, v48, v47
	v_lshlrev_b32_e32 v48, 16, v50
	v_lshlrev_b32_e32 v49, 16, v49
	v_cvt_pk_bf16_f32 v51, v51, s0
	v_cvt_pk_bf16_f32 v52, v52, s0
	v_lshlrev_b32_e32 v53, 16, v86
	v_lshlrev_b32_e32 v61, 16, v85
	v_add_f32_e32 v48, v48, v49
	v_mul_f32_e32 v53, v5, v53
	v_mul_f32_e32 v61, v9, v61
	v_add_f32_e32 v47, v48, v47
	v_lshlrev_b32_e32 v48, 16, v52
	v_lshlrev_b32_e32 v49, 16, v51
	v_cvt_pk_bf16_f32 v53, v53, s0
	v_cvt_pk_bf16_f32 v61, v61, s0
	v_add_f32_e32 v48, v48, v49
	v_add_f32_e32 v47, v48, v47
	v_lshlrev_b32_e32 v48, 16, v61
	v_lshlrev_b32_e32 v49, 16, v53
	v_add_f32_e32 v48, v48, v49
	v_add_f32_e32 v47, v48, v47
	;; [unrolled: 1-line block ×3, first 2 shown]
	v_lshlrev_b32_e32 v47, 16, v78
	v_lshlrev_b32_e32 v48, 16, v77
	v_mul_f32_e32 v47, v2, v47
	v_mul_f32_e32 v48, v6, v48
	v_lshlrev_b32_e32 v49, 16, v76
	v_lshlrev_b32_e32 v50, 16, v75
	v_cvt_pk_bf16_f32 v47, v47, s0
	v_cvt_pk_bf16_f32 v48, v48, s0
	v_mul_f32_e32 v49, v3, v49
	v_mul_f32_e32 v50, v7, v50
	v_cvt_pk_bf16_f32 v49, v49, s0
	v_cvt_pk_bf16_f32 v50, v50, s0
	v_lshlrev_b32_e32 v51, 16, v74
	v_lshlrev_b32_e32 v52, 16, v73
	;; [unrolled: 1-line block ×4, first 2 shown]
	v_mul_f32_e32 v51, v4, v51
	v_mul_f32_e32 v52, v8, v52
	v_add_f32_e32 v47, v48, v47
	v_lshlrev_b32_e32 v48, 16, v50
	v_lshlrev_b32_e32 v49, 16, v49
	v_cvt_pk_bf16_f32 v51, v51, s0
	v_cvt_pk_bf16_f32 v52, v52, s0
	v_lshlrev_b32_e32 v53, 16, v72
	v_lshlrev_b32_e32 v61, 16, v71
	v_add_f32_e32 v48, v48, v49
	v_mul_f32_e32 v53, v5, v53
	v_mul_f32_e32 v61, v9, v61
	v_add_f32_e32 v47, v48, v47
	v_lshlrev_b32_e32 v48, 16, v52
	v_lshlrev_b32_e32 v49, 16, v51
	v_cvt_pk_bf16_f32 v53, v53, s0
	v_cvt_pk_bf16_f32 v61, v61, s0
	v_add_f32_e32 v48, v48, v49
	v_add_f32_e32 v47, v48, v47
	v_lshlrev_b32_e32 v48, 16, v61
	v_lshlrev_b32_e32 v49, 16, v53
	v_add_f32_e32 v48, v48, v49
	v_add_f32_e32 v47, v48, v47
	;; [unrolled: 1-line block ×3, first 2 shown]
	v_lshlrev_b32_e32 v47, 16, v70
	v_lshlrev_b32_e32 v48, 16, v69
	v_mul_f32_e32 v47, v2, v47
	v_mul_f32_e32 v48, v6, v48
	v_lshlrev_b32_e32 v49, 16, v68
	v_lshlrev_b32_e32 v50, 16, v67
	v_cvt_pk_bf16_f32 v47, v47, s0
	v_cvt_pk_bf16_f32 v48, v48, s0
	v_mul_f32_e32 v49, v3, v49
	v_mul_f32_e32 v50, v7, v50
	v_lshlrev_b32_e32 v38, 16, v38
	v_lshlrev_b32_e32 v37, 16, v37
	;; [unrolled: 1-line block ×4, first 2 shown]
	v_cvt_pk_bf16_f32 v49, v49, s0
	v_cvt_pk_bf16_f32 v50, v50, s0
	v_lshlrev_b32_e32 v51, 16, v66
	v_lshlrev_b32_e32 v52, 16, v65
	;; [unrolled: 1-line block ×4, first 2 shown]
	v_mul_f32_e32 v38, v2, v38
	v_mul_f32_e32 v37, v6, v37
	;; [unrolled: 1-line block ×4, first 2 shown]
	v_lshlrev_b32_e32 v34, 16, v34
	v_lshlrev_b32_e32 v33, 16, v33
	v_mul_f32_e32 v51, v4, v51
	v_mul_f32_e32 v52, v8, v52
	v_add_f32_e32 v47, v48, v47
	v_lshlrev_b32_e32 v48, 16, v50
	v_lshlrev_b32_e32 v49, 16, v49
	v_cvt_pk_bf16_f32 v38, v38, s0
	v_cvt_pk_bf16_f32 v37, v37, s0
	;; [unrolled: 1-line block ×4, first 2 shown]
	v_mul_f32_e32 v34, v4, v34
	v_mul_f32_e32 v33, v8, v33
	v_lshlrev_b32_e32 v32, 16, v32
	v_lshlrev_b32_e32 v31, 16, v31
	v_cvt_pk_bf16_f32 v51, v51, s0
	v_cvt_pk_bf16_f32 v52, v52, s0
	v_lshlrev_b32_e32 v53, 16, v64
	v_lshlrev_b32_e32 v61, 16, v63
	v_add_f32_e32 v48, v48, v49
	v_cvt_pk_bf16_f32 v34, v34, s0
	v_cvt_pk_bf16_f32 v33, v33, s0
	v_mul_f32_e32 v32, v5, v32
	v_mul_f32_e32 v31, v9, v31
	v_lshlrev_b32_e32 v37, 16, v37
	v_lshlrev_b32_e32 v38, 16, v38
	v_lshlrev_b32_e32 v35, 16, v35
	v_lshlrev_b32_e32 v36, 16, v36
	v_mul_f32_e32 v53, v5, v53
	v_mul_f32_e32 v61, v9, v61
	v_add_f32_e32 v47, v48, v47
	v_lshlrev_b32_e32 v48, 16, v52
	v_lshlrev_b32_e32 v49, 16, v51
	v_cvt_pk_bf16_f32 v32, v32, s0
	v_cvt_pk_bf16_f32 v31, v31, s0
	v_add_f32_e32 v37, v37, v38
	v_add_f32_e32 v35, v35, v36
	v_lshlrev_b32_e32 v33, 16, v33
	v_lshlrev_b32_e32 v34, 16, v34
	v_cvt_pk_bf16_f32 v53, v53, s0
	v_cvt_pk_bf16_f32 v61, v61, s0
	v_add_f32_e32 v48, v48, v49
	v_add_f32_e32 v35, v35, v37
	;; [unrolled: 1-line block ×3, first 2 shown]
	v_lshlrev_b32_e32 v31, 16, v31
	v_lshlrev_b32_e32 v32, 16, v32
	v_add_f32_e32 v47, v48, v47
	v_lshlrev_b32_e32 v48, 16, v61
	v_lshlrev_b32_e32 v49, 16, v53
	v_add_f32_e32 v33, v33, v35
	v_add_f32_e32 v31, v31, v32
	;; [unrolled: 1-line block ×5, first 2 shown]
	v_lshlrev_b32_e32 v48, 16, v60
	v_lshlrev_b32_e32 v45, 16, v45
	v_add_f32_e32 v12, v12, v31
	v_lshlrev_b32_e32 v31, 16, v84
	v_add_f32_e32 v17, v17, v47
	v_lshlrev_b32_e32 v47, 16, v62
	v_mul_f32_e32 v48, v6, v48
	v_lshlrev_b32_e32 v46, 16, v46
	v_mul_f32_e32 v45, v6, v45
	v_mul_f32_e32 v6, v6, v31
	v_lshlrev_b32_e32 v31, 16, v83
	v_mul_f32_e32 v47, v2, v47
	v_lshlrev_b32_e32 v50, 16, v58
	;; [unrolled: 2-line block ×4, first 2 shown]
	v_lshlrev_b32_e32 v49, 16, v59
	v_mul_f32_e32 v50, v7, v50
	v_lshlrev_b32_e32 v44, 16, v44
	v_mul_f32_e32 v43, v7, v43
	v_mul_f32_e32 v7, v7, v31
	v_lshlrev_b32_e32 v31, 16, v81
	v_mul_f32_e32 v49, v3, v49
	v_mul_f32_e32 v44, v3, v44
	;; [unrolled: 1-line block ×3, first 2 shown]
	v_cvt_pk_bf16_f32 v31, v3, s0
	v_lshlrev_b32_e32 v3, 16, v80
	v_lshlrev_b32_e32 v52, 16, v56
	;; [unrolled: 1-line block ×3, first 2 shown]
	v_mul_f32_e32 v3, v8, v3
	v_mul_f32_e32 v52, v8, v52
	v_mul_f32_e32 v41, v8, v41
	v_cvt_pk_bf16_f32 v8, v3, s0
	v_lshlrev_b32_e32 v3, 16, v79
	v_mul_f32_e32 v3, v4, v3
	v_cvt_pk_bf16_f32 v47, v47, s0
	v_cvt_pk_bf16_f32 v48, v48, s0
	;; [unrolled: 1-line block ×3, first 2 shown]
	v_lshlrev_b32_e32 v3, 16, v23
	v_cvt_pk_bf16_f32 v49, v49, s0
	v_cvt_pk_bf16_f32 v50, v50, s0
	v_lshlrev_b32_e32 v51, 16, v57
	v_lshlrev_b32_e32 v54, 16, v54
	;; [unrolled: 1-line block ×5, first 2 shown]
	v_mul_f32_e32 v3, v9, v3
	v_mul_f32_e32 v51, v4, v51
	;; [unrolled: 1-line block ×3, first 2 shown]
	v_add_f32_e32 v47, v48, v47
	v_lshlrev_b32_e32 v48, 16, v50
	v_lshlrev_b32_e32 v49, 16, v49
	;; [unrolled: 1-line block ×3, first 2 shown]
	v_mul_f32_e32 v39, v9, v39
	v_cvt_pk_bf16_f32 v9, v3, s0
	v_lshlrev_b32_e32 v3, 16, v22
	v_cvt_pk_bf16_f32 v51, v51, s0
	v_cvt_pk_bf16_f32 v52, v52, s0
	v_lshlrev_b32_e32 v53, 16, v55
	v_add_f32_e32 v48, v48, v49
	v_cvt_pk_bf16_f32 v46, v46, s0
	v_cvt_pk_bf16_f32 v45, v45, s0
	;; [unrolled: 1-line block ×4, first 2 shown]
	v_mul_f32_e32 v42, v4, v42
	v_lshlrev_b32_e32 v40, 16, v40
	v_cvt_pk_bf16_f32 v6, v6, s0
	v_cvt_pk_bf16_f32 v2, v2, s0
	;; [unrolled: 1-line block ×3, first 2 shown]
	v_mul_f32_e32 v3, v5, v3
	v_mul_f32_e32 v53, v5, v53
	v_add_f32_e32 v47, v48, v47
	v_lshlrev_b32_e32 v48, 16, v52
	v_lshlrev_b32_e32 v49, 16, v51
	v_cvt_pk_bf16_f32 v42, v42, s0
	v_cvt_pk_bf16_f32 v41, v41, s0
	v_mul_f32_e32 v40, v5, v40
	v_lshlrev_b32_e32 v45, 16, v45
	v_lshlrev_b32_e32 v46, 16, v46
	;; [unrolled: 1-line block ×4, first 2 shown]
	v_cvt_pk_bf16_f32 v22, v3, s0
	v_lshlrev_b32_e32 v3, 16, v2
	v_lshlrev_b32_e32 v5, 16, v6
	;; [unrolled: 1-line block ×4, first 2 shown]
	v_cvt_pk_bf16_f32 v53, v53, s0
	v_cvt_pk_bf16_f32 v54, v54, s0
	v_add_f32_e32 v48, v48, v49
	v_cvt_pk_bf16_f32 v40, v40, s0
	v_cvt_pk_bf16_f32 v39, v39, s0
	v_add_f32_e32 v45, v45, v46
	v_add_f32_e32 v43, v43, v44
	v_lshlrev_b32_e32 v41, 16, v41
	v_lshlrev_b32_e32 v42, 16, v42
	v_pk_add_f32 v[2:3], v[4:5], v[2:3]
	v_lshlrev_b32_e32 v5, 16, v32
	v_lshlrev_b32_e32 v7, 16, v8
	;; [unrolled: 1-line block ×4, first 2 shown]
	v_add_f32_e32 v47, v48, v47
	v_lshlrev_b32_e32 v48, 16, v54
	v_lshlrev_b32_e32 v49, 16, v53
	v_add_f32_e32 v43, v43, v45
	v_add_f32_e32 v41, v41, v42
	v_lshlrev_b32_e32 v39, 16, v39
	v_lshlrev_b32_e32 v40, 16, v40
	v_pk_add_f32 v[4:5], v[6:7], v[4:5]
	v_add_f32_e32 v2, v2, v3
	v_add_f32_e32 v48, v48, v49
	;; [unrolled: 1-line block ×11, first 2 shown]
.LBB298_49:                             ;   in Loop: Header=BB298_50 Depth=1
	s_or_b64 exec, exec, s[8:9]
	v_add_u32_e32 v1, 2, v1
	v_cmp_le_i32_e32 vcc, s20, v1
	v_lshl_add_u64 v[20:21], v[20:21], 0, 8
	v_add_u32_e32 v24, 32, v24
	s_or_b64 s[6:7], vcc, s[6:7]
	v_add_u32_e32 v30, 0x80, v30
	s_andn2_b64 exec, exec, s[6:7]
	s_cbranch_execz .LBB298_67
.LBB298_50:                             ; =>This Inner Loop Header: Depth=1
	v_mul_hi_u32 v2, v24, s25
	v_mul_lo_u32 v3, v2, s16
	v_sub_u32_e32 v3, v24, v3
	v_add_u32_e32 v4, 1, v2
	v_cmp_le_u32_e32 vcc, s16, v3
	s_nop 1
	v_cndmask_b32_e32 v2, v2, v4, vcc
	v_subrev_u32_e32 v4, s16, v3
	v_cndmask_b32_e32 v3, v3, v4, vcc
	v_add_u32_e32 v4, 1, v2
	v_cmp_le_u32_e32 vcc, s16, v3
	s_nop 1
	v_cndmask_b32_e32 v2, v2, v4, vcc
	v_xor_b32_e32 v2, s23, v2
	v_subrev_u32_e32 v2, s23, v2
	v_add_u32_e32 v3, s36, v2
	v_sub_u32_e32 v5, 0, v3
	v_ashrrev_i32_e32 v4, 31, v3
	v_max_i32_e32 v3, v3, v5
	v_mul_hi_u32 v5, v3, v29
	v_mul_lo_u32 v5, v5, s19
	v_sub_u32_e32 v3, v3, v5
	v_subrev_u32_e32 v5, s19, v3
	v_cmp_le_u32_e32 vcc, s19, v3
	v_cmp_lt_i32_e64 s[0:1], s18, v2
	s_nop 0
	v_cndmask_b32_e32 v3, v3, v5, vcc
	v_subrev_u32_e32 v5, s19, v3
	v_cmp_le_u32_e32 vcc, s19, v3
	s_nop 1
	v_cndmask_b32_e32 v3, v3, v5, vcc
	v_xor_b32_e32 v3, v3, v4
	v_sub_u32_e32 v3, v3, v4
	v_cmp_eq_u32_e32 vcc, 0, v3
	s_or_b64 s[0:1], vcc, s[0:1]
	s_and_saveexec_b64 s[8:9], s[0:1]
	s_cbranch_execz .LBB298_49
; %bb.51:                               ;   in Loop: Header=BB298_50 Depth=1
	global_load_dword v2, v[20:21], off
	v_add_u32_e32 v47, v28, v24
	v_cmp_eq_u32_e32 vcc, s21, v1
	v_add_u32_e32 v53, 1, v47
	v_add_u32_e32 v52, 2, v47
	;; [unrolled: 1-line block ×7, first 2 shown]
	s_waitcnt vmcnt(0)
	v_mad_i64_i32 v[22:23], s[0:1], v2, s17, v[18:19]
	global_load_dwordx2 v[32:33], v[22:23], off
	ds_read2_b64 v[6:9], v30 offset1:1
	ds_read2_b64 v[2:5], v30 offset0:2 offset1:3
	s_load_dword s22, s[14:15], 0x0
	s_waitcnt vmcnt(0)
	v_and_b32_e32 v31, 0xff, v32
	v_bfe_u32 v34, v32, 8, 8
	v_bfe_u32 v35, v32, 16, 8
	v_lshrrev_b32_e32 v32, 24, v32
	v_and_b32_e32 v36, 0xff, v33
	v_bfe_u32 v37, v33, 8, 8
	v_bfe_u32 v38, v33, 16, 8
	v_lshrrev_b32_e32 v33, 24, v33
	v_cvt_f32_fp8_e32 v31, v31
	v_cvt_f32_fp8_e32 v34, v34
	;; [unrolled: 1-line block ×8, first 2 shown]
	s_waitcnt lgkmcnt(0)
	v_mul_f32_e32 v31, s22, v31
	v_mul_f32_e32 v34, s22, v34
	v_mul_f32_e32 v35, s22, v35
	v_mul_f32_e32 v32, s22, v32
	v_mul_f32_e32 v39, s22, v36
	v_mul_f32_e32 v40, s22, v37
	v_mul_f32_e32 v41, s22, v38
	v_mul_f32_e32 v42, s22, v33
	v_cvt_pk_bf16_f32 v37, v31, s0
	v_cvt_pk_bf16_f32 v38, v34, s0
	v_cvt_pk_bf16_f32 v35, v35, s0
	v_cvt_pk_bf16_f32 v36, v32, s0
	v_cvt_pk_bf16_f32 v33, v39, s0
	v_cvt_pk_bf16_f32 v34, v40, s0
	v_cvt_pk_bf16_f32 v31, v41, s0
	v_cvt_pk_bf16_f32 v32, v42, s0
	s_and_saveexec_b64 s[12:13], vcc
	s_cbranch_execz .LBB298_53
; %bb.52:                               ;   in Loop: Header=BB298_50 Depth=1
	v_cmp_gt_i32_e64 s[0:1], s33, v47
	s_nop 1
	v_cndmask_b32_e64 v37, 0, v37, s[0:1]
	v_cmp_gt_i32_e64 s[0:1], s33, v53
	s_nop 1
	v_cndmask_b32_e64 v38, 0, v38, s[0:1]
	v_cmp_gt_i32_e64 s[0:1], s33, v52
	s_nop 1
	v_cndmask_b32_e64 v35, 0, v35, s[0:1]
	v_cmp_gt_i32_e64 s[0:1], s33, v51
	s_nop 1
	v_cndmask_b32_e64 v36, 0, v36, s[0:1]
	v_cmp_gt_i32_e64 s[0:1], s33, v50
	s_nop 1
	v_cndmask_b32_e64 v33, 0, v33, s[0:1]
	v_cmp_gt_i32_e64 s[0:1], s33, v49
	s_nop 1
	v_cndmask_b32_e64 v34, 0, v34, s[0:1]
	v_cmp_gt_i32_e64 s[0:1], s33, v48
	s_nop 1
	v_cndmask_b32_e64 v31, 0, v31, s[0:1]
	v_cmp_gt_i32_e64 s[0:1], s33, v61
	s_nop 1
	v_cndmask_b32_e64 v32, 0, v32, s[0:1]
.LBB298_53:                             ;   in Loop: Header=BB298_50 Depth=1
	s_or_b64 exec, exec, s[12:13]
	global_load_dwordx2 v[40:41], v[22:23], off offset:512
	s_waitcnt vmcnt(0)
	v_and_b32_e32 v39, 0xff, v40
	v_bfe_u32 v42, v40, 8, 8
	v_bfe_u32 v43, v40, 16, 8
	v_lshrrev_b32_e32 v40, 24, v40
	v_and_b32_e32 v44, 0xff, v41
	v_bfe_u32 v45, v41, 8, 8
	v_bfe_u32 v46, v41, 16, 8
	v_lshrrev_b32_e32 v41, 24, v41
	v_cvt_f32_fp8_e32 v39, v39
	v_cvt_f32_fp8_e32 v42, v42
	v_cvt_f32_fp8_e32 v43, v43
	v_cvt_f32_fp8_e32 v40, v40
	v_cvt_f32_fp8_e32 v44, v44
	v_cvt_f32_fp8_e32 v45, v45
	v_cvt_f32_fp8_e32 v46, v46
	v_cvt_f32_fp8_e32 v41, v41
	v_mul_f32_e32 v39, s22, v39
	v_mul_f32_e32 v42, s22, v42
	v_mul_f32_e32 v43, s22, v43
	v_mul_f32_e32 v40, s22, v40
	v_mul_f32_e32 v54, s22, v44
	v_mul_f32_e32 v55, s22, v45
	v_mul_f32_e32 v56, s22, v46
	v_mul_f32_e32 v57, s22, v41
	v_cvt_pk_bf16_f32 v45, v39, s0
	v_cvt_pk_bf16_f32 v46, v42, s0
	v_cvt_pk_bf16_f32 v43, v43, s0
	v_cvt_pk_bf16_f32 v44, v40, s0
	v_cvt_pk_bf16_f32 v41, v54, s0
	v_cvt_pk_bf16_f32 v42, v55, s0
	v_cvt_pk_bf16_f32 v39, v56, s0
	v_cvt_pk_bf16_f32 v40, v57, s0
	s_and_saveexec_b64 s[12:13], vcc
	s_cbranch_execz .LBB298_55
; %bb.54:                               ;   in Loop: Header=BB298_50 Depth=1
	v_cmp_gt_i32_e64 s[0:1], s33, v47
	s_nop 1
	v_cndmask_b32_e64 v45, 0, v45, s[0:1]
	v_cmp_gt_i32_e64 s[0:1], s33, v53
	s_nop 1
	v_cndmask_b32_e64 v46, 0, v46, s[0:1]
	v_cmp_gt_i32_e64 s[0:1], s33, v52
	s_nop 1
	v_cndmask_b32_e64 v43, 0, v43, s[0:1]
	v_cmp_gt_i32_e64 s[0:1], s33, v51
	s_nop 1
	v_cndmask_b32_e64 v44, 0, v44, s[0:1]
	v_cmp_gt_i32_e64 s[0:1], s33, v50
	s_nop 1
	v_cndmask_b32_e64 v41, 0, v41, s[0:1]
	v_cmp_gt_i32_e64 s[0:1], s33, v49
	s_nop 1
	v_cndmask_b32_e64 v42, 0, v42, s[0:1]
	v_cmp_gt_i32_e64 s[0:1], s33, v48
	s_nop 1
	v_cndmask_b32_e64 v39, 0, v39, s[0:1]
	v_cmp_gt_i32_e64 s[0:1], s33, v61
	s_nop 1
	v_cndmask_b32_e64 v40, 0, v40, s[0:1]
.LBB298_55:                             ;   in Loop: Header=BB298_50 Depth=1
	s_or_b64 exec, exec, s[12:13]
	global_load_dwordx2 v[54:55], v[22:23], off offset:1024
	s_waitcnt vmcnt(0)
	v_and_b32_e32 v56, 0xff, v54
	v_bfe_u32 v57, v54, 8, 8
	v_bfe_u32 v58, v54, 16, 8
	v_lshrrev_b32_e32 v54, 24, v54
	v_and_b32_e32 v59, 0xff, v55
	v_bfe_u32 v60, v55, 8, 8
	v_bfe_u32 v62, v55, 16, 8
	v_lshrrev_b32_e32 v55, 24, v55
	v_cvt_f32_fp8_e32 v56, v56
	v_cvt_f32_fp8_e32 v57, v57
	v_cvt_f32_fp8_e32 v58, v58
	v_cvt_f32_fp8_e32 v54, v54
	v_cvt_f32_fp8_e32 v59, v59
	v_cvt_f32_fp8_e32 v60, v60
	v_cvt_f32_fp8_e32 v62, v62
	v_cvt_f32_fp8_e32 v55, v55
	;; [unrolled: 63-line block ×7, first 2 shown]
	v_mul_f32_e32 v79, s22, v79
	v_mul_f32_e32 v80, s22, v80
	;; [unrolled: 1-line block ×8, first 2 shown]
	v_cvt_pk_bf16_f32 v84, v79, s0
	v_cvt_pk_bf16_f32 v83, v80, s0
	;; [unrolled: 1-line block ×8, first 2 shown]
	s_and_saveexec_b64 s[0:1], vcc
	s_cbranch_execz .LBB298_48
; %bb.66:                               ;   in Loop: Header=BB298_50 Depth=1
	v_cmp_gt_i32_e32 vcc, s33, v47
	s_nop 1
	v_cndmask_b32_e32 v84, 0, v84, vcc
	v_cmp_gt_i32_e32 vcc, s33, v53
	s_nop 1
	v_cndmask_b32_e32 v83, 0, v83, vcc
	;; [unrolled: 3-line block ×8, first 2 shown]
	s_branch .LBB298_48
.LBB298_67:
	s_or_b64 exec, exec, s[6:7]
.LBB298_68:
	s_or_b64 exec, exec, s[2:3]
	ds_bpermute_b32 v2, v26, v12
	ds_bpermute_b32 v3, v26, v13
	;; [unrolled: 1-line block ×6, first 2 shown]
	s_waitcnt lgkmcnt(4)
	v_pk_add_f32 v[6:7], v[12:13], v[2:3]
	v_and_b32_e32 v1, 0x3c1, v0
	s_waitcnt lgkmcnt(2)
	v_pk_add_f32 v[2:3], v[14:15], v[8:9]
	ds_bpermute_b32 v8, v26, v10
	ds_bpermute_b32 v9, v26, v11
	s_waitcnt lgkmcnt(2)
	v_pk_add_f32 v[4:5], v[16:17], v[4:5]
	v_cmp_ne_u32_e32 vcc, 64, v1
	s_waitcnt lgkmcnt(0)
	s_barrier
	s_and_saveexec_b64 s[0:1], vcc
	s_xor_b64 s[0:1], exec, s[0:1]
; %bb.69:
                                        ; implicit-def: $vgpr25
; %bb.70:
	s_or_saveexec_b64 s[0:1], s[0:1]
	v_pk_add_f32 v[8:9], v[10:11], v[8:9]
	s_xor_b64 exec, exec, s[0:1]
	s_cbranch_execz .LBB298_72
; %bb.71:
	v_mov_b32_e32 v10, 0x210
	v_lshl_add_u32 v10, v25, 1, v10
	ds_write2_b32 v10, v6, v7 offset1:32
	ds_write2_b32 v10, v4, v5 offset0:64 offset1:96
	ds_write2_b32 v10, v2, v3 offset0:128 offset1:160
	;; [unrolled: 1-line block ×3, first 2 shown]
.LBB298_72:
	s_or_b64 exec, exec, s[0:1]
	v_cmp_gt_u32_e32 vcc, 64, v0
	v_lshrrev_b32_e32 v0, 1, v0
	s_waitcnt lgkmcnt(0)
	s_barrier
	s_and_saveexec_b64 s[0:1], vcc
	s_cbranch_execz .LBB298_83
; %bb.73:
	v_mov_b32_e32 v10, 0x210
	v_cmp_eq_u32_e32 vcc, 0, v27
	v_lshl_add_u32 v10, v0, 2, v10
	s_and_saveexec_b64 s[2:3], vcc
	s_cbranch_execnz .LBB298_86
; %bb.74:
	s_or_b64 exec, exec, s[2:3]
	s_and_saveexec_b64 s[2:3], vcc
	s_cbranch_execnz .LBB298_87
.LBB298_75:
	s_or_b64 exec, exec, s[2:3]
	s_and_saveexec_b64 s[2:3], vcc
	s_cbranch_execnz .LBB298_88
.LBB298_76:
	s_or_b64 exec, exec, s[2:3]
	s_and_saveexec_b64 s[2:3], vcc
	s_cbranch_execnz .LBB298_89
.LBB298_77:
	s_or_b64 exec, exec, s[2:3]
	s_and_saveexec_b64 s[2:3], vcc
	s_cbranch_execnz .LBB298_90
.LBB298_78:
	s_or_b64 exec, exec, s[2:3]
	s_and_saveexec_b64 s[2:3], vcc
	s_cbranch_execnz .LBB298_91
.LBB298_79:
	s_or_b64 exec, exec, s[2:3]
	s_and_saveexec_b64 s[2:3], vcc
	s_cbranch_execnz .LBB298_92
.LBB298_80:
	s_or_b64 exec, exec, s[2:3]
	s_and_saveexec_b64 s[2:3], vcc
	s_cbranch_execz .LBB298_82
.LBB298_81:
	ds_read_b32 v10, v10 offset:896
	s_waitcnt lgkmcnt(0)
	v_add_f32_e32 v9, v9, v10
.LBB298_82:
	s_or_b64 exec, exec, s[2:3]
.LBB298_83:
	s_or_b64 exec, exec, s[0:1]
	v_cmp_eq_u32_e32 vcc, 0, v1
	s_barrier
	s_and_saveexec_b64 s[0:1], vcc
	s_cbranch_execz .LBB298_85
; %bb.84:
	s_mul_i32 s0, s10, s11
	s_mul_i32 s0, s0, s5
	s_lshl_b32 s0, s0, 8
	s_ashr_i32 s1, s0, 31
	s_lshl_b64 s[0:1], s[0:1], 1
	s_add_u32 s2, s26, s0
	s_mul_i32 s0, s11, s24
	s_addc_u32 s3, s27, s1
	s_ashr_i32 s1, s0, 31
	s_lshl_b64 s[0:1], s[0:1], 1
	s_add_u32 s2, s2, s0
	s_addc_u32 s3, s3, s1
	s_lshl_b32 s0, s4, 8
	s_ashr_i32 s1, s0, 31
	s_lshl_b64 s[0:1], s[0:1], 1
	s_add_u32 s0, s2, s0
	s_addc_u32 s1, s3, s1
	v_lshlrev_b32_e32 v0, 1, v0
	v_cvt_pk_bf16_f32 v1, v6, s0
	global_store_short v0, v1, s[0:1]
	v_cvt_pk_bf16_f32 v1, v7, s0
	global_store_short v0, v1, s[0:1] offset:64
	v_cvt_pk_bf16_f32 v1, v4, s0
	global_store_short v0, v1, s[0:1] offset:128
	;; [unrolled: 2-line block ×7, first 2 shown]
.LBB298_85:
	s_endpgm
.LBB298_86:
	ds_read_b32 v11, v10
	s_waitcnt lgkmcnt(0)
	v_add_f32_e32 v6, v6, v11
	s_or_b64 exec, exec, s[2:3]
	s_and_saveexec_b64 s[2:3], vcc
	s_cbranch_execz .LBB298_75
.LBB298_87:
	ds_read_b32 v11, v10 offset:128
	s_waitcnt lgkmcnt(0)
	v_add_f32_e32 v7, v7, v11
	s_or_b64 exec, exec, s[2:3]
	s_and_saveexec_b64 s[2:3], vcc
	s_cbranch_execz .LBB298_76
.LBB298_88:
	ds_read_b32 v11, v10 offset:256
	s_waitcnt lgkmcnt(0)
	v_add_f32_e32 v4, v4, v11
	s_or_b64 exec, exec, s[2:3]
	s_and_saveexec_b64 s[2:3], vcc
	s_cbranch_execz .LBB298_77
.LBB298_89:
	ds_read_b32 v11, v10 offset:384
	s_waitcnt lgkmcnt(0)
	v_add_f32_e32 v5, v5, v11
	s_or_b64 exec, exec, s[2:3]
	s_and_saveexec_b64 s[2:3], vcc
	s_cbranch_execz .LBB298_78
.LBB298_90:
	ds_read_b32 v11, v10 offset:512
	s_waitcnt lgkmcnt(0)
	v_add_f32_e32 v2, v2, v11
	s_or_b64 exec, exec, s[2:3]
	s_and_saveexec_b64 s[2:3], vcc
	s_cbranch_execz .LBB298_79
.LBB298_91:
	ds_read_b32 v11, v10 offset:640
	s_waitcnt lgkmcnt(0)
	v_add_f32_e32 v3, v3, v11
	s_or_b64 exec, exec, s[2:3]
	s_and_saveexec_b64 s[2:3], vcc
	s_cbranch_execz .LBB298_80
.LBB298_92:
	ds_read_b32 v11, v10 offset:768
	s_waitcnt lgkmcnt(0)
	v_add_f32_e32 v8, v8, v11
	s_or_b64 exec, exec, s[2:3]
	s_and_saveexec_b64 s[2:3], vcc
	s_cbranch_execnz .LBB298_81
	s_branch .LBB298_82
	.section	.rodata,"a",@progbits
	.p2align	6, 0x0
	.amdhsa_kernel _ZN4vllm25paged_attention_v1_kernelI14__hip_bfloat16hLi256ELi16ELi128ELNS_18Fp8KVCacheDataTypeE1ELb1EEEvPT_PKS3_PKT0_S9_ifPKiSB_iPKfiiiSD_SD_iiiii
		.amdhsa_group_segment_fixed_size 528
		.amdhsa_private_segment_fixed_size 0
		.amdhsa_kernarg_size 384
		.amdhsa_user_sgpr_count 2
		.amdhsa_user_sgpr_dispatch_ptr 0
		.amdhsa_user_sgpr_queue_ptr 0
		.amdhsa_user_sgpr_kernarg_segment_ptr 1
		.amdhsa_user_sgpr_dispatch_id 0
		.amdhsa_user_sgpr_kernarg_preload_length 0
		.amdhsa_user_sgpr_kernarg_preload_offset 0
		.amdhsa_user_sgpr_private_segment_size 0
		.amdhsa_uses_dynamic_stack 0
		.amdhsa_enable_private_segment 0
		.amdhsa_system_sgpr_workgroup_id_x 1
		.amdhsa_system_sgpr_workgroup_id_y 1
		.amdhsa_system_sgpr_workgroup_id_z 1
		.amdhsa_system_sgpr_workgroup_info 0
		.amdhsa_system_vgpr_workitem_id 0
		.amdhsa_next_free_vgpr 105
		.amdhsa_next_free_sgpr 49
		.amdhsa_accum_offset 108
		.amdhsa_reserve_vcc 1
		.amdhsa_float_round_mode_32 0
		.amdhsa_float_round_mode_16_64 0
		.amdhsa_float_denorm_mode_32 3
		.amdhsa_float_denorm_mode_16_64 3
		.amdhsa_dx10_clamp 1
		.amdhsa_ieee_mode 1
		.amdhsa_fp16_overflow 0
		.amdhsa_tg_split 0
		.amdhsa_exception_fp_ieee_invalid_op 0
		.amdhsa_exception_fp_denorm_src 0
		.amdhsa_exception_fp_ieee_div_zero 0
		.amdhsa_exception_fp_ieee_overflow 0
		.amdhsa_exception_fp_ieee_underflow 0
		.amdhsa_exception_fp_ieee_inexact 0
		.amdhsa_exception_int_div_zero 0
	.end_amdhsa_kernel
	.section	.text._ZN4vllm25paged_attention_v1_kernelI14__hip_bfloat16hLi256ELi16ELi128ELNS_18Fp8KVCacheDataTypeE1ELb1EEEvPT_PKS3_PKT0_S9_ifPKiSB_iPKfiiiSD_SD_iiiii,"axG",@progbits,_ZN4vllm25paged_attention_v1_kernelI14__hip_bfloat16hLi256ELi16ELi128ELNS_18Fp8KVCacheDataTypeE1ELb1EEEvPT_PKS3_PKT0_S9_ifPKiSB_iPKfiiiSD_SD_iiiii,comdat
.Lfunc_end298:
	.size	_ZN4vllm25paged_attention_v1_kernelI14__hip_bfloat16hLi256ELi16ELi128ELNS_18Fp8KVCacheDataTypeE1ELb1EEEvPT_PKS3_PKT0_S9_ifPKiSB_iPKfiiiSD_SD_iiiii, .Lfunc_end298-_ZN4vllm25paged_attention_v1_kernelI14__hip_bfloat16hLi256ELi16ELi128ELNS_18Fp8KVCacheDataTypeE1ELb1EEEvPT_PKS3_PKT0_S9_ifPKiSB_iPKfiiiSD_SD_iiiii
                                        ; -- End function
	.set _ZN4vllm25paged_attention_v1_kernelI14__hip_bfloat16hLi256ELi16ELi128ELNS_18Fp8KVCacheDataTypeE1ELb1EEEvPT_PKS3_PKT0_S9_ifPKiSB_iPKfiiiSD_SD_iiiii.num_vgpr, 105
	.set _ZN4vllm25paged_attention_v1_kernelI14__hip_bfloat16hLi256ELi16ELi128ELNS_18Fp8KVCacheDataTypeE1ELb1EEEvPT_PKS3_PKT0_S9_ifPKiSB_iPKfiiiSD_SD_iiiii.num_agpr, 0
	.set _ZN4vllm25paged_attention_v1_kernelI14__hip_bfloat16hLi256ELi16ELi128ELNS_18Fp8KVCacheDataTypeE1ELb1EEEvPT_PKS3_PKT0_S9_ifPKiSB_iPKfiiiSD_SD_iiiii.numbered_sgpr, 49
	.set _ZN4vllm25paged_attention_v1_kernelI14__hip_bfloat16hLi256ELi16ELi128ELNS_18Fp8KVCacheDataTypeE1ELb1EEEvPT_PKS3_PKT0_S9_ifPKiSB_iPKfiiiSD_SD_iiiii.num_named_barrier, 0
	.set _ZN4vllm25paged_attention_v1_kernelI14__hip_bfloat16hLi256ELi16ELi128ELNS_18Fp8KVCacheDataTypeE1ELb1EEEvPT_PKS3_PKT0_S9_ifPKiSB_iPKfiiiSD_SD_iiiii.private_seg_size, 0
	.set _ZN4vllm25paged_attention_v1_kernelI14__hip_bfloat16hLi256ELi16ELi128ELNS_18Fp8KVCacheDataTypeE1ELb1EEEvPT_PKS3_PKT0_S9_ifPKiSB_iPKfiiiSD_SD_iiiii.uses_vcc, 1
	.set _ZN4vllm25paged_attention_v1_kernelI14__hip_bfloat16hLi256ELi16ELi128ELNS_18Fp8KVCacheDataTypeE1ELb1EEEvPT_PKS3_PKT0_S9_ifPKiSB_iPKfiiiSD_SD_iiiii.uses_flat_scratch, 0
	.set _ZN4vllm25paged_attention_v1_kernelI14__hip_bfloat16hLi256ELi16ELi128ELNS_18Fp8KVCacheDataTypeE1ELb1EEEvPT_PKS3_PKT0_S9_ifPKiSB_iPKfiiiSD_SD_iiiii.has_dyn_sized_stack, 0
	.set _ZN4vllm25paged_attention_v1_kernelI14__hip_bfloat16hLi256ELi16ELi128ELNS_18Fp8KVCacheDataTypeE1ELb1EEEvPT_PKS3_PKT0_S9_ifPKiSB_iPKfiiiSD_SD_iiiii.has_recursion, 0
	.set _ZN4vllm25paged_attention_v1_kernelI14__hip_bfloat16hLi256ELi16ELi128ELNS_18Fp8KVCacheDataTypeE1ELb1EEEvPT_PKS3_PKT0_S9_ifPKiSB_iPKfiiiSD_SD_iiiii.has_indirect_call, 0
	.section	.AMDGPU.csdata,"",@progbits
; Kernel info:
; codeLenInByte = 11412
; TotalNumSgprs: 55
; NumVgprs: 105
; NumAgprs: 0
; TotalNumVgprs: 105
; ScratchSize: 0
; MemoryBound: 0
; FloatMode: 240
; IeeeMode: 1
; LDSByteSize: 528 bytes/workgroup (compile time only)
; SGPRBlocks: 6
; VGPRBlocks: 13
; NumSGPRsForWavesPerEU: 55
; NumVGPRsForWavesPerEU: 105
; AccumOffset: 108
; Occupancy: 4
; WaveLimiterHint : 1
; COMPUTE_PGM_RSRC2:SCRATCH_EN: 0
; COMPUTE_PGM_RSRC2:USER_SGPR: 2
; COMPUTE_PGM_RSRC2:TRAP_HANDLER: 0
; COMPUTE_PGM_RSRC2:TGID_X_EN: 1
; COMPUTE_PGM_RSRC2:TGID_Y_EN: 1
; COMPUTE_PGM_RSRC2:TGID_Z_EN: 1
; COMPUTE_PGM_RSRC2:TIDIG_COMP_CNT: 0
; COMPUTE_PGM_RSRC3_GFX90A:ACCUM_OFFSET: 26
; COMPUTE_PGM_RSRC3_GFX90A:TG_SPLIT: 0
	.section	.text._ZN4vllm25paged_attention_v1_kernelI14__hip_bfloat16hLi32ELi16ELi128ELNS_18Fp8KVCacheDataTypeE1ELb0EEEvPT_PKS3_PKT0_S9_ifPKiSB_iPKfiiiSD_SD_iiiii,"axG",@progbits,_ZN4vllm25paged_attention_v1_kernelI14__hip_bfloat16hLi32ELi16ELi128ELNS_18Fp8KVCacheDataTypeE1ELb0EEEvPT_PKS3_PKT0_S9_ifPKiSB_iPKfiiiSD_SD_iiiii,comdat
	.protected	_ZN4vllm25paged_attention_v1_kernelI14__hip_bfloat16hLi32ELi16ELi128ELNS_18Fp8KVCacheDataTypeE1ELb0EEEvPT_PKS3_PKT0_S9_ifPKiSB_iPKfiiiSD_SD_iiiii ; -- Begin function _ZN4vllm25paged_attention_v1_kernelI14__hip_bfloat16hLi32ELi16ELi128ELNS_18Fp8KVCacheDataTypeE1ELb0EEEvPT_PKS3_PKT0_S9_ifPKiSB_iPKfiiiSD_SD_iiiii
	.globl	_ZN4vllm25paged_attention_v1_kernelI14__hip_bfloat16hLi32ELi16ELi128ELNS_18Fp8KVCacheDataTypeE1ELb0EEEvPT_PKS3_PKT0_S9_ifPKiSB_iPKfiiiSD_SD_iiiii
	.p2align	8
	.type	_ZN4vllm25paged_attention_v1_kernelI14__hip_bfloat16hLi32ELi16ELi128ELNS_18Fp8KVCacheDataTypeE1ELb0EEEvPT_PKS3_PKT0_S9_ifPKiSB_iPKfiiiSD_SD_iiiii,@function
_ZN4vllm25paged_attention_v1_kernelI14__hip_bfloat16hLi32ELi16ELi128ELNS_18Fp8KVCacheDataTypeE1ELb0EEEvPT_PKS3_PKT0_S9_ifPKiSB_iPKfiiiSD_SD_iiiii: ; @_ZN4vllm25paged_attention_v1_kernelI14__hip_bfloat16hLi32ELi16ELi128ELNS_18Fp8KVCacheDataTypeE1ELb0EEEvPT_PKS3_PKT0_S9_ifPKiSB_iPKfiiiSD_SD_iiiii
; %bb.0:
	s_load_dword s5, s[0:1], 0x80
	s_load_dwordx2 s[6:7], s[0:1], 0x30
	s_load_dwordx2 s[28:29], s[0:1], 0x20
	s_mov_b32 s16, s3
	s_ashr_i32 s17, s3, 31
	s_lshl_b64 s[8:9], s[16:17], 2
	s_waitcnt lgkmcnt(0)
	s_add_u32 s6, s6, s8
	s_addc_u32 s7, s7, s9
	s_abs_i32 s3, s28
	v_cvt_f32_u32_e32 v1, s3
	s_sub_i32 s10, 0, s3
	s_abs_i32 s9, s5
	s_xor_b32 s8, s5, s28
	v_rcp_iflag_f32_e32 v1, v1
	s_ashr_i32 s8, s8, 31
	s_mov_b32 s28, 0
	v_mul_f32_e32 v1, 0x4f7ffffe, v1
	v_cvt_u32_f32_e32 v1, v1
	s_nop 0
	v_readfirstlane_b32 s11, v1
	s_mul_i32 s10, s10, s11
	s_mul_hi_u32 s10, s11, s10
	s_add_i32 s11, s11, s10
	s_mul_hi_u32 s10, s9, s11
	s_mul_i32 s11, s10, s3
	s_sub_i32 s9, s9, s11
	s_add_i32 s11, s10, 1
	s_sub_i32 s12, s9, s3
	s_cmp_ge_u32 s9, s3
	s_cselect_b32 s10, s11, s10
	s_cselect_b32 s9, s12, s9
	s_add_i32 s11, s10, 1
	s_cmp_ge_u32 s9, s3
	s_cselect_b32 s3, s11, s10
	s_xor_b32 s3, s3, s8
	s_sub_i32 s18, s3, s8
	s_abs_i32 s10, s18
	v_cvt_f32_u32_e32 v1, s10
	s_load_dwordx2 s[8:9], s[0:1], 0x40
	s_sub_i32 s3, 0, s10
	s_abs_i32 s11, s2
	v_rcp_iflag_f32_e32 v1, v1
	s_nop 0
	v_mul_f32_e32 v1, 0x4f7ffffe, v1
	v_cvt_u32_f32_e32 v1, v1
	s_nop 0
	v_readfirstlane_b32 s12, v1
	s_mul_i32 s3, s3, s12
	s_mul_hi_u32 s3, s12, s3
	s_add_i32 s12, s12, s3
	s_waitcnt lgkmcnt(0)
	s_cmp_eq_u64 s[8:9], 0
	s_mul_hi_u32 s20, s11, s12
	s_cbranch_scc1 .LBB299_2
; %bb.1:
	s_ashr_i32 s3, s2, 31
	s_lshl_b64 s[12:13], s[2:3], 2
	s_add_u32 s8, s8, s12
	s_addc_u32 s9, s9, s13
	s_load_dword s28, s[8:9], 0x0
.LBB299_2:
	s_load_dword s17, s[6:7], 0x0
	s_load_dwordx4 s[12:15], s[0:1], 0x48
	s_ashr_i32 s6, s2, 31
	s_ashr_i32 s7, s18, 31
	v_and_b32_e32 v2, 3, v0
	s_lshl_b32 s18, s2, 5
	v_cmp_gt_u32_e32 vcc, 16, v0
	s_and_saveexec_b64 s[2:3], vcc
	s_cbranch_execz .LBB299_4
; %bb.3:
	s_load_dwordx2 s[8:9], s[0:1], 0x8
	s_waitcnt lgkmcnt(0)
	s_mul_i32 s22, s12, s16
	s_ashr_i32 s23, s22, 31
	s_lshl_b64 s[22:23], s[22:23], 1
	v_lshlrev_b32_e32 v1, 2, v0
	s_add_u32 s12, s8, s22
	s_addc_u32 s15, s9, s23
	s_ashr_i32 s19, s18, 31
	s_lshl_b64 s[8:9], s[18:19], 1
	s_add_u32 s8, s12, s8
	s_addc_u32 s9, s15, s9
	global_load_dword v1, v1, s[8:9]
	v_and_b32_e32 v3, 0x3fc, v0
	v_lshl_add_u32 v3, v2, 4, v3
	s_waitcnt vmcnt(0)
	ds_write_b32 v3, v1
.LBB299_4:
	s_or_b64 exec, exec, s[2:3]
	s_waitcnt lgkmcnt(0)
	s_add_i32 s3, s17, 15
	s_ashr_i32 s8, s3, 31
	s_lshr_b32 s8, s8, 28
	s_add_i32 s3, s3, s8
	s_ashr_i32 s19, s3, 4
	s_xor_b32 s3, s6, s7
	s_mul_i32 s6, s20, s10
	s_sub_i32 s6, s11, s6
	s_add_i32 s7, s20, 1
	s_sub_i32 s8, s6, s10
	s_load_dwordx2 s[22:23], s[0:1], 0x28
	s_load_dword s2, s[0:1], 0x38
	s_cmp_ge_u32 s6, s10
	s_cselect_b32 s7, s7, s20
	s_cselect_b32 s6, s8, s6
	s_add_i32 s8, s7, 1
	s_cmp_ge_u32 s6, s10
	s_cselect_b32 s6, s8, s7
	v_lshrrev_b32_e32 v1, 6, v0
	s_xor_b32 s6, s6, s3
	s_waitcnt lgkmcnt(0)
	s_mul_i32 s24, s2, s16
	s_sub_i32 s33, s6, s3
	s_ashr_i32 s25, s24, 31
	v_cmp_gt_i32_e64 s[2:3], s19, v1
	v_cmp_le_i32_e32 vcc, s19, v1
	v_mbcnt_lo_u32_b32 v3, -1, 0
	s_barrier
                                        ; implicit-def: $vgpr7
                                        ; implicit-def: $vgpr9
                                        ; implicit-def: $vgpr8
	s_and_saveexec_b64 s[6:7], vcc
	s_xor_b64 s[6:7], exec, s[6:7]
; %bb.5:
	v_mbcnt_hi_u32_b32 v7, -1, v3
	v_and_b32_e32 v9, 64, v7
	v_add_u32_e32 v8, 64, v9
                                        ; implicit-def: $vgpr2
                                        ; implicit-def: $vgpr3
; %bb.6:
	s_or_saveexec_b64 s[30:31], s[6:7]
	s_load_dwordx2 s[20:21], s[0:1], 0x0
	s_load_dwordx2 s[26:27], s[0:1], 0x18
	s_load_dword s12, s[0:1], 0x88
	s_load_dwordx4 s[8:11], s[0:1], 0x58
	v_mov_b32_e32 v15, 0xff7fffff
	s_mul_i32 s33, s33, s14
	v_lshrrev_b32_e32 v6, 4, v0
	s_xor_b64 exec, exec, s[30:31]
	s_cbranch_execz .LBB299_12
; %bb.7:
	v_lshlrev_b32_e32 v4, 4, v2
	s_load_dwordx2 s[0:1], s[0:1], 0x10
	ds_read_b128 v[16:19], v4
	v_mbcnt_hi_u32_b32 v7, -1, v3
	v_and_b32_e32 v9, 64, v7
	v_add_u32_e32 v8, 64, v9
	v_xor_b32_e32 v3, 2, v7
	v_cmp_lt_i32_e32 vcc, v3, v8
	s_ashr_i32 s6, s33, 31
	v_bfe_u32 v15, v0, 2, 4
	v_cndmask_b32_e32 v3, v7, v3, vcc
	s_waitcnt lgkmcnt(0)
	s_add_u32 s0, s0, s33
	v_lshlrev_b32_e32 v10, 16, v16
	v_and_b32_e32 v11, 0xffff0000, v16
	v_lshlrev_b32_e32 v12, 16, v17
	v_and_b32_e32 v13, 0xffff0000, v17
	;; [unrolled: 2-line block ×4, first 2 shown]
	v_lshlrev_b32_e32 v19, 2, v3
	v_xor_b32_e32 v3, 1, v7
	s_addc_u32 s1, s1, s6
	v_lshlrev_b32_e32 v4, 4, v15
	v_mov_b32_e32 v5, 0
	v_cmp_lt_i32_e32 vcc, v3, v8
	v_lshl_add_u64 v[22:23], s[0:1], 0, v[4:5]
	v_lshlrev_b32_e32 v4, 1, v2
	v_cndmask_b32_e32 v3, v7, v3, vcc
	s_load_dword s35, s[8:9], 0x0
	v_lshlrev_b32_e32 v20, 2, v3
	v_cmp_eq_u32_e32 vcc, 0, v2
	v_lshl_add_u64 v[2:3], v[22:23], 0, v[4:5]
	s_sub_i32 s36, 1, s17
	v_lshlrev_b32_e32 v4, 2, v15
	s_lshl_b64 s[6:7], s[24:25], 2
	v_lshl_or_b32 v4, v1, 6, v4
	s_add_u32 s6, s22, s6
	v_add_u32_e32 v22, 0x50, v4
	v_and_b32_e32 v4, 60, v6
	s_addc_u32 s7, s23, s7
	s_mov_b32 s34, s13
	v_cmp_neq_f32_e64 s[0:1], s28, 0
	v_lshl_or_b32 v21, v1, 4, v15
	v_lshl_add_u64 v[4:5], s[6:7], 0, v[4:5]
	v_mov_b32_e32 v15, 0xff7fffff
	s_mov_b64 s[8:9], 0
	s_mov_b32 s37, 0xffff
	v_mov_b32_e32 v23, v1
	s_branch .LBB299_9
.LBB299_8:                              ;   in Loop: Header=BB299_9 Depth=1
	s_or_b64 exec, exec, s[14:15]
	v_add_u32_e32 v23, 2, v23
	v_cmp_le_i32_e64 s[6:7], s19, v23
	v_add_u32_e32 v21, 32, v21
	v_add_u32_e32 v22, 0x80, v22
	s_or_b64 s[8:9], s[6:7], s[8:9]
	v_lshl_add_u64 v[4:5], v[4:5], 0, 8
	s_andn2_b64 exec, exec, s[8:9]
	s_cbranch_execz .LBB299_11
.LBB299_9:                              ; =>This Inner Loop Header: Depth=1
	global_load_dword v24, v[4:5], off
	s_waitcnt vmcnt(0) lgkmcnt(0)
	v_mad_i64_i32 v[24:25], s[6:7], v24, s34, v[2:3]
	global_load_ushort v26, v[24:25], off
	global_load_ushort v27, v[24:25], off offset:8
	global_load_ushort v28, v[24:25], off offset:256
	;; [unrolled: 1-line block ×3, first 2 shown]
	s_waitcnt vmcnt(3)
	v_and_b32_sdwa v24, s37, v26 dst_sel:DWORD dst_unused:UNUSED_PAD src0_sel:DWORD src1_sel:BYTE_0
	v_lshrrev_b16_e32 v25, 8, v26
	s_waitcnt vmcnt(2)
	v_and_b32_sdwa v26, s37, v27 dst_sel:DWORD dst_unused:UNUSED_PAD src0_sel:DWORD src1_sel:BYTE_0
	v_lshrrev_b16_e32 v27, 8, v27
	v_cvt_f32_fp8_e32 v26, v26
	v_cvt_f32_fp8_e32 v27, v27
	s_waitcnt vmcnt(1)
	v_and_b32_sdwa v30, s37, v28 dst_sel:DWORD dst_unused:UNUSED_PAD src0_sel:DWORD src1_sel:BYTE_0
	v_lshrrev_b16_e32 v28, 8, v28
	v_cvt_f32_fp8_e32 v24, v24
	v_cvt_f32_fp8_e32 v25, v25
	;; [unrolled: 5-line block ×3, first 2 shown]
	v_cvt_f32_fp8_e32 v31, v31
	v_cvt_f32_fp8_e32 v29, v29
	s_waitcnt lgkmcnt(0)
	v_mul_f32_e32 v26, s35, v26
	v_mul_f32_e32 v27, s35, v27
	;; [unrolled: 1-line block ×4, first 2 shown]
	v_cvt_pk_bf16_f32 v26, v26, s0
	v_cvt_pk_bf16_f32 v27, v27, s0
	v_mul_f32_e32 v30, s35, v30
	v_mul_f32_e32 v28, s35, v28
	v_cvt_pk_bf16_f32 v24, v24, s0
	v_cvt_pk_bf16_f32 v25, v25, s0
	v_lshlrev_b32_e32 v26, 16, v26
	v_lshlrev_b32_e32 v27, 16, v27
	v_mul_f32_e32 v31, s35, v31
	v_mul_f32_e32 v29, s35, v29
	v_cvt_pk_bf16_f32 v30, v30, s0
	v_cvt_pk_bf16_f32 v28, v28, s0
	v_lshlrev_b32_e32 v24, 16, v24
	v_lshlrev_b32_e32 v25, 16, v25
	;; [unrolled: 6-line block ×3, first 2 shown]
	v_fmac_f32_e32 v26, v10, v24
	v_fmac_f32_e32 v27, v11, v25
	v_lshlrev_b32_e32 v31, 16, v31
	v_lshlrev_b32_e32 v29, 16, v29
	v_fmac_f32_e32 v26, v14, v30
	v_fmac_f32_e32 v27, v16, v28
	;; [unrolled: 1-line block ×4, first 2 shown]
	v_add_f32_e32 v24, v26, v27
	ds_bpermute_b32 v25, v19, v24
	s_waitcnt lgkmcnt(0)
	v_add_f32_e32 v24, v24, v25
	ds_bpermute_b32 v25, v20, v24
	s_and_saveexec_b64 s[14:15], vcc
	s_cbranch_execz .LBB299_8
; %bb.10:                               ;   in Loop: Header=BB299_9 Depth=1
	v_add_u32_e32 v26, s36, v21
	v_cvt_f32_i32_e32 v26, v26
	s_waitcnt lgkmcnt(0)
	v_add_f32_e32 v24, v24, v25
	v_cmp_gt_i32_e64 s[6:7], s17, v21
	v_max_f32_e32 v25, v15, v15
	v_mul_f32_e32 v26, s28, v26
	v_cndmask_b32_e64 v26, 0, v26, s[0:1]
	v_fmac_f32_e32 v26, s29, v24
	v_cndmask_b32_e64 v24, 0, v26, s[6:7]
	ds_write_b32 v22, v24
	v_max_f32_e32 v24, v25, v26
	v_cndmask_b32_e64 v15, v15, v24, s[6:7]
	s_branch .LBB299_8
.LBB299_11:
	s_or_b64 exec, exec, s[8:9]
.LBB299_12:
	s_or_b64 exec, exec, s[30:31]
	v_xor_b32_e32 v2, 32, v7
	v_cmp_lt_i32_e32 vcc, v2, v8
	v_xor_b32_e32 v5, 16, v7
	v_max_f32_e32 v4, v15, v15
	v_cndmask_b32_e32 v2, v7, v2, vcc
	v_lshlrev_b32_e32 v2, 2, v2
	ds_bpermute_b32 v3, v2, v15
	v_cmp_lt_i32_e32 vcc, v5, v8
	v_xor_b32_e32 v10, 8, v7
	v_xor_b32_e32 v11, 4, v7
	v_and_b32_e32 v16, 63, v0
	s_waitcnt lgkmcnt(0)
	v_max_f32_e32 v3, v3, v3
	v_max_f32_e32 v4, v4, v3
	v_cndmask_b32_e32 v3, v7, v5, vcc
	v_lshlrev_b32_e32 v3, 2, v3
	ds_bpermute_b32 v5, v3, v4
	v_cmp_lt_i32_e32 vcc, v10, v8
	s_waitcnt lgkmcnt(0)
	v_max_f32_e32 v5, v5, v5
	v_max_f32_e32 v4, v4, v5
	v_cndmask_b32_e32 v5, v7, v10, vcc
	v_lshlrev_b32_e32 v10, 2, v5
	ds_bpermute_b32 v5, v10, v4
	v_cmp_lt_i32_e32 vcc, v11, v8
	s_waitcnt lgkmcnt(0)
	v_max_f32_e32 v5, v5, v5
	v_max_f32_e32 v5, v4, v5
	v_cndmask_b32_e32 v4, v7, v11, vcc
	v_lshlrev_b32_e32 v11, 2, v4
	ds_bpermute_b32 v12, v11, v5
	v_cmp_eq_u32_e32 vcc, 0, v16
	v_lshlrev_b32_e32 v4, 2, v1
	s_and_saveexec_b64 s[0:1], vcc
	s_cbranch_execz .LBB299_14
; %bb.13:
	s_waitcnt lgkmcnt(0)
	v_max_f32_e32 v12, v12, v12
	v_max_f32_e32 v5, v5, v5
	;; [unrolled: 1-line block ×3, first 2 shown]
	ds_write_b32 v4, v5 offset:64
.LBB299_14:
	s_or_b64 exec, exec, s[0:1]
	v_cmp_gt_u32_e64 s[0:1], 2, v16
	s_waitcnt lgkmcnt(0)
	v_mov_b32_e32 v12, 0xff7fffff
	v_lshlrev_b32_e32 v5, 2, v16
	s_barrier
	s_and_saveexec_b64 s[6:7], s[0:1]
; %bb.15:
	ds_read_b32 v12, v5 offset:64
; %bb.16:
	s_or_b64 exec, exec, s[6:7]
	v_xor_b32_e32 v13, 1, v7
	v_cmp_lt_i32_e64 s[6:7], v13, v8
	v_lshlrev_b32_e32 v9, 2, v9
	s_nop 0
	v_cndmask_b32_e64 v13, v7, v13, s[6:7]
	v_lshlrev_b32_e32 v17, 2, v13
	s_waitcnt lgkmcnt(0)
	ds_bpermute_b32 v13, v17, v12
	v_max_f32_e32 v12, v12, v12
	s_lshl_b32 s6, s19, 4
	s_min_i32 s30, s6, s17
	v_cmp_gt_i32_e64 s[6:7], s30, v0
	s_waitcnt lgkmcnt(0)
	v_max_f32_e32 v13, v13, v13
	v_max_f32_e32 v12, v12, v13
	ds_bpermute_b32 v12, v9, v12
	v_mov_b32_e32 v9, 0
	s_and_saveexec_b64 s[14:15], s[6:7]
	s_cbranch_execz .LBB299_20
; %bb.17:
	v_mov_b32_e32 v9, 0x50
	v_lshl_add_u32 v13, v0, 2, v9
	v_mov_b32_e32 v9, 0
	s_mov_b64 s[28:29], 0
	v_mov_b32_e32 v14, v0
.LBB299_18:                             ; =>This Inner Loop Header: Depth=1
	ds_read_b32 v15, v13
	v_add_u32_e32 v14, 0x80, v14
	v_cmp_le_i32_e64 s[8:9], s30, v14
	s_or_b64 s[28:29], s[8:9], s[28:29]
	s_waitcnt lgkmcnt(0)
	v_sub_f32_e32 v15, v15, v12
	v_mul_f32_e32 v15, 0x3fb8aa3b, v15
	v_exp_f32_e32 v15, v15
	ds_write_b32 v13, v15
	v_add_f32_e32 v9, v9, v15
	v_add_u32_e32 v13, 0x200, v13
	s_andn2_b64 exec, exec, s[28:29]
	s_cbranch_execnz .LBB299_18
; %bb.19:
	s_or_b64 exec, exec, s[28:29]
.LBB299_20:
	s_or_b64 exec, exec, s[14:15]
	ds_bpermute_b32 v2, v2, v9
	s_waitcnt lgkmcnt(0)
	v_add_f32_e32 v2, v9, v2
	ds_bpermute_b32 v3, v3, v2
	v_xor_b32_e32 v9, 2, v7
	v_cmp_lt_i32_e64 s[8:9], v9, v8
	s_waitcnt lgkmcnt(0)
	v_add_f32_e32 v2, v2, v3
	ds_bpermute_b32 v3, v10, v2
	v_cndmask_b32_e64 v8, v7, v9, s[8:9]
	s_waitcnt lgkmcnt(0)
	v_add_f32_e32 v2, v2, v3
	ds_bpermute_b32 v3, v11, v2
	s_waitcnt lgkmcnt(0)
	v_add_f32_e32 v2, v2, v3
	v_lshlrev_b32_e32 v3, 2, v8
	ds_bpermute_b32 v3, v3, v2
	s_waitcnt lgkmcnt(0)
	v_add_f32_e32 v2, v2, v3
	ds_bpermute_b32 v3, v17, v2
	s_waitcnt lgkmcnt(0)
	v_add_f32_e32 v2, v2, v3
	s_and_saveexec_b64 s[8:9], vcc
; %bb.21:
	ds_write_b32 v4, v2 offset:72
; %bb.22:
	s_or_b64 exec, exec, s[8:9]
	s_waitcnt lgkmcnt(0)
	s_barrier
	s_and_saveexec_b64 s[8:9], s[0:1]
; %bb.23:
	ds_read_b32 v2, v5 offset:72
; %bb.24:
	s_or_b64 exec, exec, s[8:9]
	s_waitcnt lgkmcnt(0)
	ds_bpermute_b32 v3, v17, v2
	v_lshlrev_b32_e32 v4, 2, v7
	s_waitcnt lgkmcnt(0)
	v_add_f32_e32 v2, v2, v3
	v_and_b32_e32 v3, 0xffffff00, v4
	ds_bpermute_b32 v2, v3, v2
	s_and_saveexec_b64 s[0:1], s[6:7]
	s_cbranch_execz .LBB299_37
; %bb.25:
	s_waitcnt lgkmcnt(0)
	v_add_f32_e32 v2, 0x358637bd, v2
	v_div_scale_f32 v3, s[6:7], v2, v2, 1.0
	v_rcp_f32_e32 v4, v3
	v_div_scale_f32 v5, vcc, 1.0, v2, 1.0
	s_movk_i32 s6, 0x7f
	v_fma_f32 v7, -v3, v4, 1.0
	v_fmac_f32_e32 v4, v7, v4
	v_mul_f32_e32 v7, v5, v4
	v_fma_f32 v8, -v3, v7, v5
	v_fmac_f32_e32 v7, v8, v4
	v_fma_f32 v3, -v3, v7, v5
	v_div_fmas_f32 v3, v3, v4, v7
	v_xad_u32 v4, v0, -1, s30
	v_div_fixup_f32 v2, v3, v2, 1.0
	v_cmp_lt_u32_e32 vcc, s6, v4
	s_mov_b64 s[8:9], -1
	v_mov_b32_e32 v3, v0
	s_and_saveexec_b64 s[6:7], vcc
	s_cbranch_execz .LBB299_34
; %bb.26:
	v_lshrrev_b32_e32 v4, 7, v4
	v_add_u32_e32 v7, -1, v4
	v_lshrrev_b32_e32 v5, 1, v7
	v_mov_b32_e32 v3, v2
	v_add_u32_e32 v5, 1, v5
	v_cmp_lt_u32_e32 vcc, 13, v7
	v_mov_b32_e32 v9, 0
	s_and_saveexec_b64 s[8:9], vcc
	s_cbranch_execz .LBB299_30
; %bb.27:
	v_mov_b32_e32 v8, 0x50
	v_and_b32_e32 v7, -8, v5
	v_lshl_add_u32 v8, v0, 2, v8
	s_mov_b32 s28, 0
	s_mov_b64 s[14:15], 0
.LBB299_28:                             ; =>This Inner Loop Header: Depth=1
	ds_read2st64_b32 v[10:11], v8 offset1:2
	ds_read2st64_b32 v[12:13], v8 offset0:4 offset1:6
	ds_read2st64_b32 v[14:15], v8 offset0:8 offset1:10
	;; [unrolled: 1-line block ×3, first 2 shown]
	v_add_u32_e32 v7, -8, v7
	s_waitcnt lgkmcnt(3)
	v_pk_mul_f32 v[10:11], v[2:3], v[10:11]
	s_waitcnt lgkmcnt(2)
	v_pk_mul_f32 v[12:13], v[2:3], v[12:13]
	ds_write2st64_b32 v8, v10, v11 offset1:2
	ds_write2st64_b32 v8, v12, v13 offset0:4 offset1:6
	ds_read2st64_b32 v[12:13], v8 offset0:16 offset1:18
	s_waitcnt lgkmcnt(4)
	v_pk_mul_f32 v[10:11], v[2:3], v[14:15]
	ds_write2st64_b32 v8, v10, v11 offset0:8 offset1:10
	s_waitcnt lgkmcnt(4)
	v_pk_mul_f32 v[10:11], v[2:3], v[18:19]
	ds_write2st64_b32 v8, v10, v11 offset0:12 offset1:14
	ds_read2st64_b32 v[10:11], v8 offset0:20 offset1:22
	s_waitcnt lgkmcnt(3)
	v_pk_mul_f32 v[12:13], v[2:3], v[12:13]
	ds_read2st64_b32 v[14:15], v8 offset0:24 offset1:26
	ds_write2st64_b32 v8, v12, v13 offset0:16 offset1:18
	ds_read2st64_b32 v[12:13], v8 offset0:28 offset1:30
	s_waitcnt lgkmcnt(3)
	v_pk_mul_f32 v[10:11], v[2:3], v[10:11]
	ds_write2st64_b32 v8, v10, v11 offset0:20 offset1:22
	s_waitcnt lgkmcnt(3)
	v_pk_mul_f32 v[10:11], v[2:3], v[14:15]
	ds_write2st64_b32 v8, v10, v11 offset0:24 offset1:26
	s_waitcnt lgkmcnt(2)
	v_pk_mul_f32 v[10:11], v[2:3], v[12:13]
	s_add_i32 s28, s28, 16
	v_cmp_eq_u32_e32 vcc, 0, v7
	ds_write2st64_b32 v8, v10, v11 offset0:28 offset1:30
	v_add_u32_e32 v8, 0x2000, v8
	s_or_b64 s[14:15], vcc, s[14:15]
	v_mov_b32_e32 v9, s28
	s_andn2_b64 exec, exec, s[14:15]
	s_cbranch_execnz .LBB299_28
; %bb.29:
	s_or_b64 exec, exec, s[14:15]
.LBB299_30:
	s_or_b64 exec, exec, s[8:9]
	v_and_b32_e32 v5, 7, v5
	v_cmp_ne_u32_e32 vcc, 0, v5
	s_and_saveexec_b64 s[8:9], vcc
	s_cbranch_execz .LBB299_33
; %bb.31:
	v_lshlrev_b32_e32 v7, 9, v9
	v_lshlrev_b32_e32 v8, 2, v0
	s_movk_i32 s14, 0x50
	v_add3_u32 v7, v7, v8, s14
	s_mov_b64 s[14:15], 0
.LBB299_32:                             ; =>This Inner Loop Header: Depth=1
	ds_read2st64_b32 v[8:9], v7 offset1:2
	v_add_u32_e32 v5, -1, v5
	v_cmp_eq_u32_e32 vcc, 0, v5
	s_or_b64 s[14:15], vcc, s[14:15]
	s_waitcnt lgkmcnt(0)
	v_pk_mul_f32 v[8:9], v[2:3], v[8:9]
	ds_write2st64_b32 v7, v8, v9 offset1:2
	v_add_u32_e32 v7, 0x400, v7
	s_andn2_b64 exec, exec, s[14:15]
	s_cbranch_execnz .LBB299_32
.LBB299_33:
	s_or_b64 exec, exec, s[8:9]
	v_add_u32_e32 v4, 1, v4
	v_and_b32_e32 v5, 0x3fffffe, v4
	v_cmp_ne_u32_e32 vcc, v4, v5
	v_lshl_add_u32 v3, v5, 7, v0
	s_orn2_b64 s[8:9], vcc, exec
.LBB299_34:
	s_or_b64 exec, exec, s[6:7]
	s_and_b64 exec, exec, s[8:9]
	s_cbranch_execz .LBB299_37
; %bb.35:
	v_mov_b32_e32 v4, 0x50
	v_lshl_add_u32 v4, v3, 2, v4
	s_mov_b64 s[6:7], 0
.LBB299_36:                             ; =>This Inner Loop Header: Depth=1
	ds_read_b32 v5, v4
	v_add_u32_e32 v3, 0x80, v3
	v_cmp_le_i32_e32 vcc, s30, v3
	s_or_b64 s[6:7], vcc, s[6:7]
	s_waitcnt lgkmcnt(0)
	v_mul_f32_e32 v5, v2, v5
	ds_write_b32 v4, v5
	v_add_u32_e32 v4, 0x200, v4
	s_andn2_b64 exec, exec, s[6:7]
	s_cbranch_execnz .LBB299_36
.LBB299_37:
	s_or_b64 exec, exec, s[0:1]
	v_mov_b32_e32 v11, 0
	s_waitcnt lgkmcnt(0)
	s_barrier
	s_and_saveexec_b64 s[0:1], s[2:3]
	s_cbranch_execz .LBB299_43
; %bb.38:
	s_ashr_i32 s3, s33, 31
	v_lshlrev_b32_e32 v2, 3, v0
	s_add_u32 s2, s26, s33
	v_and_b32_e32 v3, 8, v2
	s_addc_u32 s3, s27, s3
	v_and_b32_e32 v10, 0x1f8, v2
	v_mov_b32_e32 v11, 0
	s_load_dword s9, s[10:11], 0x0
	v_lshlrev_b32_e32 v2, 4, v1
	v_lshl_add_u64 v[12:13], s[2:3], 0, v[10:11]
	s_add_i32 s10, s19, -1
	v_or3_b32 v18, v2, v3, 7
	v_and_b32_e32 v2, 1, v0
	s_lshl_b64 s[2:3], s[24:25], 2
	v_lshlrev_b32_e32 v2, 5, v2
	s_add_u32 s2, s22, s2
	v_lshl_or_b32 v2, v1, 6, v2
	v_and_b32_e32 v10, 60, v6
	s_addc_u32 s3, s23, s3
	s_mov_b32 s8, s13
	v_add_u32_e32 v19, 0x50, v2
	v_lshl_add_u64 v[14:15], s[2:3], 0, v[10:11]
	s_mov_b64 s[2:3], 0
	s_branch .LBB299_40
.LBB299_39:                             ;   in Loop: Header=BB299_40 Depth=1
	s_or_b64 exec, exec, s[6:7]
	v_cvt_pk_bf16_f32 v2, v2, s0
	v_lshlrev_b32_e32 v2, 16, v2
	v_lshlrev_b32_e32 v22, 16, v22
	v_cvt_pk_bf16_f32 v3, v3, s0
	v_mul_f32_e32 v2, v2, v22
	v_cvt_pk_bf16_f32 v22, v2, s0
	v_lshlrev_b32_e32 v2, 16, v3
	v_lshlrev_b32_e32 v3, 16, v21
	v_cvt_pk_bf16_f32 v4, v4, s0
	v_mul_f32_e32 v2, v2, v3
	v_cvt_pk_bf16_f32 v6, v6, s0
	v_cvt_pk_bf16_f32 v7, v7, s0
	;; [unrolled: 1-line block ×5, first 2 shown]
	v_lshlrev_b32_e32 v2, 16, v4
	v_lshlrev_b32_e32 v3, 16, v20
	v_cvt_pk_bf16_f32 v5, v5, s0
	v_lshlrev_b32_e32 v6, 16, v6
	v_lshlrev_b32_e32 v26, 16, v26
	;; [unrolled: 1-line block ×8, first 2 shown]
	v_mul_f32_e32 v2, v2, v3
	v_mul_f32_e32 v6, v6, v26
	;; [unrolled: 1-line block ×5, first 2 shown]
	v_cvt_pk_bf16_f32 v20, v2, s0
	v_lshlrev_b32_e32 v2, 16, v5
	v_lshlrev_b32_e32 v3, 16, v10
	v_cvt_pk_bf16_f32 v6, v6, s0
	v_cvt_pk_bf16_f32 v7, v7, s0
	;; [unrolled: 1-line block ×4, first 2 shown]
	v_mul_f32_e32 v2, v2, v3
	v_cvt_pk_bf16_f32 v10, v2, s0
	v_lshlrev_b32_e32 v3, 16, v7
	v_lshlrev_b32_e32 v5, 16, v6
	;; [unrolled: 1-line block ×4, first 2 shown]
	v_pk_add_f32 v[2:3], v[4:5], v[2:3]
	v_lshlrev_b32_e32 v5, 16, v21
	v_lshlrev_b32_e32 v7, 16, v22
	;; [unrolled: 1-line block ×4, first 2 shown]
	v_pk_add_f32 v[4:5], v[6:7], v[4:5]
	v_add_f32_e32 v2, v2, v3
	v_add_f32_e32 v2, v5, v2
	v_add_u32_e32 v1, 2, v1
	v_add_f32_e32 v2, v4, v2
	v_cmp_le_i32_e32 vcc, s19, v1
	v_add_f32_e32 v11, v11, v2
	v_add_u32_e32 v18, 32, v18
	v_add_u32_e32 v19, 0x80, v19
	s_or_b64 s[2:3], vcc, s[2:3]
	v_lshl_add_u64 v[14:15], v[14:15], 0, 8
	s_andn2_b64 exec, exec, s[2:3]
	s_cbranch_execz .LBB299_42
.LBB299_40:                             ; =>This Inner Loop Header: Depth=1
	global_load_dword v2, v[14:15], off
	v_cmp_eq_u32_e32 vcc, s10, v1
	s_waitcnt vmcnt(0)
	v_mad_i64_i32 v[2:3], s[6:7], v2, s8, v[12:13]
	global_load_dwordx2 v[20:21], v[2:3], off
	ds_read2_b64 v[6:9], v19 offset1:1
	ds_read2_b64 v[2:5], v19 offset0:2 offset1:3
	s_waitcnt vmcnt(0)
	v_and_b32_e32 v10, 0xff, v20
	v_bfe_u32 v22, v20, 8, 8
	v_bfe_u32 v23, v20, 16, 8
	v_lshrrev_b32_e32 v20, 24, v20
	v_and_b32_e32 v24, 0xff, v21
	v_bfe_u32 v25, v21, 8, 8
	v_bfe_u32 v26, v21, 16, 8
	v_lshrrev_b32_e32 v21, 24, v21
	v_cvt_f32_fp8_e32 v10, v10
	v_cvt_f32_fp8_e32 v22, v22
	;; [unrolled: 1-line block ×8, first 2 shown]
	s_waitcnt lgkmcnt(0)
	v_mul_f32_e32 v10, s9, v10
	v_mul_f32_e32 v22, s9, v22
	;; [unrolled: 1-line block ×8, first 2 shown]
	v_cvt_pk_bf16_f32 v26, v10, s0
	v_cvt_pk_bf16_f32 v25, v22, s0
	;; [unrolled: 1-line block ×8, first 2 shown]
	s_and_saveexec_b64 s[6:7], vcc
	s_cbranch_execz .LBB299_39
; %bb.41:                               ;   in Loop: Header=BB299_40 Depth=1
	v_add_u32_e32 v27, -7, v18
	v_cmp_gt_i32_e32 vcc, s17, v27
	v_add_u32_e32 v27, -6, v18
	s_nop 0
	v_cndmask_b32_e32 v26, 0, v26, vcc
	v_cmp_gt_i32_e32 vcc, s17, v27
	v_add_u32_e32 v27, -5, v18
	s_nop 0
	v_cndmask_b32_e32 v25, 0, v25, vcc
	;; [unrolled: 4-line block ×6, first 2 shown]
	v_cmp_gt_i32_e32 vcc, s17, v27
	s_nop 1
	v_cndmask_b32_e32 v20, 0, v20, vcc
	v_cmp_gt_i32_e32 vcc, s17, v18
	s_nop 1
	v_cndmask_b32_e32 v10, 0, v10, vcc
	s_branch .LBB299_39
.LBB299_42:
	s_or_b64 exec, exec, s[2:3]
.LBB299_43:
	s_or_b64 exec, exec, s[0:1]
	ds_bpermute_b32 v1, v17, v11
	v_and_b32_e32 v2, 0x3c1, v0
	v_cmp_eq_u32_e32 vcc, 64, v2
	s_waitcnt lgkmcnt(0)
	s_barrier
	v_add_f32_e32 v1, v11, v1
	s_and_saveexec_b64 s[0:1], vcc
; %bb.44:
	v_mov_b32_e32 v3, 0x50
	v_lshl_add_u32 v3, v16, 1, v3
	ds_write_b32 v3, v1
; %bb.45:
	s_or_b64 exec, exec, s[0:1]
	v_lshrrev_b32_e32 v0, 1, v0
	v_cmp_eq_u32_e32 vcc, 0, v2
	s_waitcnt lgkmcnt(0)
	s_barrier
	s_and_saveexec_b64 s[0:1], vcc
	s_cbranch_execz .LBB299_47
; %bb.46:
	v_mov_b32_e32 v2, 0x50
	v_lshl_add_u32 v2, v0, 2, v2
	ds_read_b32 v2, v2
	s_waitcnt lgkmcnt(0)
	v_add_f32_e32 v1, v1, v2
.LBB299_47:
	s_or_b64 exec, exec, s[0:1]
	s_barrier
	s_and_saveexec_b64 s[0:1], vcc
	s_cbranch_execz .LBB299_49
; %bb.48:
	s_mul_i32 s0, s16, s12
	s_mul_i32 s0, s0, s5
	s_lshl_b32 s0, s0, 5
	s_ashr_i32 s1, s0, 31
	s_lshl_b64 s[0:1], s[0:1], 1
	s_add_u32 s2, s20, s0
	s_mul_i32 s0, s12, s18
	s_addc_u32 s3, s21, s1
	s_ashr_i32 s1, s0, 31
	s_lshl_b64 s[0:1], s[0:1], 1
	s_add_u32 s2, s2, s0
	s_addc_u32 s3, s3, s1
	s_lshl_b32 s0, s4, 5
	s_ashr_i32 s1, s0, 31
	s_lshl_b64 s[0:1], s[0:1], 1
	s_add_u32 s0, s2, s0
	s_addc_u32 s1, s3, s1
	v_lshlrev_b32_e32 v0, 1, v0
	v_cvt_pk_bf16_f32 v1, v1, s0
	global_store_short v0, v1, s[0:1]
.LBB299_49:
	s_endpgm
	.section	.rodata,"a",@progbits
	.p2align	6, 0x0
	.amdhsa_kernel _ZN4vllm25paged_attention_v1_kernelI14__hip_bfloat16hLi32ELi16ELi128ELNS_18Fp8KVCacheDataTypeE1ELb0EEEvPT_PKS3_PKT0_S9_ifPKiSB_iPKfiiiSD_SD_iiiii
		.amdhsa_group_segment_fixed_size 80
		.amdhsa_private_segment_fixed_size 0
		.amdhsa_kernarg_size 384
		.amdhsa_user_sgpr_count 2
		.amdhsa_user_sgpr_dispatch_ptr 0
		.amdhsa_user_sgpr_queue_ptr 0
		.amdhsa_user_sgpr_kernarg_segment_ptr 1
		.amdhsa_user_sgpr_dispatch_id 0
		.amdhsa_user_sgpr_kernarg_preload_length 0
		.amdhsa_user_sgpr_kernarg_preload_offset 0
		.amdhsa_user_sgpr_private_segment_size 0
		.amdhsa_uses_dynamic_stack 0
		.amdhsa_enable_private_segment 0
		.amdhsa_system_sgpr_workgroup_id_x 1
		.amdhsa_system_sgpr_workgroup_id_y 1
		.amdhsa_system_sgpr_workgroup_id_z 1
		.amdhsa_system_sgpr_workgroup_info 0
		.amdhsa_system_vgpr_workitem_id 0
		.amdhsa_next_free_vgpr 32
		.amdhsa_next_free_sgpr 38
		.amdhsa_accum_offset 32
		.amdhsa_reserve_vcc 1
		.amdhsa_float_round_mode_32 0
		.amdhsa_float_round_mode_16_64 0
		.amdhsa_float_denorm_mode_32 3
		.amdhsa_float_denorm_mode_16_64 3
		.amdhsa_dx10_clamp 1
		.amdhsa_ieee_mode 1
		.amdhsa_fp16_overflow 0
		.amdhsa_tg_split 0
		.amdhsa_exception_fp_ieee_invalid_op 0
		.amdhsa_exception_fp_denorm_src 0
		.amdhsa_exception_fp_ieee_div_zero 0
		.amdhsa_exception_fp_ieee_overflow 0
		.amdhsa_exception_fp_ieee_underflow 0
		.amdhsa_exception_fp_ieee_inexact 0
		.amdhsa_exception_int_div_zero 0
	.end_amdhsa_kernel
	.section	.text._ZN4vllm25paged_attention_v1_kernelI14__hip_bfloat16hLi32ELi16ELi128ELNS_18Fp8KVCacheDataTypeE1ELb0EEEvPT_PKS3_PKT0_S9_ifPKiSB_iPKfiiiSD_SD_iiiii,"axG",@progbits,_ZN4vllm25paged_attention_v1_kernelI14__hip_bfloat16hLi32ELi16ELi128ELNS_18Fp8KVCacheDataTypeE1ELb0EEEvPT_PKS3_PKT0_S9_ifPKiSB_iPKfiiiSD_SD_iiiii,comdat
.Lfunc_end299:
	.size	_ZN4vllm25paged_attention_v1_kernelI14__hip_bfloat16hLi32ELi16ELi128ELNS_18Fp8KVCacheDataTypeE1ELb0EEEvPT_PKS3_PKT0_S9_ifPKiSB_iPKfiiiSD_SD_iiiii, .Lfunc_end299-_ZN4vllm25paged_attention_v1_kernelI14__hip_bfloat16hLi32ELi16ELi128ELNS_18Fp8KVCacheDataTypeE1ELb0EEEvPT_PKS3_PKT0_S9_ifPKiSB_iPKfiiiSD_SD_iiiii
                                        ; -- End function
	.set _ZN4vllm25paged_attention_v1_kernelI14__hip_bfloat16hLi32ELi16ELi128ELNS_18Fp8KVCacheDataTypeE1ELb0EEEvPT_PKS3_PKT0_S9_ifPKiSB_iPKfiiiSD_SD_iiiii.num_vgpr, 32
	.set _ZN4vllm25paged_attention_v1_kernelI14__hip_bfloat16hLi32ELi16ELi128ELNS_18Fp8KVCacheDataTypeE1ELb0EEEvPT_PKS3_PKT0_S9_ifPKiSB_iPKfiiiSD_SD_iiiii.num_agpr, 0
	.set _ZN4vllm25paged_attention_v1_kernelI14__hip_bfloat16hLi32ELi16ELi128ELNS_18Fp8KVCacheDataTypeE1ELb0EEEvPT_PKS3_PKT0_S9_ifPKiSB_iPKfiiiSD_SD_iiiii.numbered_sgpr, 38
	.set _ZN4vllm25paged_attention_v1_kernelI14__hip_bfloat16hLi32ELi16ELi128ELNS_18Fp8KVCacheDataTypeE1ELb0EEEvPT_PKS3_PKT0_S9_ifPKiSB_iPKfiiiSD_SD_iiiii.num_named_barrier, 0
	.set _ZN4vllm25paged_attention_v1_kernelI14__hip_bfloat16hLi32ELi16ELi128ELNS_18Fp8KVCacheDataTypeE1ELb0EEEvPT_PKS3_PKT0_S9_ifPKiSB_iPKfiiiSD_SD_iiiii.private_seg_size, 0
	.set _ZN4vllm25paged_attention_v1_kernelI14__hip_bfloat16hLi32ELi16ELi128ELNS_18Fp8KVCacheDataTypeE1ELb0EEEvPT_PKS3_PKT0_S9_ifPKiSB_iPKfiiiSD_SD_iiiii.uses_vcc, 1
	.set _ZN4vllm25paged_attention_v1_kernelI14__hip_bfloat16hLi32ELi16ELi128ELNS_18Fp8KVCacheDataTypeE1ELb0EEEvPT_PKS3_PKT0_S9_ifPKiSB_iPKfiiiSD_SD_iiiii.uses_flat_scratch, 0
	.set _ZN4vllm25paged_attention_v1_kernelI14__hip_bfloat16hLi32ELi16ELi128ELNS_18Fp8KVCacheDataTypeE1ELb0EEEvPT_PKS3_PKT0_S9_ifPKiSB_iPKfiiiSD_SD_iiiii.has_dyn_sized_stack, 0
	.set _ZN4vllm25paged_attention_v1_kernelI14__hip_bfloat16hLi32ELi16ELi128ELNS_18Fp8KVCacheDataTypeE1ELb0EEEvPT_PKS3_PKT0_S9_ifPKiSB_iPKfiiiSD_SD_iiiii.has_recursion, 0
	.set _ZN4vllm25paged_attention_v1_kernelI14__hip_bfloat16hLi32ELi16ELi128ELNS_18Fp8KVCacheDataTypeE1ELb0EEEvPT_PKS3_PKT0_S9_ifPKiSB_iPKfiiiSD_SD_iiiii.has_indirect_call, 0
	.section	.AMDGPU.csdata,"",@progbits
; Kernel info:
; codeLenInByte = 3776
; TotalNumSgprs: 44
; NumVgprs: 32
; NumAgprs: 0
; TotalNumVgprs: 32
; ScratchSize: 0
; MemoryBound: 0
; FloatMode: 240
; IeeeMode: 1
; LDSByteSize: 80 bytes/workgroup (compile time only)
; SGPRBlocks: 5
; VGPRBlocks: 3
; NumSGPRsForWavesPerEU: 44
; NumVGPRsForWavesPerEU: 32
; AccumOffset: 32
; Occupancy: 8
; WaveLimiterHint : 1
; COMPUTE_PGM_RSRC2:SCRATCH_EN: 0
; COMPUTE_PGM_RSRC2:USER_SGPR: 2
; COMPUTE_PGM_RSRC2:TRAP_HANDLER: 0
; COMPUTE_PGM_RSRC2:TGID_X_EN: 1
; COMPUTE_PGM_RSRC2:TGID_Y_EN: 1
; COMPUTE_PGM_RSRC2:TGID_Z_EN: 1
; COMPUTE_PGM_RSRC2:TIDIG_COMP_CNT: 0
; COMPUTE_PGM_RSRC3_GFX90A:ACCUM_OFFSET: 7
; COMPUTE_PGM_RSRC3_GFX90A:TG_SPLIT: 0
	.section	.text._ZN4vllm25paged_attention_v1_kernelI14__hip_bfloat16hLi64ELi16ELi128ELNS_18Fp8KVCacheDataTypeE1ELb0EEEvPT_PKS3_PKT0_S9_ifPKiSB_iPKfiiiSD_SD_iiiii,"axG",@progbits,_ZN4vllm25paged_attention_v1_kernelI14__hip_bfloat16hLi64ELi16ELi128ELNS_18Fp8KVCacheDataTypeE1ELb0EEEvPT_PKS3_PKT0_S9_ifPKiSB_iPKfiiiSD_SD_iiiii,comdat
	.protected	_ZN4vllm25paged_attention_v1_kernelI14__hip_bfloat16hLi64ELi16ELi128ELNS_18Fp8KVCacheDataTypeE1ELb0EEEvPT_PKS3_PKT0_S9_ifPKiSB_iPKfiiiSD_SD_iiiii ; -- Begin function _ZN4vllm25paged_attention_v1_kernelI14__hip_bfloat16hLi64ELi16ELi128ELNS_18Fp8KVCacheDataTypeE1ELb0EEEvPT_PKS3_PKT0_S9_ifPKiSB_iPKfiiiSD_SD_iiiii
	.globl	_ZN4vllm25paged_attention_v1_kernelI14__hip_bfloat16hLi64ELi16ELi128ELNS_18Fp8KVCacheDataTypeE1ELb0EEEvPT_PKS3_PKT0_S9_ifPKiSB_iPKfiiiSD_SD_iiiii
	.p2align	8
	.type	_ZN4vllm25paged_attention_v1_kernelI14__hip_bfloat16hLi64ELi16ELi128ELNS_18Fp8KVCacheDataTypeE1ELb0EEEvPT_PKS3_PKT0_S9_ifPKiSB_iPKfiiiSD_SD_iiiii,@function
_ZN4vllm25paged_attention_v1_kernelI14__hip_bfloat16hLi64ELi16ELi128ELNS_18Fp8KVCacheDataTypeE1ELb0EEEvPT_PKS3_PKT0_S9_ifPKiSB_iPKfiiiSD_SD_iiiii: ; @_ZN4vllm25paged_attention_v1_kernelI14__hip_bfloat16hLi64ELi16ELi128ELNS_18Fp8KVCacheDataTypeE1ELb0EEEvPT_PKS3_PKT0_S9_ifPKiSB_iPKfiiiSD_SD_iiiii
; %bb.0:
	s_load_dword s5, s[0:1], 0x80
	s_load_dwordx2 s[6:7], s[0:1], 0x30
	s_load_dwordx2 s[28:29], s[0:1], 0x20
	s_mov_b32 s16, s3
	s_ashr_i32 s17, s3, 31
	s_lshl_b64 s[8:9], s[16:17], 2
	s_waitcnt lgkmcnt(0)
	s_add_u32 s6, s6, s8
	s_addc_u32 s7, s7, s9
	s_abs_i32 s3, s28
	v_cvt_f32_u32_e32 v1, s3
	s_sub_i32 s10, 0, s3
	s_abs_i32 s9, s5
	s_xor_b32 s8, s5, s28
	v_rcp_iflag_f32_e32 v1, v1
	s_ashr_i32 s8, s8, 31
	s_mov_b32 s28, 0
	v_mul_f32_e32 v1, 0x4f7ffffe, v1
	v_cvt_u32_f32_e32 v1, v1
	s_nop 0
	v_readfirstlane_b32 s11, v1
	s_mul_i32 s10, s10, s11
	s_mul_hi_u32 s10, s11, s10
	s_add_i32 s11, s11, s10
	s_mul_hi_u32 s10, s9, s11
	s_mul_i32 s11, s10, s3
	s_sub_i32 s9, s9, s11
	s_add_i32 s11, s10, 1
	s_sub_i32 s12, s9, s3
	s_cmp_ge_u32 s9, s3
	s_cselect_b32 s10, s11, s10
	s_cselect_b32 s9, s12, s9
	s_add_i32 s11, s10, 1
	s_cmp_ge_u32 s9, s3
	s_cselect_b32 s3, s11, s10
	s_xor_b32 s3, s3, s8
	s_sub_i32 s18, s3, s8
	s_abs_i32 s10, s18
	v_cvt_f32_u32_e32 v1, s10
	s_load_dwordx2 s[8:9], s[0:1], 0x40
	s_sub_i32 s3, 0, s10
	s_abs_i32 s11, s2
	v_rcp_iflag_f32_e32 v1, v1
	s_nop 0
	v_mul_f32_e32 v1, 0x4f7ffffe, v1
	v_cvt_u32_f32_e32 v1, v1
	s_nop 0
	v_readfirstlane_b32 s12, v1
	s_mul_i32 s3, s3, s12
	s_mul_hi_u32 s3, s12, s3
	s_add_i32 s12, s12, s3
	s_waitcnt lgkmcnt(0)
	s_cmp_eq_u64 s[8:9], 0
	s_mul_hi_u32 s20, s11, s12
	s_cbranch_scc1 .LBB300_2
; %bb.1:
	s_ashr_i32 s3, s2, 31
	s_lshl_b64 s[12:13], s[2:3], 2
	s_add_u32 s8, s8, s12
	s_addc_u32 s9, s9, s13
	s_load_dword s28, s[8:9], 0x0
.LBB300_2:
	s_load_dword s17, s[6:7], 0x0
	s_load_dwordx4 s[12:15], s[0:1], 0x48
	s_ashr_i32 s6, s2, 31
	s_ashr_i32 s7, s18, 31
	v_and_b32_e32 v2, 3, v0
	s_lshl_b32 s18, s2, 6
	v_cmp_gt_u32_e32 vcc, 32, v0
	s_and_saveexec_b64 s[2:3], vcc
	s_cbranch_execz .LBB300_4
; %bb.3:
	s_load_dwordx2 s[8:9], s[0:1], 0x8
	s_waitcnt lgkmcnt(0)
	s_mul_i32 s22, s12, s16
	s_ashr_i32 s23, s22, 31
	s_lshl_b64 s[22:23], s[22:23], 1
	v_lshlrev_b32_e32 v1, 2, v0
	s_add_u32 s12, s8, s22
	s_addc_u32 s15, s9, s23
	s_ashr_i32 s19, s18, 31
	s_lshl_b64 s[8:9], s[18:19], 1
	s_add_u32 s8, s12, s8
	s_addc_u32 s9, s15, s9
	global_load_dword v1, v1, s[8:9]
	v_and_b32_e32 v3, 0x3fc, v0
	v_lshl_add_u32 v3, v2, 5, v3
	s_waitcnt vmcnt(0)
	ds_write_b32 v3, v1
.LBB300_4:
	s_or_b64 exec, exec, s[2:3]
	s_waitcnt lgkmcnt(0)
	s_add_i32 s3, s17, 15
	s_ashr_i32 s8, s3, 31
	s_lshr_b32 s8, s8, 28
	s_add_i32 s3, s3, s8
	s_ashr_i32 s19, s3, 4
	s_xor_b32 s3, s6, s7
	s_mul_i32 s6, s20, s10
	s_sub_i32 s6, s11, s6
	s_add_i32 s7, s20, 1
	s_sub_i32 s8, s6, s10
	s_load_dwordx2 s[22:23], s[0:1], 0x28
	s_load_dword s2, s[0:1], 0x38
	s_cmp_ge_u32 s6, s10
	s_cselect_b32 s7, s7, s20
	s_cselect_b32 s6, s8, s6
	s_add_i32 s8, s7, 1
	s_cmp_ge_u32 s6, s10
	s_cselect_b32 s6, s8, s7
	v_lshrrev_b32_e32 v1, 6, v0
	s_xor_b32 s6, s6, s3
	s_waitcnt lgkmcnt(0)
	s_mul_i32 s24, s2, s16
	s_sub_i32 s33, s6, s3
	s_ashr_i32 s25, s24, 31
	v_cmp_gt_i32_e64 s[6:7], s19, v1
	v_cmp_le_i32_e32 vcc, s19, v1
	v_mbcnt_lo_u32_b32 v3, -1, 0
	s_barrier
                                        ; implicit-def: $vgpr7
                                        ; implicit-def: $vgpr9
                                        ; implicit-def: $vgpr8
	s_and_saveexec_b64 s[2:3], vcc
	s_xor_b64 s[2:3], exec, s[2:3]
; %bb.5:
	v_mbcnt_hi_u32_b32 v7, -1, v3
	v_and_b32_e32 v9, 64, v7
	v_add_u32_e32 v8, 64, v9
                                        ; implicit-def: $vgpr2
                                        ; implicit-def: $vgpr3
; %bb.6:
	s_or_saveexec_b64 s[30:31], s[2:3]
	s_load_dwordx2 s[20:21], s[0:1], 0x0
	s_load_dwordx2 s[26:27], s[0:1], 0x18
	s_load_dword s12, s[0:1], 0x88
	s_load_dwordx4 s[8:11], s[0:1], 0x58
	v_mov_b32_e32 v23, 0xff7fffff
	s_mul_i32 s33, s33, s14
	v_lshrrev_b32_e32 v6, 4, v0
	s_xor_b64 exec, exec, s[30:31]
	s_cbranch_execz .LBB300_12
; %bb.7:
	v_lshlrev_b32_e32 v7, 5, v2
	s_load_dwordx2 s[0:1], s[0:1], 0x10
	ds_read_b128 v[14:17], v7
	ds_read_b128 v[24:27], v7 offset:16
	v_mbcnt_hi_u32_b32 v7, -1, v3
	v_and_b32_e32 v9, 64, v7
	v_add_u32_e32 v8, 64, v9
	v_xor_b32_e32 v3, 2, v7
	v_cmp_lt_i32_e32 vcc, v3, v8
	s_ashr_i32 s2, s33, 31
	v_bfe_u32 v23, v0, 2, 4
	v_cndmask_b32_e32 v3, v7, v3, vcc
	s_waitcnt lgkmcnt(0)
	s_add_u32 s0, s0, s33
	v_lshlrev_b32_e32 v18, 16, v24
	v_and_b32_e32 v19, 0xffff0000, v24
	v_lshlrev_b32_e32 v20, 16, v25
	v_and_b32_e32 v21, 0xffff0000, v25
	;; [unrolled: 2-line block ×4, first 2 shown]
	v_lshlrev_b32_e32 v27, 2, v3
	v_xor_b32_e32 v3, 1, v7
	v_lshlrev_b32_e32 v4, 4, v23
	s_addc_u32 s1, s1, s2
	v_mov_b32_e32 v5, 0
	v_cmp_lt_i32_e32 vcc, v3, v8
	v_lshl_add_u64 v[30:31], s[0:1], 0, v[4:5]
	v_lshlrev_b32_e32 v4, 1, v2
	v_cndmask_b32_e32 v3, v7, v3, vcc
	s_load_dword s35, s[8:9], 0x0
	v_lshlrev_b32_e32 v28, 2, v3
	v_cmp_eq_u32_e32 vcc, 0, v2
	v_lshl_add_u64 v[2:3], v[30:31], 0, v[4:5]
	s_sub_i32 s36, 1, s17
	v_lshlrev_b32_e32 v4, 2, v23
	s_lshl_b64 s[0:1], s[24:25], 2
	v_lshl_or_b32 v4, v1, 6, v4
	s_add_u32 s0, s22, s0
	v_add_u32_e32 v30, 0x90, v4
	v_and_b32_e32 v4, 60, v6
	s_addc_u32 s1, s23, s1
	s_mov_b32 s34, s13
	v_lshlrev_b32_e32 v10, 16, v14
	v_and_b32_e32 v11, 0xffff0000, v14
	v_lshlrev_b32_e32 v12, 16, v15
	v_and_b32_e32 v13, 0xffff0000, v15
	;; [unrolled: 2-line block ×4, first 2 shown]
	v_cmp_neq_f32_e64 s[2:3], s28, 0
	v_lshl_or_b32 v29, v1, 4, v23
	v_lshl_add_u64 v[4:5], s[0:1], 0, v[4:5]
	v_mov_b32_e32 v23, 0xff7fffff
	s_mov_b64 s[8:9], 0
	s_mov_b32 s37, 0xffff
	v_mov_b32_e32 v31, v1
	s_branch .LBB300_9
.LBB300_8:                              ;   in Loop: Header=BB300_9 Depth=1
	s_or_b64 exec, exec, s[14:15]
	v_add_u32_e32 v31, 2, v31
	v_cmp_le_i32_e64 s[0:1], s19, v31
	v_add_u32_e32 v29, 32, v29
	v_add_u32_e32 v30, 0x80, v30
	s_or_b64 s[8:9], s[0:1], s[8:9]
	v_lshl_add_u64 v[4:5], v[4:5], 0, 8
	s_andn2_b64 exec, exec, s[8:9]
	s_cbranch_execz .LBB300_11
.LBB300_9:                              ; =>This Inner Loop Header: Depth=1
	global_load_dword v32, v[4:5], off
	s_waitcnt vmcnt(0) lgkmcnt(0)
	v_mad_i64_i32 v[32:33], s[0:1], v32, s34, v[2:3]
	global_load_ushort v34, v[32:33], off
	global_load_ushort v35, v[32:33], off offset:8
	global_load_ushort v36, v[32:33], off offset:256
	;; [unrolled: 1-line block ×7, first 2 shown]
	s_waitcnt vmcnt(7)
	v_and_b32_sdwa v32, s37, v34 dst_sel:DWORD dst_unused:UNUSED_PAD src0_sel:DWORD src1_sel:BYTE_0
	v_lshrrev_b16_e32 v33, 8, v34
	s_waitcnt vmcnt(6)
	v_and_b32_sdwa v34, s37, v35 dst_sel:DWORD dst_unused:UNUSED_PAD src0_sel:DWORD src1_sel:BYTE_0
	v_lshrrev_b16_e32 v35, 8, v35
	v_cvt_f32_fp8_e32 v34, v34
	v_cvt_f32_fp8_e32 v35, v35
	s_waitcnt vmcnt(5)
	v_and_b32_sdwa v42, s37, v36 dst_sel:DWORD dst_unused:UNUSED_PAD src0_sel:DWORD src1_sel:BYTE_0
	v_lshrrev_b16_e32 v36, 8, v36
	v_cvt_f32_fp8_e32 v32, v32
	v_cvt_f32_fp8_e32 v33, v33
	;; [unrolled: 5-line block ×5, first 2 shown]
	s_waitcnt lgkmcnt(0)
	v_mul_f32_e32 v34, s35, v34
	v_mul_f32_e32 v35, s35, v35
	s_waitcnt vmcnt(1)
	v_and_b32_sdwa v46, s37, v40 dst_sel:DWORD dst_unused:UNUSED_PAD src0_sel:DWORD src1_sel:BYTE_0
	v_lshrrev_b16_e32 v40, 8, v40
	v_cvt_f32_fp8_e32 v45, v45
	v_cvt_f32_fp8_e32 v39, v39
	v_mul_f32_e32 v32, s35, v32
	v_mul_f32_e32 v33, s35, v33
	v_cvt_pk_bf16_f32 v34, v34, s0
	v_cvt_pk_bf16_f32 v35, v35, s0
	s_waitcnt vmcnt(0)
	v_and_b32_sdwa v47, s37, v41 dst_sel:DWORD dst_unused:UNUSED_PAD src0_sel:DWORD src1_sel:BYTE_0
	v_lshrrev_b16_e32 v41, 8, v41
	v_cvt_f32_fp8_e32 v46, v46
	v_cvt_f32_fp8_e32 v40, v40
	v_mul_f32_e32 v42, s35, v42
	v_mul_f32_e32 v36, s35, v36
	v_cvt_pk_bf16_f32 v32, v32, s0
	v_cvt_pk_bf16_f32 v33, v33, s0
	v_lshlrev_b32_e32 v34, 16, v34
	v_lshlrev_b32_e32 v35, 16, v35
	v_cvt_f32_fp8_e32 v47, v47
	v_cvt_f32_fp8_e32 v41, v41
	v_mul_f32_e32 v43, s35, v43
	v_mul_f32_e32 v37, s35, v37
	v_cvt_pk_bf16_f32 v42, v42, s0
	v_cvt_pk_bf16_f32 v36, v36, s0
	v_lshlrev_b32_e32 v32, 16, v32
	v_lshlrev_b32_e32 v33, 16, v33
	v_mul_f32_e32 v34, v12, v34
	v_mul_f32_e32 v35, v13, v35
	;; [unrolled: 1-line block ×4, first 2 shown]
	v_cvt_pk_bf16_f32 v43, v43, s0
	v_cvt_pk_bf16_f32 v37, v37, s0
	v_lshlrev_b32_e32 v42, 16, v42
	v_lshlrev_b32_e32 v36, 16, v36
	v_fmac_f32_e32 v34, v10, v32
	v_fmac_f32_e32 v35, v11, v33
	v_mul_f32_e32 v45, s35, v45
	v_mul_f32_e32 v39, s35, v39
	v_cvt_pk_bf16_f32 v44, v44, s0
	v_cvt_pk_bf16_f32 v38, v38, s0
	v_lshlrev_b32_e32 v43, 16, v43
	v_lshlrev_b32_e32 v37, 16, v37
	v_fmac_f32_e32 v34, v14, v42
	v_fmac_f32_e32 v35, v15, v36
	v_mul_f32_e32 v46, s35, v46
	v_mul_f32_e32 v40, s35, v40
	v_cvt_pk_bf16_f32 v45, v45, s0
	v_cvt_pk_bf16_f32 v39, v39, s0
	v_lshlrev_b32_e32 v44, 16, v44
	v_lshlrev_b32_e32 v38, 16, v38
	v_fmac_f32_e32 v34, v16, v43
	v_fmac_f32_e32 v35, v17, v37
	v_mul_f32_e32 v47, s35, v47
	v_mul_f32_e32 v41, s35, v41
	v_cvt_pk_bf16_f32 v46, v46, s0
	v_cvt_pk_bf16_f32 v40, v40, s0
	v_lshlrev_b32_e32 v45, 16, v45
	v_lshlrev_b32_e32 v39, 16, v39
	v_fmac_f32_e32 v34, v18, v44
	v_fmac_f32_e32 v35, v19, v38
	v_cvt_pk_bf16_f32 v47, v47, s0
	v_cvt_pk_bf16_f32 v41, v41, s0
	v_lshlrev_b32_e32 v46, 16, v46
	v_lshlrev_b32_e32 v40, 16, v40
	v_fmac_f32_e32 v34, v20, v45
	v_fmac_f32_e32 v35, v21, v39
	v_lshlrev_b32_e32 v47, 16, v47
	v_lshlrev_b32_e32 v41, 16, v41
	v_fmac_f32_e32 v34, v22, v46
	v_fmac_f32_e32 v35, v24, v40
	;; [unrolled: 1-line block ×4, first 2 shown]
	v_add_f32_e32 v32, v34, v35
	ds_bpermute_b32 v33, v27, v32
	s_waitcnt lgkmcnt(0)
	v_add_f32_e32 v32, v32, v33
	ds_bpermute_b32 v33, v28, v32
	s_and_saveexec_b64 s[14:15], vcc
	s_cbranch_execz .LBB300_8
; %bb.10:                               ;   in Loop: Header=BB300_9 Depth=1
	v_add_u32_e32 v34, s36, v29
	v_cvt_f32_i32_e32 v34, v34
	s_waitcnt lgkmcnt(0)
	v_add_f32_e32 v32, v32, v33
	v_cmp_gt_i32_e64 s[0:1], s17, v29
	v_max_f32_e32 v33, v23, v23
	v_mul_f32_e32 v34, s28, v34
	v_cndmask_b32_e64 v34, 0, v34, s[2:3]
	v_fmac_f32_e32 v34, s29, v32
	v_cndmask_b32_e64 v32, 0, v34, s[0:1]
	ds_write_b32 v30, v32
	v_max_f32_e32 v32, v33, v34
	v_cndmask_b32_e64 v23, v23, v32, s[0:1]
	s_branch .LBB300_8
.LBB300_11:
	s_or_b64 exec, exec, s[8:9]
.LBB300_12:
	s_or_b64 exec, exec, s[30:31]
	v_xor_b32_e32 v2, 32, v7
	v_cmp_lt_i32_e32 vcc, v2, v8
	v_xor_b32_e32 v5, 16, v7
	v_max_f32_e32 v4, v23, v23
	v_cndmask_b32_e32 v2, v7, v2, vcc
	v_lshlrev_b32_e32 v2, 2, v2
	ds_bpermute_b32 v3, v2, v23
	v_cmp_lt_i32_e32 vcc, v5, v8
	v_xor_b32_e32 v10, 8, v7
	v_xor_b32_e32 v11, 4, v7
	v_and_b32_e32 v18, 63, v0
	s_waitcnt lgkmcnt(0)
	v_max_f32_e32 v3, v3, v3
	v_max_f32_e32 v4, v4, v3
	v_cndmask_b32_e32 v3, v7, v5, vcc
	v_lshlrev_b32_e32 v3, 2, v3
	ds_bpermute_b32 v5, v3, v4
	v_cmp_lt_i32_e32 vcc, v10, v8
	s_waitcnt lgkmcnt(0)
	v_max_f32_e32 v5, v5, v5
	v_max_f32_e32 v4, v4, v5
	v_cndmask_b32_e32 v5, v7, v10, vcc
	v_lshlrev_b32_e32 v10, 2, v5
	ds_bpermute_b32 v5, v10, v4
	v_cmp_lt_i32_e32 vcc, v11, v8
	s_waitcnt lgkmcnt(0)
	v_max_f32_e32 v5, v5, v5
	v_max_f32_e32 v5, v4, v5
	v_cndmask_b32_e32 v4, v7, v11, vcc
	v_lshlrev_b32_e32 v11, 2, v4
	ds_bpermute_b32 v12, v11, v5
	v_cmp_eq_u32_e32 vcc, 0, v18
	v_lshlrev_b32_e32 v4, 2, v1
	s_and_saveexec_b64 s[0:1], vcc
	s_cbranch_execz .LBB300_14
; %bb.13:
	s_waitcnt lgkmcnt(0)
	v_max_f32_e32 v12, v12, v12
	v_max_f32_e32 v5, v5, v5
	;; [unrolled: 1-line block ×3, first 2 shown]
	ds_write_b32 v4, v5 offset:128
.LBB300_14:
	s_or_b64 exec, exec, s[0:1]
	v_cmp_gt_u32_e64 s[0:1], 2, v18
	s_waitcnt lgkmcnt(0)
	v_mov_b32_e32 v12, 0xff7fffff
	v_lshlrev_b32_e32 v5, 2, v18
	s_barrier
	s_and_saveexec_b64 s[2:3], s[0:1]
; %bb.15:
	ds_read_b32 v12, v5 offset:128
; %bb.16:
	s_or_b64 exec, exec, s[2:3]
	v_xor_b32_e32 v13, 1, v7
	v_cmp_lt_i32_e64 s[2:3], v13, v8
	v_lshlrev_b32_e32 v9, 2, v9
	s_nop 0
	v_cndmask_b32_e64 v13, v7, v13, s[2:3]
	v_lshlrev_b32_e32 v19, 2, v13
	s_waitcnt lgkmcnt(0)
	ds_bpermute_b32 v13, v19, v12
	v_max_f32_e32 v12, v12, v12
	s_lshl_b32 s2, s19, 4
	s_min_i32 s30, s2, s17
	v_cmp_gt_i32_e64 s[2:3], s30, v0
	s_waitcnt lgkmcnt(0)
	v_max_f32_e32 v13, v13, v13
	v_max_f32_e32 v12, v12, v13
	ds_bpermute_b32 v12, v9, v12
	v_mov_b32_e32 v9, 0
	s_and_saveexec_b64 s[14:15], s[2:3]
	s_cbranch_execz .LBB300_20
; %bb.17:
	v_mov_b32_e32 v9, 0x90
	v_lshl_add_u32 v13, v0, 2, v9
	v_mov_b32_e32 v9, 0
	s_mov_b64 s[28:29], 0
	v_mov_b32_e32 v14, v0
.LBB300_18:                             ; =>This Inner Loop Header: Depth=1
	ds_read_b32 v15, v13
	v_add_u32_e32 v14, 0x80, v14
	v_cmp_le_i32_e64 s[8:9], s30, v14
	s_or_b64 s[28:29], s[8:9], s[28:29]
	s_waitcnt lgkmcnt(0)
	v_sub_f32_e32 v15, v15, v12
	v_mul_f32_e32 v15, 0x3fb8aa3b, v15
	v_exp_f32_e32 v15, v15
	ds_write_b32 v13, v15
	v_add_f32_e32 v9, v9, v15
	v_add_u32_e32 v13, 0x200, v13
	s_andn2_b64 exec, exec, s[28:29]
	s_cbranch_execnz .LBB300_18
; %bb.19:
	s_or_b64 exec, exec, s[28:29]
.LBB300_20:
	s_or_b64 exec, exec, s[14:15]
	ds_bpermute_b32 v2, v2, v9
	s_waitcnt lgkmcnt(0)
	v_add_f32_e32 v2, v9, v2
	ds_bpermute_b32 v3, v3, v2
	v_xor_b32_e32 v9, 2, v7
	v_cmp_lt_i32_e64 s[8:9], v9, v8
	s_waitcnt lgkmcnt(0)
	v_add_f32_e32 v2, v2, v3
	ds_bpermute_b32 v3, v10, v2
	v_cndmask_b32_e64 v8, v7, v9, s[8:9]
	s_waitcnt lgkmcnt(0)
	v_add_f32_e32 v2, v2, v3
	ds_bpermute_b32 v3, v11, v2
	s_waitcnt lgkmcnt(0)
	v_add_f32_e32 v2, v2, v3
	v_lshlrev_b32_e32 v3, 2, v8
	ds_bpermute_b32 v3, v3, v2
	s_waitcnt lgkmcnt(0)
	v_add_f32_e32 v2, v2, v3
	ds_bpermute_b32 v3, v19, v2
	s_waitcnt lgkmcnt(0)
	v_add_f32_e32 v2, v2, v3
	s_and_saveexec_b64 s[8:9], vcc
; %bb.21:
	ds_write_b32 v4, v2 offset:136
; %bb.22:
	s_or_b64 exec, exec, s[8:9]
	s_waitcnt lgkmcnt(0)
	s_barrier
	s_and_saveexec_b64 s[8:9], s[0:1]
; %bb.23:
	ds_read_b32 v2, v5 offset:136
; %bb.24:
	s_or_b64 exec, exec, s[8:9]
	s_waitcnt lgkmcnt(0)
	ds_bpermute_b32 v3, v19, v2
	v_lshlrev_b32_e32 v4, 2, v7
	s_waitcnt lgkmcnt(0)
	v_add_f32_e32 v2, v2, v3
	v_and_b32_e32 v3, 0xffffff00, v4
	ds_bpermute_b32 v2, v3, v2
	s_and_saveexec_b64 s[0:1], s[2:3]
	s_cbranch_execz .LBB300_37
; %bb.25:
	s_waitcnt lgkmcnt(0)
	v_add_f32_e32 v2, 0x358637bd, v2
	v_div_scale_f32 v3, s[2:3], v2, v2, 1.0
	v_rcp_f32_e32 v4, v3
	v_div_scale_f32 v5, vcc, 1.0, v2, 1.0
	s_movk_i32 s2, 0x7f
	v_fma_f32 v7, -v3, v4, 1.0
	v_fmac_f32_e32 v4, v7, v4
	v_mul_f32_e32 v7, v5, v4
	v_fma_f32 v8, -v3, v7, v5
	v_fmac_f32_e32 v7, v8, v4
	v_fma_f32 v3, -v3, v7, v5
	v_div_fmas_f32 v3, v3, v4, v7
	v_xad_u32 v4, v0, -1, s30
	v_div_fixup_f32 v2, v3, v2, 1.0
	v_cmp_lt_u32_e32 vcc, s2, v4
	s_mov_b64 s[8:9], -1
	v_mov_b32_e32 v3, v0
	s_and_saveexec_b64 s[2:3], vcc
	s_cbranch_execz .LBB300_34
; %bb.26:
	v_lshrrev_b32_e32 v4, 7, v4
	v_add_u32_e32 v7, -1, v4
	v_lshrrev_b32_e32 v5, 1, v7
	v_mov_b32_e32 v3, v2
	v_add_u32_e32 v5, 1, v5
	v_cmp_lt_u32_e32 vcc, 13, v7
	v_mov_b32_e32 v9, 0
	s_and_saveexec_b64 s[8:9], vcc
	s_cbranch_execz .LBB300_30
; %bb.27:
	v_mov_b32_e32 v8, 0x90
	v_and_b32_e32 v7, -8, v5
	v_lshl_add_u32 v8, v0, 2, v8
	s_mov_b32 s28, 0
	s_mov_b64 s[14:15], 0
.LBB300_28:                             ; =>This Inner Loop Header: Depth=1
	ds_read2st64_b32 v[10:11], v8 offset1:2
	ds_read2st64_b32 v[12:13], v8 offset0:4 offset1:6
	ds_read2st64_b32 v[14:15], v8 offset0:8 offset1:10
	;; [unrolled: 1-line block ×3, first 2 shown]
	v_add_u32_e32 v7, -8, v7
	s_waitcnt lgkmcnt(3)
	v_pk_mul_f32 v[10:11], v[2:3], v[10:11]
	s_waitcnt lgkmcnt(2)
	v_pk_mul_f32 v[12:13], v[2:3], v[12:13]
	ds_write2st64_b32 v8, v10, v11 offset1:2
	ds_write2st64_b32 v8, v12, v13 offset0:4 offset1:6
	ds_read2st64_b32 v[12:13], v8 offset0:16 offset1:18
	s_waitcnt lgkmcnt(4)
	v_pk_mul_f32 v[10:11], v[2:3], v[14:15]
	ds_write2st64_b32 v8, v10, v11 offset0:8 offset1:10
	s_waitcnt lgkmcnt(4)
	v_pk_mul_f32 v[10:11], v[2:3], v[16:17]
	ds_write2st64_b32 v8, v10, v11 offset0:12 offset1:14
	ds_read2st64_b32 v[10:11], v8 offset0:20 offset1:22
	s_waitcnt lgkmcnt(3)
	v_pk_mul_f32 v[12:13], v[2:3], v[12:13]
	ds_read2st64_b32 v[14:15], v8 offset0:24 offset1:26
	ds_write2st64_b32 v8, v12, v13 offset0:16 offset1:18
	ds_read2st64_b32 v[12:13], v8 offset0:28 offset1:30
	s_waitcnt lgkmcnt(3)
	v_pk_mul_f32 v[10:11], v[2:3], v[10:11]
	ds_write2st64_b32 v8, v10, v11 offset0:20 offset1:22
	s_waitcnt lgkmcnt(3)
	v_pk_mul_f32 v[10:11], v[2:3], v[14:15]
	ds_write2st64_b32 v8, v10, v11 offset0:24 offset1:26
	s_waitcnt lgkmcnt(2)
	v_pk_mul_f32 v[10:11], v[2:3], v[12:13]
	s_add_i32 s28, s28, 16
	v_cmp_eq_u32_e32 vcc, 0, v7
	ds_write2st64_b32 v8, v10, v11 offset0:28 offset1:30
	v_add_u32_e32 v8, 0x2000, v8
	s_or_b64 s[14:15], vcc, s[14:15]
	v_mov_b32_e32 v9, s28
	s_andn2_b64 exec, exec, s[14:15]
	s_cbranch_execnz .LBB300_28
; %bb.29:
	s_or_b64 exec, exec, s[14:15]
.LBB300_30:
	s_or_b64 exec, exec, s[8:9]
	v_and_b32_e32 v5, 7, v5
	v_cmp_ne_u32_e32 vcc, 0, v5
	s_and_saveexec_b64 s[8:9], vcc
	s_cbranch_execz .LBB300_33
; %bb.31:
	v_lshlrev_b32_e32 v7, 9, v9
	v_lshlrev_b32_e32 v8, 2, v0
	s_movk_i32 s14, 0x90
	v_add3_u32 v7, v7, v8, s14
	s_mov_b64 s[14:15], 0
.LBB300_32:                             ; =>This Inner Loop Header: Depth=1
	ds_read2st64_b32 v[8:9], v7 offset1:2
	v_add_u32_e32 v5, -1, v5
	v_cmp_eq_u32_e32 vcc, 0, v5
	s_or_b64 s[14:15], vcc, s[14:15]
	s_waitcnt lgkmcnt(0)
	v_pk_mul_f32 v[8:9], v[2:3], v[8:9]
	ds_write2st64_b32 v7, v8, v9 offset1:2
	v_add_u32_e32 v7, 0x400, v7
	s_andn2_b64 exec, exec, s[14:15]
	s_cbranch_execnz .LBB300_32
.LBB300_33:
	s_or_b64 exec, exec, s[8:9]
	v_add_u32_e32 v4, 1, v4
	v_and_b32_e32 v5, 0x3fffffe, v4
	v_cmp_ne_u32_e32 vcc, v4, v5
	v_lshl_add_u32 v3, v5, 7, v0
	s_orn2_b64 s[8:9], vcc, exec
.LBB300_34:
	s_or_b64 exec, exec, s[2:3]
	s_and_b64 exec, exec, s[8:9]
	s_cbranch_execz .LBB300_37
; %bb.35:
	v_mov_b32_e32 v4, 0x90
	v_lshl_add_u32 v4, v3, 2, v4
	s_mov_b64 s[2:3], 0
.LBB300_36:                             ; =>This Inner Loop Header: Depth=1
	ds_read_b32 v5, v4
	v_add_u32_e32 v3, 0x80, v3
	v_cmp_le_i32_e32 vcc, s30, v3
	s_or_b64 s[2:3], vcc, s[2:3]
	s_waitcnt lgkmcnt(0)
	v_mul_f32_e32 v5, v2, v5
	ds_write_b32 v4, v5
	v_add_u32_e32 v4, 0x200, v4
	s_andn2_b64 exec, exec, s[2:3]
	s_cbranch_execnz .LBB300_36
.LBB300_37:
	s_or_b64 exec, exec, s[0:1]
	v_mov_b32_e32 v11, 0
	v_and_b32_e32 v20, 1, v0
	v_mov_b32_e32 v10, v11
	s_waitcnt lgkmcnt(0)
	s_barrier
	s_and_saveexec_b64 s[2:3], s[6:7]
	s_cbranch_execz .LBB300_45
; %bb.38:
	s_ashr_i32 s1, s33, 31
	v_lshlrev_b32_e32 v2, 3, v0
	s_add_u32 s0, s26, s33
	s_addc_u32 s1, s27, s1
	v_and_b32_e32 v10, 0x1f8, v2
	s_load_dword s10, s[10:11], 0x0
	v_mov_b32_e32 v11, 0
	v_and_b32_e32 v3, 8, v2
	s_add_i32 s11, s19, -1
	v_lshl_add_u64 v[12:13], s[0:1], 0, v[10:11]
	v_lshlrev_b32_e32 v2, 4, v1
	s_lshl_b64 s[0:1], s[24:25], 2
	v_or3_b32 v21, v2, v3, 7
	v_lshlrev_b32_e32 v2, 5, v20
	s_add_u32 s0, s22, s0
	v_lshl_or_b32 v2, v1, 6, v2
	v_and_b32_e32 v10, 60, v6
	s_addc_u32 s1, s23, s1
	v_add_u32_e32 v22, 0x90, v2
	v_lshl_add_u64 v[14:15], s[0:1], 0, v[10:11]
	s_mov_b64 s[6:7], 0
	v_mov_b32_e32 v10, v11
	s_branch .LBB300_40
.LBB300_39:                             ;   in Loop: Header=BB300_40 Depth=1
	s_or_b64 exec, exec, s[0:1]
	v_cvt_pk_bf16_f32 v6, v6, s0
	v_cvt_pk_bf16_f32 v8, v8, s0
	;; [unrolled: 1-line block ×3, first 2 shown]
	v_lshlrev_b32_e32 v23, 16, v31
	v_lshlrev_b32_e32 v31, 16, v6
	;; [unrolled: 1-line block ×7, first 2 shown]
	v_cvt_pk_bf16_f32 v5, v5, s0
	v_mul_f32_e32 v2, v28, v2
	v_cvt_pk_bf16_f32 v7, v7, s0
	v_cvt_pk_bf16_f32 v26, v2, s0
	v_lshlrev_b32_e32 v5, 16, v5
	v_lshlrev_b32_e32 v2, 16, v25
	v_cvt_pk_bf16_f32 v9, v9, s0
	v_cvt_pk_bf16_f32 v4, v4, s0
	v_lshlrev_b32_e32 v7, 16, v7
	v_mul_f32_e32 v2, v5, v2
	v_cvt_pk_bf16_f32 v3, v3, s0
	v_mul_f32_e32 v23, v7, v23
	v_mul_f32_e32 v6, v31, v6
	v_lshlrev_b32_e32 v9, 16, v9
	v_lshlrev_b32_e32 v29, 16, v29
	v_cvt_pk_bf16_f32 v25, v2, s0
	v_lshlrev_b32_e32 v32, 16, v4
	v_lshlrev_b32_e32 v2, 16, v24
	v_cvt_pk_bf16_f32 v23, v23, s0
	v_cvt_pk_bf16_f32 v6, v6, s0
	v_mul_f32_e32 v29, v9, v29
	v_mul_f32_e32 v8, v30, v8
	v_lshlrev_b32_e32 v3, 16, v3
	v_lshlrev_b32_e32 v27, 16, v27
	v_mul_f32_e32 v2, v32, v2
	v_cvt_pk_bf16_f32 v29, v29, s0
	v_cvt_pk_bf16_f32 v8, v8, s0
	v_mul_f32_e32 v27, v3, v27
	v_cvt_pk_bf16_f32 v24, v2, s0
	v_lshlrev_b32_e32 v2, 16, v6
	v_lshlrev_b32_e32 v4, 16, v23
	v_cvt_pk_bf16_f32 v27, v27, s0
	v_add_f32_e32 v2, v4, v2
	v_lshlrev_b32_e32 v4, 16, v8
	v_lshlrev_b32_e32 v6, 16, v29
	v_add_f32_e32 v4, v6, v4
	v_lshlrev_b32_e32 v6, 16, v26
	v_lshlrev_b32_e32 v8, 16, v27
	;; [unrolled: 1-line block ×4, first 2 shown]
	v_add_f32_e32 v6, v8, v6
	v_lshlrev_b32_e32 v8, 16, v24
	v_lshlrev_b32_e32 v24, 16, v42
	v_mul_f32_e32 v9, v9, v25
	v_lshlrev_b32_e32 v25, 16, v39
	v_add_f32_e32 v8, v23, v8
	v_lshlrev_b32_e32 v23, 16, v43
	v_mul_f32_e32 v7, v7, v24
	v_lshlrev_b32_e32 v24, 16, v41
	v_mul_f32_e32 v25, v28, v25
	v_mul_f32_e32 v23, v31, v23
	;; [unrolled: 1-line block ×3, first 2 shown]
	v_cvt_pk_bf16_f32 v26, v25, s0
	v_lshlrev_b32_e32 v25, 16, v38
	v_lshlrev_b32_e32 v17, 16, v17
	;; [unrolled: 1-line block ×3, first 2 shown]
	v_cvt_pk_bf16_f32 v23, v23, s0
	v_cvt_pk_bf16_f32 v7, v7, s0
	;; [unrolled: 1-line block ×4, first 2 shown]
	v_mul_f32_e32 v3, v3, v25
	v_mul_f32_e32 v17, v32, v17
	;; [unrolled: 1-line block ×3, first 2 shown]
	v_cvt_pk_bf16_f32 v3, v3, s0
	v_cvt_pk_bf16_f32 v28, v17, s0
	;; [unrolled: 1-line block ×3, first 2 shown]
	v_lshlrev_b32_e32 v17, 16, v7
	v_lshlrev_b32_e32 v25, 16, v23
	;; [unrolled: 1-line block ×4, first 2 shown]
	v_pk_add_f32 v[16:17], v[24:25], v[16:17]
	v_lshlrev_b32_e32 v25, 16, v3
	v_lshlrev_b32_e32 v27, 16, v26
	;; [unrolled: 1-line block ×4, first 2 shown]
	v_pk_add_f32 v[24:25], v[26:27], v[24:25]
	v_mov_b32_e32 v5, v16
	v_mov_b32_e32 v3, v17
	;; [unrolled: 1-line block ×3, first 2 shown]
	v_pk_add_f32 v[2:3], v[4:5], v[2:3]
	v_mov_b32_e32 v9, v24
	v_pk_add_f32 v[2:3], v[6:7], v[2:3]
	v_add_u32_e32 v1, 2, v1
	v_pk_add_f32 v[2:3], v[8:9], v[2:3]
	v_cmp_le_i32_e32 vcc, s19, v1
	v_pk_add_f32 v[10:11], v[10:11], v[2:3]
	v_add_u32_e32 v21, 32, v21
	v_add_u32_e32 v22, 0x80, v22
	s_or_b64 s[6:7], vcc, s[6:7]
	v_lshl_add_u64 v[14:15], v[14:15], 0, 8
	s_andn2_b64 exec, exec, s[6:7]
	s_cbranch_execz .LBB300_44
.LBB300_40:                             ; =>This Inner Loop Header: Depth=1
	global_load_dword v2, v[14:15], off
	v_add_u32_e32 v23, -7, v21
	v_cmp_eq_u32_e32 vcc, s11, v1
	v_add_u32_e32 v36, -6, v21
	v_add_u32_e32 v35, -5, v21
	;; [unrolled: 1-line block ×5, first 2 shown]
	s_waitcnt vmcnt(0)
	v_mad_i64_i32 v[16:17], s[0:1], v2, s13, v[12:13]
	global_load_dwordx2 v[24:25], v[16:17], off
	ds_read2_b64 v[6:9], v22 offset1:1
	ds_read2_b64 v[2:5], v22 offset0:2 offset1:3
	s_waitcnt vmcnt(0)
	v_and_b32_e32 v26, 0xff, v24
	v_bfe_u32 v27, v24, 8, 8
	v_bfe_u32 v28, v24, 16, 8
	v_lshrrev_b32_e32 v24, 24, v24
	v_and_b32_e32 v29, 0xff, v25
	v_bfe_u32 v30, v25, 8, 8
	v_bfe_u32 v31, v25, 16, 8
	v_lshrrev_b32_e32 v25, 24, v25
	v_cvt_f32_fp8_e32 v26, v26
	v_cvt_f32_fp8_e32 v27, v27
	;; [unrolled: 1-line block ×8, first 2 shown]
	s_waitcnt lgkmcnt(0)
	v_mul_f32_e32 v26, s10, v26
	v_mul_f32_e32 v27, s10, v27
	;; [unrolled: 1-line block ×8, first 2 shown]
	v_cvt_pk_bf16_f32 v30, v26, s0
	v_cvt_pk_bf16_f32 v31, v27, s0
	v_cvt_pk_bf16_f32 v28, v28, s0
	v_cvt_pk_bf16_f32 v29, v24, s0
	v_cvt_pk_bf16_f32 v26, v37, s0
	v_cvt_pk_bf16_f32 v27, v38, s0
	v_cvt_pk_bf16_f32 v24, v39, s0
	v_cvt_pk_bf16_f32 v25, v25, s0
	v_add_u32_e32 v37, -1, v21
	s_and_saveexec_b64 s[8:9], vcc
	s_cbranch_execz .LBB300_42
; %bb.41:                               ;   in Loop: Header=BB300_40 Depth=1
	v_cmp_gt_i32_e64 s[0:1], s17, v23
	s_nop 1
	v_cndmask_b32_e64 v30, 0, v30, s[0:1]
	v_cmp_gt_i32_e64 s[0:1], s17, v36
	s_nop 1
	v_cndmask_b32_e64 v31, 0, v31, s[0:1]
	;; [unrolled: 3-line block ×8, first 2 shown]
.LBB300_42:                             ;   in Loop: Header=BB300_40 Depth=1
	s_or_b64 exec, exec, s[8:9]
	global_load_dwordx2 v[16:17], v[16:17], off offset:512
	s_waitcnt vmcnt(0)
	v_and_b32_e32 v38, 0xff, v16
	v_bfe_u32 v39, v16, 8, 8
	v_bfe_u32 v40, v16, 16, 8
	v_lshrrev_b32_e32 v16, 24, v16
	v_and_b32_e32 v41, 0xff, v17
	v_bfe_u32 v42, v17, 8, 8
	v_bfe_u32 v43, v17, 16, 8
	v_lshrrev_b32_e32 v17, 24, v17
	v_cvt_f32_fp8_e32 v38, v38
	v_cvt_f32_fp8_e32 v39, v39
	;; [unrolled: 1-line block ×8, first 2 shown]
	v_mul_f32_e32 v38, s10, v38
	v_mul_f32_e32 v39, s10, v39
	;; [unrolled: 1-line block ×8, first 2 shown]
	v_cvt_pk_bf16_f32 v43, v38, s0
	v_cvt_pk_bf16_f32 v42, v39, s0
	;; [unrolled: 1-line block ×8, first 2 shown]
	s_and_saveexec_b64 s[0:1], vcc
	s_cbranch_execz .LBB300_39
; %bb.43:                               ;   in Loop: Header=BB300_40 Depth=1
	v_cmp_gt_i32_e32 vcc, s17, v23
	s_nop 1
	v_cndmask_b32_e32 v43, 0, v43, vcc
	v_cmp_gt_i32_e32 vcc, s17, v36
	s_nop 1
	v_cndmask_b32_e32 v42, 0, v42, vcc
	;; [unrolled: 3-line block ×8, first 2 shown]
	s_branch .LBB300_39
.LBB300_44:
	s_or_b64 exec, exec, s[6:7]
.LBB300_45:
	s_or_b64 exec, exec, s[2:3]
	ds_bpermute_b32 v2, v19, v10
	ds_bpermute_b32 v3, v19, v11
	v_and_b32_e32 v1, 0x3c1, v0
	v_cmp_eq_u32_e32 vcc, 64, v1
	s_waitcnt lgkmcnt(0)
	s_barrier
	v_pk_add_f32 v[2:3], v[10:11], v[2:3]
	s_and_saveexec_b64 s[0:1], vcc
; %bb.46:
	v_mov_b32_e32 v4, 0x90
	v_lshl_add_u32 v4, v18, 1, v4
	ds_write2_b32 v4, v2, v3 offset1:32
; %bb.47:
	s_or_b64 exec, exec, s[0:1]
	v_cmp_gt_u32_e32 vcc, 64, v0
	v_lshrrev_b32_e32 v0, 1, v0
	s_waitcnt lgkmcnt(0)
	s_barrier
	s_and_saveexec_b64 s[0:1], vcc
	s_cbranch_execz .LBB300_53
; %bb.48:
	v_mov_b32_e32 v4, 0x90
	v_cmp_eq_u32_e32 vcc, 0, v20
	v_lshl_add_u32 v4, v0, 2, v4
	s_and_saveexec_b64 s[2:3], vcc
	s_cbranch_execz .LBB300_50
; %bb.49:
	ds_read_b32 v5, v4
	s_waitcnt lgkmcnt(0)
	v_add_f32_e32 v2, v2, v5
.LBB300_50:
	s_or_b64 exec, exec, s[2:3]
	s_and_saveexec_b64 s[2:3], vcc
	s_cbranch_execz .LBB300_52
; %bb.51:
	ds_read_b32 v4, v4 offset:128
	s_waitcnt lgkmcnt(0)
	v_add_f32_e32 v3, v3, v4
.LBB300_52:
	s_or_b64 exec, exec, s[2:3]
.LBB300_53:
	s_or_b64 exec, exec, s[0:1]
	v_cmp_eq_u32_e32 vcc, 0, v1
	s_barrier
	s_and_saveexec_b64 s[0:1], vcc
	s_cbranch_execz .LBB300_55
; %bb.54:
	s_mul_i32 s0, s16, s12
	s_mul_i32 s0, s0, s5
	s_lshl_b32 s0, s0, 6
	s_ashr_i32 s1, s0, 31
	s_lshl_b64 s[0:1], s[0:1], 1
	s_add_u32 s2, s20, s0
	s_mul_i32 s0, s12, s18
	s_addc_u32 s3, s21, s1
	s_ashr_i32 s1, s0, 31
	s_lshl_b64 s[0:1], s[0:1], 1
	s_add_u32 s2, s2, s0
	s_addc_u32 s3, s3, s1
	s_lshl_b32 s0, s4, 6
	s_ashr_i32 s1, s0, 31
	s_lshl_b64 s[0:1], s[0:1], 1
	s_add_u32 s0, s2, s0
	s_addc_u32 s1, s3, s1
	v_cvt_pk_bf16_f32 v1, v2, s0
	v_lshlrev_b32_e32 v0, 1, v0
	global_store_short v0, v1, s[0:1]
	v_cvt_pk_bf16_f32 v1, v3, s0
	global_store_short v0, v1, s[0:1] offset:64
.LBB300_55:
	s_endpgm
	.section	.rodata,"a",@progbits
	.p2align	6, 0x0
	.amdhsa_kernel _ZN4vllm25paged_attention_v1_kernelI14__hip_bfloat16hLi64ELi16ELi128ELNS_18Fp8KVCacheDataTypeE1ELb0EEEvPT_PKS3_PKT0_S9_ifPKiSB_iPKfiiiSD_SD_iiiii
		.amdhsa_group_segment_fixed_size 144
		.amdhsa_private_segment_fixed_size 0
		.amdhsa_kernarg_size 384
		.amdhsa_user_sgpr_count 2
		.amdhsa_user_sgpr_dispatch_ptr 0
		.amdhsa_user_sgpr_queue_ptr 0
		.amdhsa_user_sgpr_kernarg_segment_ptr 1
		.amdhsa_user_sgpr_dispatch_id 0
		.amdhsa_user_sgpr_kernarg_preload_length 0
		.amdhsa_user_sgpr_kernarg_preload_offset 0
		.amdhsa_user_sgpr_private_segment_size 0
		.amdhsa_uses_dynamic_stack 0
		.amdhsa_enable_private_segment 0
		.amdhsa_system_sgpr_workgroup_id_x 1
		.amdhsa_system_sgpr_workgroup_id_y 1
		.amdhsa_system_sgpr_workgroup_id_z 1
		.amdhsa_system_sgpr_workgroup_info 0
		.amdhsa_system_vgpr_workitem_id 0
		.amdhsa_next_free_vgpr 48
		.amdhsa_next_free_sgpr 38
		.amdhsa_accum_offset 48
		.amdhsa_reserve_vcc 1
		.amdhsa_float_round_mode_32 0
		.amdhsa_float_round_mode_16_64 0
		.amdhsa_float_denorm_mode_32 3
		.amdhsa_float_denorm_mode_16_64 3
		.amdhsa_dx10_clamp 1
		.amdhsa_ieee_mode 1
		.amdhsa_fp16_overflow 0
		.amdhsa_tg_split 0
		.amdhsa_exception_fp_ieee_invalid_op 0
		.amdhsa_exception_fp_denorm_src 0
		.amdhsa_exception_fp_ieee_div_zero 0
		.amdhsa_exception_fp_ieee_overflow 0
		.amdhsa_exception_fp_ieee_underflow 0
		.amdhsa_exception_fp_ieee_inexact 0
		.amdhsa_exception_int_div_zero 0
	.end_amdhsa_kernel
	.section	.text._ZN4vllm25paged_attention_v1_kernelI14__hip_bfloat16hLi64ELi16ELi128ELNS_18Fp8KVCacheDataTypeE1ELb0EEEvPT_PKS3_PKT0_S9_ifPKiSB_iPKfiiiSD_SD_iiiii,"axG",@progbits,_ZN4vllm25paged_attention_v1_kernelI14__hip_bfloat16hLi64ELi16ELi128ELNS_18Fp8KVCacheDataTypeE1ELb0EEEvPT_PKS3_PKT0_S9_ifPKiSB_iPKfiiiSD_SD_iiiii,comdat
.Lfunc_end300:
	.size	_ZN4vllm25paged_attention_v1_kernelI14__hip_bfloat16hLi64ELi16ELi128ELNS_18Fp8KVCacheDataTypeE1ELb0EEEvPT_PKS3_PKT0_S9_ifPKiSB_iPKfiiiSD_SD_iiiii, .Lfunc_end300-_ZN4vllm25paged_attention_v1_kernelI14__hip_bfloat16hLi64ELi16ELi128ELNS_18Fp8KVCacheDataTypeE1ELb0EEEvPT_PKS3_PKT0_S9_ifPKiSB_iPKfiiiSD_SD_iiiii
                                        ; -- End function
	.set _ZN4vllm25paged_attention_v1_kernelI14__hip_bfloat16hLi64ELi16ELi128ELNS_18Fp8KVCacheDataTypeE1ELb0EEEvPT_PKS3_PKT0_S9_ifPKiSB_iPKfiiiSD_SD_iiiii.num_vgpr, 48
	.set _ZN4vllm25paged_attention_v1_kernelI14__hip_bfloat16hLi64ELi16ELi128ELNS_18Fp8KVCacheDataTypeE1ELb0EEEvPT_PKS3_PKT0_S9_ifPKiSB_iPKfiiiSD_SD_iiiii.num_agpr, 0
	.set _ZN4vllm25paged_attention_v1_kernelI14__hip_bfloat16hLi64ELi16ELi128ELNS_18Fp8KVCacheDataTypeE1ELb0EEEvPT_PKS3_PKT0_S9_ifPKiSB_iPKfiiiSD_SD_iiiii.numbered_sgpr, 38
	.set _ZN4vllm25paged_attention_v1_kernelI14__hip_bfloat16hLi64ELi16ELi128ELNS_18Fp8KVCacheDataTypeE1ELb0EEEvPT_PKS3_PKT0_S9_ifPKiSB_iPKfiiiSD_SD_iiiii.num_named_barrier, 0
	.set _ZN4vllm25paged_attention_v1_kernelI14__hip_bfloat16hLi64ELi16ELi128ELNS_18Fp8KVCacheDataTypeE1ELb0EEEvPT_PKS3_PKT0_S9_ifPKiSB_iPKfiiiSD_SD_iiiii.private_seg_size, 0
	.set _ZN4vllm25paged_attention_v1_kernelI14__hip_bfloat16hLi64ELi16ELi128ELNS_18Fp8KVCacheDataTypeE1ELb0EEEvPT_PKS3_PKT0_S9_ifPKiSB_iPKfiiiSD_SD_iiiii.uses_vcc, 1
	.set _ZN4vllm25paged_attention_v1_kernelI14__hip_bfloat16hLi64ELi16ELi128ELNS_18Fp8KVCacheDataTypeE1ELb0EEEvPT_PKS3_PKT0_S9_ifPKiSB_iPKfiiiSD_SD_iiiii.uses_flat_scratch, 0
	.set _ZN4vllm25paged_attention_v1_kernelI14__hip_bfloat16hLi64ELi16ELi128ELNS_18Fp8KVCacheDataTypeE1ELb0EEEvPT_PKS3_PKT0_S9_ifPKiSB_iPKfiiiSD_SD_iiiii.has_dyn_sized_stack, 0
	.set _ZN4vllm25paged_attention_v1_kernelI14__hip_bfloat16hLi64ELi16ELi128ELNS_18Fp8KVCacheDataTypeE1ELb0EEEvPT_PKS3_PKT0_S9_ifPKiSB_iPKfiiiSD_SD_iiiii.has_recursion, 0
	.set _ZN4vllm25paged_attention_v1_kernelI14__hip_bfloat16hLi64ELi16ELi128ELNS_18Fp8KVCacheDataTypeE1ELb0EEEvPT_PKS3_PKT0_S9_ifPKiSB_iPKfiiiSD_SD_iiiii.has_indirect_call, 0
	.section	.AMDGPU.csdata,"",@progbits
; Kernel info:
; codeLenInByte = 4776
; TotalNumSgprs: 44
; NumVgprs: 48
; NumAgprs: 0
; TotalNumVgprs: 48
; ScratchSize: 0
; MemoryBound: 0
; FloatMode: 240
; IeeeMode: 1
; LDSByteSize: 144 bytes/workgroup (compile time only)
; SGPRBlocks: 5
; VGPRBlocks: 5
; NumSGPRsForWavesPerEU: 44
; NumVGPRsForWavesPerEU: 48
; AccumOffset: 48
; Occupancy: 8
; WaveLimiterHint : 1
; COMPUTE_PGM_RSRC2:SCRATCH_EN: 0
; COMPUTE_PGM_RSRC2:USER_SGPR: 2
; COMPUTE_PGM_RSRC2:TRAP_HANDLER: 0
; COMPUTE_PGM_RSRC2:TGID_X_EN: 1
; COMPUTE_PGM_RSRC2:TGID_Y_EN: 1
; COMPUTE_PGM_RSRC2:TGID_Z_EN: 1
; COMPUTE_PGM_RSRC2:TIDIG_COMP_CNT: 0
; COMPUTE_PGM_RSRC3_GFX90A:ACCUM_OFFSET: 11
; COMPUTE_PGM_RSRC3_GFX90A:TG_SPLIT: 0
	.section	.text._ZN4vllm25paged_attention_v1_kernelI14__hip_bfloat16hLi80ELi16ELi128ELNS_18Fp8KVCacheDataTypeE1ELb0EEEvPT_PKS3_PKT0_S9_ifPKiSB_iPKfiiiSD_SD_iiiii,"axG",@progbits,_ZN4vllm25paged_attention_v1_kernelI14__hip_bfloat16hLi80ELi16ELi128ELNS_18Fp8KVCacheDataTypeE1ELb0EEEvPT_PKS3_PKT0_S9_ifPKiSB_iPKfiiiSD_SD_iiiii,comdat
	.protected	_ZN4vllm25paged_attention_v1_kernelI14__hip_bfloat16hLi80ELi16ELi128ELNS_18Fp8KVCacheDataTypeE1ELb0EEEvPT_PKS3_PKT0_S9_ifPKiSB_iPKfiiiSD_SD_iiiii ; -- Begin function _ZN4vllm25paged_attention_v1_kernelI14__hip_bfloat16hLi80ELi16ELi128ELNS_18Fp8KVCacheDataTypeE1ELb0EEEvPT_PKS3_PKT0_S9_ifPKiSB_iPKfiiiSD_SD_iiiii
	.globl	_ZN4vllm25paged_attention_v1_kernelI14__hip_bfloat16hLi80ELi16ELi128ELNS_18Fp8KVCacheDataTypeE1ELb0EEEvPT_PKS3_PKT0_S9_ifPKiSB_iPKfiiiSD_SD_iiiii
	.p2align	8
	.type	_ZN4vllm25paged_attention_v1_kernelI14__hip_bfloat16hLi80ELi16ELi128ELNS_18Fp8KVCacheDataTypeE1ELb0EEEvPT_PKS3_PKT0_S9_ifPKiSB_iPKfiiiSD_SD_iiiii,@function
_ZN4vllm25paged_attention_v1_kernelI14__hip_bfloat16hLi80ELi16ELi128ELNS_18Fp8KVCacheDataTypeE1ELb0EEEvPT_PKS3_PKT0_S9_ifPKiSB_iPKfiiiSD_SD_iiiii: ; @_ZN4vllm25paged_attention_v1_kernelI14__hip_bfloat16hLi80ELi16ELi128ELNS_18Fp8KVCacheDataTypeE1ELb0EEEvPT_PKS3_PKT0_S9_ifPKiSB_iPKfiiiSD_SD_iiiii
; %bb.0:
	s_load_dword s5, s[0:1], 0x80
	s_load_dwordx2 s[6:7], s[0:1], 0x30
	s_load_dwordx2 s[28:29], s[0:1], 0x20
	s_mov_b32 s16, s3
	s_ashr_i32 s17, s3, 31
	s_lshl_b64 s[8:9], s[16:17], 2
	s_waitcnt lgkmcnt(0)
	s_add_u32 s6, s6, s8
	s_addc_u32 s7, s7, s9
	s_abs_i32 s3, s28
	v_cvt_f32_u32_e32 v1, s3
	s_sub_i32 s10, 0, s3
	s_abs_i32 s9, s5
	s_xor_b32 s8, s5, s28
	v_rcp_iflag_f32_e32 v1, v1
	s_ashr_i32 s8, s8, 31
	s_mov_b32 s28, 0
	v_mul_f32_e32 v1, 0x4f7ffffe, v1
	v_cvt_u32_f32_e32 v1, v1
	s_nop 0
	v_readfirstlane_b32 s11, v1
	s_mul_i32 s10, s10, s11
	s_mul_hi_u32 s10, s11, s10
	s_add_i32 s11, s11, s10
	s_mul_hi_u32 s10, s9, s11
	s_mul_i32 s11, s10, s3
	s_sub_i32 s9, s9, s11
	s_add_i32 s11, s10, 1
	s_sub_i32 s12, s9, s3
	s_cmp_ge_u32 s9, s3
	s_cselect_b32 s10, s11, s10
	s_cselect_b32 s9, s12, s9
	s_add_i32 s11, s10, 1
	s_cmp_ge_u32 s9, s3
	s_cselect_b32 s3, s11, s10
	s_xor_b32 s3, s3, s8
	s_sub_i32 s18, s3, s8
	s_abs_i32 s10, s18
	v_cvt_f32_u32_e32 v1, s10
	s_load_dwordx2 s[8:9], s[0:1], 0x40
	s_sub_i32 s3, 0, s10
	s_abs_i32 s11, s2
	v_rcp_iflag_f32_e32 v1, v1
	s_nop 0
	v_mul_f32_e32 v1, 0x4f7ffffe, v1
	v_cvt_u32_f32_e32 v1, v1
	s_nop 0
	v_readfirstlane_b32 s12, v1
	s_mul_i32 s3, s3, s12
	s_mul_hi_u32 s3, s12, s3
	s_add_i32 s12, s12, s3
	s_waitcnt lgkmcnt(0)
	s_cmp_eq_u64 s[8:9], 0
	s_mul_hi_u32 s20, s11, s12
	s_cbranch_scc1 .LBB301_2
; %bb.1:
	s_ashr_i32 s3, s2, 31
	s_lshl_b64 s[12:13], s[2:3], 2
	s_add_u32 s8, s8, s12
	s_addc_u32 s9, s9, s13
	s_load_dword s28, s[8:9], 0x0
.LBB301_2:
	s_load_dword s17, s[6:7], 0x0
	s_load_dwordx4 s[12:15], s[0:1], 0x48
	s_ashr_i32 s6, s2, 31
	s_ashr_i32 s7, s18, 31
	v_and_b32_e32 v2, 3, v0
	s_mul_i32 s18, s2, 0x50
	v_cmp_gt_u32_e32 vcc, 40, v0
	s_and_saveexec_b64 s[2:3], vcc
	s_cbranch_execz .LBB301_4
; %bb.3:
	s_load_dwordx2 s[8:9], s[0:1], 0x8
	s_waitcnt lgkmcnt(0)
	s_mul_i32 s22, s12, s16
	s_ashr_i32 s23, s22, 31
	s_lshl_b64 s[22:23], s[22:23], 1
	v_lshlrev_b32_e32 v1, 2, v0
	s_add_u32 s12, s8, s22
	s_addc_u32 s15, s9, s23
	s_ashr_i32 s19, s18, 31
	s_lshl_b64 s[8:9], s[18:19], 1
	s_add_u32 s8, s12, s8
	s_addc_u32 s9, s15, s9
	global_load_dword v1, v1, s[8:9]
	v_and_b32_e32 v3, 0x3fc, v0
	v_mad_u32_u24 v3, v2, 40, v3
	s_waitcnt vmcnt(0)
	ds_write_b32 v3, v1
.LBB301_4:
	s_or_b64 exec, exec, s[2:3]
	s_waitcnt lgkmcnt(0)
	s_add_i32 s3, s17, 15
	s_ashr_i32 s8, s3, 31
	s_lshr_b32 s8, s8, 28
	s_add_i32 s3, s3, s8
	s_ashr_i32 s19, s3, 4
	s_xor_b32 s3, s6, s7
	s_mul_i32 s6, s20, s10
	s_sub_i32 s6, s11, s6
	s_add_i32 s7, s20, 1
	s_sub_i32 s8, s6, s10
	s_load_dwordx2 s[22:23], s[0:1], 0x28
	s_load_dword s2, s[0:1], 0x38
	s_cmp_ge_u32 s6, s10
	s_cselect_b32 s7, s7, s20
	s_cselect_b32 s6, s8, s6
	s_add_i32 s8, s7, 1
	s_cmp_ge_u32 s6, s10
	s_cselect_b32 s6, s8, s7
	v_lshrrev_b32_e32 v1, 6, v0
	s_xor_b32 s6, s6, s3
	s_waitcnt lgkmcnt(0)
	s_mul_i32 s24, s2, s16
	s_sub_i32 s33, s6, s3
	s_ashr_i32 s25, s24, 31
	v_cmp_le_i32_e64 s[6:7], s19, v1
	v_mbcnt_lo_u32_b32 v3, -1, 0
	s_barrier
                                        ; implicit-def: $vgpr7
                                        ; implicit-def: $vgpr9
                                        ; implicit-def: $vgpr8
	s_and_saveexec_b64 s[2:3], s[6:7]
	s_xor_b64 s[2:3], exec, s[2:3]
; %bb.5:
	v_mbcnt_hi_u32_b32 v7, -1, v3
	v_and_b32_e32 v9, 64, v7
	v_add_u32_e32 v8, 64, v9
                                        ; implicit-def: $vgpr2
                                        ; implicit-def: $vgpr3
; %bb.6:
	s_or_saveexec_b64 s[30:31], s[2:3]
	s_load_dwordx2 s[20:21], s[0:1], 0x0
	s_load_dwordx2 s[26:27], s[0:1], 0x18
	s_load_dword s12, s[0:1], 0x88
	s_load_dwordx4 s[8:11], s[0:1], 0x58
	v_mov_b32_e32 v27, 0xff7fffff
	s_mul_i32 s33, s33, s14
	v_lshrrev_b32_e32 v6, 4, v0
	s_xor_b64 exec, exec, s[30:31]
	s_cbranch_execz .LBB301_12
; %bb.7:
	v_mul_u32_u24_e32 v7, 40, v2
	ds_read_b64 v[8:9], v7 offset:32
	s_load_dwordx2 s[0:1], s[0:1], 0x10
	ds_read2_b64 v[14:17], v7 offset1:1
	ds_read2_b64 v[22:25], v7 offset0:2 offset1:3
	v_mbcnt_hi_u32_b32 v7, -1, v3
	s_waitcnt lgkmcnt(0)
	v_lshlrev_b32_e32 v29, 16, v9
	v_and_b32_e32 v30, 0xffff0000, v9
	v_and_b32_e32 v9, 64, v7
	v_lshlrev_b32_e32 v26, 16, v8
	v_and_b32_e32 v28, 0xffff0000, v8
	v_add_u32_e32 v8, 64, v9
	v_xor_b32_e32 v3, 2, v7
	v_cmp_lt_i32_e32 vcc, v3, v8
	s_ashr_i32 s2, s33, 31
	v_bfe_u32 v27, v0, 2, 4
	v_cndmask_b32_e32 v3, v7, v3, vcc
	s_add_u32 s0, s0, s33
	v_lshlrev_b32_e32 v31, 2, v3
	v_xor_b32_e32 v3, 1, v7
	v_lshlrev_b32_e32 v4, 4, v27
	s_addc_u32 s1, s1, s2
	v_mov_b32_e32 v5, 0
	v_cmp_lt_i32_e32 vcc, v3, v8
	v_lshl_add_u64 v[34:35], s[0:1], 0, v[4:5]
	v_lshlrev_b32_e32 v4, 1, v2
	v_cndmask_b32_e32 v3, v7, v3, vcc
	s_load_dword s35, s[8:9], 0x0
	v_lshlrev_b32_e32 v32, 2, v3
	v_cmp_eq_u32_e32 vcc, 0, v2
	v_lshl_add_u64 v[2:3], v[34:35], 0, v[4:5]
	s_sub_i32 s36, 1, s17
	v_lshlrev_b32_e32 v4, 2, v27
	s_lshl_b64 s[0:1], s[24:25], 2
	v_lshl_or_b32 v4, v1, 6, v4
	s_add_u32 s0, s22, s0
	v_add_u32_e32 v34, 0xb0, v4
	v_and_b32_e32 v4, 60, v6
	s_addc_u32 s1, s23, s1
	s_mov_b32 s34, s13
	v_lshlrev_b32_e32 v10, 16, v14
	v_and_b32_e32 v11, 0xffff0000, v14
	v_lshlrev_b32_e32 v12, 16, v15
	v_and_b32_e32 v13, 0xffff0000, v15
	;; [unrolled: 2-line block ×8, first 2 shown]
	v_cmp_neq_f32_e64 s[2:3], s28, 0
	v_lshl_or_b32 v33, v1, 4, v27
	v_lshl_add_u64 v[4:5], s[0:1], 0, v[4:5]
	v_mov_b32_e32 v27, 0xff7fffff
	s_mov_b64 s[8:9], 0
	s_mov_b32 s37, 0xffff
	v_mov_b32_e32 v35, v1
	s_branch .LBB301_9
.LBB301_8:                              ;   in Loop: Header=BB301_9 Depth=1
	s_or_b64 exec, exec, s[14:15]
	v_add_u32_e32 v35, 2, v35
	v_cmp_le_i32_e64 s[0:1], s19, v35
	v_add_u32_e32 v33, 32, v33
	v_add_u32_e32 v34, 0x80, v34
	s_or_b64 s[8:9], s[0:1], s[8:9]
	v_lshl_add_u64 v[4:5], v[4:5], 0, 8
	s_andn2_b64 exec, exec, s[8:9]
	s_cbranch_execz .LBB301_11
.LBB301_9:                              ; =>This Inner Loop Header: Depth=1
	global_load_dword v36, v[4:5], off
	s_waitcnt vmcnt(0) lgkmcnt(0)
	v_mad_i64_i32 v[36:37], s[0:1], v36, s34, v[2:3]
	global_load_ushort v38, v[36:37], off
	global_load_ushort v39, v[36:37], off offset:8
	global_load_ushort v40, v[36:37], off offset:256
	global_load_ushort v41, v[36:37], off offset:264
	global_load_ushort v42, v[36:37], off offset:512
	global_load_ushort v43, v[36:37], off offset:520
	global_load_ushort v44, v[36:37], off offset:768
	global_load_ushort v45, v[36:37], off offset:776
	global_load_ushort v46, v[36:37], off offset:1024
	global_load_ushort v47, v[36:37], off offset:1032
	s_waitcnt vmcnt(9)
	v_and_b32_sdwa v36, s37, v38 dst_sel:DWORD dst_unused:UNUSED_PAD src0_sel:DWORD src1_sel:BYTE_0
	v_lshrrev_b16_e32 v37, 8, v38
	s_waitcnt vmcnt(8)
	v_and_b32_sdwa v38, s37, v39 dst_sel:DWORD dst_unused:UNUSED_PAD src0_sel:DWORD src1_sel:BYTE_0
	v_lshrrev_b16_e32 v39, 8, v39
	v_cvt_f32_fp8_e32 v38, v38
	v_cvt_f32_fp8_e32 v39, v39
	s_waitcnt vmcnt(7)
	v_and_b32_sdwa v48, s37, v40 dst_sel:DWORD dst_unused:UNUSED_PAD src0_sel:DWORD src1_sel:BYTE_0
	v_lshrrev_b16_e32 v40, 8, v40
	v_cvt_f32_fp8_e32 v36, v36
	v_cvt_f32_fp8_e32 v37, v37
	;; [unrolled: 5-line block ×5, first 2 shown]
	s_waitcnt lgkmcnt(0)
	v_mul_f32_e32 v38, s35, v38
	v_mul_f32_e32 v39, s35, v39
	s_waitcnt vmcnt(3)
	v_and_b32_sdwa v52, s37, v44 dst_sel:DWORD dst_unused:UNUSED_PAD src0_sel:DWORD src1_sel:BYTE_0
	v_lshrrev_b16_e32 v44, 8, v44
	v_cvt_f32_fp8_e32 v51, v51
	v_cvt_f32_fp8_e32 v43, v43
	v_mul_f32_e32 v36, s35, v36
	v_mul_f32_e32 v37, s35, v37
	v_cvt_pk_bf16_f32 v38, v38, s0
	v_cvt_pk_bf16_f32 v39, v39, s0
	s_waitcnt vmcnt(2)
	v_and_b32_sdwa v53, s37, v45 dst_sel:DWORD dst_unused:UNUSED_PAD src0_sel:DWORD src1_sel:BYTE_0
	v_lshrrev_b16_e32 v45, 8, v45
	v_cvt_f32_fp8_e32 v52, v52
	v_cvt_f32_fp8_e32 v44, v44
	v_mul_f32_e32 v48, s35, v48
	v_mul_f32_e32 v40, s35, v40
	v_cvt_pk_bf16_f32 v36, v36, s0
	v_cvt_pk_bf16_f32 v37, v37, s0
	v_lshlrev_b32_e32 v38, 16, v38
	v_lshlrev_b32_e32 v39, 16, v39
	s_waitcnt vmcnt(1)
	v_and_b32_sdwa v54, s37, v46 dst_sel:DWORD dst_unused:UNUSED_PAD src0_sel:DWORD src1_sel:BYTE_0
	v_lshrrev_b16_e32 v46, 8, v46
	v_cvt_f32_fp8_e32 v53, v53
	v_cvt_f32_fp8_e32 v45, v45
	v_mul_f32_e32 v49, s35, v49
	v_mul_f32_e32 v41, s35, v41
	v_cvt_pk_bf16_f32 v48, v48, s0
	v_cvt_pk_bf16_f32 v40, v40, s0
	v_lshlrev_b32_e32 v36, 16, v36
	v_lshlrev_b32_e32 v37, 16, v37
	v_mul_f32_e32 v38, v12, v38
	v_mul_f32_e32 v39, v13, v39
	s_waitcnt vmcnt(0)
	v_and_b32_sdwa v55, s37, v47 dst_sel:DWORD dst_unused:UNUSED_PAD src0_sel:DWORD src1_sel:BYTE_0
	v_lshrrev_b16_e32 v47, 8, v47
	v_cvt_f32_fp8_e32 v54, v54
	v_cvt_f32_fp8_e32 v46, v46
	v_mul_f32_e32 v50, s35, v50
	v_mul_f32_e32 v42, s35, v42
	v_cvt_pk_bf16_f32 v49, v49, s0
	v_cvt_pk_bf16_f32 v41, v41, s0
	v_lshlrev_b32_e32 v48, 16, v48
	v_lshlrev_b32_e32 v40, 16, v40
	v_fmac_f32_e32 v38, v10, v36
	v_fmac_f32_e32 v39, v11, v37
	v_cvt_f32_fp8_e32 v55, v55
	v_cvt_f32_fp8_e32 v47, v47
	v_mul_f32_e32 v51, s35, v51
	v_mul_f32_e32 v43, s35, v43
	v_cvt_pk_bf16_f32 v50, v50, s0
	v_cvt_pk_bf16_f32 v42, v42, s0
	v_lshlrev_b32_e32 v49, 16, v49
	v_lshlrev_b32_e32 v41, 16, v41
	v_fmac_f32_e32 v38, v14, v48
	v_fmac_f32_e32 v39, v15, v40
	v_mul_f32_e32 v52, s35, v52
	v_mul_f32_e32 v44, s35, v44
	v_cvt_pk_bf16_f32 v51, v51, s0
	v_cvt_pk_bf16_f32 v43, v43, s0
	v_lshlrev_b32_e32 v50, 16, v50
	v_lshlrev_b32_e32 v42, 16, v42
	v_fmac_f32_e32 v38, v16, v49
	v_fmac_f32_e32 v39, v17, v41
	v_mul_f32_e32 v53, s35, v53
	v_mul_f32_e32 v45, s35, v45
	v_cvt_pk_bf16_f32 v52, v52, s0
	v_cvt_pk_bf16_f32 v44, v44, s0
	v_lshlrev_b32_e32 v51, 16, v51
	v_lshlrev_b32_e32 v43, 16, v43
	v_fmac_f32_e32 v38, v18, v50
	v_fmac_f32_e32 v39, v19, v42
	v_mul_f32_e32 v54, s35, v54
	v_mul_f32_e32 v46, s35, v46
	v_cvt_pk_bf16_f32 v53, v53, s0
	v_cvt_pk_bf16_f32 v45, v45, s0
	v_lshlrev_b32_e32 v52, 16, v52
	v_lshlrev_b32_e32 v44, 16, v44
	v_fmac_f32_e32 v38, v20, v51
	v_fmac_f32_e32 v39, v21, v43
	v_mul_f32_e32 v55, s35, v55
	v_mul_f32_e32 v47, s35, v47
	v_cvt_pk_bf16_f32 v54, v54, s0
	v_cvt_pk_bf16_f32 v46, v46, s0
	v_lshlrev_b32_e32 v53, 16, v53
	v_lshlrev_b32_e32 v45, 16, v45
	v_fmac_f32_e32 v38, v22, v52
	v_fmac_f32_e32 v39, v23, v44
	v_cvt_pk_bf16_f32 v55, v55, s0
	v_cvt_pk_bf16_f32 v47, v47, s0
	v_lshlrev_b32_e32 v54, 16, v54
	v_lshlrev_b32_e32 v46, 16, v46
	v_fmac_f32_e32 v38, v24, v53
	v_fmac_f32_e32 v39, v25, v45
	v_lshlrev_b32_e32 v55, 16, v55
	v_lshlrev_b32_e32 v47, 16, v47
	v_fmac_f32_e32 v38, v26, v54
	v_fmac_f32_e32 v39, v28, v46
	;; [unrolled: 1-line block ×4, first 2 shown]
	v_add_f32_e32 v36, v38, v39
	ds_bpermute_b32 v37, v31, v36
	s_waitcnt lgkmcnt(0)
	v_add_f32_e32 v36, v36, v37
	ds_bpermute_b32 v37, v32, v36
	s_and_saveexec_b64 s[14:15], vcc
	s_cbranch_execz .LBB301_8
; %bb.10:                               ;   in Loop: Header=BB301_9 Depth=1
	v_add_u32_e32 v38, s36, v33
	v_cvt_f32_i32_e32 v38, v38
	s_waitcnt lgkmcnt(0)
	v_add_f32_e32 v36, v36, v37
	v_cmp_gt_i32_e64 s[0:1], s17, v33
	v_max_f32_e32 v37, v27, v27
	v_mul_f32_e32 v38, s28, v38
	v_cndmask_b32_e64 v38, 0, v38, s[2:3]
	v_fmac_f32_e32 v38, s29, v36
	v_cndmask_b32_e64 v36, 0, v38, s[0:1]
	ds_write_b32 v34, v36
	v_max_f32_e32 v36, v37, v38
	v_cndmask_b32_e64 v27, v27, v36, s[0:1]
	s_branch .LBB301_8
.LBB301_11:
	s_or_b64 exec, exec, s[8:9]
.LBB301_12:
	s_or_b64 exec, exec, s[30:31]
	v_xor_b32_e32 v2, 32, v7
	v_cmp_lt_i32_e32 vcc, v2, v8
	v_xor_b32_e32 v5, 16, v7
	v_max_f32_e32 v4, v27, v27
	v_cndmask_b32_e32 v2, v7, v2, vcc
	v_lshlrev_b32_e32 v2, 2, v2
	ds_bpermute_b32 v3, v2, v27
	v_cmp_lt_i32_e32 vcc, v5, v8
	v_xor_b32_e32 v10, 8, v7
	v_xor_b32_e32 v12, 4, v7
	s_waitcnt lgkmcnt(0)
	v_max_f32_e32 v3, v3, v3
	v_max_f32_e32 v4, v4, v3
	v_cndmask_b32_e32 v3, v7, v5, vcc
	v_lshlrev_b32_e32 v3, 2, v3
	ds_bpermute_b32 v5, v3, v4
	v_cmp_lt_i32_e32 vcc, v10, v8
	s_waitcnt lgkmcnt(0)
	v_max_f32_e32 v5, v5, v5
	v_max_f32_e32 v4, v4, v5
	v_cndmask_b32_e32 v5, v7, v10, vcc
	v_lshlrev_b32_e32 v11, 2, v5
	ds_bpermute_b32 v5, v11, v4
	v_cmp_lt_i32_e32 vcc, v12, v8
	s_waitcnt lgkmcnt(0)
	v_max_f32_e32 v5, v5, v5
	v_max_f32_e32 v10, v4, v5
	v_cndmask_b32_e32 v4, v7, v12, vcc
	v_lshlrev_b32_e32 v12, 2, v4
	ds_bpermute_b32 v13, v12, v10
	v_and_b32_e32 v4, 63, v0
	v_cmp_eq_u32_e32 vcc, 0, v4
	v_lshlrev_b32_e32 v5, 2, v1
	s_and_saveexec_b64 s[0:1], vcc
	s_cbranch_execz .LBB301_14
; %bb.13:
	s_waitcnt lgkmcnt(0)
	v_max_f32_e32 v13, v13, v13
	v_max_f32_e32 v10, v10, v10
	;; [unrolled: 1-line block ×3, first 2 shown]
	ds_write_b32 v5, v10 offset:160
.LBB301_14:
	s_or_b64 exec, exec, s[0:1]
	v_cmp_gt_u32_e64 s[0:1], 2, v4
	s_waitcnt lgkmcnt(0)
	v_mov_b32_e32 v13, 0xff7fffff
	v_lshlrev_b32_e32 v10, 2, v4
	s_barrier
	s_and_saveexec_b64 s[2:3], s[0:1]
; %bb.15:
	ds_read_b32 v13, v10 offset:160
; %bb.16:
	s_or_b64 exec, exec, s[2:3]
	v_xor_b32_e32 v14, 1, v7
	v_cmp_lt_i32_e64 s[2:3], v14, v8
	v_lshlrev_b32_e32 v9, 2, v9
	s_nop 0
	v_cndmask_b32_e64 v14, v7, v14, s[2:3]
	v_lshlrev_b32_e32 v24, 2, v14
	s_waitcnt lgkmcnt(0)
	ds_bpermute_b32 v14, v24, v13
	v_max_f32_e32 v13, v13, v13
	s_lshl_b32 s2, s19, 4
	s_min_i32 s30, s2, s17
	v_cmp_gt_i32_e64 s[2:3], s30, v0
	s_waitcnt lgkmcnt(0)
	v_max_f32_e32 v14, v14, v14
	v_max_f32_e32 v13, v13, v14
	ds_bpermute_b32 v13, v9, v13
	v_mov_b32_e32 v9, 0
	s_and_saveexec_b64 s[14:15], s[2:3]
	s_cbranch_execz .LBB301_20
; %bb.17:
	v_mov_b32_e32 v9, 0xb0
	v_lshl_add_u32 v14, v0, 2, v9
	v_mov_b32_e32 v9, 0
	s_mov_b64 s[28:29], 0
	v_mov_b32_e32 v15, v0
.LBB301_18:                             ; =>This Inner Loop Header: Depth=1
	ds_read_b32 v16, v14
	v_add_u32_e32 v15, 0x80, v15
	v_cmp_le_i32_e64 s[8:9], s30, v15
	s_or_b64 s[28:29], s[8:9], s[28:29]
	s_waitcnt lgkmcnt(0)
	v_sub_f32_e32 v16, v16, v13
	v_mul_f32_e32 v16, 0x3fb8aa3b, v16
	v_exp_f32_e32 v16, v16
	ds_write_b32 v14, v16
	v_add_f32_e32 v9, v9, v16
	v_add_u32_e32 v14, 0x200, v14
	s_andn2_b64 exec, exec, s[28:29]
	s_cbranch_execnz .LBB301_18
; %bb.19:
	s_or_b64 exec, exec, s[28:29]
.LBB301_20:
	s_or_b64 exec, exec, s[14:15]
	ds_bpermute_b32 v2, v2, v9
	s_waitcnt lgkmcnt(0)
	v_add_f32_e32 v2, v9, v2
	ds_bpermute_b32 v3, v3, v2
	v_xor_b32_e32 v9, 2, v7
	v_cmp_lt_i32_e64 s[8:9], v9, v8
	s_waitcnt lgkmcnt(0)
	v_add_f32_e32 v2, v2, v3
	ds_bpermute_b32 v3, v11, v2
	v_cndmask_b32_e64 v8, v7, v9, s[8:9]
	s_waitcnt lgkmcnt(0)
	v_add_f32_e32 v2, v2, v3
	ds_bpermute_b32 v3, v12, v2
	s_waitcnt lgkmcnt(0)
	v_add_f32_e32 v2, v2, v3
	v_lshlrev_b32_e32 v3, 2, v8
	ds_bpermute_b32 v3, v3, v2
	s_waitcnt lgkmcnt(0)
	v_add_f32_e32 v2, v2, v3
	ds_bpermute_b32 v3, v24, v2
	s_waitcnt lgkmcnt(0)
	v_add_f32_e32 v2, v2, v3
	s_and_saveexec_b64 s[8:9], vcc
; %bb.21:
	ds_write_b32 v5, v2 offset:168
; %bb.22:
	s_or_b64 exec, exec, s[8:9]
	s_waitcnt lgkmcnt(0)
	s_barrier
	s_and_saveexec_b64 s[8:9], s[0:1]
; %bb.23:
	ds_read_b32 v2, v10 offset:168
; %bb.24:
	s_or_b64 exec, exec, s[8:9]
	s_waitcnt lgkmcnt(0)
	ds_bpermute_b32 v3, v24, v2
	v_lshlrev_b32_e32 v5, 2, v7
	s_waitcnt lgkmcnt(0)
	v_add_f32_e32 v2, v2, v3
	v_and_b32_e32 v3, 0xffffff00, v5
	ds_bpermute_b32 v2, v3, v2
	s_and_saveexec_b64 s[0:1], s[2:3]
	s_cbranch_execz .LBB301_37
; %bb.25:
	s_waitcnt lgkmcnt(0)
	v_add_f32_e32 v2, 0x358637bd, v2
	v_div_scale_f32 v3, s[2:3], v2, v2, 1.0
	v_rcp_f32_e32 v5, v3
	v_div_scale_f32 v7, vcc, 1.0, v2, 1.0
	s_movk_i32 s2, 0x7f
	v_fma_f32 v8, -v3, v5, 1.0
	v_fmac_f32_e32 v5, v8, v5
	v_mul_f32_e32 v8, v7, v5
	v_fma_f32 v9, -v3, v8, v7
	v_fmac_f32_e32 v8, v9, v5
	v_fma_f32 v3, -v3, v8, v7
	v_div_fmas_f32 v3, v3, v5, v8
	v_xad_u32 v5, v0, -1, s30
	v_div_fixup_f32 v2, v3, v2, 1.0
	v_cmp_lt_u32_e32 vcc, s2, v5
	s_mov_b64 s[8:9], -1
	v_mov_b32_e32 v3, v0
	s_and_saveexec_b64 s[2:3], vcc
	s_cbranch_execz .LBB301_34
; %bb.26:
	v_lshrrev_b32_e32 v5, 7, v5
	v_add_u32_e32 v8, -1, v5
	v_lshrrev_b32_e32 v7, 1, v8
	v_mov_b32_e32 v3, v2
	v_add_u32_e32 v7, 1, v7
	v_cmp_lt_u32_e32 vcc, 13, v8
	v_mov_b32_e32 v10, 0
	s_and_saveexec_b64 s[8:9], vcc
	s_cbranch_execz .LBB301_30
; %bb.27:
	v_mov_b32_e32 v9, 0xb0
	v_and_b32_e32 v8, -8, v7
	v_lshl_add_u32 v9, v0, 2, v9
	s_mov_b32 s28, 0
	s_mov_b64 s[14:15], 0
.LBB301_28:                             ; =>This Inner Loop Header: Depth=1
	ds_read2st64_b32 v[10:11], v9 offset1:2
	ds_read2st64_b32 v[12:13], v9 offset0:4 offset1:6
	ds_read2st64_b32 v[14:15], v9 offset0:8 offset1:10
	;; [unrolled: 1-line block ×3, first 2 shown]
	v_add_u32_e32 v8, -8, v8
	s_waitcnt lgkmcnt(3)
	v_pk_mul_f32 v[10:11], v[2:3], v[10:11]
	s_waitcnt lgkmcnt(2)
	v_pk_mul_f32 v[12:13], v[2:3], v[12:13]
	ds_write2st64_b32 v9, v10, v11 offset1:2
	ds_write2st64_b32 v9, v12, v13 offset0:4 offset1:6
	ds_read2st64_b32 v[12:13], v9 offset0:16 offset1:18
	s_waitcnt lgkmcnt(4)
	v_pk_mul_f32 v[10:11], v[2:3], v[14:15]
	ds_write2st64_b32 v9, v10, v11 offset0:8 offset1:10
	s_waitcnt lgkmcnt(4)
	v_pk_mul_f32 v[10:11], v[2:3], v[16:17]
	ds_write2st64_b32 v9, v10, v11 offset0:12 offset1:14
	ds_read2st64_b32 v[10:11], v9 offset0:20 offset1:22
	s_waitcnt lgkmcnt(3)
	v_pk_mul_f32 v[12:13], v[2:3], v[12:13]
	ds_read2st64_b32 v[14:15], v9 offset0:24 offset1:26
	ds_write2st64_b32 v9, v12, v13 offset0:16 offset1:18
	ds_read2st64_b32 v[12:13], v9 offset0:28 offset1:30
	s_waitcnt lgkmcnt(3)
	v_pk_mul_f32 v[10:11], v[2:3], v[10:11]
	ds_write2st64_b32 v9, v10, v11 offset0:20 offset1:22
	s_waitcnt lgkmcnt(3)
	v_pk_mul_f32 v[10:11], v[2:3], v[14:15]
	ds_write2st64_b32 v9, v10, v11 offset0:24 offset1:26
	s_waitcnt lgkmcnt(2)
	v_pk_mul_f32 v[10:11], v[2:3], v[12:13]
	s_add_i32 s28, s28, 16
	v_cmp_eq_u32_e32 vcc, 0, v8
	ds_write2st64_b32 v9, v10, v11 offset0:28 offset1:30
	v_add_u32_e32 v9, 0x2000, v9
	s_or_b64 s[14:15], vcc, s[14:15]
	v_mov_b32_e32 v10, s28
	s_andn2_b64 exec, exec, s[14:15]
	s_cbranch_execnz .LBB301_28
; %bb.29:
	s_or_b64 exec, exec, s[14:15]
.LBB301_30:
	s_or_b64 exec, exec, s[8:9]
	v_and_b32_e32 v7, 7, v7
	v_cmp_ne_u32_e32 vcc, 0, v7
	s_and_saveexec_b64 s[8:9], vcc
	s_cbranch_execz .LBB301_33
; %bb.31:
	v_lshlrev_b32_e32 v8, 9, v10
	v_lshlrev_b32_e32 v9, 2, v0
	s_movk_i32 s14, 0xb0
	v_add3_u32 v8, v8, v9, s14
	s_mov_b64 s[14:15], 0
.LBB301_32:                             ; =>This Inner Loop Header: Depth=1
	ds_read2st64_b32 v[10:11], v8 offset1:2
	v_add_u32_e32 v7, -1, v7
	v_cmp_eq_u32_e32 vcc, 0, v7
	s_or_b64 s[14:15], vcc, s[14:15]
	s_waitcnt lgkmcnt(0)
	v_pk_mul_f32 v[10:11], v[2:3], v[10:11]
	ds_write2st64_b32 v8, v10, v11 offset1:2
	v_add_u32_e32 v8, 0x400, v8
	s_andn2_b64 exec, exec, s[14:15]
	s_cbranch_execnz .LBB301_32
.LBB301_33:
	s_or_b64 exec, exec, s[8:9]
	v_add_u32_e32 v5, 1, v5
	v_and_b32_e32 v7, 0x3fffffe, v5
	v_cmp_ne_u32_e32 vcc, v5, v7
	v_lshl_add_u32 v3, v7, 7, v0
	s_orn2_b64 s[8:9], vcc, exec
.LBB301_34:
	s_or_b64 exec, exec, s[2:3]
	s_and_b64 exec, exec, s[8:9]
	s_cbranch_execz .LBB301_37
; %bb.35:
	v_mov_b32_e32 v5, 0xb0
	v_lshl_add_u32 v5, v3, 2, v5
	s_mov_b64 s[2:3], 0
.LBB301_36:                             ; =>This Inner Loop Header: Depth=1
	ds_read_b32 v7, v5
	v_add_u32_e32 v3, 0x80, v3
	v_cmp_le_i32_e32 vcc, s30, v3
	s_or_b64 s[2:3], vcc, s[2:3]
	s_waitcnt lgkmcnt(0)
	v_mul_f32_e32 v7, v2, v7
	ds_write_b32 v5, v7
	v_add_u32_e32 v5, 0x200, v5
	s_andn2_b64 exec, exec, s[2:3]
	s_cbranch_execnz .LBB301_36
.LBB301_37:
	s_or_b64 exec, exec, s[0:1]
	v_lshrrev_b32_e32 v25, 1, v4
	s_waitcnt lgkmcnt(0)
	s_barrier
	s_and_saveexec_b64 s[0:1], s[6:7]
	s_xor_b64 s[0:1], exec, s[0:1]
; %bb.38:
	v_lshrrev_b32_e32 v25, 1, v4
                                        ; implicit-def: $vgpr1
                                        ; implicit-def: $vgpr6
; %bb.39:
	s_or_saveexec_b64 s[6:7], s[0:1]
	v_mov_b32_e32 v11, 0
	v_and_b32_e32 v26, 1, v0
	v_mov_b32_e32 v10, 0
	v_mov_b32_e32 v27, 0
	s_xor_b64 exec, exec, s[6:7]
	s_cbranch_execz .LBB301_51
; %bb.40:
	v_lshlrev_b32_e32 v2, 3, v0
	v_and_b32_e32 v2, 8, v2
	s_ashr_i32 s1, s33, 31
	v_or_b32_e32 v3, 64, v25
	s_movk_i32 s2, 0x50
	s_add_u32 s0, s26, s33
	s_load_dword s15, s[10:11], 0x0
	v_cmp_gt_u32_e32 vcc, s2, v3
	v_lshl_or_b32 v14, v3, 4, v2
	v_lshlrev_b32_e32 v3, 4, v1
	s_addc_u32 s1, s27, s1
	s_add_i32 s14, s19, -1
	v_lshl_or_b32 v12, v25, 4, v2
	v_or3_b32 v28, v3, v2, 7
	v_lshlrev_b32_e32 v2, 5, v26
	s_lshl_b64 s[2:3], s[24:25], 2
	v_mov_b32_e32 v13, 0
	v_lshl_or_b32 v2, v1, 6, v2
	s_add_u32 s2, s22, s2
	v_add_u32_e32 v29, 0xb0, v2
	v_and_b32_e32 v2, 60, v6
	v_mov_b32_e32 v3, v13
	s_addc_u32 s3, s23, s3
	v_mov_b32_e32 v15, v13
	v_lshl_add_u64 v[16:17], s[2:3], 0, v[2:3]
	s_mov_b64 s[8:9], 0
	v_mov_b64_e32 v[18:19], s[0:1]
	v_mov_b32_e32 v27, v13
	v_mov_b32_e32 v11, v13
	;; [unrolled: 1-line block ×3, first 2 shown]
	s_branch .LBB301_43
.LBB301_41:                             ;   in Loop: Header=BB301_43 Depth=1
	s_or_b64 exec, exec, s[10:11]
	v_and_b32_e32 v38, 0xffff0000, v7
	v_lshlrev_b32_e32 v46, 16, v46
	v_mul_f32_e32 v38, v38, v46
	v_lshlrev_b32_e32 v46, 16, v7
	v_lshlrev_b32_e32 v45, 16, v45
	v_mul_f32_e32 v45, v46, v45
	v_and_b32_e32 v46, 0xffff0000, v6
	v_lshlrev_b32_e32 v21, 16, v21
	v_mul_f32_e32 v21, v46, v21
	v_lshlrev_b32_e32 v46, 16, v6
	v_lshlrev_b32_e32 v20, 16, v20
	v_mul_f32_e32 v20, v46, v20
	;; [unrolled: 6-line block ×3, first 2 shown]
	v_and_b32_e32 v46, 0xffff0000, v2
	v_lshlrev_b32_e32 v5, 16, v5
	v_cvt_pk_bf16_f32 v38, v38, s0
	v_cvt_pk_bf16_f32 v45, v45, s0
	v_cvt_pk_bf16_f32 v21, v21, s0
	v_cvt_pk_bf16_f32 v20, v20, s0
	v_mul_f32_e32 v5, v46, v5
	v_lshlrev_b32_e32 v46, 16, v2
	v_lshlrev_b32_e32 v4, 16, v4
	v_cvt_pk_bf16_f32 v9, v9, s0
	v_cvt_pk_bf16_f32 v8, v8, s0
	v_mul_f32_e32 v4, v46, v4
	v_lshlrev_b32_e32 v45, 16, v45
	v_lshlrev_b32_e32 v38, 16, v38
	;; [unrolled: 1-line block ×4, first 2 shown]
	v_cvt_pk_bf16_f32 v5, v5, s0
	v_cvt_pk_bf16_f32 v4, v4, s0
	v_lshlrev_b32_e32 v8, 16, v8
	v_lshlrev_b32_e32 v9, 16, v9
	v_add_f32_e32 v38, v38, v45
	v_add_f32_e32 v20, v21, v20
	v_lshlrev_b32_e32 v4, 16, v4
	v_lshlrev_b32_e32 v5, 16, v5
	v_add_f32_e32 v20, v20, v38
	v_add_f32_e32 v8, v9, v8
	;; [unrolled: 1-line block ×6, first 2 shown]
.LBB301_42:                             ;   in Loop: Header=BB301_43 Depth=1
	s_or_b64 exec, exec, s[2:3]
	v_and_b32_e32 v4, 0xffff0000, v7
	v_lshlrev_b32_e32 v5, 16, v44
	v_lshlrev_b32_e32 v7, 16, v7
	;; [unrolled: 1-line block ×3, first 2 shown]
	v_mul_f32_e32 v5, v4, v5
	v_mul_f32_e32 v8, v7, v8
	v_and_b32_e32 v9, 0xffff0000, v6
	v_lshlrev_b32_e32 v20, 16, v42
	v_lshlrev_b32_e32 v6, 16, v6
	;; [unrolled: 1-line block ×3, first 2 shown]
	v_cvt_pk_bf16_f32 v5, v5, s0
	v_cvt_pk_bf16_f32 v8, v8, s0
	v_mul_f32_e32 v20, v9, v20
	v_mul_f32_e32 v21, v6, v21
	v_cvt_pk_bf16_f32 v20, v20, s0
	v_cvt_pk_bf16_f32 v21, v21, s0
	v_and_b32_e32 v38, 0xffff0000, v3
	v_lshlrev_b32_e32 v40, 16, v40
	v_lshlrev_b32_e32 v3, 16, v3
	;; [unrolled: 1-line block ×5, first 2 shown]
	v_mul_f32_e32 v40, v38, v40
	v_mul_f32_e32 v39, v3, v39
	v_add_f32_e32 v5, v8, v5
	v_lshlrev_b32_e32 v8, 16, v21
	v_lshlrev_b32_e32 v20, 16, v20
	v_cvt_pk_bf16_f32 v40, v40, s0
	v_cvt_pk_bf16_f32 v39, v39, s0
	v_and_b32_e32 v41, 0xffff0000, v2
	v_lshlrev_b32_e32 v23, 16, v23
	v_lshlrev_b32_e32 v2, 16, v2
	;; [unrolled: 1-line block ×3, first 2 shown]
	v_add_f32_e32 v8, v8, v20
	v_mul_f32_e32 v23, v41, v23
	v_mul_f32_e32 v22, v2, v22
	v_add_f32_e32 v5, v8, v5
	v_lshlrev_b32_e32 v8, 16, v39
	v_lshlrev_b32_e32 v20, 16, v40
	v_cvt_pk_bf16_f32 v23, v23, s0
	v_cvt_pk_bf16_f32 v22, v22, s0
	v_add_f32_e32 v8, v8, v20
	v_add_f32_e32 v5, v8, v5
	v_lshlrev_b32_e32 v8, 16, v22
	v_lshlrev_b32_e32 v20, 16, v23
	v_add_f32_e32 v8, v8, v20
	v_add_f32_e32 v5, v8, v5
	;; [unrolled: 1-line block ×3, first 2 shown]
	v_lshlrev_b32_e32 v5, 16, v37
	v_mul_f32_e32 v4, v4, v5
	v_lshlrev_b32_e32 v5, 16, v36
	v_mul_f32_e32 v5, v7, v5
	v_lshlrev_b32_e32 v7, 16, v35
	v_lshlrev_b32_e32 v8, 16, v34
	v_cvt_pk_bf16_f32 v4, v4, s0
	v_cvt_pk_bf16_f32 v5, v5, s0
	v_mul_f32_e32 v7, v9, v7
	v_mul_f32_e32 v6, v6, v8
	v_cvt_pk_bf16_f32 v7, v7, s0
	v_cvt_pk_bf16_f32 v6, v6, s0
	v_lshlrev_b32_e32 v8, 16, v33
	v_lshlrev_b32_e32 v9, 16, v32
	;; [unrolled: 1-line block ×4, first 2 shown]
	v_mul_f32_e32 v8, v38, v8
	v_mul_f32_e32 v3, v3, v9
	v_add_f32_e32 v4, v5, v4
	v_lshlrev_b32_e32 v5, 16, v6
	v_lshlrev_b32_e32 v6, 16, v7
	v_cvt_pk_bf16_f32 v8, v8, s0
	v_cvt_pk_bf16_f32 v3, v3, s0
	v_lshlrev_b32_e32 v9, 16, v31
	v_lshlrev_b32_e32 v20, 16, v30
	v_add_f32_e32 v5, v5, v6
	v_mul_f32_e32 v9, v41, v9
	v_mul_f32_e32 v2, v2, v20
	v_add_f32_e32 v4, v5, v4
	v_lshlrev_b32_e32 v3, 16, v3
	v_lshlrev_b32_e32 v5, 16, v8
	v_cvt_pk_bf16_f32 v9, v9, s0
	v_cvt_pk_bf16_f32 v2, v2, s0
	v_add_f32_e32 v3, v3, v5
	v_add_f32_e32 v3, v3, v4
	v_lshlrev_b32_e32 v2, 16, v2
	v_lshlrev_b32_e32 v4, 16, v9
	v_add_f32_e32 v2, v2, v4
	v_add_u32_e32 v1, 2, v1
	v_add_f32_e32 v2, v2, v3
	v_cmp_le_i32_e64 s[0:1], s19, v1
	v_add_f32_e32 v10, v10, v2
	v_add_u32_e32 v28, 32, v28
	v_add_u32_e32 v29, 0x80, v29
	s_or_b64 s[8:9], s[0:1], s[8:9]
	v_lshl_add_u64 v[16:17], v[16:17], 0, 8
	s_andn2_b64 exec, exec, s[8:9]
	s_cbranch_execz .LBB301_50
.LBB301_43:                             ; =>This Inner Loop Header: Depth=1
	global_load_dword v2, v[16:17], off
	v_add_u32_e32 v38, -7, v28
	s_waitcnt vmcnt(0)
	v_mad_i64_i32 v[20:21], s[0:1], v2, s13, v[18:19]
	v_lshl_add_u64 v[22:23], v[20:21], 0, v[12:13]
	global_load_dwordx2 v[30:31], v[22:23], off
	ds_read2_b64 v[6:9], v29 offset1:1
	ds_read2_b64 v[2:5], v29 offset0:2 offset1:3
	v_cmp_eq_u32_e64 s[0:1], s14, v1
	s_waitcnt vmcnt(0)
	v_and_b32_e32 v32, 0xff, v30
	v_bfe_u32 v33, v30, 8, 8
	v_bfe_u32 v34, v30, 16, 8
	v_lshrrev_b32_e32 v30, 24, v30
	v_and_b32_e32 v35, 0xff, v31
	v_bfe_u32 v36, v31, 8, 8
	v_bfe_u32 v37, v31, 16, 8
	v_lshrrev_b32_e32 v31, 24, v31
	v_cvt_f32_fp8_e32 v32, v32
	v_cvt_f32_fp8_e32 v33, v33
	;; [unrolled: 1-line block ×8, first 2 shown]
	s_waitcnt lgkmcnt(0)
	v_mul_f32_e32 v32, s15, v32
	v_mul_f32_e32 v33, s15, v33
	v_mul_f32_e32 v34, s15, v34
	v_mul_f32_e32 v30, s15, v30
	v_mul_f32_e32 v39, s15, v35
	v_mul_f32_e32 v40, s15, v36
	v_mul_f32_e32 v41, s15, v37
	v_mul_f32_e32 v31, s15, v31
	v_cvt_pk_bf16_f32 v36, v32, s0
	v_cvt_pk_bf16_f32 v37, v33, s0
	;; [unrolled: 1-line block ×8, first 2 shown]
	s_and_saveexec_b64 s[10:11], s[0:1]
	s_cbranch_execz .LBB301_45
; %bb.44:                               ;   in Loop: Header=BB301_43 Depth=1
	v_cmp_gt_i32_e64 s[2:3], s17, v38
	v_add_u32_e32 v39, -6, v28
	s_nop 0
	v_cndmask_b32_e64 v36, 0, v36, s[2:3]
	v_cmp_gt_i32_e64 s[2:3], s17, v39
	v_add_u32_e32 v39, -5, v28
	s_nop 0
	v_cndmask_b32_e64 v37, 0, v37, s[2:3]
	v_cmp_gt_i32_e64 s[2:3], s17, v39
	v_add_u32_e32 v39, -4, v28
	s_nop 0
	v_cndmask_b32_e64 v34, 0, v34, s[2:3]
	v_cmp_gt_i32_e64 s[2:3], s17, v39
	v_add_u32_e32 v39, -3, v28
	s_nop 0
	v_cndmask_b32_e64 v35, 0, v35, s[2:3]
	v_cmp_gt_i32_e64 s[2:3], s17, v39
	v_add_u32_e32 v39, -2, v28
	s_nop 0
	v_cndmask_b32_e64 v32, 0, v32, s[2:3]
	v_cmp_gt_i32_e64 s[2:3], s17, v39
	v_add_u32_e32 v39, -1, v28
	s_nop 0
	v_cndmask_b32_e64 v33, 0, v33, s[2:3]
	v_cmp_gt_i32_e64 s[2:3], s17, v39
	s_nop 1
	v_cndmask_b32_e64 v30, 0, v30, s[2:3]
	v_cmp_gt_i32_e64 s[2:3], s17, v28
	s_nop 1
	v_cndmask_b32_e64 v31, 0, v31, s[2:3]
.LBB301_45:                             ;   in Loop: Header=BB301_43 Depth=1
	s_or_b64 exec, exec, s[10:11]
	global_load_dwordx2 v[22:23], v[22:23], off offset:512
	s_waitcnt vmcnt(0)
	v_and_b32_e32 v39, 0xff, v22
	v_bfe_u32 v40, v22, 8, 8
	v_bfe_u32 v41, v22, 16, 8
	v_lshrrev_b32_e32 v22, 24, v22
	v_and_b32_e32 v42, 0xff, v23
	v_bfe_u32 v43, v23, 8, 8
	v_bfe_u32 v44, v23, 16, 8
	v_lshrrev_b32_e32 v23, 24, v23
	v_cvt_f32_fp8_e32 v39, v39
	v_cvt_f32_fp8_e32 v40, v40
	;; [unrolled: 1-line block ×8, first 2 shown]
	v_mul_f32_e32 v39, s15, v39
	v_mul_f32_e32 v40, s15, v40
	;; [unrolled: 1-line block ×8, first 2 shown]
	v_cvt_pk_bf16_f32 v43, v39, s0
	v_cvt_pk_bf16_f32 v44, v40, s0
	;; [unrolled: 1-line block ×8, first 2 shown]
	s_and_saveexec_b64 s[10:11], s[0:1]
	s_cbranch_execz .LBB301_47
; %bb.46:                               ;   in Loop: Header=BB301_43 Depth=1
	v_cmp_gt_i32_e64 s[2:3], s17, v38
	v_add_u32_e32 v45, -6, v28
	s_nop 0
	v_cndmask_b32_e64 v43, 0, v43, s[2:3]
	v_cmp_gt_i32_e64 s[2:3], s17, v45
	v_add_u32_e32 v45, -5, v28
	s_nop 0
	v_cndmask_b32_e64 v44, 0, v44, s[2:3]
	;; [unrolled: 4-line block ×6, first 2 shown]
	v_cmp_gt_i32_e64 s[2:3], s17, v45
	s_nop 1
	v_cndmask_b32_e64 v22, 0, v22, s[2:3]
	v_cmp_gt_i32_e64 s[2:3], s17, v28
	s_nop 1
	v_cndmask_b32_e64 v23, 0, v23, s[2:3]
.LBB301_47:                             ;   in Loop: Header=BB301_43 Depth=1
	s_or_b64 exec, exec, s[10:11]
	v_cvt_pk_bf16_f32 v7, v6, v7
	v_cvt_pk_bf16_f32 v6, v8, v9
	;; [unrolled: 1-line block ×4, first 2 shown]
	s_and_saveexec_b64 s[2:3], vcc
	s_cbranch_execz .LBB301_42
; %bb.48:                               ;   in Loop: Header=BB301_43 Depth=1
	v_lshl_add_u64 v[4:5], v[20:21], 0, v[14:15]
	global_load_dwordx2 v[4:5], v[4:5], off
	s_waitcnt vmcnt(0)
	v_and_b32_e32 v8, 0xff, v4
	v_bfe_u32 v9, v4, 8, 8
	v_bfe_u32 v20, v4, 16, 8
	v_lshrrev_b32_e32 v4, 24, v4
	v_and_b32_e32 v21, 0xff, v5
	v_bfe_u32 v45, v5, 8, 8
	v_bfe_u32 v46, v5, 16, 8
	v_lshrrev_b32_e32 v5, 24, v5
	v_cvt_f32_fp8_e32 v8, v8
	v_cvt_f32_fp8_e32 v9, v9
	;; [unrolled: 1-line block ×8, first 2 shown]
	v_mul_f32_e32 v8, s15, v8
	v_mul_f32_e32 v9, s15, v9
	;; [unrolled: 1-line block ×8, first 2 shown]
	v_cvt_pk_bf16_f32 v45, v8, s0
	v_cvt_pk_bf16_f32 v46, v9, s0
	v_cvt_pk_bf16_f32 v20, v20, s0
	v_cvt_pk_bf16_f32 v21, v4, s0
	v_cvt_pk_bf16_f32 v8, v47, s0
	v_cvt_pk_bf16_f32 v9, v48, s0
	v_cvt_pk_bf16_f32 v4, v49, s0
	v_cvt_pk_bf16_f32 v5, v5, s0
	s_and_saveexec_b64 s[10:11], s[0:1]
	s_cbranch_execz .LBB301_41
; %bb.49:                               ;   in Loop: Header=BB301_43 Depth=1
	v_cmp_gt_i32_e64 s[0:1], s17, v38
	v_add_u32_e32 v38, -6, v28
	s_nop 0
	v_cndmask_b32_e64 v45, 0, v45, s[0:1]
	v_cmp_gt_i32_e64 s[0:1], s17, v38
	v_add_u32_e32 v38, -5, v28
	s_nop 0
	v_cndmask_b32_e64 v46, 0, v46, s[0:1]
	;; [unrolled: 4-line block ×6, first 2 shown]
	v_cmp_gt_i32_e64 s[0:1], s17, v38
	s_nop 1
	v_cndmask_b32_e64 v4, 0, v4, s[0:1]
	v_cmp_gt_i32_e64 s[0:1], s17, v28
	s_nop 1
	v_cndmask_b32_e64 v5, 0, v5, s[0:1]
	s_branch .LBB301_41
.LBB301_50:
	s_or_b64 exec, exec, s[8:9]
.LBB301_51:
	s_or_b64 exec, exec, s[6:7]
	ds_bpermute_b32 v2, v24, v10
	ds_bpermute_b32 v3, v24, v11
	;; [unrolled: 1-line block ×3, first 2 shown]
	v_and_b32_e32 v4, 0x3c0, v0
	v_cmp_eq_u32_e64 s[0:1], 64, v4
	v_cmp_eq_u32_e32 vcc, 0, v26
	s_waitcnt lgkmcnt(1)
	v_pk_add_f32 v[2:3], v[10:11], v[2:3]
	s_waitcnt lgkmcnt(0)
	v_add_f32_e32 v1, v27, v1
	s_barrier
	s_and_saveexec_b64 s[2:3], s[0:1]
	s_cbranch_execz .LBB301_56
; %bb.52:
	s_and_saveexec_b64 s[0:1], vcc
; %bb.53:
	v_mov_b32_e32 v4, 0xb0
	v_lshl_add_u32 v4, v25, 2, v4
	ds_write2_b32 v4, v2, v3 offset1:32
; %bb.54:
	s_or_b64 exec, exec, s[0:1]
	v_or_b32_e32 v4, 64, v25
	s_movk_i32 s0, 0x50
	v_cmp_gt_u32_e64 s[0:1], s0, v4
	s_and_b64 s[0:1], vcc, s[0:1]
	s_and_b64 exec, exec, s[0:1]
; %bb.55:
	v_mov_b32_e32 v4, 0xb0
	v_lshl_add_u32 v4, v25, 2, v4
	ds_write_b32 v4, v1 offset:256
.LBB301_56:
	s_or_b64 exec, exec, s[2:3]
	v_cmp_gt_u32_e64 s[0:1], 64, v0
	v_lshrrev_b32_e32 v0, 1, v0
	s_waitcnt lgkmcnt(0)
	s_barrier
	s_and_saveexec_b64 s[6:7], s[0:1]
	s_cbranch_execz .LBB301_64
; %bb.57:
	s_and_saveexec_b64 s[2:3], vcc
	s_cbranch_execz .LBB301_59
; %bb.58:
	v_mov_b32_e32 v4, 0xb0
	v_lshl_add_u32 v4, v0, 2, v4
	ds_read_b32 v4, v4
	s_waitcnt lgkmcnt(0)
	v_add_f32_e32 v2, v2, v4
.LBB301_59:
	s_or_b64 exec, exec, s[2:3]
	v_or_b32_e32 v4, 32, v0
	s_movk_i32 s8, 0x50
	v_cmp_gt_u32_e64 s[2:3], s8, v4
	s_and_b64 s[10:11], vcc, s[2:3]
	s_and_saveexec_b64 s[2:3], s[10:11]
	s_cbranch_execz .LBB301_61
; %bb.60:
	v_mov_b32_e32 v4, 0xb0
	v_lshl_add_u32 v4, v0, 2, v4
	ds_read_b32 v4, v4 offset:128
	s_waitcnt lgkmcnt(0)
	v_add_f32_e32 v3, v3, v4
.LBB301_61:
	s_or_b64 exec, exec, s[2:3]
	v_or_b32_e32 v4, 64, v0
	v_cmp_gt_u32_e64 s[2:3], s8, v4
	s_and_b64 s[8:9], vcc, s[2:3]
	s_and_saveexec_b64 s[2:3], s[8:9]
	s_cbranch_execz .LBB301_63
; %bb.62:
	v_mov_b32_e32 v4, 0xb0
	v_lshl_add_u32 v4, v0, 2, v4
	ds_read_b32 v4, v4 offset:256
	s_waitcnt lgkmcnt(0)
	v_add_f32_e32 v1, v1, v4
.LBB301_63:
	s_or_b64 exec, exec, s[2:3]
.LBB301_64:
	s_or_b64 exec, exec, s[6:7]
	s_barrier
	s_and_saveexec_b64 s[2:3], s[0:1]
	s_cbranch_execz .LBB301_71
; %bb.65:
	s_mul_i32 s0, s16, s12
	s_mul_i32 s0, s0, s5
	s_mulk_i32 s0, 0x50
	s_ashr_i32 s1, s0, 31
	s_lshl_b64 s[0:1], s[0:1], 1
	s_add_u32 s2, s20, s0
	s_mul_i32 s0, s12, s18
	s_addc_u32 s3, s21, s1
	s_ashr_i32 s1, s0, 31
	s_lshl_b64 s[0:1], s[0:1], 1
	s_add_u32 s2, s2, s0
	s_mul_i32 s0, s4, 0x50
	s_addc_u32 s3, s3, s1
	s_ashr_i32 s1, s0, 31
	s_lshl_b64 s[0:1], s[0:1], 1
	s_add_u32 s2, s2, s0
	s_movk_i32 s5, 0x50
	s_addc_u32 s3, s3, s1
	v_lshlrev_b32_e32 v4, 1, v0
	s_and_saveexec_b64 s[0:1], vcc
	s_cbranch_execz .LBB301_67
; %bb.66:
	v_cvt_pk_bf16_f32 v2, v2, s0
	global_store_short v4, v2, s[2:3]
.LBB301_67:
	s_or_b64 exec, exec, s[0:1]
	v_or_b32_e32 v2, 32, v0
	v_cmp_gt_u32_e64 s[0:1], s5, v2
	s_and_b64 s[4:5], vcc, s[0:1]
	s_and_saveexec_b64 s[0:1], s[4:5]
	s_cbranch_execz .LBB301_69
; %bb.68:
	v_cvt_pk_bf16_f32 v2, v3, s0
	global_store_short v4, v2, s[2:3] offset:64
.LBB301_69:
	s_or_b64 exec, exec, s[0:1]
	v_or_b32_e32 v0, 64, v0
	s_movk_i32 s0, 0x50
	v_cmp_gt_u32_e64 s[0:1], s0, v0
	s_and_b64 s[0:1], vcc, s[0:1]
	s_and_b64 exec, exec, s[0:1]
	s_cbranch_execz .LBB301_71
; %bb.70:
	v_cvt_pk_bf16_f32 v0, v1, s0
	global_store_short v4, v0, s[2:3] offset:128
.LBB301_71:
	s_endpgm
	.section	.rodata,"a",@progbits
	.p2align	6, 0x0
	.amdhsa_kernel _ZN4vllm25paged_attention_v1_kernelI14__hip_bfloat16hLi80ELi16ELi128ELNS_18Fp8KVCacheDataTypeE1ELb0EEEvPT_PKS3_PKT0_S9_ifPKiSB_iPKfiiiSD_SD_iiiii
		.amdhsa_group_segment_fixed_size 176
		.amdhsa_private_segment_fixed_size 0
		.amdhsa_kernarg_size 384
		.amdhsa_user_sgpr_count 2
		.amdhsa_user_sgpr_dispatch_ptr 0
		.amdhsa_user_sgpr_queue_ptr 0
		.amdhsa_user_sgpr_kernarg_segment_ptr 1
		.amdhsa_user_sgpr_dispatch_id 0
		.amdhsa_user_sgpr_kernarg_preload_length 0
		.amdhsa_user_sgpr_kernarg_preload_offset 0
		.amdhsa_user_sgpr_private_segment_size 0
		.amdhsa_uses_dynamic_stack 0
		.amdhsa_enable_private_segment 0
		.amdhsa_system_sgpr_workgroup_id_x 1
		.amdhsa_system_sgpr_workgroup_id_y 1
		.amdhsa_system_sgpr_workgroup_id_z 1
		.amdhsa_system_sgpr_workgroup_info 0
		.amdhsa_system_vgpr_workitem_id 0
		.amdhsa_next_free_vgpr 56
		.amdhsa_next_free_sgpr 38
		.amdhsa_accum_offset 56
		.amdhsa_reserve_vcc 1
		.amdhsa_float_round_mode_32 0
		.amdhsa_float_round_mode_16_64 0
		.amdhsa_float_denorm_mode_32 3
		.amdhsa_float_denorm_mode_16_64 3
		.amdhsa_dx10_clamp 1
		.amdhsa_ieee_mode 1
		.amdhsa_fp16_overflow 0
		.amdhsa_tg_split 0
		.amdhsa_exception_fp_ieee_invalid_op 0
		.amdhsa_exception_fp_denorm_src 0
		.amdhsa_exception_fp_ieee_div_zero 0
		.amdhsa_exception_fp_ieee_overflow 0
		.amdhsa_exception_fp_ieee_underflow 0
		.amdhsa_exception_fp_ieee_inexact 0
		.amdhsa_exception_int_div_zero 0
	.end_amdhsa_kernel
	.section	.text._ZN4vllm25paged_attention_v1_kernelI14__hip_bfloat16hLi80ELi16ELi128ELNS_18Fp8KVCacheDataTypeE1ELb0EEEvPT_PKS3_PKT0_S9_ifPKiSB_iPKfiiiSD_SD_iiiii,"axG",@progbits,_ZN4vllm25paged_attention_v1_kernelI14__hip_bfloat16hLi80ELi16ELi128ELNS_18Fp8KVCacheDataTypeE1ELb0EEEvPT_PKS3_PKT0_S9_ifPKiSB_iPKfiiiSD_SD_iiiii,comdat
.Lfunc_end301:
	.size	_ZN4vllm25paged_attention_v1_kernelI14__hip_bfloat16hLi80ELi16ELi128ELNS_18Fp8KVCacheDataTypeE1ELb0EEEvPT_PKS3_PKT0_S9_ifPKiSB_iPKfiiiSD_SD_iiiii, .Lfunc_end301-_ZN4vllm25paged_attention_v1_kernelI14__hip_bfloat16hLi80ELi16ELi128ELNS_18Fp8KVCacheDataTypeE1ELb0EEEvPT_PKS3_PKT0_S9_ifPKiSB_iPKfiiiSD_SD_iiiii
                                        ; -- End function
	.set _ZN4vllm25paged_attention_v1_kernelI14__hip_bfloat16hLi80ELi16ELi128ELNS_18Fp8KVCacheDataTypeE1ELb0EEEvPT_PKS3_PKT0_S9_ifPKiSB_iPKfiiiSD_SD_iiiii.num_vgpr, 56
	.set _ZN4vllm25paged_attention_v1_kernelI14__hip_bfloat16hLi80ELi16ELi128ELNS_18Fp8KVCacheDataTypeE1ELb0EEEvPT_PKS3_PKT0_S9_ifPKiSB_iPKfiiiSD_SD_iiiii.num_agpr, 0
	.set _ZN4vllm25paged_attention_v1_kernelI14__hip_bfloat16hLi80ELi16ELi128ELNS_18Fp8KVCacheDataTypeE1ELb0EEEvPT_PKS3_PKT0_S9_ifPKiSB_iPKfiiiSD_SD_iiiii.numbered_sgpr, 38
	.set _ZN4vllm25paged_attention_v1_kernelI14__hip_bfloat16hLi80ELi16ELi128ELNS_18Fp8KVCacheDataTypeE1ELb0EEEvPT_PKS3_PKT0_S9_ifPKiSB_iPKfiiiSD_SD_iiiii.num_named_barrier, 0
	.set _ZN4vllm25paged_attention_v1_kernelI14__hip_bfloat16hLi80ELi16ELi128ELNS_18Fp8KVCacheDataTypeE1ELb0EEEvPT_PKS3_PKT0_S9_ifPKiSB_iPKfiiiSD_SD_iiiii.private_seg_size, 0
	.set _ZN4vllm25paged_attention_v1_kernelI14__hip_bfloat16hLi80ELi16ELi128ELNS_18Fp8KVCacheDataTypeE1ELb0EEEvPT_PKS3_PKT0_S9_ifPKiSB_iPKfiiiSD_SD_iiiii.uses_vcc, 1
	.set _ZN4vllm25paged_attention_v1_kernelI14__hip_bfloat16hLi80ELi16ELi128ELNS_18Fp8KVCacheDataTypeE1ELb0EEEvPT_PKS3_PKT0_S9_ifPKiSB_iPKfiiiSD_SD_iiiii.uses_flat_scratch, 0
	.set _ZN4vllm25paged_attention_v1_kernelI14__hip_bfloat16hLi80ELi16ELi128ELNS_18Fp8KVCacheDataTypeE1ELb0EEEvPT_PKS3_PKT0_S9_ifPKiSB_iPKfiiiSD_SD_iiiii.has_dyn_sized_stack, 0
	.set _ZN4vllm25paged_attention_v1_kernelI14__hip_bfloat16hLi80ELi16ELi128ELNS_18Fp8KVCacheDataTypeE1ELb0EEEvPT_PKS3_PKT0_S9_ifPKiSB_iPKfiiiSD_SD_iiiii.has_recursion, 0
	.set _ZN4vllm25paged_attention_v1_kernelI14__hip_bfloat16hLi80ELi16ELi128ELNS_18Fp8KVCacheDataTypeE1ELb0EEEvPT_PKS3_PKT0_S9_ifPKiSB_iPKfiiiSD_SD_iiiii.has_indirect_call, 0
	.section	.AMDGPU.csdata,"",@progbits
; Kernel info:
; codeLenInByte = 6000
; TotalNumSgprs: 44
; NumVgprs: 56
; NumAgprs: 0
; TotalNumVgprs: 56
; ScratchSize: 0
; MemoryBound: 0
; FloatMode: 240
; IeeeMode: 1
; LDSByteSize: 176 bytes/workgroup (compile time only)
; SGPRBlocks: 5
; VGPRBlocks: 6
; NumSGPRsForWavesPerEU: 44
; NumVGPRsForWavesPerEU: 56
; AccumOffset: 56
; Occupancy: 8
; WaveLimiterHint : 1
; COMPUTE_PGM_RSRC2:SCRATCH_EN: 0
; COMPUTE_PGM_RSRC2:USER_SGPR: 2
; COMPUTE_PGM_RSRC2:TRAP_HANDLER: 0
; COMPUTE_PGM_RSRC2:TGID_X_EN: 1
; COMPUTE_PGM_RSRC2:TGID_Y_EN: 1
; COMPUTE_PGM_RSRC2:TGID_Z_EN: 1
; COMPUTE_PGM_RSRC2:TIDIG_COMP_CNT: 0
; COMPUTE_PGM_RSRC3_GFX90A:ACCUM_OFFSET: 13
; COMPUTE_PGM_RSRC3_GFX90A:TG_SPLIT: 0
	.section	.text._ZN4vllm25paged_attention_v1_kernelI14__hip_bfloat16hLi96ELi16ELi128ELNS_18Fp8KVCacheDataTypeE1ELb0EEEvPT_PKS3_PKT0_S9_ifPKiSB_iPKfiiiSD_SD_iiiii,"axG",@progbits,_ZN4vllm25paged_attention_v1_kernelI14__hip_bfloat16hLi96ELi16ELi128ELNS_18Fp8KVCacheDataTypeE1ELb0EEEvPT_PKS3_PKT0_S9_ifPKiSB_iPKfiiiSD_SD_iiiii,comdat
	.protected	_ZN4vllm25paged_attention_v1_kernelI14__hip_bfloat16hLi96ELi16ELi128ELNS_18Fp8KVCacheDataTypeE1ELb0EEEvPT_PKS3_PKT0_S9_ifPKiSB_iPKfiiiSD_SD_iiiii ; -- Begin function _ZN4vllm25paged_attention_v1_kernelI14__hip_bfloat16hLi96ELi16ELi128ELNS_18Fp8KVCacheDataTypeE1ELb0EEEvPT_PKS3_PKT0_S9_ifPKiSB_iPKfiiiSD_SD_iiiii
	.globl	_ZN4vllm25paged_attention_v1_kernelI14__hip_bfloat16hLi96ELi16ELi128ELNS_18Fp8KVCacheDataTypeE1ELb0EEEvPT_PKS3_PKT0_S9_ifPKiSB_iPKfiiiSD_SD_iiiii
	.p2align	8
	.type	_ZN4vllm25paged_attention_v1_kernelI14__hip_bfloat16hLi96ELi16ELi128ELNS_18Fp8KVCacheDataTypeE1ELb0EEEvPT_PKS3_PKT0_S9_ifPKiSB_iPKfiiiSD_SD_iiiii,@function
_ZN4vllm25paged_attention_v1_kernelI14__hip_bfloat16hLi96ELi16ELi128ELNS_18Fp8KVCacheDataTypeE1ELb0EEEvPT_PKS3_PKT0_S9_ifPKiSB_iPKfiiiSD_SD_iiiii: ; @_ZN4vllm25paged_attention_v1_kernelI14__hip_bfloat16hLi96ELi16ELi128ELNS_18Fp8KVCacheDataTypeE1ELb0EEEvPT_PKS3_PKT0_S9_ifPKiSB_iPKfiiiSD_SD_iiiii
; %bb.0:
	s_load_dword s5, s[0:1], 0x80
	s_load_dwordx2 s[6:7], s[0:1], 0x30
	s_load_dwordx2 s[28:29], s[0:1], 0x20
	s_mov_b32 s16, s3
	s_ashr_i32 s17, s3, 31
	s_lshl_b64 s[8:9], s[16:17], 2
	s_waitcnt lgkmcnt(0)
	s_add_u32 s6, s6, s8
	s_addc_u32 s7, s7, s9
	s_abs_i32 s3, s28
	v_cvt_f32_u32_e32 v1, s3
	s_sub_i32 s10, 0, s3
	s_abs_i32 s9, s5
	s_xor_b32 s8, s5, s28
	v_rcp_iflag_f32_e32 v1, v1
	s_ashr_i32 s8, s8, 31
	s_mov_b32 s28, 0
	v_mul_f32_e32 v1, 0x4f7ffffe, v1
	v_cvt_u32_f32_e32 v1, v1
	s_nop 0
	v_readfirstlane_b32 s11, v1
	s_mul_i32 s10, s10, s11
	s_mul_hi_u32 s10, s11, s10
	s_add_i32 s11, s11, s10
	s_mul_hi_u32 s10, s9, s11
	s_mul_i32 s11, s10, s3
	s_sub_i32 s9, s9, s11
	s_add_i32 s11, s10, 1
	s_sub_i32 s12, s9, s3
	s_cmp_ge_u32 s9, s3
	s_cselect_b32 s10, s11, s10
	s_cselect_b32 s9, s12, s9
	s_add_i32 s11, s10, 1
	s_cmp_ge_u32 s9, s3
	s_cselect_b32 s3, s11, s10
	s_xor_b32 s3, s3, s8
	s_sub_i32 s18, s3, s8
	s_abs_i32 s10, s18
	v_cvt_f32_u32_e32 v1, s10
	s_load_dwordx2 s[8:9], s[0:1], 0x40
	s_sub_i32 s3, 0, s10
	s_abs_i32 s11, s2
	v_rcp_iflag_f32_e32 v1, v1
	s_nop 0
	v_mul_f32_e32 v1, 0x4f7ffffe, v1
	v_cvt_u32_f32_e32 v1, v1
	s_nop 0
	v_readfirstlane_b32 s12, v1
	s_mul_i32 s3, s3, s12
	s_mul_hi_u32 s3, s12, s3
	s_add_i32 s12, s12, s3
	s_waitcnt lgkmcnt(0)
	s_cmp_eq_u64 s[8:9], 0
	s_mul_hi_u32 s20, s11, s12
	s_cbranch_scc1 .LBB302_2
; %bb.1:
	s_ashr_i32 s3, s2, 31
	s_lshl_b64 s[12:13], s[2:3], 2
	s_add_u32 s8, s8, s12
	s_addc_u32 s9, s9, s13
	s_load_dword s28, s[8:9], 0x0
.LBB302_2:
	s_load_dword s17, s[6:7], 0x0
	s_load_dwordx4 s[12:15], s[0:1], 0x48
	s_ashr_i32 s6, s2, 31
	s_ashr_i32 s7, s18, 31
	v_and_b32_e32 v2, 3, v0
	s_mul_i32 s18, s2, 0x60
	v_cmp_gt_u32_e32 vcc, 48, v0
	s_and_saveexec_b64 s[2:3], vcc
	s_cbranch_execz .LBB302_4
; %bb.3:
	s_load_dwordx2 s[8:9], s[0:1], 0x8
	s_waitcnt lgkmcnt(0)
	s_mul_i32 s22, s12, s16
	s_ashr_i32 s23, s22, 31
	s_lshl_b64 s[22:23], s[22:23], 1
	v_lshlrev_b32_e32 v1, 2, v0
	s_add_u32 s12, s8, s22
	s_addc_u32 s15, s9, s23
	s_ashr_i32 s19, s18, 31
	s_lshl_b64 s[8:9], s[18:19], 1
	s_add_u32 s8, s12, s8
	s_addc_u32 s9, s15, s9
	global_load_dword v1, v1, s[8:9]
	v_and_b32_e32 v3, 0x3fc, v0
	v_mad_u32_u24 v3, v2, 48, v3
	s_waitcnt vmcnt(0)
	ds_write_b32 v3, v1
.LBB302_4:
	s_or_b64 exec, exec, s[2:3]
	s_waitcnt lgkmcnt(0)
	s_add_i32 s3, s17, 15
	s_ashr_i32 s8, s3, 31
	s_lshr_b32 s8, s8, 28
	s_add_i32 s3, s3, s8
	s_ashr_i32 s19, s3, 4
	s_xor_b32 s3, s6, s7
	s_mul_i32 s6, s20, s10
	s_sub_i32 s6, s11, s6
	s_add_i32 s7, s20, 1
	s_sub_i32 s8, s6, s10
	s_load_dwordx2 s[22:23], s[0:1], 0x28
	s_load_dword s2, s[0:1], 0x38
	s_cmp_ge_u32 s6, s10
	s_cselect_b32 s7, s7, s20
	s_cselect_b32 s6, s8, s6
	s_add_i32 s8, s7, 1
	s_cmp_ge_u32 s6, s10
	s_cselect_b32 s6, s8, s7
	v_lshrrev_b32_e32 v1, 6, v0
	s_xor_b32 s6, s6, s3
	s_waitcnt lgkmcnt(0)
	s_mul_i32 s24, s2, s16
	s_sub_i32 s33, s6, s3
	s_ashr_i32 s25, s24, 31
	v_cmp_gt_i32_e64 s[6:7], s19, v1
	v_cmp_le_i32_e32 vcc, s19, v1
	v_mbcnt_lo_u32_b32 v3, -1, 0
	s_barrier
                                        ; implicit-def: $vgpr7
                                        ; implicit-def: $vgpr9
                                        ; implicit-def: $vgpr8
	s_and_saveexec_b64 s[2:3], vcc
	s_xor_b64 s[2:3], exec, s[2:3]
; %bb.5:
	v_mbcnt_hi_u32_b32 v7, -1, v3
	v_and_b32_e32 v9, 64, v7
	v_add_u32_e32 v8, 64, v9
                                        ; implicit-def: $vgpr2
                                        ; implicit-def: $vgpr3
; %bb.6:
	s_or_saveexec_b64 s[30:31], s[2:3]
	s_load_dwordx2 s[20:21], s[0:1], 0x0
	s_load_dwordx2 s[26:27], s[0:1], 0x18
	s_load_dword s12, s[0:1], 0x88
	s_load_dwordx4 s[8:11], s[0:1], 0x58
	v_mov_b32_e32 v31, 0xff7fffff
	s_mul_i32 s33, s33, s14
	v_lshrrev_b32_e32 v6, 4, v0
	s_xor_b64 exec, exec, s[30:31]
	s_cbranch_execz .LBB302_12
; %bb.7:
	v_mul_u32_u24_e32 v7, 48, v2
	s_load_dwordx2 s[0:1], s[0:1], 0x10
	ds_read_b128 v[14:17], v7
	ds_read_b128 v[22:25], v7 offset:16
	ds_read_b128 v[32:35], v7 offset:32
	v_mbcnt_hi_u32_b32 v7, -1, v3
	v_and_b32_e32 v9, 64, v7
	v_add_u32_e32 v8, 64, v9
	v_xor_b32_e32 v3, 2, v7
	v_cmp_lt_i32_e32 vcc, v3, v8
	s_ashr_i32 s2, s33, 31
	v_bfe_u32 v31, v0, 2, 4
	v_cndmask_b32_e32 v3, v7, v3, vcc
	s_waitcnt lgkmcnt(0)
	s_add_u32 s0, s0, s33
	v_lshlrev_b32_e32 v26, 16, v32
	v_and_b32_e32 v27, 0xffff0000, v32
	v_lshlrev_b32_e32 v28, 16, v33
	v_and_b32_e32 v29, 0xffff0000, v33
	;; [unrolled: 2-line block ×4, first 2 shown]
	v_lshlrev_b32_e32 v35, 2, v3
	v_xor_b32_e32 v3, 1, v7
	v_lshlrev_b32_e32 v4, 4, v31
	s_addc_u32 s1, s1, s2
	v_mov_b32_e32 v5, 0
	v_cmp_lt_i32_e32 vcc, v3, v8
	v_lshl_add_u64 v[38:39], s[0:1], 0, v[4:5]
	v_lshlrev_b32_e32 v4, 1, v2
	v_cndmask_b32_e32 v3, v7, v3, vcc
	s_load_dword s35, s[8:9], 0x0
	v_lshlrev_b32_e32 v36, 2, v3
	v_cmp_eq_u32_e32 vcc, 0, v2
	v_lshl_add_u64 v[2:3], v[38:39], 0, v[4:5]
	s_sub_i32 s36, 1, s17
	v_lshlrev_b32_e32 v4, 2, v31
	s_lshl_b64 s[0:1], s[24:25], 2
	v_lshl_or_b32 v4, v1, 6, v4
	s_add_u32 s0, s22, s0
	v_add_u32_e32 v38, 0xd0, v4
	v_and_b32_e32 v4, 60, v6
	s_addc_u32 s1, s23, s1
	s_mov_b32 s34, s13
	v_lshlrev_b32_e32 v10, 16, v14
	v_and_b32_e32 v11, 0xffff0000, v14
	v_lshlrev_b32_e32 v12, 16, v15
	v_and_b32_e32 v13, 0xffff0000, v15
	;; [unrolled: 2-line block ×8, first 2 shown]
	v_cmp_neq_f32_e64 s[2:3], s28, 0
	v_lshl_or_b32 v37, v1, 4, v31
	v_lshl_add_u64 v[4:5], s[0:1], 0, v[4:5]
	v_mov_b32_e32 v31, 0xff7fffff
	s_mov_b64 s[8:9], 0
	s_mov_b32 s37, 0xffff
	v_mov_b32_e32 v39, v1
	s_branch .LBB302_9
.LBB302_8:                              ;   in Loop: Header=BB302_9 Depth=1
	s_or_b64 exec, exec, s[14:15]
	v_add_u32_e32 v39, 2, v39
	v_cmp_le_i32_e64 s[0:1], s19, v39
	v_add_u32_e32 v37, 32, v37
	v_add_u32_e32 v38, 0x80, v38
	s_or_b64 s[8:9], s[0:1], s[8:9]
	v_lshl_add_u64 v[4:5], v[4:5], 0, 8
	s_andn2_b64 exec, exec, s[8:9]
	s_cbranch_execz .LBB302_11
.LBB302_9:                              ; =>This Inner Loop Header: Depth=1
	global_load_dword v40, v[4:5], off
	s_waitcnt vmcnt(0) lgkmcnt(0)
	v_mad_i64_i32 v[40:41], s[0:1], v40, s34, v[2:3]
	global_load_ushort v42, v[40:41], off
	global_load_ushort v43, v[40:41], off offset:8
	global_load_ushort v44, v[40:41], off offset:256
	global_load_ushort v45, v[40:41], off offset:264
	global_load_ushort v46, v[40:41], off offset:512
	global_load_ushort v47, v[40:41], off offset:520
	global_load_ushort v48, v[40:41], off offset:768
	global_load_ushort v49, v[40:41], off offset:776
	global_load_ushort v50, v[40:41], off offset:1024
	global_load_ushort v51, v[40:41], off offset:1032
	global_load_ushort v52, v[40:41], off offset:1280
	global_load_ushort v53, v[40:41], off offset:1288
	s_waitcnt vmcnt(11)
	v_and_b32_sdwa v40, s37, v42 dst_sel:DWORD dst_unused:UNUSED_PAD src0_sel:DWORD src1_sel:BYTE_0
	v_lshrrev_b16_e32 v41, 8, v42
	s_waitcnt vmcnt(10)
	v_and_b32_sdwa v42, s37, v43 dst_sel:DWORD dst_unused:UNUSED_PAD src0_sel:DWORD src1_sel:BYTE_0
	v_lshrrev_b16_e32 v43, 8, v43
	v_cvt_f32_fp8_e32 v42, v42
	v_cvt_f32_fp8_e32 v43, v43
	s_waitcnt vmcnt(9)
	v_and_b32_sdwa v54, s37, v44 dst_sel:DWORD dst_unused:UNUSED_PAD src0_sel:DWORD src1_sel:BYTE_0
	v_lshrrev_b16_e32 v44, 8, v44
	v_cvt_f32_fp8_e32 v40, v40
	v_cvt_f32_fp8_e32 v41, v41
	;; [unrolled: 5-line block ×5, first 2 shown]
	s_waitcnt lgkmcnt(0)
	v_mul_f32_e32 v42, s35, v42
	v_mul_f32_e32 v43, s35, v43
	s_waitcnt vmcnt(5)
	v_and_b32_sdwa v58, s37, v48 dst_sel:DWORD dst_unused:UNUSED_PAD src0_sel:DWORD src1_sel:BYTE_0
	v_lshrrev_b16_e32 v48, 8, v48
	v_cvt_f32_fp8_e32 v57, v57
	v_cvt_f32_fp8_e32 v47, v47
	v_mul_f32_e32 v40, s35, v40
	v_mul_f32_e32 v41, s35, v41
	v_cvt_pk_bf16_f32 v42, v42, s0
	v_cvt_pk_bf16_f32 v43, v43, s0
	s_waitcnt vmcnt(4)
	v_and_b32_sdwa v59, s37, v49 dst_sel:DWORD dst_unused:UNUSED_PAD src0_sel:DWORD src1_sel:BYTE_0
	v_lshrrev_b16_e32 v49, 8, v49
	v_cvt_f32_fp8_e32 v58, v58
	v_cvt_f32_fp8_e32 v48, v48
	v_mul_f32_e32 v54, s35, v54
	v_mul_f32_e32 v44, s35, v44
	v_cvt_pk_bf16_f32 v40, v40, s0
	v_cvt_pk_bf16_f32 v41, v41, s0
	v_lshlrev_b32_e32 v42, 16, v42
	v_lshlrev_b32_e32 v43, 16, v43
	s_waitcnt vmcnt(3)
	v_and_b32_sdwa v60, s37, v50 dst_sel:DWORD dst_unused:UNUSED_PAD src0_sel:DWORD src1_sel:BYTE_0
	v_lshrrev_b16_e32 v50, 8, v50
	v_cvt_f32_fp8_e32 v59, v59
	v_cvt_f32_fp8_e32 v49, v49
	v_mul_f32_e32 v55, s35, v55
	v_mul_f32_e32 v45, s35, v45
	v_cvt_pk_bf16_f32 v54, v54, s0
	v_cvt_pk_bf16_f32 v44, v44, s0
	v_lshlrev_b32_e32 v40, 16, v40
	v_lshlrev_b32_e32 v41, 16, v41
	v_mul_f32_e32 v42, v12, v42
	v_mul_f32_e32 v43, v13, v43
	s_waitcnt vmcnt(2)
	v_and_b32_sdwa v61, s37, v51 dst_sel:DWORD dst_unused:UNUSED_PAD src0_sel:DWORD src1_sel:BYTE_0
	v_lshrrev_b16_e32 v51, 8, v51
	v_cvt_f32_fp8_e32 v60, v60
	v_cvt_f32_fp8_e32 v50, v50
	v_mul_f32_e32 v56, s35, v56
	v_mul_f32_e32 v46, s35, v46
	v_cvt_pk_bf16_f32 v55, v55, s0
	v_cvt_pk_bf16_f32 v45, v45, s0
	v_lshlrev_b32_e32 v54, 16, v54
	v_lshlrev_b32_e32 v44, 16, v44
	v_fmac_f32_e32 v42, v10, v40
	v_fmac_f32_e32 v43, v11, v41
	s_waitcnt vmcnt(1)
	v_and_b32_sdwa v62, s37, v52 dst_sel:DWORD dst_unused:UNUSED_PAD src0_sel:DWORD src1_sel:BYTE_0
	v_lshrrev_b16_e32 v52, 8, v52
	v_cvt_f32_fp8_e32 v61, v61
	v_cvt_f32_fp8_e32 v51, v51
	v_mul_f32_e32 v57, s35, v57
	v_mul_f32_e32 v47, s35, v47
	v_cvt_pk_bf16_f32 v56, v56, s0
	v_cvt_pk_bf16_f32 v46, v46, s0
	v_lshlrev_b32_e32 v55, 16, v55
	v_lshlrev_b32_e32 v45, 16, v45
	v_fmac_f32_e32 v42, v14, v54
	v_fmac_f32_e32 v43, v15, v44
	;; [unrolled: 13-line block ×3, first 2 shown]
	v_cvt_f32_fp8_e32 v63, v63
	v_cvt_f32_fp8_e32 v53, v53
	v_mul_f32_e32 v59, s35, v59
	v_mul_f32_e32 v49, s35, v49
	v_cvt_pk_bf16_f32 v58, v58, s0
	v_cvt_pk_bf16_f32 v48, v48, s0
	v_lshlrev_b32_e32 v57, 16, v57
	v_lshlrev_b32_e32 v47, 16, v47
	v_fmac_f32_e32 v42, v18, v56
	v_fmac_f32_e32 v43, v19, v46
	v_mul_f32_e32 v60, s35, v60
	v_mul_f32_e32 v50, s35, v50
	v_cvt_pk_bf16_f32 v59, v59, s0
	v_cvt_pk_bf16_f32 v49, v49, s0
	v_lshlrev_b32_e32 v58, 16, v58
	v_lshlrev_b32_e32 v48, 16, v48
	v_fmac_f32_e32 v42, v20, v57
	v_fmac_f32_e32 v43, v21, v47
	;; [unrolled: 8-line block ×5, first 2 shown]
	v_cvt_pk_bf16_f32 v63, v63, s0
	v_cvt_pk_bf16_f32 v53, v53, s0
	v_lshlrev_b32_e32 v62, 16, v62
	v_lshlrev_b32_e32 v52, 16, v52
	v_fmac_f32_e32 v42, v28, v61
	v_fmac_f32_e32 v43, v29, v51
	v_lshlrev_b32_e32 v63, 16, v63
	v_lshlrev_b32_e32 v53, 16, v53
	v_fmac_f32_e32 v42, v30, v62
	v_fmac_f32_e32 v43, v32, v52
	;; [unrolled: 1-line block ×4, first 2 shown]
	v_add_f32_e32 v40, v42, v43
	ds_bpermute_b32 v41, v35, v40
	s_waitcnt lgkmcnt(0)
	v_add_f32_e32 v40, v40, v41
	ds_bpermute_b32 v41, v36, v40
	s_and_saveexec_b64 s[14:15], vcc
	s_cbranch_execz .LBB302_8
; %bb.10:                               ;   in Loop: Header=BB302_9 Depth=1
	v_add_u32_e32 v42, s36, v37
	v_cvt_f32_i32_e32 v42, v42
	s_waitcnt lgkmcnt(0)
	v_add_f32_e32 v40, v40, v41
	v_cmp_gt_i32_e64 s[0:1], s17, v37
	v_max_f32_e32 v41, v31, v31
	v_mul_f32_e32 v42, s28, v42
	v_cndmask_b32_e64 v42, 0, v42, s[2:3]
	v_fmac_f32_e32 v42, s29, v40
	v_cndmask_b32_e64 v40, 0, v42, s[0:1]
	ds_write_b32 v38, v40
	v_max_f32_e32 v40, v41, v42
	v_cndmask_b32_e64 v31, v31, v40, s[0:1]
	s_branch .LBB302_8
.LBB302_11:
	s_or_b64 exec, exec, s[8:9]
.LBB302_12:
	s_or_b64 exec, exec, s[30:31]
	v_xor_b32_e32 v2, 32, v7
	v_cmp_lt_i32_e32 vcc, v2, v8
	v_xor_b32_e32 v5, 16, v7
	v_max_f32_e32 v4, v31, v31
	v_cndmask_b32_e32 v2, v7, v2, vcc
	v_lshlrev_b32_e32 v2, 2, v2
	ds_bpermute_b32 v3, v2, v31
	v_cmp_lt_i32_e32 vcc, v5, v8
	v_xor_b32_e32 v10, 8, v7
	v_xor_b32_e32 v11, 4, v7
	v_and_b32_e32 v20, 63, v0
	s_waitcnt lgkmcnt(0)
	v_max_f32_e32 v3, v3, v3
	v_max_f32_e32 v4, v4, v3
	v_cndmask_b32_e32 v3, v7, v5, vcc
	v_lshlrev_b32_e32 v3, 2, v3
	ds_bpermute_b32 v5, v3, v4
	v_cmp_lt_i32_e32 vcc, v10, v8
	s_waitcnt lgkmcnt(0)
	v_max_f32_e32 v5, v5, v5
	v_max_f32_e32 v4, v4, v5
	v_cndmask_b32_e32 v5, v7, v10, vcc
	v_lshlrev_b32_e32 v10, 2, v5
	ds_bpermute_b32 v5, v10, v4
	v_cmp_lt_i32_e32 vcc, v11, v8
	s_waitcnt lgkmcnt(0)
	v_max_f32_e32 v5, v5, v5
	v_max_f32_e32 v5, v4, v5
	v_cndmask_b32_e32 v4, v7, v11, vcc
	v_lshlrev_b32_e32 v11, 2, v4
	ds_bpermute_b32 v12, v11, v5
	v_cmp_eq_u32_e32 vcc, 0, v20
	v_lshlrev_b32_e32 v4, 2, v1
	s_and_saveexec_b64 s[0:1], vcc
	s_cbranch_execz .LBB302_14
; %bb.13:
	s_waitcnt lgkmcnt(0)
	v_max_f32_e32 v12, v12, v12
	v_max_f32_e32 v5, v5, v5
	;; [unrolled: 1-line block ×3, first 2 shown]
	ds_write_b32 v4, v5 offset:192
.LBB302_14:
	s_or_b64 exec, exec, s[0:1]
	v_cmp_gt_u32_e64 s[0:1], 2, v20
	s_waitcnt lgkmcnt(0)
	v_mov_b32_e32 v12, 0xff7fffff
	v_lshlrev_b32_e32 v5, 2, v20
	s_barrier
	s_and_saveexec_b64 s[2:3], s[0:1]
; %bb.15:
	ds_read_b32 v12, v5 offset:192
; %bb.16:
	s_or_b64 exec, exec, s[2:3]
	v_xor_b32_e32 v13, 1, v7
	v_cmp_lt_i32_e64 s[2:3], v13, v8
	v_lshlrev_b32_e32 v9, 2, v9
	s_nop 0
	v_cndmask_b32_e64 v13, v7, v13, s[2:3]
	v_lshlrev_b32_e32 v21, 2, v13
	s_waitcnt lgkmcnt(0)
	ds_bpermute_b32 v13, v21, v12
	v_max_f32_e32 v12, v12, v12
	s_lshl_b32 s2, s19, 4
	s_min_i32 s30, s2, s17
	v_cmp_gt_i32_e64 s[2:3], s30, v0
	s_waitcnt lgkmcnt(0)
	v_max_f32_e32 v13, v13, v13
	v_max_f32_e32 v12, v12, v13
	ds_bpermute_b32 v12, v9, v12
	v_mov_b32_e32 v9, 0
	s_and_saveexec_b64 s[14:15], s[2:3]
	s_cbranch_execz .LBB302_20
; %bb.17:
	v_mov_b32_e32 v9, 0xd0
	v_lshl_add_u32 v13, v0, 2, v9
	v_mov_b32_e32 v9, 0
	s_mov_b64 s[28:29], 0
	v_mov_b32_e32 v14, v0
.LBB302_18:                             ; =>This Inner Loop Header: Depth=1
	ds_read_b32 v15, v13
	v_add_u32_e32 v14, 0x80, v14
	v_cmp_le_i32_e64 s[8:9], s30, v14
	s_or_b64 s[28:29], s[8:9], s[28:29]
	s_waitcnt lgkmcnt(0)
	v_sub_f32_e32 v15, v15, v12
	v_mul_f32_e32 v15, 0x3fb8aa3b, v15
	v_exp_f32_e32 v15, v15
	ds_write_b32 v13, v15
	v_add_f32_e32 v9, v9, v15
	v_add_u32_e32 v13, 0x200, v13
	s_andn2_b64 exec, exec, s[28:29]
	s_cbranch_execnz .LBB302_18
; %bb.19:
	s_or_b64 exec, exec, s[28:29]
.LBB302_20:
	s_or_b64 exec, exec, s[14:15]
	ds_bpermute_b32 v2, v2, v9
	s_waitcnt lgkmcnt(0)
	v_add_f32_e32 v2, v9, v2
	ds_bpermute_b32 v3, v3, v2
	v_xor_b32_e32 v9, 2, v7
	v_cmp_lt_i32_e64 s[8:9], v9, v8
	s_waitcnt lgkmcnt(0)
	v_add_f32_e32 v2, v2, v3
	ds_bpermute_b32 v3, v10, v2
	v_cndmask_b32_e64 v8, v7, v9, s[8:9]
	s_waitcnt lgkmcnt(0)
	v_add_f32_e32 v2, v2, v3
	ds_bpermute_b32 v3, v11, v2
	s_waitcnt lgkmcnt(0)
	v_add_f32_e32 v2, v2, v3
	v_lshlrev_b32_e32 v3, 2, v8
	ds_bpermute_b32 v3, v3, v2
	s_waitcnt lgkmcnt(0)
	v_add_f32_e32 v2, v2, v3
	ds_bpermute_b32 v3, v21, v2
	s_waitcnt lgkmcnt(0)
	v_add_f32_e32 v2, v2, v3
	s_and_saveexec_b64 s[8:9], vcc
; %bb.21:
	ds_write_b32 v4, v2 offset:200
; %bb.22:
	s_or_b64 exec, exec, s[8:9]
	s_waitcnt lgkmcnt(0)
	s_barrier
	s_and_saveexec_b64 s[8:9], s[0:1]
; %bb.23:
	ds_read_b32 v2, v5 offset:200
; %bb.24:
	s_or_b64 exec, exec, s[8:9]
	s_waitcnt lgkmcnt(0)
	ds_bpermute_b32 v3, v21, v2
	v_lshlrev_b32_e32 v4, 2, v7
	s_waitcnt lgkmcnt(0)
	v_add_f32_e32 v2, v2, v3
	v_and_b32_e32 v3, 0xffffff00, v4
	ds_bpermute_b32 v2, v3, v2
	s_and_saveexec_b64 s[0:1], s[2:3]
	s_cbranch_execz .LBB302_37
; %bb.25:
	s_waitcnt lgkmcnt(0)
	v_add_f32_e32 v2, 0x358637bd, v2
	v_div_scale_f32 v3, s[2:3], v2, v2, 1.0
	v_rcp_f32_e32 v4, v3
	v_div_scale_f32 v5, vcc, 1.0, v2, 1.0
	s_movk_i32 s2, 0x7f
	v_fma_f32 v7, -v3, v4, 1.0
	v_fmac_f32_e32 v4, v7, v4
	v_mul_f32_e32 v7, v5, v4
	v_fma_f32 v8, -v3, v7, v5
	v_fmac_f32_e32 v7, v8, v4
	v_fma_f32 v3, -v3, v7, v5
	v_div_fmas_f32 v3, v3, v4, v7
	v_xad_u32 v4, v0, -1, s30
	v_div_fixup_f32 v2, v3, v2, 1.0
	v_cmp_lt_u32_e32 vcc, s2, v4
	s_mov_b64 s[8:9], -1
	v_mov_b32_e32 v3, v0
	s_and_saveexec_b64 s[2:3], vcc
	s_cbranch_execz .LBB302_34
; %bb.26:
	v_lshrrev_b32_e32 v4, 7, v4
	v_add_u32_e32 v7, -1, v4
	v_lshrrev_b32_e32 v5, 1, v7
	v_mov_b32_e32 v3, v2
	v_add_u32_e32 v5, 1, v5
	v_cmp_lt_u32_e32 vcc, 13, v7
	v_mov_b32_e32 v9, 0
	s_and_saveexec_b64 s[8:9], vcc
	s_cbranch_execz .LBB302_30
; %bb.27:
	v_mov_b32_e32 v8, 0xd0
	v_and_b32_e32 v7, -8, v5
	v_lshl_add_u32 v8, v0, 2, v8
	s_mov_b32 s28, 0
	s_mov_b64 s[14:15], 0
.LBB302_28:                             ; =>This Inner Loop Header: Depth=1
	ds_read2st64_b32 v[10:11], v8 offset1:2
	ds_read2st64_b32 v[12:13], v8 offset0:4 offset1:6
	ds_read2st64_b32 v[14:15], v8 offset0:8 offset1:10
	;; [unrolled: 1-line block ×3, first 2 shown]
	v_add_u32_e32 v7, -8, v7
	s_waitcnt lgkmcnt(3)
	v_pk_mul_f32 v[10:11], v[2:3], v[10:11]
	s_waitcnt lgkmcnt(2)
	v_pk_mul_f32 v[12:13], v[2:3], v[12:13]
	ds_write2st64_b32 v8, v10, v11 offset1:2
	ds_write2st64_b32 v8, v12, v13 offset0:4 offset1:6
	ds_read2st64_b32 v[12:13], v8 offset0:16 offset1:18
	s_waitcnt lgkmcnt(4)
	v_pk_mul_f32 v[10:11], v[2:3], v[14:15]
	ds_write2st64_b32 v8, v10, v11 offset0:8 offset1:10
	s_waitcnt lgkmcnt(4)
	v_pk_mul_f32 v[10:11], v[2:3], v[16:17]
	ds_write2st64_b32 v8, v10, v11 offset0:12 offset1:14
	ds_read2st64_b32 v[10:11], v8 offset0:20 offset1:22
	s_waitcnt lgkmcnt(3)
	v_pk_mul_f32 v[12:13], v[2:3], v[12:13]
	ds_read2st64_b32 v[14:15], v8 offset0:24 offset1:26
	ds_write2st64_b32 v8, v12, v13 offset0:16 offset1:18
	ds_read2st64_b32 v[12:13], v8 offset0:28 offset1:30
	s_waitcnt lgkmcnt(3)
	v_pk_mul_f32 v[10:11], v[2:3], v[10:11]
	ds_write2st64_b32 v8, v10, v11 offset0:20 offset1:22
	s_waitcnt lgkmcnt(3)
	v_pk_mul_f32 v[10:11], v[2:3], v[14:15]
	ds_write2st64_b32 v8, v10, v11 offset0:24 offset1:26
	s_waitcnt lgkmcnt(2)
	v_pk_mul_f32 v[10:11], v[2:3], v[12:13]
	s_add_i32 s28, s28, 16
	v_cmp_eq_u32_e32 vcc, 0, v7
	ds_write2st64_b32 v8, v10, v11 offset0:28 offset1:30
	v_add_u32_e32 v8, 0x2000, v8
	s_or_b64 s[14:15], vcc, s[14:15]
	v_mov_b32_e32 v9, s28
	s_andn2_b64 exec, exec, s[14:15]
	s_cbranch_execnz .LBB302_28
; %bb.29:
	s_or_b64 exec, exec, s[14:15]
.LBB302_30:
	s_or_b64 exec, exec, s[8:9]
	v_and_b32_e32 v5, 7, v5
	v_cmp_ne_u32_e32 vcc, 0, v5
	s_and_saveexec_b64 s[8:9], vcc
	s_cbranch_execz .LBB302_33
; %bb.31:
	v_lshlrev_b32_e32 v7, 9, v9
	v_lshlrev_b32_e32 v8, 2, v0
	s_movk_i32 s14, 0xd0
	v_add3_u32 v7, v7, v8, s14
	s_mov_b64 s[14:15], 0
.LBB302_32:                             ; =>This Inner Loop Header: Depth=1
	ds_read2st64_b32 v[8:9], v7 offset1:2
	v_add_u32_e32 v5, -1, v5
	v_cmp_eq_u32_e32 vcc, 0, v5
	s_or_b64 s[14:15], vcc, s[14:15]
	s_waitcnt lgkmcnt(0)
	v_pk_mul_f32 v[8:9], v[2:3], v[8:9]
	ds_write2st64_b32 v7, v8, v9 offset1:2
	v_add_u32_e32 v7, 0x400, v7
	s_andn2_b64 exec, exec, s[14:15]
	s_cbranch_execnz .LBB302_32
.LBB302_33:
	s_or_b64 exec, exec, s[8:9]
	v_add_u32_e32 v4, 1, v4
	v_and_b32_e32 v5, 0x3fffffe, v4
	v_cmp_ne_u32_e32 vcc, v4, v5
	v_lshl_add_u32 v3, v5, 7, v0
	s_orn2_b64 s[8:9], vcc, exec
.LBB302_34:
	s_or_b64 exec, exec, s[2:3]
	s_and_b64 exec, exec, s[8:9]
	s_cbranch_execz .LBB302_37
; %bb.35:
	v_mov_b32_e32 v4, 0xd0
	v_lshl_add_u32 v4, v3, 2, v4
	s_mov_b64 s[2:3], 0
.LBB302_36:                             ; =>This Inner Loop Header: Depth=1
	ds_read_b32 v5, v4
	v_add_u32_e32 v3, 0x80, v3
	v_cmp_le_i32_e32 vcc, s30, v3
	s_or_b64 s[2:3], vcc, s[2:3]
	s_waitcnt lgkmcnt(0)
	v_mul_f32_e32 v5, v2, v5
	ds_write_b32 v4, v5
	v_add_u32_e32 v4, 0x200, v4
	s_andn2_b64 exec, exec, s[2:3]
	s_cbranch_execnz .LBB302_36
.LBB302_37:
	s_or_b64 exec, exec, s[0:1]
	v_mov_b32_e32 v13, 0
	v_and_b32_e32 v22, 1, v0
	v_mov_b32_e32 v12, 0
	v_mov_b32_e32 v11, 0
	s_waitcnt lgkmcnt(0)
	s_barrier
	s_and_saveexec_b64 s[2:3], s[6:7]
	s_cbranch_execz .LBB302_47
; %bb.38:
	s_ashr_i32 s1, s33, 31
	v_lshlrev_b32_e32 v2, 3, v0
	s_add_u32 s0, s26, s33
	s_addc_u32 s1, s27, s1
	v_and_b32_e32 v10, 0x1f8, v2
	s_load_dword s10, s[10:11], 0x0
	v_mov_b32_e32 v11, 0
	v_and_b32_e32 v3, 8, v2
	s_add_i32 s11, s19, -1
	v_lshl_add_u64 v[14:15], s[0:1], 0, v[10:11]
	v_lshlrev_b32_e32 v2, 4, v1
	s_lshl_b64 s[0:1], s[24:25], 2
	v_or3_b32 v23, v2, v3, 7
	v_lshlrev_b32_e32 v2, 5, v22
	s_add_u32 s0, s22, s0
	v_lshl_or_b32 v2, v1, 6, v2
	v_and_b32_e32 v10, 60, v6
	s_addc_u32 s1, s23, s1
	v_add_u32_e32 v24, 0xd0, v2
	v_lshl_add_u64 v[16:17], s[0:1], 0, v[10:11]
	s_mov_b64 s[6:7], 0
	v_mov_b32_e32 v13, v11
	v_mov_b32_e32 v12, v11
	s_branch .LBB302_40
.LBB302_39:                             ;   in Loop: Header=BB302_40 Depth=1
	s_or_b64 exec, exec, s[0:1]
	v_cvt_pk_bf16_f32 v6, v6, s0
	v_cvt_pk_bf16_f32 v7, v7, s0
	;; [unrolled: 1-line block ×6, first 2 shown]
	v_lshlrev_b32_e32 v7, 16, v7
	v_lshlrev_b32_e32 v6, 16, v6
	;; [unrolled: 1-line block ×8, first 2 shown]
	v_cvt_pk_bf16_f32 v4, v4, s0
	v_cvt_pk_bf16_f32 v5, v5, s0
	v_lshlrev_b32_e32 v3, 16, v3
	v_lshlrev_b32_e32 v2, 16, v2
	v_mul_f32_e32 v31, v7, v31
	v_mul_f32_e32 v30, v6, v30
	;; [unrolled: 1-line block ×4, first 2 shown]
	v_lshlrev_b32_e32 v27, 16, v27
	v_lshlrev_b32_e32 v26, 16, v26
	;; [unrolled: 1-line block ×4, first 2 shown]
	v_cvt_pk_bf16_f32 v31, v31, s0
	v_cvt_pk_bf16_f32 v30, v30, s0
	;; [unrolled: 1-line block ×4, first 2 shown]
	v_mul_f32_e32 v27, v3, v27
	v_mul_f32_e32 v26, v2, v26
	v_lshlrev_b32_e32 v25, 16, v25
	v_lshlrev_b32_e32 v10, 16, v10
	v_cvt_pk_bf16_f32 v27, v27, s0
	v_cvt_pk_bf16_f32 v26, v26, s0
	v_mul_f32_e32 v25, v5, v25
	v_mul_f32_e32 v10, v4, v10
	v_lshlrev_b32_e32 v30, 16, v30
	v_lshlrev_b32_e32 v31, 16, v31
	;; [unrolled: 1-line block ×4, first 2 shown]
	v_cvt_pk_bf16_f32 v25, v25, s0
	v_cvt_pk_bf16_f32 v10, v10, s0
	v_add_f32_e32 v30, v30, v31
	v_add_f32_e32 v28, v28, v29
	v_lshlrev_b32_e32 v26, 16, v26
	v_lshlrev_b32_e32 v27, 16, v27
	v_add_f32_e32 v28, v28, v30
	v_add_f32_e32 v26, v26, v27
	v_lshlrev_b32_e32 v10, 16, v10
	v_lshlrev_b32_e32 v25, 16, v25
	v_add_f32_e32 v26, v26, v28
	v_add_f32_e32 v10, v10, v25
	;; [unrolled: 1-line block ×3, first 2 shown]
	v_lshlrev_b32_e32 v33, 16, v45
	v_add_f32_e32 v12, v12, v10
	v_lshlrev_b32_e32 v10, 16, v52
	v_lshlrev_b32_e32 v32, 16, v46
	v_mul_f32_e32 v33, v6, v33
	v_mul_f32_e32 v6, v6, v10
	v_lshlrev_b32_e32 v10, 16, v51
	v_mul_f32_e32 v32, v7, v32
	v_lshlrev_b32_e32 v35, 16, v43
	;; [unrolled: 2-line block ×3, first 2 shown]
	v_lshlrev_b32_e32 v34, 16, v44
	v_mul_f32_e32 v35, v8, v35
	v_mul_f32_e32 v8, v8, v10
	v_lshlrev_b32_e32 v10, 16, v49
	v_mul_f32_e32 v34, v9, v34
	v_lshlrev_b32_e32 v37, 16, v41
	;; [unrolled: 2-line block ×3, first 2 shown]
	v_mul_f32_e32 v37, v2, v37
	v_mul_f32_e32 v2, v2, v10
	v_cvt_pk_bf16_f32 v10, v2, s0
	v_lshlrev_b32_e32 v2, 16, v47
	v_mul_f32_e32 v2, v3, v2
	v_cvt_pk_bf16_f32 v32, v32, s0
	v_cvt_pk_bf16_f32 v33, v33, s0
	;; [unrolled: 1-line block ×3, first 2 shown]
	v_lshlrev_b32_e32 v2, 16, v19
	v_cvt_pk_bf16_f32 v34, v34, s0
	v_cvt_pk_bf16_f32 v35, v35, s0
	v_lshlrev_b32_e32 v36, 16, v42
	v_lshlrev_b32_e32 v33, 16, v33
	;; [unrolled: 1-line block ×3, first 2 shown]
	v_mul_f32_e32 v2, v4, v2
	v_mul_f32_e32 v36, v3, v36
	v_add_f32_e32 v32, v33, v32
	v_lshlrev_b32_e32 v33, 16, v35
	v_lshlrev_b32_e32 v34, 16, v34
	v_cvt_pk_bf16_f32 v19, v2, s0
	v_lshlrev_b32_e32 v2, 16, v18
	v_cvt_pk_bf16_f32 v36, v36, s0
	v_cvt_pk_bf16_f32 v37, v37, s0
	v_lshlrev_b32_e32 v38, 16, v40
	v_lshlrev_b32_e32 v39, 16, v39
	v_add_f32_e32 v33, v33, v34
	v_cvt_pk_bf16_f32 v6, v6, s0
	v_cvt_pk_bf16_f32 v7, v7, s0
	;; [unrolled: 1-line block ×4, first 2 shown]
	v_mul_f32_e32 v2, v5, v2
	v_mul_f32_e32 v38, v5, v38
	;; [unrolled: 1-line block ×3, first 2 shown]
	v_add_f32_e32 v32, v33, v32
	v_lshlrev_b32_e32 v33, 16, v37
	v_lshlrev_b32_e32 v34, 16, v36
	v_cvt_pk_bf16_f32 v18, v2, s0
	v_lshlrev_b32_e32 v3, 16, v7
	v_lshlrev_b32_e32 v5, 16, v6
	;; [unrolled: 1-line block ×4, first 2 shown]
	v_cvt_pk_bf16_f32 v38, v38, s0
	v_cvt_pk_bf16_f32 v39, v39, s0
	v_add_f32_e32 v33, v33, v34
	v_pk_add_f32 v[2:3], v[4:5], v[2:3]
	v_lshlrev_b32_e32 v5, 16, v25
	v_lshlrev_b32_e32 v7, 16, v10
	;; [unrolled: 1-line block ×4, first 2 shown]
	v_add_f32_e32 v32, v33, v32
	v_lshlrev_b32_e32 v33, 16, v39
	v_lshlrev_b32_e32 v34, 16, v38
	v_pk_add_f32 v[4:5], v[6:7], v[4:5]
	v_add_f32_e32 v2, v2, v3
	v_add_f32_e32 v33, v33, v34
	v_add_f32_e32 v2, v5, v2
	v_add_u32_e32 v1, 2, v1
	v_add_f32_e32 v32, v33, v32
	v_add_f32_e32 v2, v4, v2
	v_cmp_le_i32_e32 vcc, s19, v1
	v_add_f32_e32 v13, v13, v32
	v_add_f32_e32 v11, v11, v2
	v_add_u32_e32 v23, 32, v23
	v_add_u32_e32 v24, 0x80, v24
	s_or_b64 s[6:7], vcc, s[6:7]
	v_lshl_add_u64 v[16:17], v[16:17], 0, 8
	s_andn2_b64 exec, exec, s[6:7]
	s_cbranch_execz .LBB302_46
.LBB302_40:                             ; =>This Inner Loop Header: Depth=1
	global_load_dword v2, v[16:17], off
	v_add_u32_e32 v32, -7, v23
	v_cmp_eq_u32_e32 vcc, s11, v1
	v_add_u32_e32 v37, -6, v23
	v_add_u32_e32 v36, -5, v23
	;; [unrolled: 1-line block ×5, first 2 shown]
	s_waitcnt vmcnt(0)
	v_mad_i64_i32 v[18:19], s[0:1], v2, s13, v[14:15]
	global_load_dwordx2 v[26:27], v[18:19], off
	ds_read2_b64 v[6:9], v24 offset1:1
	ds_read2_b64 v[2:5], v24 offset0:2 offset1:3
	s_waitcnt vmcnt(0)
	v_and_b32_e32 v10, 0xff, v26
	v_bfe_u32 v25, v26, 8, 8
	v_bfe_u32 v28, v26, 16, 8
	v_lshrrev_b32_e32 v26, 24, v26
	v_and_b32_e32 v29, 0xff, v27
	v_bfe_u32 v30, v27, 8, 8
	v_bfe_u32 v31, v27, 16, 8
	v_lshrrev_b32_e32 v27, 24, v27
	v_cvt_f32_fp8_e32 v10, v10
	v_cvt_f32_fp8_e32 v25, v25
	;; [unrolled: 1-line block ×8, first 2 shown]
	s_waitcnt lgkmcnt(0)
	v_mul_f32_e32 v10, s10, v10
	v_mul_f32_e32 v25, s10, v25
	;; [unrolled: 1-line block ×8, first 2 shown]
	v_cvt_pk_bf16_f32 v30, v10, s0
	v_cvt_pk_bf16_f32 v31, v25, s0
	;; [unrolled: 1-line block ×8, first 2 shown]
	v_add_u32_e32 v38, -1, v23
	s_and_saveexec_b64 s[8:9], vcc
	s_cbranch_execz .LBB302_42
; %bb.41:                               ;   in Loop: Header=BB302_40 Depth=1
	v_cmp_gt_i32_e64 s[0:1], s17, v32
	s_nop 1
	v_cndmask_b32_e64 v30, 0, v30, s[0:1]
	v_cmp_gt_i32_e64 s[0:1], s17, v37
	s_nop 1
	v_cndmask_b32_e64 v31, 0, v31, s[0:1]
	;; [unrolled: 3-line block ×8, first 2 shown]
.LBB302_42:                             ;   in Loop: Header=BB302_40 Depth=1
	s_or_b64 exec, exec, s[8:9]
	global_load_dwordx2 v[40:41], v[18:19], off offset:512
	s_waitcnt vmcnt(0)
	v_and_b32_e32 v39, 0xff, v40
	v_bfe_u32 v42, v40, 8, 8
	v_bfe_u32 v43, v40, 16, 8
	v_lshrrev_b32_e32 v40, 24, v40
	v_and_b32_e32 v44, 0xff, v41
	v_bfe_u32 v45, v41, 8, 8
	v_bfe_u32 v46, v41, 16, 8
	v_lshrrev_b32_e32 v41, 24, v41
	v_cvt_f32_fp8_e32 v39, v39
	v_cvt_f32_fp8_e32 v42, v42
	;; [unrolled: 1-line block ×8, first 2 shown]
	v_mul_f32_e32 v39, s10, v39
	v_mul_f32_e32 v42, s10, v42
	;; [unrolled: 1-line block ×8, first 2 shown]
	v_cvt_pk_bf16_f32 v45, v39, s0
	v_cvt_pk_bf16_f32 v46, v42, s0
	;; [unrolled: 1-line block ×8, first 2 shown]
	s_and_saveexec_b64 s[8:9], vcc
	s_cbranch_execz .LBB302_44
; %bb.43:                               ;   in Loop: Header=BB302_40 Depth=1
	v_cmp_gt_i32_e64 s[0:1], s17, v32
	s_nop 1
	v_cndmask_b32_e64 v45, 0, v45, s[0:1]
	v_cmp_gt_i32_e64 s[0:1], s17, v37
	s_nop 1
	v_cndmask_b32_e64 v46, 0, v46, s[0:1]
	;; [unrolled: 3-line block ×8, first 2 shown]
.LBB302_44:                             ;   in Loop: Header=BB302_40 Depth=1
	s_or_b64 exec, exec, s[8:9]
	global_load_dwordx2 v[18:19], v[18:19], off offset:1024
	s_waitcnt vmcnt(0)
	v_and_b32_e32 v47, 0xff, v18
	v_bfe_u32 v48, v18, 8, 8
	v_bfe_u32 v49, v18, 16, 8
	v_lshrrev_b32_e32 v18, 24, v18
	v_and_b32_e32 v50, 0xff, v19
	v_bfe_u32 v51, v19, 8, 8
	v_bfe_u32 v52, v19, 16, 8
	v_lshrrev_b32_e32 v19, 24, v19
	v_cvt_f32_fp8_e32 v47, v47
	v_cvt_f32_fp8_e32 v48, v48
	;; [unrolled: 1-line block ×8, first 2 shown]
	v_mul_f32_e32 v47, s10, v47
	v_mul_f32_e32 v48, s10, v48
	;; [unrolled: 1-line block ×8, first 2 shown]
	v_cvt_pk_bf16_f32 v52, v47, s0
	v_cvt_pk_bf16_f32 v51, v48, s0
	;; [unrolled: 1-line block ×8, first 2 shown]
	s_and_saveexec_b64 s[0:1], vcc
	s_cbranch_execz .LBB302_39
; %bb.45:                               ;   in Loop: Header=BB302_40 Depth=1
	v_cmp_gt_i32_e32 vcc, s17, v32
	s_nop 1
	v_cndmask_b32_e32 v52, 0, v52, vcc
	v_cmp_gt_i32_e32 vcc, s17, v37
	s_nop 1
	v_cndmask_b32_e32 v51, 0, v51, vcc
	;; [unrolled: 3-line block ×8, first 2 shown]
	s_branch .LBB302_39
.LBB302_46:
	s_or_b64 exec, exec, s[6:7]
.LBB302_47:
	s_or_b64 exec, exec, s[2:3]
	ds_bpermute_b32 v2, v21, v12
	ds_bpermute_b32 v3, v21, v13
	;; [unrolled: 1-line block ×3, first 2 shown]
	v_and_b32_e32 v4, 0x3c1, v0
	v_cmp_ne_u32_e32 vcc, 64, v4
	s_waitcnt lgkmcnt(0)
	v_pk_add_f32 v[2:3], v[12:13], v[2:3]
	s_barrier
	s_and_saveexec_b64 s[0:1], vcc
	s_xor_b64 s[0:1], exec, s[0:1]
; %bb.48:
                                        ; implicit-def: $vgpr20
; %bb.49:
	s_or_saveexec_b64 s[0:1], s[0:1]
	v_add_f32_e32 v1, v11, v1
	s_xor_b64 exec, exec, s[0:1]
	s_cbranch_execz .LBB302_51
; %bb.50:
	v_mov_b32_e32 v5, 0xd0
	v_lshl_add_u32 v5, v20, 1, v5
	ds_write2_b32 v5, v2, v3 offset1:32
	ds_write_b32 v5, v1 offset:256
.LBB302_51:
	s_or_b64 exec, exec, s[0:1]
	v_cmp_gt_u32_e32 vcc, 64, v0
	v_lshrrev_b32_e32 v0, 1, v0
	s_waitcnt lgkmcnt(0)
	s_barrier
	s_and_saveexec_b64 s[0:1], vcc
	s_cbranch_execz .LBB302_57
; %bb.52:
	v_mov_b32_e32 v5, 0xd0
	v_cmp_eq_u32_e32 vcc, 0, v22
	v_lshl_add_u32 v5, v0, 2, v5
	s_and_saveexec_b64 s[2:3], vcc
	s_cbranch_execnz .LBB302_60
; %bb.53:
	s_or_b64 exec, exec, s[2:3]
	s_and_saveexec_b64 s[2:3], vcc
	s_cbranch_execnz .LBB302_61
.LBB302_54:
	s_or_b64 exec, exec, s[2:3]
	s_and_saveexec_b64 s[2:3], vcc
	s_cbranch_execz .LBB302_56
.LBB302_55:
	ds_read_b32 v5, v5 offset:256
	s_waitcnt lgkmcnt(0)
	v_add_f32_e32 v1, v1, v5
.LBB302_56:
	s_or_b64 exec, exec, s[2:3]
.LBB302_57:
	s_or_b64 exec, exec, s[0:1]
	v_cmp_eq_u32_e32 vcc, 0, v4
	s_barrier
	s_and_saveexec_b64 s[0:1], vcc
	s_cbranch_execz .LBB302_59
; %bb.58:
	s_mul_i32 s0, s16, s12
	s_mul_i32 s0, s0, s5
	s_mulk_i32 s0, 0x60
	s_ashr_i32 s1, s0, 31
	s_lshl_b64 s[0:1], s[0:1], 1
	s_add_u32 s2, s20, s0
	s_mul_i32 s0, s12, s18
	s_addc_u32 s3, s21, s1
	s_ashr_i32 s1, s0, 31
	s_lshl_b64 s[0:1], s[0:1], 1
	s_add_u32 s2, s2, s0
	s_mul_i32 s0, s4, 0x60
	s_addc_u32 s3, s3, s1
	s_ashr_i32 s1, s0, 31
	s_lshl_b64 s[0:1], s[0:1], 1
	s_add_u32 s0, s2, s0
	s_addc_u32 s1, s3, s1
	v_lshlrev_b32_e32 v0, 1, v0
	v_cvt_pk_bf16_f32 v2, v2, s0
	global_store_short v0, v2, s[0:1]
	v_cvt_pk_bf16_f32 v2, v3, s0
	v_cvt_pk_bf16_f32 v1, v1, s0
	global_store_short v0, v2, s[0:1] offset:64
	global_store_short v0, v1, s[0:1] offset:128
.LBB302_59:
	s_endpgm
.LBB302_60:
	ds_read_b32 v6, v5
	s_waitcnt lgkmcnt(0)
	v_add_f32_e32 v2, v2, v6
	s_or_b64 exec, exec, s[2:3]
	s_and_saveexec_b64 s[2:3], vcc
	s_cbranch_execz .LBB302_54
.LBB302_61:
	ds_read_b32 v6, v5 offset:128
	s_waitcnt lgkmcnt(0)
	v_add_f32_e32 v3, v3, v6
	s_or_b64 exec, exec, s[2:3]
	s_and_saveexec_b64 s[2:3], vcc
	s_cbranch_execnz .LBB302_55
	s_branch .LBB302_56
	.section	.rodata,"a",@progbits
	.p2align	6, 0x0
	.amdhsa_kernel _ZN4vllm25paged_attention_v1_kernelI14__hip_bfloat16hLi96ELi16ELi128ELNS_18Fp8KVCacheDataTypeE1ELb0EEEvPT_PKS3_PKT0_S9_ifPKiSB_iPKfiiiSD_SD_iiiii
		.amdhsa_group_segment_fixed_size 208
		.amdhsa_private_segment_fixed_size 0
		.amdhsa_kernarg_size 384
		.amdhsa_user_sgpr_count 2
		.amdhsa_user_sgpr_dispatch_ptr 0
		.amdhsa_user_sgpr_queue_ptr 0
		.amdhsa_user_sgpr_kernarg_segment_ptr 1
		.amdhsa_user_sgpr_dispatch_id 0
		.amdhsa_user_sgpr_kernarg_preload_length 0
		.amdhsa_user_sgpr_kernarg_preload_offset 0
		.amdhsa_user_sgpr_private_segment_size 0
		.amdhsa_uses_dynamic_stack 0
		.amdhsa_enable_private_segment 0
		.amdhsa_system_sgpr_workgroup_id_x 1
		.amdhsa_system_sgpr_workgroup_id_y 1
		.amdhsa_system_sgpr_workgroup_id_z 1
		.amdhsa_system_sgpr_workgroup_info 0
		.amdhsa_system_vgpr_workitem_id 0
		.amdhsa_next_free_vgpr 64
		.amdhsa_next_free_sgpr 38
		.amdhsa_accum_offset 64
		.amdhsa_reserve_vcc 1
		.amdhsa_float_round_mode_32 0
		.amdhsa_float_round_mode_16_64 0
		.amdhsa_float_denorm_mode_32 3
		.amdhsa_float_denorm_mode_16_64 3
		.amdhsa_dx10_clamp 1
		.amdhsa_ieee_mode 1
		.amdhsa_fp16_overflow 0
		.amdhsa_tg_split 0
		.amdhsa_exception_fp_ieee_invalid_op 0
		.amdhsa_exception_fp_denorm_src 0
		.amdhsa_exception_fp_ieee_div_zero 0
		.amdhsa_exception_fp_ieee_overflow 0
		.amdhsa_exception_fp_ieee_underflow 0
		.amdhsa_exception_fp_ieee_inexact 0
		.amdhsa_exception_int_div_zero 0
	.end_amdhsa_kernel
	.section	.text._ZN4vllm25paged_attention_v1_kernelI14__hip_bfloat16hLi96ELi16ELi128ELNS_18Fp8KVCacheDataTypeE1ELb0EEEvPT_PKS3_PKT0_S9_ifPKiSB_iPKfiiiSD_SD_iiiii,"axG",@progbits,_ZN4vllm25paged_attention_v1_kernelI14__hip_bfloat16hLi96ELi16ELi128ELNS_18Fp8KVCacheDataTypeE1ELb0EEEvPT_PKS3_PKT0_S9_ifPKiSB_iPKfiiiSD_SD_iiiii,comdat
.Lfunc_end302:
	.size	_ZN4vllm25paged_attention_v1_kernelI14__hip_bfloat16hLi96ELi16ELi128ELNS_18Fp8KVCacheDataTypeE1ELb0EEEvPT_PKS3_PKT0_S9_ifPKiSB_iPKfiiiSD_SD_iiiii, .Lfunc_end302-_ZN4vllm25paged_attention_v1_kernelI14__hip_bfloat16hLi96ELi16ELi128ELNS_18Fp8KVCacheDataTypeE1ELb0EEEvPT_PKS3_PKT0_S9_ifPKiSB_iPKfiiiSD_SD_iiiii
                                        ; -- End function
	.set _ZN4vllm25paged_attention_v1_kernelI14__hip_bfloat16hLi96ELi16ELi128ELNS_18Fp8KVCacheDataTypeE1ELb0EEEvPT_PKS3_PKT0_S9_ifPKiSB_iPKfiiiSD_SD_iiiii.num_vgpr, 64
	.set _ZN4vllm25paged_attention_v1_kernelI14__hip_bfloat16hLi96ELi16ELi128ELNS_18Fp8KVCacheDataTypeE1ELb0EEEvPT_PKS3_PKT0_S9_ifPKiSB_iPKfiiiSD_SD_iiiii.num_agpr, 0
	.set _ZN4vllm25paged_attention_v1_kernelI14__hip_bfloat16hLi96ELi16ELi128ELNS_18Fp8KVCacheDataTypeE1ELb0EEEvPT_PKS3_PKT0_S9_ifPKiSB_iPKfiiiSD_SD_iiiii.numbered_sgpr, 38
	.set _ZN4vllm25paged_attention_v1_kernelI14__hip_bfloat16hLi96ELi16ELi128ELNS_18Fp8KVCacheDataTypeE1ELb0EEEvPT_PKS3_PKT0_S9_ifPKiSB_iPKfiiiSD_SD_iiiii.num_named_barrier, 0
	.set _ZN4vllm25paged_attention_v1_kernelI14__hip_bfloat16hLi96ELi16ELi128ELNS_18Fp8KVCacheDataTypeE1ELb0EEEvPT_PKS3_PKT0_S9_ifPKiSB_iPKfiiiSD_SD_iiiii.private_seg_size, 0
	.set _ZN4vllm25paged_attention_v1_kernelI14__hip_bfloat16hLi96ELi16ELi128ELNS_18Fp8KVCacheDataTypeE1ELb0EEEvPT_PKS3_PKT0_S9_ifPKiSB_iPKfiiiSD_SD_iiiii.uses_vcc, 1
	.set _ZN4vllm25paged_attention_v1_kernelI14__hip_bfloat16hLi96ELi16ELi128ELNS_18Fp8KVCacheDataTypeE1ELb0EEEvPT_PKS3_PKT0_S9_ifPKiSB_iPKfiiiSD_SD_iiiii.uses_flat_scratch, 0
	.set _ZN4vllm25paged_attention_v1_kernelI14__hip_bfloat16hLi96ELi16ELi128ELNS_18Fp8KVCacheDataTypeE1ELb0EEEvPT_PKS3_PKT0_S9_ifPKiSB_iPKfiiiSD_SD_iiiii.has_dyn_sized_stack, 0
	.set _ZN4vllm25paged_attention_v1_kernelI14__hip_bfloat16hLi96ELi16ELi128ELNS_18Fp8KVCacheDataTypeE1ELb0EEEvPT_PKS3_PKT0_S9_ifPKiSB_iPKfiiiSD_SD_iiiii.has_recursion, 0
	.set _ZN4vllm25paged_attention_v1_kernelI14__hip_bfloat16hLi96ELi16ELi128ELNS_18Fp8KVCacheDataTypeE1ELb0EEEvPT_PKS3_PKT0_S9_ifPKiSB_iPKfiiiSD_SD_iiiii.has_indirect_call, 0
	.section	.AMDGPU.csdata,"",@progbits
; Kernel info:
; codeLenInByte = 5788
; TotalNumSgprs: 44
; NumVgprs: 64
; NumAgprs: 0
; TotalNumVgprs: 64
; ScratchSize: 0
; MemoryBound: 0
; FloatMode: 240
; IeeeMode: 1
; LDSByteSize: 208 bytes/workgroup (compile time only)
; SGPRBlocks: 5
; VGPRBlocks: 7
; NumSGPRsForWavesPerEU: 44
; NumVGPRsForWavesPerEU: 64
; AccumOffset: 64
; Occupancy: 8
; WaveLimiterHint : 1
; COMPUTE_PGM_RSRC2:SCRATCH_EN: 0
; COMPUTE_PGM_RSRC2:USER_SGPR: 2
; COMPUTE_PGM_RSRC2:TRAP_HANDLER: 0
; COMPUTE_PGM_RSRC2:TGID_X_EN: 1
; COMPUTE_PGM_RSRC2:TGID_Y_EN: 1
; COMPUTE_PGM_RSRC2:TGID_Z_EN: 1
; COMPUTE_PGM_RSRC2:TIDIG_COMP_CNT: 0
; COMPUTE_PGM_RSRC3_GFX90A:ACCUM_OFFSET: 15
; COMPUTE_PGM_RSRC3_GFX90A:TG_SPLIT: 0
	.section	.text._ZN4vllm25paged_attention_v1_kernelI14__hip_bfloat16hLi112ELi16ELi128ELNS_18Fp8KVCacheDataTypeE1ELb0EEEvPT_PKS3_PKT0_S9_ifPKiSB_iPKfiiiSD_SD_iiiii,"axG",@progbits,_ZN4vllm25paged_attention_v1_kernelI14__hip_bfloat16hLi112ELi16ELi128ELNS_18Fp8KVCacheDataTypeE1ELb0EEEvPT_PKS3_PKT0_S9_ifPKiSB_iPKfiiiSD_SD_iiiii,comdat
	.protected	_ZN4vllm25paged_attention_v1_kernelI14__hip_bfloat16hLi112ELi16ELi128ELNS_18Fp8KVCacheDataTypeE1ELb0EEEvPT_PKS3_PKT0_S9_ifPKiSB_iPKfiiiSD_SD_iiiii ; -- Begin function _ZN4vllm25paged_attention_v1_kernelI14__hip_bfloat16hLi112ELi16ELi128ELNS_18Fp8KVCacheDataTypeE1ELb0EEEvPT_PKS3_PKT0_S9_ifPKiSB_iPKfiiiSD_SD_iiiii
	.globl	_ZN4vllm25paged_attention_v1_kernelI14__hip_bfloat16hLi112ELi16ELi128ELNS_18Fp8KVCacheDataTypeE1ELb0EEEvPT_PKS3_PKT0_S9_ifPKiSB_iPKfiiiSD_SD_iiiii
	.p2align	8
	.type	_ZN4vllm25paged_attention_v1_kernelI14__hip_bfloat16hLi112ELi16ELi128ELNS_18Fp8KVCacheDataTypeE1ELb0EEEvPT_PKS3_PKT0_S9_ifPKiSB_iPKfiiiSD_SD_iiiii,@function
_ZN4vllm25paged_attention_v1_kernelI14__hip_bfloat16hLi112ELi16ELi128ELNS_18Fp8KVCacheDataTypeE1ELb0EEEvPT_PKS3_PKT0_S9_ifPKiSB_iPKfiiiSD_SD_iiiii: ; @_ZN4vllm25paged_attention_v1_kernelI14__hip_bfloat16hLi112ELi16ELi128ELNS_18Fp8KVCacheDataTypeE1ELb0EEEvPT_PKS3_PKT0_S9_ifPKiSB_iPKfiiiSD_SD_iiiii
; %bb.0:
	s_load_dword s5, s[0:1], 0x80
	s_load_dwordx2 s[6:7], s[0:1], 0x30
	s_load_dwordx2 s[28:29], s[0:1], 0x20
	s_mov_b32 s16, s3
	s_ashr_i32 s17, s3, 31
	s_lshl_b64 s[8:9], s[16:17], 2
	s_waitcnt lgkmcnt(0)
	s_add_u32 s6, s6, s8
	s_addc_u32 s7, s7, s9
	s_abs_i32 s3, s28
	v_cvt_f32_u32_e32 v1, s3
	s_sub_i32 s10, 0, s3
	s_abs_i32 s9, s5
	s_xor_b32 s8, s5, s28
	v_rcp_iflag_f32_e32 v1, v1
	s_ashr_i32 s8, s8, 31
	s_mov_b32 s28, 0
	v_mul_f32_e32 v1, 0x4f7ffffe, v1
	v_cvt_u32_f32_e32 v1, v1
	s_nop 0
	v_readfirstlane_b32 s11, v1
	s_mul_i32 s10, s10, s11
	s_mul_hi_u32 s10, s11, s10
	s_add_i32 s11, s11, s10
	s_mul_hi_u32 s10, s9, s11
	s_mul_i32 s11, s10, s3
	s_sub_i32 s9, s9, s11
	s_add_i32 s11, s10, 1
	s_sub_i32 s12, s9, s3
	s_cmp_ge_u32 s9, s3
	s_cselect_b32 s10, s11, s10
	s_cselect_b32 s9, s12, s9
	s_add_i32 s11, s10, 1
	s_cmp_ge_u32 s9, s3
	s_cselect_b32 s3, s11, s10
	s_xor_b32 s3, s3, s8
	s_sub_i32 s18, s3, s8
	s_abs_i32 s10, s18
	v_cvt_f32_u32_e32 v1, s10
	s_load_dwordx2 s[8:9], s[0:1], 0x40
	s_sub_i32 s3, 0, s10
	s_abs_i32 s11, s2
	v_rcp_iflag_f32_e32 v1, v1
	s_nop 0
	v_mul_f32_e32 v1, 0x4f7ffffe, v1
	v_cvt_u32_f32_e32 v1, v1
	s_nop 0
	v_readfirstlane_b32 s12, v1
	s_mul_i32 s3, s3, s12
	s_mul_hi_u32 s3, s12, s3
	s_add_i32 s12, s12, s3
	s_waitcnt lgkmcnt(0)
	s_cmp_eq_u64 s[8:9], 0
	s_mul_hi_u32 s20, s11, s12
	s_cbranch_scc1 .LBB303_2
; %bb.1:
	s_ashr_i32 s3, s2, 31
	s_lshl_b64 s[12:13], s[2:3], 2
	s_add_u32 s8, s8, s12
	s_addc_u32 s9, s9, s13
	s_load_dword s28, s[8:9], 0x0
.LBB303_2:
	s_load_dword s17, s[6:7], 0x0
	s_load_dwordx4 s[12:15], s[0:1], 0x48
	s_ashr_i32 s6, s2, 31
	s_ashr_i32 s7, s18, 31
	v_and_b32_e32 v2, 3, v0
	s_mul_i32 s18, s2, 0x70
	v_cmp_gt_u32_e32 vcc, 56, v0
	s_and_saveexec_b64 s[2:3], vcc
	s_cbranch_execz .LBB303_4
; %bb.3:
	s_load_dwordx2 s[8:9], s[0:1], 0x8
	s_waitcnt lgkmcnt(0)
	s_mul_i32 s22, s12, s16
	s_ashr_i32 s23, s22, 31
	s_lshl_b64 s[22:23], s[22:23], 1
	v_lshlrev_b32_e32 v1, 2, v0
	s_add_u32 s12, s8, s22
	s_addc_u32 s15, s9, s23
	s_ashr_i32 s19, s18, 31
	s_lshl_b64 s[8:9], s[18:19], 1
	s_add_u32 s8, s12, s8
	s_addc_u32 s9, s15, s9
	global_load_dword v1, v1, s[8:9]
	v_and_b32_e32 v3, 0x3fc, v0
	v_mad_u32_u24 v3, v2, 56, v3
	s_waitcnt vmcnt(0)
	ds_write_b32 v3, v1
.LBB303_4:
	s_or_b64 exec, exec, s[2:3]
	s_waitcnt lgkmcnt(0)
	s_add_i32 s3, s17, 15
	s_ashr_i32 s8, s3, 31
	s_lshr_b32 s8, s8, 28
	s_add_i32 s3, s3, s8
	s_ashr_i32 s19, s3, 4
	s_xor_b32 s3, s6, s7
	s_mul_i32 s6, s20, s10
	s_sub_i32 s6, s11, s6
	s_add_i32 s7, s20, 1
	s_sub_i32 s8, s6, s10
	s_load_dwordx2 s[22:23], s[0:1], 0x28
	s_load_dword s2, s[0:1], 0x38
	s_cmp_ge_u32 s6, s10
	s_cselect_b32 s7, s7, s20
	s_cselect_b32 s6, s8, s6
	s_add_i32 s8, s7, 1
	s_cmp_ge_u32 s6, s10
	s_cselect_b32 s6, s8, s7
	v_lshrrev_b32_e32 v1, 6, v0
	s_xor_b32 s6, s6, s3
	s_waitcnt lgkmcnt(0)
	s_mul_i32 s24, s2, s16
	s_sub_i32 s33, s6, s3
	s_ashr_i32 s25, s24, 31
	v_cmp_le_i32_e64 s[6:7], s19, v1
	v_mbcnt_lo_u32_b32 v3, -1, 0
	s_barrier
                                        ; implicit-def: $vgpr7
                                        ; implicit-def: $vgpr9
                                        ; implicit-def: $vgpr8
	s_and_saveexec_b64 s[2:3], s[6:7]
	s_xor_b64 s[2:3], exec, s[2:3]
; %bb.5:
	v_mbcnt_hi_u32_b32 v7, -1, v3
	v_and_b32_e32 v9, 64, v7
	v_add_u32_e32 v8, 64, v9
                                        ; implicit-def: $vgpr2
                                        ; implicit-def: $vgpr3
; %bb.6:
	s_or_saveexec_b64 s[30:31], s[2:3]
	s_load_dwordx2 s[20:21], s[0:1], 0x0
	s_load_dwordx2 s[26:27], s[0:1], 0x18
	s_load_dword s12, s[0:1], 0x88
	s_load_dwordx4 s[8:11], s[0:1], 0x58
	v_mov_b32_e32 v35, 0xff7fffff
	s_mul_i32 s33, s33, s14
	v_lshrrev_b32_e32 v6, 4, v0
	s_xor_b64 exec, exec, s[30:31]
	s_cbranch_execz .LBB303_12
; %bb.7:
	v_mul_u32_u24_e32 v7, 56, v2
	ds_read2_b64 v[30:33], v7 offset0:4 offset1:5
	ds_read_b64 v[8:9], v7 offset:48
	s_load_dwordx2 s[0:1], s[0:1], 0x10
	ds_read2_b64 v[14:17], v7 offset1:1
	ds_read2_b64 v[22:25], v7 offset0:2 offset1:3
	v_mbcnt_hi_u32_b32 v7, -1, v3
	s_waitcnt lgkmcnt(0)
	v_lshlrev_b32_e32 v37, 16, v9
	v_and_b32_e32 v38, 0xffff0000, v9
	v_and_b32_e32 v9, 64, v7
	v_lshlrev_b32_e32 v34, 16, v8
	v_and_b32_e32 v36, 0xffff0000, v8
	v_add_u32_e32 v8, 64, v9
	v_xor_b32_e32 v3, 2, v7
	v_cmp_lt_i32_e32 vcc, v3, v8
	s_ashr_i32 s2, s33, 31
	v_bfe_u32 v35, v0, 2, 4
	v_cndmask_b32_e32 v3, v7, v3, vcc
	s_add_u32 s0, s0, s33
	v_lshlrev_b32_e32 v39, 2, v3
	v_xor_b32_e32 v3, 1, v7
	v_lshlrev_b32_e32 v4, 4, v35
	s_addc_u32 s1, s1, s2
	v_mov_b32_e32 v5, 0
	v_cmp_lt_i32_e32 vcc, v3, v8
	v_lshl_add_u64 v[42:43], s[0:1], 0, v[4:5]
	v_lshlrev_b32_e32 v4, 1, v2
	v_cndmask_b32_e32 v3, v7, v3, vcc
	s_load_dword s35, s[8:9], 0x0
	v_lshlrev_b32_e32 v40, 2, v3
	v_cmp_eq_u32_e32 vcc, 0, v2
	v_lshl_add_u64 v[2:3], v[42:43], 0, v[4:5]
	s_sub_i32 s36, 1, s17
	v_lshlrev_b32_e32 v4, 2, v35
	s_lshl_b64 s[0:1], s[24:25], 2
	v_lshl_or_b32 v4, v1, 6, v4
	s_add_u32 s0, s22, s0
	v_add_u32_e32 v42, 0xf0, v4
	v_and_b32_e32 v4, 60, v6
	s_addc_u32 s1, s23, s1
	s_mov_b32 s34, s13
	v_lshlrev_b32_e32 v10, 16, v14
	v_and_b32_e32 v11, 0xffff0000, v14
	v_lshlrev_b32_e32 v12, 16, v15
	v_and_b32_e32 v13, 0xffff0000, v15
	;; [unrolled: 2-line block ×12, first 2 shown]
	v_cmp_neq_f32_e64 s[2:3], s28, 0
	v_lshl_or_b32 v41, v1, 4, v35
	v_lshl_add_u64 v[4:5], s[0:1], 0, v[4:5]
	v_mov_b32_e32 v35, 0xff7fffff
	s_mov_b64 s[8:9], 0
	s_mov_b32 s37, 0xffff
	v_mov_b32_e32 v43, v1
	s_branch .LBB303_9
.LBB303_8:                              ;   in Loop: Header=BB303_9 Depth=1
	s_or_b64 exec, exec, s[14:15]
	v_add_u32_e32 v43, 2, v43
	v_cmp_le_i32_e64 s[0:1], s19, v43
	v_add_u32_e32 v41, 32, v41
	v_add_u32_e32 v42, 0x80, v42
	s_or_b64 s[8:9], s[0:1], s[8:9]
	v_lshl_add_u64 v[4:5], v[4:5], 0, 8
	s_andn2_b64 exec, exec, s[8:9]
	s_cbranch_execz .LBB303_11
.LBB303_9:                              ; =>This Inner Loop Header: Depth=1
	global_load_dword v44, v[4:5], off
	s_waitcnt vmcnt(0)
	v_mad_i64_i32 v[54:55], s[0:1], v44, s34, v[2:3]
	global_load_ushort v44, v[54:55], off
	global_load_ushort v46, v[54:55], off offset:8
	global_load_ushort v53, v[54:55], off offset:256
	;; [unrolled: 1-line block ×6, first 2 shown]
	s_waitcnt lgkmcnt(0)
	global_load_ushort v45, v[54:55], off offset:776
	global_load_ushort v47, v[54:55], off offset:1024
	;; [unrolled: 1-line block ×7, first 2 shown]
	s_waitcnt vmcnt(13)
	v_and_b32_sdwa v54, s37, v44 dst_sel:DWORD dst_unused:UNUSED_PAD src0_sel:DWORD src1_sel:BYTE_0
	v_lshrrev_b16_e32 v55, 8, v44
	s_waitcnt vmcnt(12)
	v_and_b32_sdwa v44, s37, v46 dst_sel:DWORD dst_unused:UNUSED_PAD src0_sel:DWORD src1_sel:BYTE_0
	v_lshrrev_b16_e32 v46, 8, v46
	v_cvt_f32_fp8_e32 v44, v44
	v_cvt_f32_fp8_e32 v54, v54
	;; [unrolled: 1-line block ×3, first 2 shown]
	s_waitcnt vmcnt(11)
	v_and_b32_sdwa v60, s37, v53 dst_sel:DWORD dst_unused:UNUSED_PAD src0_sel:DWORD src1_sel:BYTE_0
	v_cvt_f32_fp8_e32 v55, v55
	v_lshrrev_b16_e32 v53, 8, v53
	v_cvt_f32_fp8_e32 v60, v60
	s_waitcnt vmcnt(10)
	v_and_b32_sdwa v61, s37, v56 dst_sel:DWORD dst_unused:UNUSED_PAD src0_sel:DWORD src1_sel:BYTE_0
	s_waitcnt lgkmcnt(0)
	v_mul_f32_e32 v44, s35, v44
	v_cvt_f32_fp8_e32 v53, v53
	v_lshrrev_b16_e32 v56, 8, v56
	v_mul_f32_e32 v54, s35, v54
	v_cvt_pk_bf16_f32 v44, v44, s0
	v_mul_f32_e32 v46, s35, v46
	v_cvt_f32_fp8_e32 v61, v61
	s_waitcnt vmcnt(9)
	v_and_b32_sdwa v62, s37, v57 dst_sel:DWORD dst_unused:UNUSED_PAD src0_sel:DWORD src1_sel:BYTE_0
	v_cvt_pk_bf16_f32 v54, v54, s0
	v_lshlrev_b32_e32 v44, 16, v44
	v_mul_f32_e32 v55, s35, v55
	v_cvt_pk_bf16_f32 v46, v46, s0
	v_cvt_f32_fp8_e32 v56, v56
	v_lshrrev_b16_e32 v57, 8, v57
	v_lshlrev_b32_e32 v54, 16, v54
	v_mul_f32_e32 v44, v12, v44
	v_cvt_pk_bf16_f32 v55, v55, s0
	v_lshlrev_b32_e32 v46, 16, v46
	v_mul_f32_e32 v60, s35, v60
	v_cvt_f32_fp8_e32 v62, v62
	v_fmac_f32_e32 v44, v10, v54
	s_waitcnt vmcnt(8)
	v_and_b32_sdwa v54, s37, v58 dst_sel:DWORD dst_unused:UNUSED_PAD src0_sel:DWORD src1_sel:BYTE_0
	v_lshrrev_b16_e32 v58, 8, v58
	v_lshlrev_b32_e32 v55, 16, v55
	v_mul_f32_e32 v46, v13, v46
	v_cvt_pk_bf16_f32 v60, v60, s0
	v_mul_f32_e32 v53, s35, v53
	v_cvt_f32_fp8_e32 v57, v57
	v_fmac_f32_e32 v46, v11, v55
	s_waitcnt vmcnt(7)
	v_and_b32_sdwa v55, s37, v59 dst_sel:DWORD dst_unused:UNUSED_PAD src0_sel:DWORD src1_sel:BYTE_0
	v_lshrrev_b16_e32 v59, 8, v59
	v_lshlrev_b32_e32 v60, 16, v60
	v_cvt_pk_bf16_f32 v53, v53, s0
	v_mul_f32_e32 v61, s35, v61
	v_cvt_f32_fp8_e32 v54, v54
	v_cvt_f32_fp8_e32 v58, v58
	v_fmac_f32_e32 v44, v14, v60
	s_waitcnt vmcnt(6)
	v_and_b32_sdwa v60, s37, v45 dst_sel:DWORD dst_unused:UNUSED_PAD src0_sel:DWORD src1_sel:BYTE_0
	v_lshrrev_b16_e32 v45, 8, v45
	v_lshlrev_b32_e32 v53, 16, v53
	v_cvt_pk_bf16_f32 v61, v61, s0
	v_mul_f32_e32 v56, s35, v56
	v_cvt_f32_fp8_e32 v55, v55
	;; [unrolled: 9-line block ×5, first 2 shown]
	v_cvt_f32_fp8_e32 v48, v48
	v_mul_f32_e32 v58, s35, v58
	v_fmac_f32_e32 v44, v18, v62
	s_waitcnt vmcnt(2)
	v_and_b32_sdwa v62, s37, v50 dst_sel:DWORD dst_unused:UNUSED_PAD src0_sel:DWORD src1_sel:BYTE_0
	v_lshrrev_b16_e32 v50, 8, v50
	v_lshlrev_b32_e32 v57, 16, v57
	v_cvt_pk_bf16_f32 v54, v54, s0
	v_cvt_f32_fp8_e32 v56, v56
	v_cvt_f32_fp8_e32 v49, v49
	v_mul_f32_e32 v55, s35, v55
	v_mul_f32_e32 v59, s35, v59
	v_cvt_pk_bf16_f32 v58, v58, s0
	v_fmac_f32_e32 v46, v19, v57
	s_waitcnt vmcnt(1)
	v_and_b32_sdwa v57, s37, v51 dst_sel:DWORD dst_unused:UNUSED_PAD src0_sel:DWORD src1_sel:BYTE_0
	v_lshrrev_b16_e32 v51, 8, v51
	v_lshlrev_b32_e32 v54, 16, v54
	v_cvt_f32_fp8_e32 v62, v62
	v_cvt_f32_fp8_e32 v50, v50
	v_mul_f32_e32 v60, s35, v60
	v_mul_f32_e32 v45, s35, v45
	v_cvt_pk_bf16_f32 v55, v55, s0
	v_cvt_pk_bf16_f32 v59, v59, s0
	v_lshlrev_b32_e32 v58, 16, v58
	v_fmac_f32_e32 v44, v20, v54
	s_waitcnt vmcnt(0)
	v_and_b32_sdwa v54, s37, v52 dst_sel:DWORD dst_unused:UNUSED_PAD src0_sel:DWORD src1_sel:BYTE_0
	v_lshrrev_b16_e32 v52, 8, v52
	v_cvt_f32_fp8_e32 v57, v57
	v_cvt_f32_fp8_e32 v51, v51
	v_mul_f32_e32 v53, s35, v53
	v_mul_f32_e32 v47, s35, v47
	v_cvt_pk_bf16_f32 v60, v60, s0
	v_cvt_pk_bf16_f32 v45, v45, s0
	v_lshlrev_b32_e32 v55, 16, v55
	v_lshlrev_b32_e32 v59, 16, v59
	v_fmac_f32_e32 v46, v21, v58
	v_cvt_f32_fp8_e32 v54, v54
	v_cvt_f32_fp8_e32 v52, v52
	v_mul_f32_e32 v61, s35, v61
	v_mul_f32_e32 v48, s35, v48
	v_cvt_pk_bf16_f32 v53, v53, s0
	v_cvt_pk_bf16_f32 v47, v47, s0
	v_lshlrev_b32_e32 v60, 16, v60
	v_lshlrev_b32_e32 v45, 16, v45
	v_fmac_f32_e32 v44, v22, v55
	v_fmac_f32_e32 v46, v23, v59
	v_mul_f32_e32 v56, s35, v56
	v_mul_f32_e32 v49, s35, v49
	v_cvt_pk_bf16_f32 v61, v61, s0
	v_cvt_pk_bf16_f32 v48, v48, s0
	v_lshlrev_b32_e32 v53, 16, v53
	v_lshlrev_b32_e32 v47, 16, v47
	v_fmac_f32_e32 v44, v24, v60
	v_fmac_f32_e32 v46, v25, v45
	;; [unrolled: 8-line block ×5, first 2 shown]
	v_cvt_pk_bf16_f32 v54, v54, s0
	v_cvt_pk_bf16_f32 v52, v52, s0
	v_lshlrev_b32_e32 v57, 16, v57
	v_lshlrev_b32_e32 v51, 16, v51
	v_fmac_f32_e32 v44, v32, v62
	v_fmac_f32_e32 v46, v33, v50
	v_lshlrev_b32_e32 v54, 16, v54
	v_fmac_f32_e32 v44, v34, v57
	v_fmac_f32_e32 v46, v36, v51
	;; [unrolled: 3-line block ×3, first 2 shown]
	v_add_f32_e32 v44, v44, v46
	ds_bpermute_b32 v45, v39, v44
	s_waitcnt lgkmcnt(0)
	v_add_f32_e32 v44, v44, v45
	ds_bpermute_b32 v45, v40, v44
	s_and_saveexec_b64 s[14:15], vcc
	s_cbranch_execz .LBB303_8
; %bb.10:                               ;   in Loop: Header=BB303_9 Depth=1
	v_add_u32_e32 v46, s36, v41
	v_cvt_f32_i32_e32 v46, v46
	s_waitcnt lgkmcnt(0)
	v_add_f32_e32 v44, v44, v45
	v_cmp_gt_i32_e64 s[0:1], s17, v41
	v_max_f32_e32 v45, v35, v35
	v_mul_f32_e32 v46, s28, v46
	v_cndmask_b32_e64 v46, 0, v46, s[2:3]
	v_fmac_f32_e32 v46, s29, v44
	v_cndmask_b32_e64 v44, 0, v46, s[0:1]
	ds_write_b32 v42, v44
	v_max_f32_e32 v44, v45, v46
	v_cndmask_b32_e64 v35, v35, v44, s[0:1]
	s_branch .LBB303_8
.LBB303_11:
	s_or_b64 exec, exec, s[8:9]
.LBB303_12:
	s_or_b64 exec, exec, s[30:31]
	v_xor_b32_e32 v2, 32, v7
	v_cmp_lt_i32_e32 vcc, v2, v8
	v_xor_b32_e32 v5, 16, v7
	v_max_f32_e32 v4, v35, v35
	v_cndmask_b32_e32 v2, v7, v2, vcc
	v_lshlrev_b32_e32 v2, 2, v2
	ds_bpermute_b32 v3, v2, v35
	v_cmp_lt_i32_e32 vcc, v5, v8
	v_xor_b32_e32 v10, 8, v7
	v_xor_b32_e32 v12, 4, v7
	s_waitcnt lgkmcnt(0)
	v_max_f32_e32 v3, v3, v3
	v_max_f32_e32 v4, v4, v3
	v_cndmask_b32_e32 v3, v7, v5, vcc
	v_lshlrev_b32_e32 v3, 2, v3
	ds_bpermute_b32 v5, v3, v4
	v_cmp_lt_i32_e32 vcc, v10, v8
	s_waitcnt lgkmcnt(0)
	v_max_f32_e32 v5, v5, v5
	v_max_f32_e32 v4, v4, v5
	v_cndmask_b32_e32 v5, v7, v10, vcc
	v_lshlrev_b32_e32 v11, 2, v5
	ds_bpermute_b32 v5, v11, v4
	v_cmp_lt_i32_e32 vcc, v12, v8
	s_waitcnt lgkmcnt(0)
	v_max_f32_e32 v5, v5, v5
	v_max_f32_e32 v10, v4, v5
	v_cndmask_b32_e32 v4, v7, v12, vcc
	v_lshlrev_b32_e32 v12, 2, v4
	ds_bpermute_b32 v13, v12, v10
	v_and_b32_e32 v4, 63, v0
	v_cmp_eq_u32_e32 vcc, 0, v4
	v_lshlrev_b32_e32 v5, 2, v1
	s_and_saveexec_b64 s[0:1], vcc
	s_cbranch_execz .LBB303_14
; %bb.13:
	s_waitcnt lgkmcnt(0)
	v_max_f32_e32 v13, v13, v13
	v_max_f32_e32 v10, v10, v10
	;; [unrolled: 1-line block ×3, first 2 shown]
	ds_write_b32 v5, v10 offset:224
.LBB303_14:
	s_or_b64 exec, exec, s[0:1]
	v_cmp_gt_u32_e64 s[0:1], 2, v4
	s_waitcnt lgkmcnt(0)
	v_mov_b32_e32 v13, 0xff7fffff
	v_lshlrev_b32_e32 v10, 2, v4
	s_barrier
	s_and_saveexec_b64 s[2:3], s[0:1]
; %bb.15:
	ds_read_b32 v13, v10 offset:224
; %bb.16:
	s_or_b64 exec, exec, s[2:3]
	v_xor_b32_e32 v14, 1, v7
	v_cmp_lt_i32_e64 s[2:3], v14, v8
	v_lshlrev_b32_e32 v9, 2, v9
	s_nop 0
	v_cndmask_b32_e64 v14, v7, v14, s[2:3]
	v_lshlrev_b32_e32 v26, 2, v14
	s_waitcnt lgkmcnt(0)
	ds_bpermute_b32 v14, v26, v13
	v_max_f32_e32 v13, v13, v13
	s_lshl_b32 s2, s19, 4
	s_min_i32 s30, s2, s17
	v_cmp_gt_i32_e64 s[2:3], s30, v0
	s_waitcnt lgkmcnt(0)
	v_max_f32_e32 v14, v14, v14
	v_max_f32_e32 v13, v13, v14
	ds_bpermute_b32 v13, v9, v13
	v_mov_b32_e32 v9, 0
	s_and_saveexec_b64 s[14:15], s[2:3]
	s_cbranch_execz .LBB303_20
; %bb.17:
	v_mov_b32_e32 v9, 0xf0
	v_lshl_add_u32 v14, v0, 2, v9
	v_mov_b32_e32 v9, 0
	s_mov_b64 s[28:29], 0
	v_mov_b32_e32 v15, v0
.LBB303_18:                             ; =>This Inner Loop Header: Depth=1
	ds_read_b32 v16, v14
	v_add_u32_e32 v15, 0x80, v15
	v_cmp_le_i32_e64 s[8:9], s30, v15
	s_or_b64 s[28:29], s[8:9], s[28:29]
	s_waitcnt lgkmcnt(0)
	v_sub_f32_e32 v16, v16, v13
	v_mul_f32_e32 v16, 0x3fb8aa3b, v16
	v_exp_f32_e32 v16, v16
	ds_write_b32 v14, v16
	v_add_f32_e32 v9, v9, v16
	v_add_u32_e32 v14, 0x200, v14
	s_andn2_b64 exec, exec, s[28:29]
	s_cbranch_execnz .LBB303_18
; %bb.19:
	s_or_b64 exec, exec, s[28:29]
.LBB303_20:
	s_or_b64 exec, exec, s[14:15]
	ds_bpermute_b32 v2, v2, v9
	s_waitcnt lgkmcnt(0)
	v_add_f32_e32 v2, v9, v2
	ds_bpermute_b32 v3, v3, v2
	v_xor_b32_e32 v9, 2, v7
	v_cmp_lt_i32_e64 s[8:9], v9, v8
	s_waitcnt lgkmcnt(0)
	v_add_f32_e32 v2, v2, v3
	ds_bpermute_b32 v3, v11, v2
	v_cndmask_b32_e64 v8, v7, v9, s[8:9]
	s_waitcnt lgkmcnt(0)
	v_add_f32_e32 v2, v2, v3
	ds_bpermute_b32 v3, v12, v2
	s_waitcnt lgkmcnt(0)
	v_add_f32_e32 v2, v2, v3
	v_lshlrev_b32_e32 v3, 2, v8
	ds_bpermute_b32 v3, v3, v2
	s_waitcnt lgkmcnt(0)
	v_add_f32_e32 v2, v2, v3
	ds_bpermute_b32 v3, v26, v2
	s_waitcnt lgkmcnt(0)
	v_add_f32_e32 v2, v2, v3
	s_and_saveexec_b64 s[8:9], vcc
; %bb.21:
	ds_write_b32 v5, v2 offset:232
; %bb.22:
	s_or_b64 exec, exec, s[8:9]
	s_waitcnt lgkmcnt(0)
	s_barrier
	s_and_saveexec_b64 s[8:9], s[0:1]
; %bb.23:
	ds_read_b32 v2, v10 offset:232
; %bb.24:
	s_or_b64 exec, exec, s[8:9]
	s_waitcnt lgkmcnt(0)
	ds_bpermute_b32 v3, v26, v2
	v_lshlrev_b32_e32 v5, 2, v7
	s_waitcnt lgkmcnt(0)
	v_add_f32_e32 v2, v2, v3
	v_and_b32_e32 v3, 0xffffff00, v5
	ds_bpermute_b32 v2, v3, v2
	s_and_saveexec_b64 s[0:1], s[2:3]
	s_cbranch_execz .LBB303_37
; %bb.25:
	s_waitcnt lgkmcnt(0)
	v_add_f32_e32 v2, 0x358637bd, v2
	v_div_scale_f32 v3, s[2:3], v2, v2, 1.0
	v_rcp_f32_e32 v5, v3
	v_div_scale_f32 v7, vcc, 1.0, v2, 1.0
	s_movk_i32 s2, 0x7f
	v_fma_f32 v8, -v3, v5, 1.0
	v_fmac_f32_e32 v5, v8, v5
	v_mul_f32_e32 v8, v7, v5
	v_fma_f32 v9, -v3, v8, v7
	v_fmac_f32_e32 v8, v9, v5
	v_fma_f32 v3, -v3, v8, v7
	v_div_fmas_f32 v3, v3, v5, v8
	v_xad_u32 v5, v0, -1, s30
	v_div_fixup_f32 v2, v3, v2, 1.0
	v_cmp_lt_u32_e32 vcc, s2, v5
	s_mov_b64 s[8:9], -1
	v_mov_b32_e32 v3, v0
	s_and_saveexec_b64 s[2:3], vcc
	s_cbranch_execz .LBB303_34
; %bb.26:
	v_lshrrev_b32_e32 v5, 7, v5
	v_add_u32_e32 v8, -1, v5
	v_lshrrev_b32_e32 v7, 1, v8
	v_mov_b32_e32 v3, v2
	v_add_u32_e32 v7, 1, v7
	v_cmp_lt_u32_e32 vcc, 13, v8
	v_mov_b32_e32 v10, 0
	s_and_saveexec_b64 s[8:9], vcc
	s_cbranch_execz .LBB303_30
; %bb.27:
	v_mov_b32_e32 v9, 0xf0
	v_and_b32_e32 v8, -8, v7
	v_lshl_add_u32 v9, v0, 2, v9
	s_mov_b32 s28, 0
	s_mov_b64 s[14:15], 0
.LBB303_28:                             ; =>This Inner Loop Header: Depth=1
	ds_read2st64_b32 v[10:11], v9 offset1:2
	ds_read2st64_b32 v[12:13], v9 offset0:4 offset1:6
	ds_read2st64_b32 v[14:15], v9 offset0:8 offset1:10
	;; [unrolled: 1-line block ×3, first 2 shown]
	v_add_u32_e32 v8, -8, v8
	s_waitcnt lgkmcnt(3)
	v_pk_mul_f32 v[10:11], v[2:3], v[10:11]
	s_waitcnt lgkmcnt(2)
	v_pk_mul_f32 v[12:13], v[2:3], v[12:13]
	ds_write2st64_b32 v9, v10, v11 offset1:2
	ds_write2st64_b32 v9, v12, v13 offset0:4 offset1:6
	ds_read2st64_b32 v[12:13], v9 offset0:16 offset1:18
	s_waitcnt lgkmcnt(4)
	v_pk_mul_f32 v[10:11], v[2:3], v[14:15]
	ds_write2st64_b32 v9, v10, v11 offset0:8 offset1:10
	s_waitcnt lgkmcnt(4)
	v_pk_mul_f32 v[10:11], v[2:3], v[16:17]
	ds_write2st64_b32 v9, v10, v11 offset0:12 offset1:14
	ds_read2st64_b32 v[10:11], v9 offset0:20 offset1:22
	s_waitcnt lgkmcnt(3)
	v_pk_mul_f32 v[12:13], v[2:3], v[12:13]
	ds_read2st64_b32 v[14:15], v9 offset0:24 offset1:26
	ds_write2st64_b32 v9, v12, v13 offset0:16 offset1:18
	ds_read2st64_b32 v[12:13], v9 offset0:28 offset1:30
	s_waitcnt lgkmcnt(3)
	v_pk_mul_f32 v[10:11], v[2:3], v[10:11]
	ds_write2st64_b32 v9, v10, v11 offset0:20 offset1:22
	s_waitcnt lgkmcnt(3)
	v_pk_mul_f32 v[10:11], v[2:3], v[14:15]
	ds_write2st64_b32 v9, v10, v11 offset0:24 offset1:26
	s_waitcnt lgkmcnt(2)
	v_pk_mul_f32 v[10:11], v[2:3], v[12:13]
	s_add_i32 s28, s28, 16
	v_cmp_eq_u32_e32 vcc, 0, v8
	ds_write2st64_b32 v9, v10, v11 offset0:28 offset1:30
	v_add_u32_e32 v9, 0x2000, v9
	s_or_b64 s[14:15], vcc, s[14:15]
	v_mov_b32_e32 v10, s28
	s_andn2_b64 exec, exec, s[14:15]
	s_cbranch_execnz .LBB303_28
; %bb.29:
	s_or_b64 exec, exec, s[14:15]
.LBB303_30:
	s_or_b64 exec, exec, s[8:9]
	v_and_b32_e32 v7, 7, v7
	v_cmp_ne_u32_e32 vcc, 0, v7
	s_and_saveexec_b64 s[8:9], vcc
	s_cbranch_execz .LBB303_33
; %bb.31:
	v_lshlrev_b32_e32 v8, 9, v10
	v_lshlrev_b32_e32 v9, 2, v0
	s_movk_i32 s14, 0xf0
	v_add3_u32 v8, v8, v9, s14
	s_mov_b64 s[14:15], 0
.LBB303_32:                             ; =>This Inner Loop Header: Depth=1
	ds_read2st64_b32 v[10:11], v8 offset1:2
	v_add_u32_e32 v7, -1, v7
	v_cmp_eq_u32_e32 vcc, 0, v7
	s_or_b64 s[14:15], vcc, s[14:15]
	s_waitcnt lgkmcnt(0)
	v_pk_mul_f32 v[10:11], v[2:3], v[10:11]
	ds_write2st64_b32 v8, v10, v11 offset1:2
	v_add_u32_e32 v8, 0x400, v8
	s_andn2_b64 exec, exec, s[14:15]
	s_cbranch_execnz .LBB303_32
.LBB303_33:
	s_or_b64 exec, exec, s[8:9]
	v_add_u32_e32 v5, 1, v5
	v_and_b32_e32 v7, 0x3fffffe, v5
	v_cmp_ne_u32_e32 vcc, v5, v7
	v_lshl_add_u32 v3, v7, 7, v0
	s_orn2_b64 s[8:9], vcc, exec
.LBB303_34:
	s_or_b64 exec, exec, s[2:3]
	s_and_b64 exec, exec, s[8:9]
	s_cbranch_execz .LBB303_37
; %bb.35:
	v_mov_b32_e32 v5, 0xf0
	v_lshl_add_u32 v5, v3, 2, v5
	s_mov_b64 s[2:3], 0
.LBB303_36:                             ; =>This Inner Loop Header: Depth=1
	ds_read_b32 v7, v5
	v_add_u32_e32 v3, 0x80, v3
	v_cmp_le_i32_e32 vcc, s30, v3
	s_or_b64 s[2:3], vcc, s[2:3]
	s_waitcnt lgkmcnt(0)
	v_mul_f32_e32 v7, v2, v7
	ds_write_b32 v5, v7
	v_add_u32_e32 v5, 0x200, v5
	s_andn2_b64 exec, exec, s[2:3]
	s_cbranch_execnz .LBB303_36
.LBB303_37:
	s_or_b64 exec, exec, s[0:1]
	v_lshrrev_b32_e32 v27, 1, v4
	s_waitcnt lgkmcnt(0)
	s_barrier
	s_and_saveexec_b64 s[0:1], s[6:7]
	s_xor_b64 s[0:1], exec, s[0:1]
; %bb.38:
	v_lshrrev_b32_e32 v27, 1, v4
                                        ; implicit-def: $vgpr1
                                        ; implicit-def: $vgpr6
; %bb.39:
	s_or_saveexec_b64 s[6:7], s[0:1]
	v_mov_b32_e32 v11, 0
	v_and_b32_e32 v28, 1, v0
	v_mov_b32_e32 v10, 0
	v_mov_b32_e32 v13, 0
	v_mov_b32_e32 v12, 0
	s_xor_b64 exec, exec, s[6:7]
	s_cbranch_execz .LBB303_53
; %bb.40:
	v_lshlrev_b32_e32 v2, 3, v0
	v_and_b32_e32 v2, 8, v2
	s_ashr_i32 s1, s33, 31
	v_or_b32_e32 v3, 0x60, v27
	s_movk_i32 s2, 0x70
	s_add_u32 s0, s26, s33
	s_load_dword s15, s[10:11], 0x0
	v_cmp_gt_u32_e32 vcc, s2, v3
	v_lshl_or_b32 v16, v3, 4, v2
	v_lshlrev_b32_e32 v3, 4, v1
	s_addc_u32 s1, s27, s1
	s_add_i32 s14, s19, -1
	v_lshl_or_b32 v14, v27, 4, v2
	v_or3_b32 v29, v3, v2, 7
	v_lshlrev_b32_e32 v2, 5, v28
	s_lshl_b64 s[2:3], s[24:25], 2
	v_mov_b32_e32 v15, 0
	v_lshl_or_b32 v2, v1, 6, v2
	s_add_u32 s2, s22, s2
	v_add_u32_e32 v30, 0xf0, v2
	v_and_b32_e32 v2, 60, v6
	v_mov_b32_e32 v3, v15
	s_addc_u32 s3, s23, s3
	v_mov_b32_e32 v17, v15
	v_lshl_add_u64 v[18:19], s[2:3], 0, v[2:3]
	s_mov_b64 s[8:9], 0
	v_mov_b64_e32 v[20:21], s[0:1]
	v_mov_b32_e32 v11, v15
	v_mov_b32_e32 v10, v15
	;; [unrolled: 1-line block ×4, first 2 shown]
	s_branch .LBB303_43
.LBB303_41:                             ;   in Loop: Header=BB303_43 Depth=1
	s_or_b64 exec, exec, s[10:11]
	v_and_b32_e32 v40, 0xffff0000, v7
	v_lshlrev_b32_e32 v55, 16, v55
	v_mul_f32_e32 v40, v40, v55
	v_lshlrev_b32_e32 v55, 16, v7
	v_lshlrev_b32_e32 v54, 16, v54
	v_mul_f32_e32 v54, v55, v54
	v_and_b32_e32 v55, 0xffff0000, v6
	v_lshlrev_b32_e32 v23, 16, v23
	v_mul_f32_e32 v23, v55, v23
	v_lshlrev_b32_e32 v55, 16, v6
	v_lshlrev_b32_e32 v22, 16, v22
	v_mul_f32_e32 v22, v55, v22
	;; [unrolled: 6-line block ×3, first 2 shown]
	v_and_b32_e32 v55, 0xffff0000, v2
	v_lshlrev_b32_e32 v5, 16, v5
	v_cvt_pk_bf16_f32 v40, v40, s0
	v_cvt_pk_bf16_f32 v54, v54, s0
	v_cvt_pk_bf16_f32 v23, v23, s0
	v_cvt_pk_bf16_f32 v22, v22, s0
	v_mul_f32_e32 v5, v55, v5
	v_lshlrev_b32_e32 v55, 16, v2
	v_lshlrev_b32_e32 v4, 16, v4
	v_cvt_pk_bf16_f32 v9, v9, s0
	v_cvt_pk_bf16_f32 v8, v8, s0
	v_mul_f32_e32 v4, v55, v4
	v_lshlrev_b32_e32 v54, 16, v54
	v_lshlrev_b32_e32 v40, 16, v40
	;; [unrolled: 1-line block ×4, first 2 shown]
	v_cvt_pk_bf16_f32 v5, v5, s0
	v_cvt_pk_bf16_f32 v4, v4, s0
	v_lshlrev_b32_e32 v8, 16, v8
	v_lshlrev_b32_e32 v9, 16, v9
	v_add_f32_e32 v40, v40, v54
	v_add_f32_e32 v22, v23, v22
	v_lshlrev_b32_e32 v4, 16, v4
	v_lshlrev_b32_e32 v5, 16, v5
	v_add_f32_e32 v22, v22, v40
	v_add_f32_e32 v8, v9, v8
	;; [unrolled: 1-line block ×6, first 2 shown]
.LBB303_42:                             ;   in Loop: Header=BB303_43 Depth=1
	s_or_b64 exec, exec, s[2:3]
	v_and_b32_e32 v4, 0xffff0000, v7
	v_lshlrev_b32_e32 v5, 16, v53
	v_lshlrev_b32_e32 v7, 16, v7
	;; [unrolled: 1-line block ×3, first 2 shown]
	v_mul_f32_e32 v5, v4, v5
	v_mul_f32_e32 v8, v7, v8
	v_and_b32_e32 v9, 0xffff0000, v6
	v_lshlrev_b32_e32 v22, 16, v51
	v_lshlrev_b32_e32 v6, 16, v6
	;; [unrolled: 1-line block ×3, first 2 shown]
	v_cvt_pk_bf16_f32 v5, v5, s0
	v_cvt_pk_bf16_f32 v8, v8, s0
	v_mul_f32_e32 v22, v9, v22
	v_mul_f32_e32 v23, v6, v23
	v_cvt_pk_bf16_f32 v22, v22, s0
	v_cvt_pk_bf16_f32 v23, v23, s0
	v_and_b32_e32 v40, 0xffff0000, v3
	v_lshlrev_b32_e32 v49, 16, v49
	v_lshlrev_b32_e32 v3, 16, v3
	v_lshlrev_b32_e32 v48, 16, v48
	v_lshlrev_b32_e32 v8, 16, v8
	v_lshlrev_b32_e32 v5, 16, v5
	v_mul_f32_e32 v49, v40, v49
	v_mul_f32_e32 v48, v3, v48
	v_add_f32_e32 v5, v8, v5
	v_lshlrev_b32_e32 v8, 16, v23
	v_lshlrev_b32_e32 v22, 16, v22
	v_cvt_pk_bf16_f32 v49, v49, s0
	v_cvt_pk_bf16_f32 v48, v48, s0
	v_and_b32_e32 v50, 0xffff0000, v2
	v_lshlrev_b32_e32 v25, 16, v25
	v_lshlrev_b32_e32 v2, 16, v2
	;; [unrolled: 1-line block ×3, first 2 shown]
	v_add_f32_e32 v8, v8, v22
	v_mul_f32_e32 v25, v50, v25
	v_mul_f32_e32 v24, v2, v24
	v_add_f32_e32 v5, v8, v5
	v_lshlrev_b32_e32 v8, 16, v48
	v_lshlrev_b32_e32 v22, 16, v49
	v_cvt_pk_bf16_f32 v25, v25, s0
	v_cvt_pk_bf16_f32 v24, v24, s0
	v_add_f32_e32 v8, v8, v22
	v_add_f32_e32 v5, v8, v5
	v_lshlrev_b32_e32 v8, 16, v24
	v_lshlrev_b32_e32 v22, 16, v25
	v_add_f32_e32 v8, v8, v22
	v_add_f32_e32 v5, v8, v5
	;; [unrolled: 1-line block ×3, first 2 shown]
	v_lshlrev_b32_e32 v5, 16, v47
	v_lshlrev_b32_e32 v8, 16, v46
	v_mul_f32_e32 v5, v4, v5
	v_mul_f32_e32 v8, v7, v8
	v_lshlrev_b32_e32 v22, 16, v45
	v_lshlrev_b32_e32 v23, 16, v44
	v_cvt_pk_bf16_f32 v5, v5, s0
	v_cvt_pk_bf16_f32 v8, v8, s0
	v_mul_f32_e32 v22, v9, v22
	v_mul_f32_e32 v23, v6, v23
	v_cvt_pk_bf16_f32 v22, v22, s0
	v_cvt_pk_bf16_f32 v23, v23, s0
	v_lshlrev_b32_e32 v24, 16, v43
	v_lshlrev_b32_e32 v25, 16, v42
	;; [unrolled: 1-line block ×4, first 2 shown]
	v_mul_f32_e32 v24, v40, v24
	v_mul_f32_e32 v25, v3, v25
	v_add_f32_e32 v5, v8, v5
	v_lshlrev_b32_e32 v8, 16, v23
	v_lshlrev_b32_e32 v22, 16, v22
	v_cvt_pk_bf16_f32 v24, v24, s0
	v_cvt_pk_bf16_f32 v25, v25, s0
	v_lshlrev_b32_e32 v41, 16, v41
	v_lshlrev_b32_e32 v39, 16, v39
	v_add_f32_e32 v8, v8, v22
	v_mul_f32_e32 v41, v50, v41
	v_mul_f32_e32 v39, v2, v39
	v_add_f32_e32 v5, v8, v5
	v_lshlrev_b32_e32 v8, 16, v25
	v_lshlrev_b32_e32 v22, 16, v24
	v_cvt_pk_bf16_f32 v41, v41, s0
	v_cvt_pk_bf16_f32 v39, v39, s0
	v_add_f32_e32 v8, v8, v22
	v_add_f32_e32 v5, v8, v5
	v_lshlrev_b32_e32 v8, 16, v39
	v_lshlrev_b32_e32 v22, 16, v41
	v_add_f32_e32 v8, v8, v22
	v_add_f32_e32 v5, v8, v5
	;; [unrolled: 1-line block ×3, first 2 shown]
	v_lshlrev_b32_e32 v5, 16, v38
	v_mul_f32_e32 v4, v4, v5
	v_lshlrev_b32_e32 v5, 16, v37
	v_mul_f32_e32 v5, v7, v5
	v_lshlrev_b32_e32 v7, 16, v36
	v_lshlrev_b32_e32 v8, 16, v35
	v_cvt_pk_bf16_f32 v4, v4, s0
	v_cvt_pk_bf16_f32 v5, v5, s0
	v_mul_f32_e32 v7, v9, v7
	v_mul_f32_e32 v6, v6, v8
	v_cvt_pk_bf16_f32 v7, v7, s0
	v_cvt_pk_bf16_f32 v6, v6, s0
	v_lshlrev_b32_e32 v8, 16, v34
	v_lshlrev_b32_e32 v9, 16, v33
	;; [unrolled: 1-line block ×4, first 2 shown]
	v_mul_f32_e32 v8, v40, v8
	v_mul_f32_e32 v3, v3, v9
	v_add_f32_e32 v4, v5, v4
	v_lshlrev_b32_e32 v5, 16, v6
	v_lshlrev_b32_e32 v6, 16, v7
	v_cvt_pk_bf16_f32 v8, v8, s0
	v_cvt_pk_bf16_f32 v3, v3, s0
	v_lshlrev_b32_e32 v9, 16, v32
	v_lshlrev_b32_e32 v22, 16, v31
	v_add_f32_e32 v5, v5, v6
	v_mul_f32_e32 v9, v50, v9
	v_mul_f32_e32 v2, v2, v22
	v_add_f32_e32 v4, v5, v4
	v_lshlrev_b32_e32 v3, 16, v3
	v_lshlrev_b32_e32 v5, 16, v8
	v_cvt_pk_bf16_f32 v9, v9, s0
	v_cvt_pk_bf16_f32 v2, v2, s0
	v_add_f32_e32 v3, v3, v5
	v_add_f32_e32 v3, v3, v4
	v_lshlrev_b32_e32 v2, 16, v2
	v_lshlrev_b32_e32 v4, 16, v9
	v_add_f32_e32 v2, v2, v4
	v_add_u32_e32 v1, 2, v1
	v_add_f32_e32 v2, v2, v3
	v_cmp_le_i32_e64 s[0:1], s19, v1
	v_add_f32_e32 v12, v12, v2
	v_add_u32_e32 v29, 32, v29
	v_add_u32_e32 v30, 0x80, v30
	s_or_b64 s[8:9], s[0:1], s[8:9]
	v_lshl_add_u64 v[18:19], v[18:19], 0, 8
	s_andn2_b64 exec, exec, s[8:9]
	s_cbranch_execz .LBB303_52
.LBB303_43:                             ; =>This Inner Loop Header: Depth=1
	global_load_dword v2, v[18:19], off
	v_add_u32_e32 v40, -7, v29
	s_waitcnt vmcnt(0)
	v_mad_i64_i32 v[22:23], s[0:1], v2, s13, v[20:21]
	v_lshl_add_u64 v[24:25], v[22:23], 0, v[14:15]
	global_load_dwordx2 v[32:33], v[24:25], off
	ds_read2_b64 v[6:9], v30 offset1:1
	ds_read2_b64 v[2:5], v30 offset0:2 offset1:3
	v_cmp_eq_u32_e64 s[0:1], s14, v1
	s_waitcnt vmcnt(0)
	v_and_b32_e32 v31, 0xff, v32
	v_bfe_u32 v34, v32, 8, 8
	v_bfe_u32 v35, v32, 16, 8
	v_lshrrev_b32_e32 v32, 24, v32
	v_and_b32_e32 v36, 0xff, v33
	v_bfe_u32 v37, v33, 8, 8
	v_bfe_u32 v38, v33, 16, 8
	v_lshrrev_b32_e32 v33, 24, v33
	v_cvt_f32_fp8_e32 v31, v31
	v_cvt_f32_fp8_e32 v34, v34
	;; [unrolled: 1-line block ×8, first 2 shown]
	s_waitcnt lgkmcnt(0)
	v_mul_f32_e32 v31, s15, v31
	v_mul_f32_e32 v34, s15, v34
	;; [unrolled: 1-line block ×8, first 2 shown]
	v_cvt_pk_bf16_f32 v37, v31, s0
	v_cvt_pk_bf16_f32 v38, v34, s0
	;; [unrolled: 1-line block ×8, first 2 shown]
	s_and_saveexec_b64 s[10:11], s[0:1]
	s_cbranch_execz .LBB303_45
; %bb.44:                               ;   in Loop: Header=BB303_43 Depth=1
	v_cmp_gt_i32_e64 s[2:3], s17, v40
	v_add_u32_e32 v39, -6, v29
	s_nop 0
	v_cndmask_b32_e64 v37, 0, v37, s[2:3]
	v_cmp_gt_i32_e64 s[2:3], s17, v39
	v_add_u32_e32 v39, -5, v29
	s_nop 0
	v_cndmask_b32_e64 v38, 0, v38, s[2:3]
	;; [unrolled: 4-line block ×6, first 2 shown]
	v_cmp_gt_i32_e64 s[2:3], s17, v39
	s_nop 1
	v_cndmask_b32_e64 v31, 0, v31, s[2:3]
	v_cmp_gt_i32_e64 s[2:3], s17, v29
	s_nop 1
	v_cndmask_b32_e64 v32, 0, v32, s[2:3]
.LBB303_45:                             ;   in Loop: Header=BB303_43 Depth=1
	s_or_b64 exec, exec, s[10:11]
	global_load_dwordx2 v[42:43], v[24:25], off offset:512
	s_waitcnt vmcnt(0)
	v_and_b32_e32 v39, 0xff, v42
	v_bfe_u32 v41, v42, 8, 8
	v_bfe_u32 v44, v42, 16, 8
	v_lshrrev_b32_e32 v42, 24, v42
	v_and_b32_e32 v45, 0xff, v43
	v_bfe_u32 v46, v43, 8, 8
	v_bfe_u32 v47, v43, 16, 8
	v_lshrrev_b32_e32 v43, 24, v43
	v_cvt_f32_fp8_e32 v39, v39
	v_cvt_f32_fp8_e32 v41, v41
	;; [unrolled: 1-line block ×8, first 2 shown]
	v_mul_f32_e32 v39, s15, v39
	v_mul_f32_e32 v41, s15, v41
	v_mul_f32_e32 v44, s15, v44
	v_mul_f32_e32 v42, s15, v42
	v_mul_f32_e32 v48, s15, v45
	v_mul_f32_e32 v49, s15, v46
	v_mul_f32_e32 v50, s15, v47
	v_mul_f32_e32 v51, s15, v43
	v_cvt_pk_bf16_f32 v46, v39, s0
	v_cvt_pk_bf16_f32 v47, v41, s0
	;; [unrolled: 1-line block ×8, first 2 shown]
	s_and_saveexec_b64 s[10:11], s[0:1]
	s_cbranch_execz .LBB303_47
; %bb.46:                               ;   in Loop: Header=BB303_43 Depth=1
	v_cmp_gt_i32_e64 s[2:3], s17, v40
	v_add_u32_e32 v48, -6, v29
	s_nop 0
	v_cndmask_b32_e64 v46, 0, v46, s[2:3]
	v_cmp_gt_i32_e64 s[2:3], s17, v48
	v_add_u32_e32 v48, -5, v29
	s_nop 0
	v_cndmask_b32_e64 v47, 0, v47, s[2:3]
	;; [unrolled: 4-line block ×6, first 2 shown]
	v_cmp_gt_i32_e64 s[2:3], s17, v48
	s_nop 1
	v_cndmask_b32_e64 v39, 0, v39, s[2:3]
	v_cmp_gt_i32_e64 s[2:3], s17, v29
	s_nop 1
	v_cndmask_b32_e64 v41, 0, v41, s[2:3]
.LBB303_47:                             ;   in Loop: Header=BB303_43 Depth=1
	s_or_b64 exec, exec, s[10:11]
	global_load_dwordx2 v[24:25], v[24:25], off offset:1024
	s_waitcnt vmcnt(0)
	v_and_b32_e32 v48, 0xff, v24
	v_bfe_u32 v49, v24, 8, 8
	v_bfe_u32 v50, v24, 16, 8
	v_lshrrev_b32_e32 v24, 24, v24
	v_and_b32_e32 v51, 0xff, v25
	v_bfe_u32 v52, v25, 8, 8
	v_bfe_u32 v53, v25, 16, 8
	v_lshrrev_b32_e32 v25, 24, v25
	v_cvt_f32_fp8_e32 v48, v48
	v_cvt_f32_fp8_e32 v49, v49
	;; [unrolled: 1-line block ×8, first 2 shown]
	v_mul_f32_e32 v48, s15, v48
	v_mul_f32_e32 v49, s15, v49
	;; [unrolled: 1-line block ×8, first 2 shown]
	v_cvt_pk_bf16_f32 v52, v48, s0
	v_cvt_pk_bf16_f32 v53, v49, s0
	;; [unrolled: 1-line block ×8, first 2 shown]
	s_and_saveexec_b64 s[10:11], s[0:1]
	s_cbranch_execz .LBB303_49
; %bb.48:                               ;   in Loop: Header=BB303_43 Depth=1
	v_cmp_gt_i32_e64 s[2:3], s17, v40
	v_add_u32_e32 v54, -6, v29
	s_nop 0
	v_cndmask_b32_e64 v52, 0, v52, s[2:3]
	v_cmp_gt_i32_e64 s[2:3], s17, v54
	v_add_u32_e32 v54, -5, v29
	s_nop 0
	v_cndmask_b32_e64 v53, 0, v53, s[2:3]
	;; [unrolled: 4-line block ×6, first 2 shown]
	v_cmp_gt_i32_e64 s[2:3], s17, v54
	s_nop 1
	v_cndmask_b32_e64 v24, 0, v24, s[2:3]
	v_cmp_gt_i32_e64 s[2:3], s17, v29
	s_nop 1
	v_cndmask_b32_e64 v25, 0, v25, s[2:3]
.LBB303_49:                             ;   in Loop: Header=BB303_43 Depth=1
	s_or_b64 exec, exec, s[10:11]
	v_cvt_pk_bf16_f32 v7, v6, v7
	v_cvt_pk_bf16_f32 v6, v8, v9
	;; [unrolled: 1-line block ×4, first 2 shown]
	s_and_saveexec_b64 s[2:3], vcc
	s_cbranch_execz .LBB303_42
; %bb.50:                               ;   in Loop: Header=BB303_43 Depth=1
	v_lshl_add_u64 v[4:5], v[22:23], 0, v[16:17]
	global_load_dwordx2 v[4:5], v[4:5], off
	s_waitcnt vmcnt(0)
	v_and_b32_e32 v8, 0xff, v4
	v_bfe_u32 v9, v4, 8, 8
	v_bfe_u32 v22, v4, 16, 8
	v_lshrrev_b32_e32 v4, 24, v4
	v_and_b32_e32 v23, 0xff, v5
	v_bfe_u32 v54, v5, 8, 8
	v_bfe_u32 v55, v5, 16, 8
	v_lshrrev_b32_e32 v5, 24, v5
	v_cvt_f32_fp8_e32 v8, v8
	v_cvt_f32_fp8_e32 v9, v9
	;; [unrolled: 1-line block ×8, first 2 shown]
	v_mul_f32_e32 v8, s15, v8
	v_mul_f32_e32 v9, s15, v9
	;; [unrolled: 1-line block ×8, first 2 shown]
	v_cvt_pk_bf16_f32 v54, v8, s0
	v_cvt_pk_bf16_f32 v55, v9, s0
	;; [unrolled: 1-line block ×8, first 2 shown]
	s_and_saveexec_b64 s[10:11], s[0:1]
	s_cbranch_execz .LBB303_41
; %bb.51:                               ;   in Loop: Header=BB303_43 Depth=1
	v_cmp_gt_i32_e64 s[0:1], s17, v40
	v_add_u32_e32 v40, -6, v29
	s_nop 0
	v_cndmask_b32_e64 v54, 0, v54, s[0:1]
	v_cmp_gt_i32_e64 s[0:1], s17, v40
	v_add_u32_e32 v40, -5, v29
	s_nop 0
	v_cndmask_b32_e64 v55, 0, v55, s[0:1]
	;; [unrolled: 4-line block ×6, first 2 shown]
	v_cmp_gt_i32_e64 s[0:1], s17, v40
	s_nop 1
	v_cndmask_b32_e64 v4, 0, v4, s[0:1]
	v_cmp_gt_i32_e64 s[0:1], s17, v29
	s_nop 1
	v_cndmask_b32_e64 v5, 0, v5, s[0:1]
	s_branch .LBB303_41
.LBB303_52:
	s_or_b64 exec, exec, s[8:9]
.LBB303_53:
	s_or_b64 exec, exec, s[6:7]
	ds_bpermute_b32 v2, v26, v12
	ds_bpermute_b32 v3, v26, v13
	;; [unrolled: 1-line block ×4, first 2 shown]
	v_and_b32_e32 v1, 0x3c0, v0
	v_cmp_eq_u32_e64 s[0:1], 64, v1
	s_waitcnt lgkmcnt(2)
	v_pk_add_f32 v[4:5], v[12:13], v[2:3]
	v_cmp_eq_u32_e32 vcc, 0, v28
	s_waitcnt lgkmcnt(0)
	v_pk_add_f32 v[2:3], v[10:11], v[6:7]
	s_barrier
	s_and_saveexec_b64 s[2:3], s[0:1]
	s_cbranch_execz .LBB303_58
; %bb.54:
	s_and_saveexec_b64 s[0:1], vcc
	s_cbranch_execz .LBB303_56
; %bb.55:
	v_mov_b32_e32 v1, 0xf0
	v_lshl_add_u32 v1, v27, 2, v1
	ds_write2_b32 v1, v4, v5 offset1:32
	ds_write_b32 v1, v2 offset:256
.LBB303_56:
	s_or_b64 exec, exec, s[0:1]
	v_or_b32_e32 v1, 0x60, v27
	s_movk_i32 s0, 0x70
	v_cmp_gt_u32_e64 s[0:1], s0, v1
	s_and_b64 s[0:1], vcc, s[0:1]
	s_and_b64 exec, exec, s[0:1]
; %bb.57:
	v_mov_b32_e32 v1, 0xf0
	v_lshl_add_u32 v1, v27, 2, v1
	ds_write_b32 v1, v3 offset:384
.LBB303_58:
	s_or_b64 exec, exec, s[2:3]
	v_cmp_gt_u32_e64 s[0:1], 64, v0
	v_lshrrev_b32_e32 v0, 1, v0
	s_waitcnt lgkmcnt(0)
	s_barrier
	s_and_saveexec_b64 s[6:7], s[0:1]
	s_cbranch_execz .LBB303_68
; %bb.59:
	s_and_saveexec_b64 s[2:3], vcc
	s_cbranch_execz .LBB303_61
; %bb.60:
	v_mov_b32_e32 v1, 0xf0
	v_lshl_add_u32 v1, v0, 2, v1
	ds_read_b32 v1, v1
	s_waitcnt lgkmcnt(0)
	v_add_f32_e32 v4, v4, v1
.LBB303_61:
	s_or_b64 exec, exec, s[2:3]
	v_or_b32_e32 v1, 32, v0
	s_movk_i32 s8, 0x70
	v_cmp_gt_u32_e64 s[2:3], s8, v1
	s_and_b64 s[10:11], vcc, s[2:3]
	s_and_saveexec_b64 s[2:3], s[10:11]
	s_cbranch_execz .LBB303_63
; %bb.62:
	v_mov_b32_e32 v1, 0xf0
	v_lshl_add_u32 v1, v0, 2, v1
	ds_read_b32 v1, v1 offset:128
	s_waitcnt lgkmcnt(0)
	v_add_f32_e32 v5, v5, v1
.LBB303_63:
	s_or_b64 exec, exec, s[2:3]
	v_or_b32_e32 v1, 64, v0
	v_cmp_gt_u32_e64 s[2:3], s8, v1
	s_and_b64 s[8:9], vcc, s[2:3]
	s_and_saveexec_b64 s[2:3], s[8:9]
	s_cbranch_execz .LBB303_65
; %bb.64:
	v_mov_b32_e32 v1, 0xf0
	v_lshl_add_u32 v1, v0, 2, v1
	ds_read_b32 v1, v1 offset:256
	s_waitcnt lgkmcnt(0)
	v_add_f32_e32 v2, v2, v1
.LBB303_65:
	s_or_b64 exec, exec, s[2:3]
	v_or_b32_e32 v1, 0x60, v0
	s_movk_i32 s2, 0x70
	v_cmp_gt_u32_e64 s[2:3], s2, v1
	s_and_b64 s[8:9], vcc, s[2:3]
	s_and_saveexec_b64 s[2:3], s[8:9]
	s_cbranch_execz .LBB303_67
; %bb.66:
	v_mov_b32_e32 v1, 0xf0
	v_lshl_add_u32 v1, v0, 2, v1
	ds_read_b32 v1, v1 offset:384
	s_waitcnt lgkmcnt(0)
	v_add_f32_e32 v3, v3, v1
.LBB303_67:
	s_or_b64 exec, exec, s[2:3]
.LBB303_68:
	s_or_b64 exec, exec, s[6:7]
	s_barrier
	s_and_saveexec_b64 s[2:3], s[0:1]
	s_cbranch_execz .LBB303_77
; %bb.69:
	s_mul_i32 s0, s16, s12
	s_mul_i32 s0, s0, s5
	s_mulk_i32 s0, 0x70
	s_ashr_i32 s1, s0, 31
	s_lshl_b64 s[0:1], s[0:1], 1
	s_add_u32 s2, s20, s0
	s_mul_i32 s0, s12, s18
	s_addc_u32 s3, s21, s1
	s_ashr_i32 s1, s0, 31
	s_lshl_b64 s[0:1], s[0:1], 1
	s_add_u32 s2, s2, s0
	s_mul_i32 s0, s4, 0x70
	s_addc_u32 s3, s3, s1
	s_ashr_i32 s1, s0, 31
	s_lshl_b64 s[0:1], s[0:1], 1
	s_add_u32 s2, s2, s0
	s_movk_i32 s5, 0x70
	s_addc_u32 s3, s3, s1
	v_lshlrev_b32_e32 v1, 1, v0
	s_and_saveexec_b64 s[0:1], vcc
	s_cbranch_execz .LBB303_71
; %bb.70:
	v_cvt_pk_bf16_f32 v4, v4, s0
	global_store_short v1, v4, s[2:3]
.LBB303_71:
	s_or_b64 exec, exec, s[0:1]
	v_or_b32_e32 v4, 32, v0
	v_cmp_gt_u32_e64 s[0:1], s5, v4
	s_and_b64 s[4:5], vcc, s[0:1]
	s_and_saveexec_b64 s[0:1], s[4:5]
	s_cbranch_execz .LBB303_73
; %bb.72:
	v_cvt_pk_bf16_f32 v4, v5, s0
	global_store_short v1, v4, s[2:3] offset:64
.LBB303_73:
	s_or_b64 exec, exec, s[0:1]
	v_or_b32_e32 v4, 64, v0
	s_movk_i32 s4, 0x70
	v_cmp_gt_u32_e64 s[0:1], s4, v4
	s_and_b64 s[6:7], vcc, s[0:1]
	s_and_saveexec_b64 s[0:1], s[6:7]
	s_cbranch_execz .LBB303_75
; %bb.74:
	v_cvt_pk_bf16_f32 v2, v2, s0
	global_store_short v1, v2, s[2:3] offset:128
.LBB303_75:
	s_or_b64 exec, exec, s[0:1]
	v_or_b32_e32 v0, 0x60, v0
	v_cmp_gt_u32_e64 s[0:1], s4, v0
	s_and_b64 s[0:1], vcc, s[0:1]
	s_and_b64 exec, exec, s[0:1]
	s_cbranch_execz .LBB303_77
; %bb.76:
	v_cvt_pk_bf16_f32 v0, v3, s0
	global_store_short v1, v0, s[2:3] offset:192
.LBB303_77:
	s_endpgm
	.section	.rodata,"a",@progbits
	.p2align	6, 0x0
	.amdhsa_kernel _ZN4vllm25paged_attention_v1_kernelI14__hip_bfloat16hLi112ELi16ELi128ELNS_18Fp8KVCacheDataTypeE1ELb0EEEvPT_PKS3_PKT0_S9_ifPKiSB_iPKfiiiSD_SD_iiiii
		.amdhsa_group_segment_fixed_size 240
		.amdhsa_private_segment_fixed_size 0
		.amdhsa_kernarg_size 384
		.amdhsa_user_sgpr_count 2
		.amdhsa_user_sgpr_dispatch_ptr 0
		.amdhsa_user_sgpr_queue_ptr 0
		.amdhsa_user_sgpr_kernarg_segment_ptr 1
		.amdhsa_user_sgpr_dispatch_id 0
		.amdhsa_user_sgpr_kernarg_preload_length 0
		.amdhsa_user_sgpr_kernarg_preload_offset 0
		.amdhsa_user_sgpr_private_segment_size 0
		.amdhsa_uses_dynamic_stack 0
		.amdhsa_enable_private_segment 0
		.amdhsa_system_sgpr_workgroup_id_x 1
		.amdhsa_system_sgpr_workgroup_id_y 1
		.amdhsa_system_sgpr_workgroup_id_z 1
		.amdhsa_system_sgpr_workgroup_info 0
		.amdhsa_system_vgpr_workitem_id 0
		.amdhsa_next_free_vgpr 63
		.amdhsa_next_free_sgpr 38
		.amdhsa_accum_offset 64
		.amdhsa_reserve_vcc 1
		.amdhsa_float_round_mode_32 0
		.amdhsa_float_round_mode_16_64 0
		.amdhsa_float_denorm_mode_32 3
		.amdhsa_float_denorm_mode_16_64 3
		.amdhsa_dx10_clamp 1
		.amdhsa_ieee_mode 1
		.amdhsa_fp16_overflow 0
		.amdhsa_tg_split 0
		.amdhsa_exception_fp_ieee_invalid_op 0
		.amdhsa_exception_fp_denorm_src 0
		.amdhsa_exception_fp_ieee_div_zero 0
		.amdhsa_exception_fp_ieee_overflow 0
		.amdhsa_exception_fp_ieee_underflow 0
		.amdhsa_exception_fp_ieee_inexact 0
		.amdhsa_exception_int_div_zero 0
	.end_amdhsa_kernel
	.section	.text._ZN4vllm25paged_attention_v1_kernelI14__hip_bfloat16hLi112ELi16ELi128ELNS_18Fp8KVCacheDataTypeE1ELb0EEEvPT_PKS3_PKT0_S9_ifPKiSB_iPKfiiiSD_SD_iiiii,"axG",@progbits,_ZN4vllm25paged_attention_v1_kernelI14__hip_bfloat16hLi112ELi16ELi128ELNS_18Fp8KVCacheDataTypeE1ELb0EEEvPT_PKS3_PKT0_S9_ifPKiSB_iPKfiiiSD_SD_iiiii,comdat
.Lfunc_end303:
	.size	_ZN4vllm25paged_attention_v1_kernelI14__hip_bfloat16hLi112ELi16ELi128ELNS_18Fp8KVCacheDataTypeE1ELb0EEEvPT_PKS3_PKT0_S9_ifPKiSB_iPKfiiiSD_SD_iiiii, .Lfunc_end303-_ZN4vllm25paged_attention_v1_kernelI14__hip_bfloat16hLi112ELi16ELi128ELNS_18Fp8KVCacheDataTypeE1ELb0EEEvPT_PKS3_PKT0_S9_ifPKiSB_iPKfiiiSD_SD_iiiii
                                        ; -- End function
	.set _ZN4vllm25paged_attention_v1_kernelI14__hip_bfloat16hLi112ELi16ELi128ELNS_18Fp8KVCacheDataTypeE1ELb0EEEvPT_PKS3_PKT0_S9_ifPKiSB_iPKfiiiSD_SD_iiiii.num_vgpr, 63
	.set _ZN4vllm25paged_attention_v1_kernelI14__hip_bfloat16hLi112ELi16ELi128ELNS_18Fp8KVCacheDataTypeE1ELb0EEEvPT_PKS3_PKT0_S9_ifPKiSB_iPKfiiiSD_SD_iiiii.num_agpr, 0
	.set _ZN4vllm25paged_attention_v1_kernelI14__hip_bfloat16hLi112ELi16ELi128ELNS_18Fp8KVCacheDataTypeE1ELb0EEEvPT_PKS3_PKT0_S9_ifPKiSB_iPKfiiiSD_SD_iiiii.numbered_sgpr, 38
	.set _ZN4vllm25paged_attention_v1_kernelI14__hip_bfloat16hLi112ELi16ELi128ELNS_18Fp8KVCacheDataTypeE1ELb0EEEvPT_PKS3_PKT0_S9_ifPKiSB_iPKfiiiSD_SD_iiiii.num_named_barrier, 0
	.set _ZN4vllm25paged_attention_v1_kernelI14__hip_bfloat16hLi112ELi16ELi128ELNS_18Fp8KVCacheDataTypeE1ELb0EEEvPT_PKS3_PKT0_S9_ifPKiSB_iPKfiiiSD_SD_iiiii.private_seg_size, 0
	.set _ZN4vllm25paged_attention_v1_kernelI14__hip_bfloat16hLi112ELi16ELi128ELNS_18Fp8KVCacheDataTypeE1ELb0EEEvPT_PKS3_PKT0_S9_ifPKiSB_iPKfiiiSD_SD_iiiii.uses_vcc, 1
	.set _ZN4vllm25paged_attention_v1_kernelI14__hip_bfloat16hLi112ELi16ELi128ELNS_18Fp8KVCacheDataTypeE1ELb0EEEvPT_PKS3_PKT0_S9_ifPKiSB_iPKfiiiSD_SD_iiiii.uses_flat_scratch, 0
	.set _ZN4vllm25paged_attention_v1_kernelI14__hip_bfloat16hLi112ELi16ELi128ELNS_18Fp8KVCacheDataTypeE1ELb0EEEvPT_PKS3_PKT0_S9_ifPKiSB_iPKfiiiSD_SD_iiiii.has_dyn_sized_stack, 0
	.set _ZN4vllm25paged_attention_v1_kernelI14__hip_bfloat16hLi112ELi16ELi128ELNS_18Fp8KVCacheDataTypeE1ELb0EEEvPT_PKS3_PKT0_S9_ifPKiSB_iPKfiiiSD_SD_iiiii.has_recursion, 0
	.set _ZN4vllm25paged_attention_v1_kernelI14__hip_bfloat16hLi112ELi16ELi128ELNS_18Fp8KVCacheDataTypeE1ELb0EEEvPT_PKS3_PKT0_S9_ifPKiSB_iPKfiiiSD_SD_iiiii.has_indirect_call, 0
	.section	.AMDGPU.csdata,"",@progbits
; Kernel info:
; codeLenInByte = 7088
; TotalNumSgprs: 44
; NumVgprs: 63
; NumAgprs: 0
; TotalNumVgprs: 63
; ScratchSize: 0
; MemoryBound: 0
; FloatMode: 240
; IeeeMode: 1
; LDSByteSize: 240 bytes/workgroup (compile time only)
; SGPRBlocks: 5
; VGPRBlocks: 7
; NumSGPRsForWavesPerEU: 44
; NumVGPRsForWavesPerEU: 63
; AccumOffset: 64
; Occupancy: 8
; WaveLimiterHint : 1
; COMPUTE_PGM_RSRC2:SCRATCH_EN: 0
; COMPUTE_PGM_RSRC2:USER_SGPR: 2
; COMPUTE_PGM_RSRC2:TRAP_HANDLER: 0
; COMPUTE_PGM_RSRC2:TGID_X_EN: 1
; COMPUTE_PGM_RSRC2:TGID_Y_EN: 1
; COMPUTE_PGM_RSRC2:TGID_Z_EN: 1
; COMPUTE_PGM_RSRC2:TIDIG_COMP_CNT: 0
; COMPUTE_PGM_RSRC3_GFX90A:ACCUM_OFFSET: 15
; COMPUTE_PGM_RSRC3_GFX90A:TG_SPLIT: 0
	.section	.text._ZN4vllm25paged_attention_v1_kernelI14__hip_bfloat16hLi120ELi16ELi128ELNS_18Fp8KVCacheDataTypeE1ELb0EEEvPT_PKS3_PKT0_S9_ifPKiSB_iPKfiiiSD_SD_iiiii,"axG",@progbits,_ZN4vllm25paged_attention_v1_kernelI14__hip_bfloat16hLi120ELi16ELi128ELNS_18Fp8KVCacheDataTypeE1ELb0EEEvPT_PKS3_PKT0_S9_ifPKiSB_iPKfiiiSD_SD_iiiii,comdat
	.protected	_ZN4vllm25paged_attention_v1_kernelI14__hip_bfloat16hLi120ELi16ELi128ELNS_18Fp8KVCacheDataTypeE1ELb0EEEvPT_PKS3_PKT0_S9_ifPKiSB_iPKfiiiSD_SD_iiiii ; -- Begin function _ZN4vllm25paged_attention_v1_kernelI14__hip_bfloat16hLi120ELi16ELi128ELNS_18Fp8KVCacheDataTypeE1ELb0EEEvPT_PKS3_PKT0_S9_ifPKiSB_iPKfiiiSD_SD_iiiii
	.globl	_ZN4vllm25paged_attention_v1_kernelI14__hip_bfloat16hLi120ELi16ELi128ELNS_18Fp8KVCacheDataTypeE1ELb0EEEvPT_PKS3_PKT0_S9_ifPKiSB_iPKfiiiSD_SD_iiiii
	.p2align	8
	.type	_ZN4vllm25paged_attention_v1_kernelI14__hip_bfloat16hLi120ELi16ELi128ELNS_18Fp8KVCacheDataTypeE1ELb0EEEvPT_PKS3_PKT0_S9_ifPKiSB_iPKfiiiSD_SD_iiiii,@function
_ZN4vllm25paged_attention_v1_kernelI14__hip_bfloat16hLi120ELi16ELi128ELNS_18Fp8KVCacheDataTypeE1ELb0EEEvPT_PKS3_PKT0_S9_ifPKiSB_iPKfiiiSD_SD_iiiii: ; @_ZN4vllm25paged_attention_v1_kernelI14__hip_bfloat16hLi120ELi16ELi128ELNS_18Fp8KVCacheDataTypeE1ELb0EEEvPT_PKS3_PKT0_S9_ifPKiSB_iPKfiiiSD_SD_iiiii
; %bb.0:
	s_load_dword s5, s[0:1], 0x80
	s_load_dwordx2 s[6:7], s[0:1], 0x30
	s_load_dwordx2 s[28:29], s[0:1], 0x20
	s_mov_b32 s16, s3
	s_ashr_i32 s17, s3, 31
	s_lshl_b64 s[8:9], s[16:17], 2
	s_waitcnt lgkmcnt(0)
	s_add_u32 s6, s6, s8
	s_addc_u32 s7, s7, s9
	s_abs_i32 s3, s28
	v_cvt_f32_u32_e32 v1, s3
	s_sub_i32 s10, 0, s3
	s_abs_i32 s9, s5
	s_xor_b32 s8, s5, s28
	v_rcp_iflag_f32_e32 v1, v1
	s_ashr_i32 s8, s8, 31
	s_mov_b32 s28, 0
	v_mul_f32_e32 v1, 0x4f7ffffe, v1
	v_cvt_u32_f32_e32 v1, v1
	s_nop 0
	v_readfirstlane_b32 s11, v1
	s_mul_i32 s10, s10, s11
	s_mul_hi_u32 s10, s11, s10
	s_add_i32 s11, s11, s10
	s_mul_hi_u32 s10, s9, s11
	s_mul_i32 s11, s10, s3
	s_sub_i32 s9, s9, s11
	s_add_i32 s11, s10, 1
	s_sub_i32 s12, s9, s3
	s_cmp_ge_u32 s9, s3
	s_cselect_b32 s10, s11, s10
	s_cselect_b32 s9, s12, s9
	s_add_i32 s11, s10, 1
	s_cmp_ge_u32 s9, s3
	s_cselect_b32 s3, s11, s10
	s_xor_b32 s3, s3, s8
	s_sub_i32 s18, s3, s8
	s_abs_i32 s10, s18
	v_cvt_f32_u32_e32 v1, s10
	s_load_dwordx2 s[8:9], s[0:1], 0x40
	s_sub_i32 s3, 0, s10
	s_abs_i32 s11, s2
	v_rcp_iflag_f32_e32 v1, v1
	s_nop 0
	v_mul_f32_e32 v1, 0x4f7ffffe, v1
	v_cvt_u32_f32_e32 v1, v1
	s_nop 0
	v_readfirstlane_b32 s12, v1
	s_mul_i32 s3, s3, s12
	s_mul_hi_u32 s3, s12, s3
	s_add_i32 s12, s12, s3
	s_waitcnt lgkmcnt(0)
	s_cmp_eq_u64 s[8:9], 0
	s_mul_hi_u32 s20, s11, s12
	s_cbranch_scc1 .LBB304_2
; %bb.1:
	s_ashr_i32 s3, s2, 31
	s_lshl_b64 s[12:13], s[2:3], 2
	s_add_u32 s8, s8, s12
	s_addc_u32 s9, s9, s13
	s_load_dword s28, s[8:9], 0x0
.LBB304_2:
	s_load_dword s17, s[6:7], 0x0
	s_load_dwordx4 s[12:15], s[0:1], 0x48
	s_ashr_i32 s6, s2, 31
	s_ashr_i32 s7, s18, 31
	v_and_b32_e32 v2, 3, v0
	s_mul_i32 s18, s2, 0x78
	v_cmp_gt_u32_e32 vcc, 60, v0
	s_and_saveexec_b64 s[2:3], vcc
	s_cbranch_execz .LBB304_4
; %bb.3:
	s_load_dwordx2 s[8:9], s[0:1], 0x8
	s_waitcnt lgkmcnt(0)
	s_mul_i32 s22, s12, s16
	s_ashr_i32 s23, s22, 31
	s_lshl_b64 s[22:23], s[22:23], 1
	v_lshlrev_b32_e32 v1, 2, v0
	s_add_u32 s12, s8, s22
	s_addc_u32 s15, s9, s23
	s_ashr_i32 s19, s18, 31
	s_lshl_b64 s[8:9], s[18:19], 1
	s_add_u32 s8, s12, s8
	s_addc_u32 s9, s15, s9
	global_load_dword v1, v1, s[8:9]
	v_and_b32_e32 v3, 0x3fc, v0
	v_mad_u32_u24 v3, v2, 60, v3
	s_waitcnt vmcnt(0)
	ds_write_b32 v3, v1
.LBB304_4:
	s_or_b64 exec, exec, s[2:3]
	s_waitcnt lgkmcnt(0)
	s_add_i32 s3, s17, 15
	s_ashr_i32 s8, s3, 31
	s_lshr_b32 s8, s8, 28
	s_add_i32 s3, s3, s8
	s_ashr_i32 s19, s3, 4
	s_xor_b32 s3, s6, s7
	s_mul_i32 s6, s20, s10
	s_sub_i32 s6, s11, s6
	s_add_i32 s7, s20, 1
	s_sub_i32 s8, s6, s10
	s_load_dwordx2 s[22:23], s[0:1], 0x28
	s_load_dword s2, s[0:1], 0x38
	s_cmp_ge_u32 s6, s10
	s_cselect_b32 s7, s7, s20
	s_cselect_b32 s6, s8, s6
	s_add_i32 s8, s7, 1
	s_cmp_ge_u32 s6, s10
	s_cselect_b32 s6, s8, s7
	v_lshrrev_b32_e32 v1, 6, v0
	s_xor_b32 s6, s6, s3
	s_waitcnt lgkmcnt(0)
	s_mul_i32 s24, s2, s16
	s_sub_i32 s33, s6, s3
	s_ashr_i32 s25, s24, 31
	v_cmp_le_i32_e64 s[6:7], s19, v1
	v_mbcnt_lo_u32_b32 v3, -1, 0
	s_barrier
                                        ; implicit-def: $vgpr7
                                        ; implicit-def: $vgpr9
                                        ; implicit-def: $vgpr8
	s_and_saveexec_b64 s[2:3], s[6:7]
	s_xor_b64 s[2:3], exec, s[2:3]
; %bb.5:
	v_mbcnt_hi_u32_b32 v7, -1, v3
	v_and_b32_e32 v9, 64, v7
	v_add_u32_e32 v8, 64, v9
                                        ; implicit-def: $vgpr2
                                        ; implicit-def: $vgpr3
; %bb.6:
	s_or_saveexec_b64 s[30:31], s[2:3]
	s_load_dwordx2 s[20:21], s[0:1], 0x0
	s_load_dwordx2 s[26:27], s[0:1], 0x18
	s_load_dword s12, s[0:1], 0x88
	s_load_dwordx4 s[8:11], s[0:1], 0x58
	v_mov_b32_e32 v37, 0xff7fffff
	s_mul_i32 s33, s33, s14
	v_lshrrev_b32_e32 v6, 4, v0
	s_xor_b64 exec, exec, s[30:31]
	s_cbranch_execz .LBB304_12
; %bb.7:
	v_mul_u32_u24_e32 v7, 60, v2
	ds_read2_b32 v[8:9], v7 offset1:1
	ds_read2_b32 v[16:17], v7 offset0:2 offset1:3
	ds_read2_b32 v[20:21], v7 offset0:4 offset1:5
	;; [unrolled: 1-line block ×3, first 2 shown]
	s_load_dwordx2 s[0:1], s[0:1], 0x10
	s_ashr_i32 s2, s33, 31
	v_bfe_u32 v46, v0, 2, 4
	s_waitcnt lgkmcnt(0)
	v_lshlrev_b32_e32 v10, 16, v8
	v_and_b32_e32 v11, 0xffff0000, v8
	v_lshlrev_b32_e32 v12, 16, v9
	v_and_b32_e32 v13, 0xffff0000, v9
	ds_read2_b32 v[8:9], v7 offset0:8 offset1:9
	ds_read2_b32 v[32:33], v7 offset0:10 offset1:11
	;; [unrolled: 1-line block ×3, first 2 shown]
	ds_read_b32 v7, v7 offset:56
	s_add_u32 s0, s0, s33
	v_lshlrev_b32_e32 v4, 4, v46
	s_addc_u32 s1, s1, s2
	s_waitcnt lgkmcnt(3)
	v_lshlrev_b32_e32 v28, 16, v9
	s_waitcnt lgkmcnt(0)
	v_lshlrev_b32_e32 v39, 16, v7
	v_and_b32_e32 v40, 0xffff0000, v7
	v_mbcnt_hi_u32_b32 v7, -1, v3
	v_and_b32_e32 v29, 0xffff0000, v9
	v_and_b32_e32 v9, 64, v7
	v_lshlrev_b32_e32 v26, 16, v8
	v_and_b32_e32 v27, 0xffff0000, v8
	v_add_u32_e32 v8, 64, v9
	v_xor_b32_e32 v3, 2, v7
	v_cmp_lt_i32_e32 vcc, v3, v8
	v_mov_b32_e32 v5, 0
	v_lshl_add_u64 v[44:45], s[0:1], 0, v[4:5]
	v_cndmask_b32_e32 v3, v7, v3, vcc
	v_lshlrev_b32_e32 v41, 2, v3
	v_xor_b32_e32 v3, 1, v7
	v_cmp_lt_i32_e32 vcc, v3, v8
	v_lshlrev_b32_e32 v4, 1, v2
	s_load_dword s35, s[8:9], 0x0
	v_cndmask_b32_e32 v3, v7, v3, vcc
	v_lshlrev_b32_e32 v42, 2, v3
	v_cmp_eq_u32_e32 vcc, 0, v2
	v_lshl_add_u64 v[2:3], v[44:45], 0, v[4:5]
	s_sub_i32 s36, 1, s17
	v_lshlrev_b32_e32 v4, 2, v46
	s_lshl_b64 s[0:1], s[24:25], 2
	v_lshl_or_b32 v4, v1, 6, v4
	s_add_u32 s0, s22, s0
	v_add_u32_e32 v44, 0x100, v4
	v_and_b32_e32 v4, 60, v6
	s_addc_u32 s1, s23, s1
	s_mov_b32 s34, s13
	v_lshlrev_b32_e32 v14, 16, v16
	v_and_b32_e32 v15, 0xffff0000, v16
	v_lshlrev_b32_e32 v16, 16, v17
	v_and_b32_e32 v17, 0xffff0000, v17
	;; [unrolled: 2-line block ×10, first 2 shown]
	v_cmp_neq_f32_e64 s[2:3], s28, 0
	v_lshl_or_b32 v43, v1, 4, v46
	v_lshl_add_u64 v[4:5], s[0:1], 0, v[4:5]
	v_mov_b32_e32 v37, 0xff7fffff
	s_mov_b64 s[8:9], 0
	s_mov_b32 s37, 0xffff
	v_mov_b32_e32 v45, v1
	s_branch .LBB304_9
.LBB304_8:                              ;   in Loop: Header=BB304_9 Depth=1
	s_or_b64 exec, exec, s[14:15]
	v_add_u32_e32 v45, 2, v45
	v_cmp_le_i32_e64 s[0:1], s19, v45
	v_add_u32_e32 v43, 32, v43
	v_add_u32_e32 v44, 0x80, v44
	s_or_b64 s[8:9], s[0:1], s[8:9]
	v_lshl_add_u64 v[4:5], v[4:5], 0, 8
	s_andn2_b64 exec, exec, s[8:9]
	s_cbranch_execz .LBB304_11
.LBB304_9:                              ; =>This Inner Loop Header: Depth=1
	global_load_dword v46, v[4:5], off
	s_waitcnt vmcnt(0) lgkmcnt(0)
	v_mad_i64_i32 v[46:47], s[0:1], v46, s34, v[2:3]
	global_load_ushort v54, v[46:47], off
	global_load_ushort v55, v[46:47], off offset:8
	global_load_ushort v56, v[46:47], off offset:256
	;; [unrolled: 1-line block ×14, first 2 shown]
	s_waitcnt vmcnt(14)
	v_and_b32_sdwa v46, s37, v54 dst_sel:DWORD dst_unused:UNUSED_PAD src0_sel:DWORD src1_sel:BYTE_0
	s_waitcnt vmcnt(13)
	v_and_b32_sdwa v47, s37, v55 dst_sel:DWORD dst_unused:UNUSED_PAD src0_sel:DWORD src1_sel:BYTE_0
	v_cvt_f32_fp8_e32 v46, v46
	v_cvt_f32_fp8_e32 v47, v47
	v_lshrrev_b16_e32 v54, 8, v54
	v_lshrrev_b16_e32 v55, 8, v55
	s_waitcnt lgkmcnt(0)
	v_mul_f32_e32 v46, s35, v46
	v_mul_f32_e32 v47, s35, v47
	v_cvt_f32_fp8_e32 v54, v54
	v_cvt_f32_fp8_e32 v55, v55
	v_cvt_pk_bf16_f32 v46, v46, s0
	v_cvt_pk_bf16_f32 v47, v47, s0
	v_lshlrev_b32_e32 v63, 16, v46
	v_lshlrev_b32_e32 v46, 16, v47
	v_mul_f32_e32 v46, v12, v46
	s_waitcnt vmcnt(12)
	v_and_b32_sdwa v47, s37, v56 dst_sel:DWORD dst_unused:UNUSED_PAD src0_sel:DWORD src1_sel:BYTE_0
	v_fmac_f32_e32 v46, v10, v63
	v_cvt_f32_fp8_e32 v63, v47
	v_mul_f32_e32 v47, s35, v54
	v_mul_f32_e32 v54, s35, v55
	v_lshrrev_b16_e32 v56, 8, v56
	v_cvt_pk_bf16_f32 v47, v47, s0
	v_cvt_pk_bf16_f32 v54, v54, s0
	v_lshlrev_b32_e32 v55, 16, v47
	v_lshlrev_b32_e32 v47, 16, v54
	v_cvt_f32_fp8_e32 v56, v56
	v_mul_f32_e32 v47, v13, v47
	s_waitcnt vmcnt(11)
	v_and_b32_sdwa v54, s37, v57 dst_sel:DWORD dst_unused:UNUSED_PAD src0_sel:DWORD src1_sel:BYTE_0
	v_fmac_f32_e32 v47, v11, v55
	v_lshrrev_b16_e32 v55, 8, v57
	v_mul_f32_e32 v57, s35, v63
	v_cvt_f32_fp8_e32 v54, v54
	v_cvt_pk_bf16_f32 v57, v57, s0
	v_lshlrev_b32_e32 v57, 16, v57
	v_mul_f32_e32 v56, s35, v56
	v_cvt_f32_fp8_e32 v55, v55
	v_fmac_f32_e32 v46, v14, v57
	s_waitcnt vmcnt(10)
	v_and_b32_sdwa v57, s37, v58 dst_sel:DWORD dst_unused:UNUSED_PAD src0_sel:DWORD src1_sel:BYTE_0
	v_cvt_pk_bf16_f32 v56, v56, s0
	v_lshrrev_b16_e32 v58, 8, v58
	v_lshlrev_b32_e32 v56, 16, v56
	v_mul_f32_e32 v54, s35, v54
	v_cvt_f32_fp8_e32 v57, v57
	v_fmac_f32_e32 v47, v15, v56
	s_waitcnt vmcnt(9)
	v_and_b32_sdwa v56, s37, v59 dst_sel:DWORD dst_unused:UNUSED_PAD src0_sel:DWORD src1_sel:BYTE_0
	v_cvt_pk_bf16_f32 v54, v54, s0
	v_cvt_f32_fp8_e32 v58, v58
	v_lshrrev_b16_e32 v59, 8, v59
	v_lshlrev_b32_e32 v54, 16, v54
	v_mul_f32_e32 v55, s35, v55
	v_cvt_f32_fp8_e32 v56, v56
	v_fmac_f32_e32 v46, v16, v54
	s_waitcnt vmcnt(8)
	v_and_b32_sdwa v54, s37, v60 dst_sel:DWORD dst_unused:UNUSED_PAD src0_sel:DWORD src1_sel:BYTE_0
	v_cvt_pk_bf16_f32 v55, v55, s0
	v_cvt_f32_fp8_e32 v59, v59
	v_lshrrev_b16_e32 v60, 8, v60
	v_lshlrev_b32_e32 v55, 16, v55
	v_mul_f32_e32 v57, s35, v57
	v_cvt_f32_fp8_e32 v54, v54
	v_fmac_f32_e32 v47, v17, v55
	s_waitcnt vmcnt(7)
	v_and_b32_sdwa v55, s37, v61 dst_sel:DWORD dst_unused:UNUSED_PAD src0_sel:DWORD src1_sel:BYTE_0
	v_cvt_pk_bf16_f32 v57, v57, s0
	v_mul_f32_e32 v58, s35, v58
	v_cvt_f32_fp8_e32 v60, v60
	v_lshrrev_b16_e32 v61, 8, v61
	v_lshlrev_b32_e32 v57, 16, v57
	v_cvt_pk_bf16_f32 v58, v58, s0
	v_mul_f32_e32 v56, s35, v56
	v_cvt_f32_fp8_e32 v55, v55
	v_fmac_f32_e32 v46, v18, v57
	s_waitcnt vmcnt(6)
	v_and_b32_sdwa v57, s37, v48 dst_sel:DWORD dst_unused:UNUSED_PAD src0_sel:DWORD src1_sel:BYTE_0
	v_lshrrev_b16_e32 v48, 8, v48
	v_lshlrev_b32_e32 v58, 16, v58
	v_cvt_pk_bf16_f32 v56, v56, s0
	v_mul_f32_e32 v59, s35, v59
	v_cvt_f32_fp8_e32 v61, v61
	v_fmac_f32_e32 v47, v19, v58
	s_waitcnt vmcnt(5)
	v_and_b32_sdwa v58, s37, v49 dst_sel:DWORD dst_unused:UNUSED_PAD src0_sel:DWORD src1_sel:BYTE_0
	v_lshrrev_b16_e32 v49, 8, v49
	v_lshlrev_b32_e32 v56, 16, v56
	v_cvt_pk_bf16_f32 v59, v59, s0
	v_mul_f32_e32 v54, s35, v54
	v_cvt_f32_fp8_e32 v57, v57
	v_cvt_f32_fp8_e32 v48, v48
	v_fmac_f32_e32 v46, v20, v56
	s_waitcnt vmcnt(4)
	v_and_b32_sdwa v56, s37, v50 dst_sel:DWORD dst_unused:UNUSED_PAD src0_sel:DWORD src1_sel:BYTE_0
	v_lshrrev_b16_e32 v50, 8, v50
	v_lshlrev_b32_e32 v59, 16, v59
	v_cvt_pk_bf16_f32 v54, v54, s0
	v_mul_f32_e32 v60, s35, v60
	v_cvt_f32_fp8_e32 v58, v58
	;; [unrolled: 9-line block ×3, first 2 shown]
	v_cvt_f32_fp8_e32 v50, v50
	v_fmac_f32_e32 v46, v22, v54
	s_waitcnt vmcnt(2)
	v_and_b32_sdwa v54, s37, v52 dst_sel:DWORD dst_unused:UNUSED_PAD src0_sel:DWORD src1_sel:BYTE_0
	v_lshrrev_b16_e32 v52, 8, v52
	v_lshlrev_b32_e32 v60, 16, v60
	v_cvt_pk_bf16_f32 v55, v55, s0
	v_cvt_f32_fp8_e32 v59, v59
	v_cvt_f32_fp8_e32 v51, v51
	v_mul_f32_e32 v61, s35, v61
	v_fmac_f32_e32 v47, v23, v60
	s_waitcnt vmcnt(1)
	v_and_b32_sdwa v60, s37, v53 dst_sel:DWORD dst_unused:UNUSED_PAD src0_sel:DWORD src1_sel:BYTE_0
	v_lshrrev_b16_e32 v53, 8, v53
	v_lshlrev_b32_e32 v55, 16, v55
	v_cvt_f32_fp8_e32 v54, v54
	v_cvt_f32_fp8_e32 v52, v52
	v_mul_f32_e32 v57, s35, v57
	v_mul_f32_e32 v48, s35, v48
	v_cvt_pk_bf16_f32 v61, v61, s0
	v_fmac_f32_e32 v46, v24, v55
	s_waitcnt vmcnt(0)
	v_and_b32_sdwa v55, s37, v62 dst_sel:DWORD dst_unused:UNUSED_PAD src0_sel:DWORD src1_sel:BYTE_0
	v_lshrrev_b16_e32 v62, 8, v62
	v_cvt_f32_fp8_e32 v60, v60
	v_cvt_f32_fp8_e32 v53, v53
	v_mul_f32_e32 v58, s35, v58
	v_mul_f32_e32 v49, s35, v49
	v_cvt_pk_bf16_f32 v57, v57, s0
	v_cvt_pk_bf16_f32 v48, v48, s0
	v_lshlrev_b32_e32 v61, 16, v61
	v_cvt_f32_fp8_e32 v55, v55
	v_cvt_f32_fp8_e32 v62, v62
	v_mul_f32_e32 v56, s35, v56
	v_mul_f32_e32 v50, s35, v50
	v_cvt_pk_bf16_f32 v58, v58, s0
	v_cvt_pk_bf16_f32 v49, v49, s0
	v_lshlrev_b32_e32 v57, 16, v57
	v_lshlrev_b32_e32 v48, 16, v48
	v_fmac_f32_e32 v47, v25, v61
	v_mul_f32_e32 v59, s35, v59
	v_mul_f32_e32 v51, s35, v51
	v_cvt_pk_bf16_f32 v56, v56, s0
	v_cvt_pk_bf16_f32 v50, v50, s0
	v_lshlrev_b32_e32 v58, 16, v58
	v_lshlrev_b32_e32 v49, 16, v49
	v_fmac_f32_e32 v46, v26, v57
	v_fmac_f32_e32 v47, v27, v48
	v_mul_f32_e32 v54, s35, v54
	v_mul_f32_e32 v52, s35, v52
	v_cvt_pk_bf16_f32 v59, v59, s0
	v_cvt_pk_bf16_f32 v51, v51, s0
	v_lshlrev_b32_e32 v56, 16, v56
	v_fmac_f32_e32 v46, v28, v58
	v_fmac_f32_e32 v47, v29, v49
	v_lshlrev_b32_e32 v48, 16, v50
	v_mul_f32_e32 v60, s35, v60
	v_mul_f32_e32 v53, s35, v53
	v_cvt_pk_bf16_f32 v54, v54, s0
	v_cvt_pk_bf16_f32 v52, v52, s0
	v_fmac_f32_e32 v46, v30, v56
	v_fmac_f32_e32 v47, v31, v48
	v_lshlrev_b32_e32 v48, 16, v59
	v_lshlrev_b32_e32 v49, 16, v51
	v_mul_f32_e32 v55, s35, v55
	v_mul_f32_e32 v62, s35, v62
	v_cvt_pk_bf16_f32 v60, v60, s0
	v_cvt_pk_bf16_f32 v53, v53, s0
	v_fmac_f32_e32 v46, v32, v48
	v_fmac_f32_e32 v47, v33, v49
	v_lshlrev_b32_e32 v48, 16, v54
	v_lshlrev_b32_e32 v49, 16, v52
	v_cvt_pk_bf16_f32 v55, v55, s0
	v_cvt_pk_bf16_f32 v62, v62, s0
	v_fmac_f32_e32 v46, v34, v48
	v_fmac_f32_e32 v47, v35, v49
	v_lshlrev_b32_e32 v48, 16, v60
	v_lshlrev_b32_e32 v49, 16, v53
	v_fmac_f32_e32 v46, v36, v48
	v_fmac_f32_e32 v47, v38, v49
	v_lshlrev_b32_e32 v48, 16, v55
	v_lshlrev_b32_e32 v49, 16, v62
	v_fmac_f32_e32 v46, v39, v48
	v_fmac_f32_e32 v47, v40, v49
	v_add_f32_e32 v46, v46, v47
	ds_bpermute_b32 v47, v41, v46
	s_waitcnt lgkmcnt(0)
	v_add_f32_e32 v46, v46, v47
	ds_bpermute_b32 v47, v42, v46
	s_and_saveexec_b64 s[14:15], vcc
	s_cbranch_execz .LBB304_8
; %bb.10:                               ;   in Loop: Header=BB304_9 Depth=1
	v_add_u32_e32 v48, s36, v43
	v_cvt_f32_i32_e32 v48, v48
	s_waitcnt lgkmcnt(0)
	v_add_f32_e32 v46, v46, v47
	v_cmp_gt_i32_e64 s[0:1], s17, v43
	v_max_f32_e32 v47, v37, v37
	v_mul_f32_e32 v48, s28, v48
	v_cndmask_b32_e64 v48, 0, v48, s[2:3]
	v_fmac_f32_e32 v48, s29, v46
	v_cndmask_b32_e64 v46, 0, v48, s[0:1]
	ds_write_b32 v44, v46
	v_max_f32_e32 v46, v47, v48
	v_cndmask_b32_e64 v37, v37, v46, s[0:1]
	s_branch .LBB304_8
.LBB304_11:
	s_or_b64 exec, exec, s[8:9]
.LBB304_12:
	s_or_b64 exec, exec, s[30:31]
	v_xor_b32_e32 v2, 32, v7
	v_cmp_lt_i32_e32 vcc, v2, v8
	v_xor_b32_e32 v5, 16, v7
	v_max_f32_e32 v4, v37, v37
	v_cndmask_b32_e32 v2, v7, v2, vcc
	v_lshlrev_b32_e32 v2, 2, v2
	ds_bpermute_b32 v3, v2, v37
	v_cmp_lt_i32_e32 vcc, v5, v8
	v_xor_b32_e32 v10, 8, v7
	v_xor_b32_e32 v12, 4, v7
	s_waitcnt lgkmcnt(0)
	v_max_f32_e32 v3, v3, v3
	v_max_f32_e32 v4, v4, v3
	v_cndmask_b32_e32 v3, v7, v5, vcc
	v_lshlrev_b32_e32 v3, 2, v3
	ds_bpermute_b32 v5, v3, v4
	v_cmp_lt_i32_e32 vcc, v10, v8
	s_waitcnt lgkmcnt(0)
	v_max_f32_e32 v5, v5, v5
	v_max_f32_e32 v4, v4, v5
	v_cndmask_b32_e32 v5, v7, v10, vcc
	v_lshlrev_b32_e32 v11, 2, v5
	ds_bpermute_b32 v5, v11, v4
	v_cmp_lt_i32_e32 vcc, v12, v8
	s_waitcnt lgkmcnt(0)
	v_max_f32_e32 v5, v5, v5
	v_max_f32_e32 v10, v4, v5
	v_cndmask_b32_e32 v4, v7, v12, vcc
	v_lshlrev_b32_e32 v12, 2, v4
	ds_bpermute_b32 v13, v12, v10
	v_and_b32_e32 v4, 63, v0
	v_cmp_eq_u32_e32 vcc, 0, v4
	v_lshlrev_b32_e32 v5, 2, v1
	s_and_saveexec_b64 s[0:1], vcc
	s_cbranch_execz .LBB304_14
; %bb.13:
	s_waitcnt lgkmcnt(0)
	v_max_f32_e32 v13, v13, v13
	v_max_f32_e32 v10, v10, v10
	;; [unrolled: 1-line block ×3, first 2 shown]
	ds_write_b32 v5, v10 offset:240
.LBB304_14:
	s_or_b64 exec, exec, s[0:1]
	v_cmp_gt_u32_e64 s[0:1], 2, v4
	s_waitcnt lgkmcnt(0)
	v_mov_b32_e32 v13, 0xff7fffff
	v_lshlrev_b32_e32 v10, 2, v4
	s_barrier
	s_and_saveexec_b64 s[2:3], s[0:1]
; %bb.15:
	ds_read_b32 v13, v10 offset:240
; %bb.16:
	s_or_b64 exec, exec, s[2:3]
	v_xor_b32_e32 v14, 1, v7
	v_cmp_lt_i32_e64 s[2:3], v14, v8
	v_lshlrev_b32_e32 v9, 2, v9
	s_nop 0
	v_cndmask_b32_e64 v14, v7, v14, s[2:3]
	v_lshlrev_b32_e32 v26, 2, v14
	s_waitcnt lgkmcnt(0)
	ds_bpermute_b32 v14, v26, v13
	v_max_f32_e32 v13, v13, v13
	s_lshl_b32 s2, s19, 4
	s_min_i32 s30, s2, s17
	v_cmp_gt_i32_e64 s[2:3], s30, v0
	s_waitcnt lgkmcnt(0)
	v_max_f32_e32 v14, v14, v14
	v_max_f32_e32 v13, v13, v14
	ds_bpermute_b32 v13, v9, v13
	v_mov_b32_e32 v9, 0
	s_and_saveexec_b64 s[14:15], s[2:3]
	s_cbranch_execz .LBB304_20
; %bb.17:
	v_mov_b32_e32 v9, 0x100
	v_lshl_add_u32 v14, v0, 2, v9
	v_mov_b32_e32 v9, 0
	s_mov_b64 s[28:29], 0
	v_mov_b32_e32 v15, v0
.LBB304_18:                             ; =>This Inner Loop Header: Depth=1
	ds_read_b32 v16, v14
	v_add_u32_e32 v15, 0x80, v15
	v_cmp_le_i32_e64 s[8:9], s30, v15
	s_or_b64 s[28:29], s[8:9], s[28:29]
	s_waitcnt lgkmcnt(0)
	v_sub_f32_e32 v16, v16, v13
	v_mul_f32_e32 v16, 0x3fb8aa3b, v16
	v_exp_f32_e32 v16, v16
	ds_write_b32 v14, v16
	v_add_f32_e32 v9, v9, v16
	v_add_u32_e32 v14, 0x200, v14
	s_andn2_b64 exec, exec, s[28:29]
	s_cbranch_execnz .LBB304_18
; %bb.19:
	s_or_b64 exec, exec, s[28:29]
.LBB304_20:
	s_or_b64 exec, exec, s[14:15]
	ds_bpermute_b32 v2, v2, v9
	s_waitcnt lgkmcnt(0)
	v_add_f32_e32 v2, v9, v2
	ds_bpermute_b32 v3, v3, v2
	v_xor_b32_e32 v9, 2, v7
	v_cmp_lt_i32_e64 s[8:9], v9, v8
	s_waitcnt lgkmcnt(0)
	v_add_f32_e32 v2, v2, v3
	ds_bpermute_b32 v3, v11, v2
	v_cndmask_b32_e64 v8, v7, v9, s[8:9]
	s_waitcnt lgkmcnt(0)
	v_add_f32_e32 v2, v2, v3
	ds_bpermute_b32 v3, v12, v2
	s_waitcnt lgkmcnt(0)
	v_add_f32_e32 v2, v2, v3
	v_lshlrev_b32_e32 v3, 2, v8
	ds_bpermute_b32 v3, v3, v2
	s_waitcnt lgkmcnt(0)
	v_add_f32_e32 v2, v2, v3
	ds_bpermute_b32 v3, v26, v2
	s_waitcnt lgkmcnt(0)
	v_add_f32_e32 v2, v2, v3
	s_and_saveexec_b64 s[8:9], vcc
; %bb.21:
	ds_write_b32 v5, v2 offset:248
; %bb.22:
	s_or_b64 exec, exec, s[8:9]
	s_waitcnt lgkmcnt(0)
	s_barrier
	s_and_saveexec_b64 s[8:9], s[0:1]
; %bb.23:
	ds_read_b32 v2, v10 offset:248
; %bb.24:
	s_or_b64 exec, exec, s[8:9]
	s_waitcnt lgkmcnt(0)
	ds_bpermute_b32 v3, v26, v2
	v_lshlrev_b32_e32 v5, 2, v7
	s_waitcnt lgkmcnt(0)
	v_add_f32_e32 v2, v2, v3
	v_and_b32_e32 v3, 0xffffff00, v5
	ds_bpermute_b32 v2, v3, v2
	s_and_saveexec_b64 s[0:1], s[2:3]
	s_cbranch_execz .LBB304_37
; %bb.25:
	s_waitcnt lgkmcnt(0)
	v_add_f32_e32 v2, 0x358637bd, v2
	v_div_scale_f32 v3, s[2:3], v2, v2, 1.0
	v_rcp_f32_e32 v5, v3
	v_div_scale_f32 v7, vcc, 1.0, v2, 1.0
	s_movk_i32 s2, 0x7f
	v_fma_f32 v8, -v3, v5, 1.0
	v_fmac_f32_e32 v5, v8, v5
	v_mul_f32_e32 v8, v7, v5
	v_fma_f32 v9, -v3, v8, v7
	v_fmac_f32_e32 v8, v9, v5
	v_fma_f32 v3, -v3, v8, v7
	v_div_fmas_f32 v3, v3, v5, v8
	v_xad_u32 v5, v0, -1, s30
	v_div_fixup_f32 v2, v3, v2, 1.0
	v_cmp_lt_u32_e32 vcc, s2, v5
	s_mov_b64 s[8:9], -1
	v_mov_b32_e32 v3, v0
	s_and_saveexec_b64 s[2:3], vcc
	s_cbranch_execz .LBB304_34
; %bb.26:
	v_lshrrev_b32_e32 v5, 7, v5
	v_add_u32_e32 v8, -1, v5
	v_lshrrev_b32_e32 v7, 1, v8
	v_mov_b32_e32 v3, v2
	v_add_u32_e32 v7, 1, v7
	v_cmp_lt_u32_e32 vcc, 13, v8
	v_mov_b32_e32 v10, 0
	s_and_saveexec_b64 s[8:9], vcc
	s_cbranch_execz .LBB304_30
; %bb.27:
	v_mov_b32_e32 v9, 0x100
	v_and_b32_e32 v8, -8, v7
	v_lshl_add_u32 v9, v0, 2, v9
	s_mov_b32 s28, 0
	s_mov_b64 s[14:15], 0
.LBB304_28:                             ; =>This Inner Loop Header: Depth=1
	ds_read2st64_b32 v[10:11], v9 offset1:2
	ds_read2st64_b32 v[12:13], v9 offset0:4 offset1:6
	ds_read2st64_b32 v[14:15], v9 offset0:8 offset1:10
	;; [unrolled: 1-line block ×3, first 2 shown]
	v_add_u32_e32 v8, -8, v8
	s_waitcnt lgkmcnt(3)
	v_pk_mul_f32 v[10:11], v[2:3], v[10:11]
	s_waitcnt lgkmcnt(2)
	v_pk_mul_f32 v[12:13], v[2:3], v[12:13]
	ds_write2st64_b32 v9, v10, v11 offset1:2
	ds_write2st64_b32 v9, v12, v13 offset0:4 offset1:6
	ds_read2st64_b32 v[12:13], v9 offset0:16 offset1:18
	s_waitcnt lgkmcnt(4)
	v_pk_mul_f32 v[10:11], v[2:3], v[14:15]
	ds_write2st64_b32 v9, v10, v11 offset0:8 offset1:10
	s_waitcnt lgkmcnt(4)
	v_pk_mul_f32 v[10:11], v[2:3], v[16:17]
	ds_write2st64_b32 v9, v10, v11 offset0:12 offset1:14
	ds_read2st64_b32 v[10:11], v9 offset0:20 offset1:22
	s_waitcnt lgkmcnt(3)
	v_pk_mul_f32 v[12:13], v[2:3], v[12:13]
	ds_read2st64_b32 v[14:15], v9 offset0:24 offset1:26
	ds_write2st64_b32 v9, v12, v13 offset0:16 offset1:18
	ds_read2st64_b32 v[12:13], v9 offset0:28 offset1:30
	s_waitcnt lgkmcnt(3)
	v_pk_mul_f32 v[10:11], v[2:3], v[10:11]
	ds_write2st64_b32 v9, v10, v11 offset0:20 offset1:22
	s_waitcnt lgkmcnt(3)
	v_pk_mul_f32 v[10:11], v[2:3], v[14:15]
	ds_write2st64_b32 v9, v10, v11 offset0:24 offset1:26
	s_waitcnt lgkmcnt(2)
	v_pk_mul_f32 v[10:11], v[2:3], v[12:13]
	s_add_i32 s28, s28, 16
	v_cmp_eq_u32_e32 vcc, 0, v8
	ds_write2st64_b32 v9, v10, v11 offset0:28 offset1:30
	v_add_u32_e32 v9, 0x2000, v9
	s_or_b64 s[14:15], vcc, s[14:15]
	v_mov_b32_e32 v10, s28
	s_andn2_b64 exec, exec, s[14:15]
	s_cbranch_execnz .LBB304_28
; %bb.29:
	s_or_b64 exec, exec, s[14:15]
.LBB304_30:
	s_or_b64 exec, exec, s[8:9]
	v_and_b32_e32 v7, 7, v7
	v_cmp_ne_u32_e32 vcc, 0, v7
	s_and_saveexec_b64 s[8:9], vcc
	s_cbranch_execz .LBB304_33
; %bb.31:
	v_lshlrev_b32_e32 v8, 9, v10
	v_lshlrev_b32_e32 v9, 2, v0
	s_movk_i32 s14, 0x100
	v_add3_u32 v8, v8, v9, s14
	s_mov_b64 s[14:15], 0
.LBB304_32:                             ; =>This Inner Loop Header: Depth=1
	ds_read2st64_b32 v[10:11], v8 offset1:2
	v_add_u32_e32 v7, -1, v7
	v_cmp_eq_u32_e32 vcc, 0, v7
	s_or_b64 s[14:15], vcc, s[14:15]
	s_waitcnt lgkmcnt(0)
	v_pk_mul_f32 v[10:11], v[2:3], v[10:11]
	ds_write2st64_b32 v8, v10, v11 offset1:2
	v_add_u32_e32 v8, 0x400, v8
	s_andn2_b64 exec, exec, s[14:15]
	s_cbranch_execnz .LBB304_32
.LBB304_33:
	s_or_b64 exec, exec, s[8:9]
	v_add_u32_e32 v5, 1, v5
	v_and_b32_e32 v7, 0x3fffffe, v5
	v_cmp_ne_u32_e32 vcc, v5, v7
	v_lshl_add_u32 v3, v7, 7, v0
	s_orn2_b64 s[8:9], vcc, exec
.LBB304_34:
	s_or_b64 exec, exec, s[2:3]
	s_and_b64 exec, exec, s[8:9]
	s_cbranch_execz .LBB304_37
; %bb.35:
	v_mov_b32_e32 v5, 0x100
	v_lshl_add_u32 v5, v3, 2, v5
	s_mov_b64 s[2:3], 0
.LBB304_36:                             ; =>This Inner Loop Header: Depth=1
	ds_read_b32 v7, v5
	v_add_u32_e32 v3, 0x80, v3
	v_cmp_le_i32_e32 vcc, s30, v3
	s_or_b64 s[2:3], vcc, s[2:3]
	s_waitcnt lgkmcnt(0)
	v_mul_f32_e32 v7, v2, v7
	ds_write_b32 v5, v7
	v_add_u32_e32 v5, 0x200, v5
	s_andn2_b64 exec, exec, s[2:3]
	s_cbranch_execnz .LBB304_36
.LBB304_37:
	s_or_b64 exec, exec, s[0:1]
	v_lshrrev_b32_e32 v27, 1, v4
	s_waitcnt lgkmcnt(0)
	s_barrier
	s_and_saveexec_b64 s[0:1], s[6:7]
	s_xor_b64 s[0:1], exec, s[0:1]
; %bb.38:
	v_lshrrev_b32_e32 v27, 1, v4
                                        ; implicit-def: $vgpr1
                                        ; implicit-def: $vgpr6
; %bb.39:
	s_or_saveexec_b64 s[6:7], s[0:1]
	v_mov_b32_e32 v11, 0
	v_and_b32_e32 v28, 1, v0
	v_mov_b32_e32 v10, 0
	v_mov_b32_e32 v13, 0
	;; [unrolled: 1-line block ×3, first 2 shown]
	s_xor_b64 exec, exec, s[6:7]
	s_cbranch_execz .LBB304_53
; %bb.40:
	v_lshlrev_b32_e32 v2, 3, v0
	v_and_b32_e32 v2, 8, v2
	s_ashr_i32 s1, s33, 31
	v_or_b32_e32 v3, 0x60, v27
	s_movk_i32 s2, 0x78
	s_add_u32 s0, s26, s33
	s_load_dword s15, s[10:11], 0x0
	v_cmp_gt_u32_e32 vcc, s2, v3
	v_lshl_or_b32 v16, v3, 4, v2
	v_lshlrev_b32_e32 v3, 4, v1
	s_addc_u32 s1, s27, s1
	s_add_i32 s14, s19, -1
	v_lshl_or_b32 v14, v27, 4, v2
	v_or3_b32 v29, v3, v2, 7
	v_lshlrev_b32_e32 v2, 5, v28
	s_lshl_b64 s[2:3], s[24:25], 2
	v_mov_b32_e32 v15, 0
	v_lshl_or_b32 v2, v1, 6, v2
	s_add_u32 s2, s22, s2
	v_add_u32_e32 v30, 0x100, v2
	v_and_b32_e32 v2, 60, v6
	v_mov_b32_e32 v3, v15
	s_addc_u32 s3, s23, s3
	v_mov_b32_e32 v17, v15
	v_lshl_add_u64 v[18:19], s[2:3], 0, v[2:3]
	s_mov_b64 s[8:9], 0
	v_mov_b64_e32 v[20:21], s[0:1]
	v_mov_b32_e32 v11, v15
	v_mov_b32_e32 v10, v15
	;; [unrolled: 1-line block ×4, first 2 shown]
	s_branch .LBB304_43
.LBB304_41:                             ;   in Loop: Header=BB304_43 Depth=1
	s_or_b64 exec, exec, s[10:11]
	v_and_b32_e32 v40, 0xffff0000, v7
	v_lshlrev_b32_e32 v55, 16, v55
	v_mul_f32_e32 v40, v40, v55
	v_lshlrev_b32_e32 v55, 16, v7
	v_lshlrev_b32_e32 v54, 16, v54
	v_mul_f32_e32 v54, v55, v54
	v_and_b32_e32 v55, 0xffff0000, v6
	v_lshlrev_b32_e32 v23, 16, v23
	v_mul_f32_e32 v23, v55, v23
	v_lshlrev_b32_e32 v55, 16, v6
	v_lshlrev_b32_e32 v22, 16, v22
	v_mul_f32_e32 v22, v55, v22
	;; [unrolled: 6-line block ×3, first 2 shown]
	v_and_b32_e32 v55, 0xffff0000, v2
	v_lshlrev_b32_e32 v5, 16, v5
	v_cvt_pk_bf16_f32 v40, v40, s0
	v_cvt_pk_bf16_f32 v54, v54, s0
	;; [unrolled: 1-line block ×4, first 2 shown]
	v_mul_f32_e32 v5, v55, v5
	v_lshlrev_b32_e32 v55, 16, v2
	v_lshlrev_b32_e32 v4, 16, v4
	v_cvt_pk_bf16_f32 v9, v9, s0
	v_cvt_pk_bf16_f32 v8, v8, s0
	v_mul_f32_e32 v4, v55, v4
	v_lshlrev_b32_e32 v54, 16, v54
	v_lshlrev_b32_e32 v40, 16, v40
	;; [unrolled: 1-line block ×4, first 2 shown]
	v_cvt_pk_bf16_f32 v5, v5, s0
	v_cvt_pk_bf16_f32 v4, v4, s0
	v_lshlrev_b32_e32 v8, 16, v8
	v_lshlrev_b32_e32 v9, 16, v9
	v_add_f32_e32 v40, v40, v54
	v_add_f32_e32 v22, v23, v22
	v_lshlrev_b32_e32 v4, 16, v4
	v_lshlrev_b32_e32 v5, 16, v5
	v_add_f32_e32 v22, v22, v40
	v_add_f32_e32 v8, v9, v8
	;; [unrolled: 1-line block ×6, first 2 shown]
.LBB304_42:                             ;   in Loop: Header=BB304_43 Depth=1
	s_or_b64 exec, exec, s[2:3]
	v_and_b32_e32 v4, 0xffff0000, v7
	v_lshlrev_b32_e32 v5, 16, v53
	v_lshlrev_b32_e32 v7, 16, v7
	;; [unrolled: 1-line block ×3, first 2 shown]
	v_mul_f32_e32 v5, v4, v5
	v_mul_f32_e32 v8, v7, v8
	v_and_b32_e32 v9, 0xffff0000, v6
	v_lshlrev_b32_e32 v22, 16, v51
	v_lshlrev_b32_e32 v6, 16, v6
	;; [unrolled: 1-line block ×3, first 2 shown]
	v_cvt_pk_bf16_f32 v5, v5, s0
	v_cvt_pk_bf16_f32 v8, v8, s0
	v_mul_f32_e32 v22, v9, v22
	v_mul_f32_e32 v23, v6, v23
	v_cvt_pk_bf16_f32 v22, v22, s0
	v_cvt_pk_bf16_f32 v23, v23, s0
	v_and_b32_e32 v40, 0xffff0000, v3
	v_lshlrev_b32_e32 v49, 16, v49
	v_lshlrev_b32_e32 v3, 16, v3
	;; [unrolled: 1-line block ×5, first 2 shown]
	v_mul_f32_e32 v49, v40, v49
	v_mul_f32_e32 v48, v3, v48
	v_add_f32_e32 v5, v8, v5
	v_lshlrev_b32_e32 v8, 16, v23
	v_lshlrev_b32_e32 v22, 16, v22
	v_cvt_pk_bf16_f32 v49, v49, s0
	v_cvt_pk_bf16_f32 v48, v48, s0
	v_and_b32_e32 v50, 0xffff0000, v2
	v_lshlrev_b32_e32 v25, 16, v25
	v_lshlrev_b32_e32 v2, 16, v2
	;; [unrolled: 1-line block ×3, first 2 shown]
	v_add_f32_e32 v8, v8, v22
	v_mul_f32_e32 v25, v50, v25
	v_mul_f32_e32 v24, v2, v24
	v_add_f32_e32 v5, v8, v5
	v_lshlrev_b32_e32 v8, 16, v48
	v_lshlrev_b32_e32 v22, 16, v49
	v_cvt_pk_bf16_f32 v25, v25, s0
	v_cvt_pk_bf16_f32 v24, v24, s0
	v_add_f32_e32 v8, v8, v22
	v_add_f32_e32 v5, v8, v5
	v_lshlrev_b32_e32 v8, 16, v24
	v_lshlrev_b32_e32 v22, 16, v25
	v_add_f32_e32 v8, v8, v22
	v_add_f32_e32 v5, v8, v5
	;; [unrolled: 1-line block ×3, first 2 shown]
	v_lshlrev_b32_e32 v5, 16, v47
	v_lshlrev_b32_e32 v8, 16, v46
	v_mul_f32_e32 v5, v4, v5
	v_mul_f32_e32 v8, v7, v8
	v_lshlrev_b32_e32 v22, 16, v45
	v_lshlrev_b32_e32 v23, 16, v44
	v_cvt_pk_bf16_f32 v5, v5, s0
	v_cvt_pk_bf16_f32 v8, v8, s0
	v_mul_f32_e32 v22, v9, v22
	v_mul_f32_e32 v23, v6, v23
	v_cvt_pk_bf16_f32 v22, v22, s0
	v_cvt_pk_bf16_f32 v23, v23, s0
	v_lshlrev_b32_e32 v24, 16, v43
	v_lshlrev_b32_e32 v25, 16, v42
	;; [unrolled: 1-line block ×4, first 2 shown]
	v_mul_f32_e32 v24, v40, v24
	v_mul_f32_e32 v25, v3, v25
	v_add_f32_e32 v5, v8, v5
	v_lshlrev_b32_e32 v8, 16, v23
	v_lshlrev_b32_e32 v22, 16, v22
	v_cvt_pk_bf16_f32 v24, v24, s0
	v_cvt_pk_bf16_f32 v25, v25, s0
	v_lshlrev_b32_e32 v41, 16, v41
	v_lshlrev_b32_e32 v39, 16, v39
	v_add_f32_e32 v8, v8, v22
	v_mul_f32_e32 v41, v50, v41
	v_mul_f32_e32 v39, v2, v39
	v_add_f32_e32 v5, v8, v5
	v_lshlrev_b32_e32 v8, 16, v25
	v_lshlrev_b32_e32 v22, 16, v24
	v_cvt_pk_bf16_f32 v41, v41, s0
	v_cvt_pk_bf16_f32 v39, v39, s0
	v_add_f32_e32 v8, v8, v22
	v_add_f32_e32 v5, v8, v5
	v_lshlrev_b32_e32 v8, 16, v39
	v_lshlrev_b32_e32 v22, 16, v41
	v_add_f32_e32 v8, v8, v22
	v_add_f32_e32 v5, v8, v5
	v_add_f32_e32 v13, v13, v5
	v_lshlrev_b32_e32 v5, 16, v38
	v_mul_f32_e32 v4, v4, v5
	v_lshlrev_b32_e32 v5, 16, v37
	v_mul_f32_e32 v5, v7, v5
	v_lshlrev_b32_e32 v7, 16, v36
	v_lshlrev_b32_e32 v8, 16, v35
	v_cvt_pk_bf16_f32 v4, v4, s0
	v_cvt_pk_bf16_f32 v5, v5, s0
	v_mul_f32_e32 v7, v9, v7
	v_mul_f32_e32 v6, v6, v8
	v_cvt_pk_bf16_f32 v7, v7, s0
	v_cvt_pk_bf16_f32 v6, v6, s0
	v_lshlrev_b32_e32 v8, 16, v34
	v_lshlrev_b32_e32 v9, 16, v33
	v_lshlrev_b32_e32 v5, 16, v5
	v_lshlrev_b32_e32 v4, 16, v4
	v_mul_f32_e32 v8, v40, v8
	v_mul_f32_e32 v3, v3, v9
	v_add_f32_e32 v4, v5, v4
	v_lshlrev_b32_e32 v5, 16, v6
	v_lshlrev_b32_e32 v6, 16, v7
	v_cvt_pk_bf16_f32 v8, v8, s0
	v_cvt_pk_bf16_f32 v3, v3, s0
	v_lshlrev_b32_e32 v9, 16, v32
	v_lshlrev_b32_e32 v22, 16, v31
	v_add_f32_e32 v5, v5, v6
	v_mul_f32_e32 v9, v50, v9
	v_mul_f32_e32 v2, v2, v22
	v_add_f32_e32 v4, v5, v4
	v_lshlrev_b32_e32 v3, 16, v3
	v_lshlrev_b32_e32 v5, 16, v8
	v_cvt_pk_bf16_f32 v9, v9, s0
	v_cvt_pk_bf16_f32 v2, v2, s0
	v_add_f32_e32 v3, v3, v5
	v_add_f32_e32 v3, v3, v4
	v_lshlrev_b32_e32 v2, 16, v2
	v_lshlrev_b32_e32 v4, 16, v9
	v_add_f32_e32 v2, v2, v4
	v_add_u32_e32 v1, 2, v1
	v_add_f32_e32 v2, v2, v3
	v_cmp_le_i32_e64 s[0:1], s19, v1
	v_add_f32_e32 v12, v12, v2
	v_add_u32_e32 v29, 32, v29
	v_add_u32_e32 v30, 0x80, v30
	s_or_b64 s[8:9], s[0:1], s[8:9]
	v_lshl_add_u64 v[18:19], v[18:19], 0, 8
	s_andn2_b64 exec, exec, s[8:9]
	s_cbranch_execz .LBB304_52
.LBB304_43:                             ; =>This Inner Loop Header: Depth=1
	global_load_dword v2, v[18:19], off
	v_add_u32_e32 v40, -7, v29
	s_waitcnt vmcnt(0)
	v_mad_i64_i32 v[22:23], s[0:1], v2, s13, v[20:21]
	v_lshl_add_u64 v[24:25], v[22:23], 0, v[14:15]
	global_load_dwordx2 v[32:33], v[24:25], off
	ds_read2_b64 v[6:9], v30 offset1:1
	ds_read2_b64 v[2:5], v30 offset0:2 offset1:3
	v_cmp_eq_u32_e64 s[0:1], s14, v1
	s_waitcnt vmcnt(0)
	v_and_b32_e32 v31, 0xff, v32
	v_bfe_u32 v34, v32, 8, 8
	v_bfe_u32 v35, v32, 16, 8
	v_lshrrev_b32_e32 v32, 24, v32
	v_and_b32_e32 v36, 0xff, v33
	v_bfe_u32 v37, v33, 8, 8
	v_bfe_u32 v38, v33, 16, 8
	v_lshrrev_b32_e32 v33, 24, v33
	v_cvt_f32_fp8_e32 v31, v31
	v_cvt_f32_fp8_e32 v34, v34
	;; [unrolled: 1-line block ×8, first 2 shown]
	s_waitcnt lgkmcnt(0)
	v_mul_f32_e32 v31, s15, v31
	v_mul_f32_e32 v34, s15, v34
	;; [unrolled: 1-line block ×8, first 2 shown]
	v_cvt_pk_bf16_f32 v37, v31, s0
	v_cvt_pk_bf16_f32 v38, v34, s0
	;; [unrolled: 1-line block ×8, first 2 shown]
	s_and_saveexec_b64 s[10:11], s[0:1]
	s_cbranch_execz .LBB304_45
; %bb.44:                               ;   in Loop: Header=BB304_43 Depth=1
	v_cmp_gt_i32_e64 s[2:3], s17, v40
	v_add_u32_e32 v39, -6, v29
	s_nop 0
	v_cndmask_b32_e64 v37, 0, v37, s[2:3]
	v_cmp_gt_i32_e64 s[2:3], s17, v39
	v_add_u32_e32 v39, -5, v29
	s_nop 0
	v_cndmask_b32_e64 v38, 0, v38, s[2:3]
	;; [unrolled: 4-line block ×6, first 2 shown]
	v_cmp_gt_i32_e64 s[2:3], s17, v39
	s_nop 1
	v_cndmask_b32_e64 v31, 0, v31, s[2:3]
	v_cmp_gt_i32_e64 s[2:3], s17, v29
	s_nop 1
	v_cndmask_b32_e64 v32, 0, v32, s[2:3]
.LBB304_45:                             ;   in Loop: Header=BB304_43 Depth=1
	s_or_b64 exec, exec, s[10:11]
	global_load_dwordx2 v[42:43], v[24:25], off offset:512
	s_waitcnt vmcnt(0)
	v_and_b32_e32 v39, 0xff, v42
	v_bfe_u32 v41, v42, 8, 8
	v_bfe_u32 v44, v42, 16, 8
	v_lshrrev_b32_e32 v42, 24, v42
	v_and_b32_e32 v45, 0xff, v43
	v_bfe_u32 v46, v43, 8, 8
	v_bfe_u32 v47, v43, 16, 8
	v_lshrrev_b32_e32 v43, 24, v43
	v_cvt_f32_fp8_e32 v39, v39
	v_cvt_f32_fp8_e32 v41, v41
	;; [unrolled: 1-line block ×8, first 2 shown]
	v_mul_f32_e32 v39, s15, v39
	v_mul_f32_e32 v41, s15, v41
	;; [unrolled: 1-line block ×8, first 2 shown]
	v_cvt_pk_bf16_f32 v46, v39, s0
	v_cvt_pk_bf16_f32 v47, v41, s0
	;; [unrolled: 1-line block ×8, first 2 shown]
	s_and_saveexec_b64 s[10:11], s[0:1]
	s_cbranch_execz .LBB304_47
; %bb.46:                               ;   in Loop: Header=BB304_43 Depth=1
	v_cmp_gt_i32_e64 s[2:3], s17, v40
	v_add_u32_e32 v48, -6, v29
	s_nop 0
	v_cndmask_b32_e64 v46, 0, v46, s[2:3]
	v_cmp_gt_i32_e64 s[2:3], s17, v48
	v_add_u32_e32 v48, -5, v29
	s_nop 0
	v_cndmask_b32_e64 v47, 0, v47, s[2:3]
	;; [unrolled: 4-line block ×6, first 2 shown]
	v_cmp_gt_i32_e64 s[2:3], s17, v48
	s_nop 1
	v_cndmask_b32_e64 v39, 0, v39, s[2:3]
	v_cmp_gt_i32_e64 s[2:3], s17, v29
	s_nop 1
	v_cndmask_b32_e64 v41, 0, v41, s[2:3]
.LBB304_47:                             ;   in Loop: Header=BB304_43 Depth=1
	s_or_b64 exec, exec, s[10:11]
	global_load_dwordx2 v[24:25], v[24:25], off offset:1024
	s_waitcnt vmcnt(0)
	v_and_b32_e32 v48, 0xff, v24
	v_bfe_u32 v49, v24, 8, 8
	v_bfe_u32 v50, v24, 16, 8
	v_lshrrev_b32_e32 v24, 24, v24
	v_and_b32_e32 v51, 0xff, v25
	v_bfe_u32 v52, v25, 8, 8
	v_bfe_u32 v53, v25, 16, 8
	v_lshrrev_b32_e32 v25, 24, v25
	v_cvt_f32_fp8_e32 v48, v48
	v_cvt_f32_fp8_e32 v49, v49
	;; [unrolled: 1-line block ×8, first 2 shown]
	v_mul_f32_e32 v48, s15, v48
	v_mul_f32_e32 v49, s15, v49
	;; [unrolled: 1-line block ×8, first 2 shown]
	v_cvt_pk_bf16_f32 v52, v48, s0
	v_cvt_pk_bf16_f32 v53, v49, s0
	;; [unrolled: 1-line block ×8, first 2 shown]
	s_and_saveexec_b64 s[10:11], s[0:1]
	s_cbranch_execz .LBB304_49
; %bb.48:                               ;   in Loop: Header=BB304_43 Depth=1
	v_cmp_gt_i32_e64 s[2:3], s17, v40
	v_add_u32_e32 v54, -6, v29
	s_nop 0
	v_cndmask_b32_e64 v52, 0, v52, s[2:3]
	v_cmp_gt_i32_e64 s[2:3], s17, v54
	v_add_u32_e32 v54, -5, v29
	s_nop 0
	v_cndmask_b32_e64 v53, 0, v53, s[2:3]
	;; [unrolled: 4-line block ×6, first 2 shown]
	v_cmp_gt_i32_e64 s[2:3], s17, v54
	s_nop 1
	v_cndmask_b32_e64 v24, 0, v24, s[2:3]
	v_cmp_gt_i32_e64 s[2:3], s17, v29
	s_nop 1
	v_cndmask_b32_e64 v25, 0, v25, s[2:3]
.LBB304_49:                             ;   in Loop: Header=BB304_43 Depth=1
	s_or_b64 exec, exec, s[10:11]
	v_cvt_pk_bf16_f32 v7, v6, v7
	v_cvt_pk_bf16_f32 v6, v8, v9
	;; [unrolled: 1-line block ×4, first 2 shown]
	s_and_saveexec_b64 s[2:3], vcc
	s_cbranch_execz .LBB304_42
; %bb.50:                               ;   in Loop: Header=BB304_43 Depth=1
	v_lshl_add_u64 v[4:5], v[22:23], 0, v[16:17]
	global_load_dwordx2 v[4:5], v[4:5], off
	s_waitcnt vmcnt(0)
	v_and_b32_e32 v8, 0xff, v4
	v_bfe_u32 v9, v4, 8, 8
	v_bfe_u32 v22, v4, 16, 8
	v_lshrrev_b32_e32 v4, 24, v4
	v_and_b32_e32 v23, 0xff, v5
	v_bfe_u32 v54, v5, 8, 8
	v_bfe_u32 v55, v5, 16, 8
	v_lshrrev_b32_e32 v5, 24, v5
	v_cvt_f32_fp8_e32 v8, v8
	v_cvt_f32_fp8_e32 v9, v9
	;; [unrolled: 1-line block ×8, first 2 shown]
	v_mul_f32_e32 v8, s15, v8
	v_mul_f32_e32 v9, s15, v9
	;; [unrolled: 1-line block ×8, first 2 shown]
	v_cvt_pk_bf16_f32 v54, v8, s0
	v_cvt_pk_bf16_f32 v55, v9, s0
	;; [unrolled: 1-line block ×8, first 2 shown]
	s_and_saveexec_b64 s[10:11], s[0:1]
	s_cbranch_execz .LBB304_41
; %bb.51:                               ;   in Loop: Header=BB304_43 Depth=1
	v_cmp_gt_i32_e64 s[0:1], s17, v40
	v_add_u32_e32 v40, -6, v29
	s_nop 0
	v_cndmask_b32_e64 v54, 0, v54, s[0:1]
	v_cmp_gt_i32_e64 s[0:1], s17, v40
	v_add_u32_e32 v40, -5, v29
	s_nop 0
	v_cndmask_b32_e64 v55, 0, v55, s[0:1]
	;; [unrolled: 4-line block ×6, first 2 shown]
	v_cmp_gt_i32_e64 s[0:1], s17, v40
	s_nop 1
	v_cndmask_b32_e64 v4, 0, v4, s[0:1]
	v_cmp_gt_i32_e64 s[0:1], s17, v29
	s_nop 1
	v_cndmask_b32_e64 v5, 0, v5, s[0:1]
	s_branch .LBB304_41
.LBB304_52:
	s_or_b64 exec, exec, s[8:9]
.LBB304_53:
	s_or_b64 exec, exec, s[6:7]
	ds_bpermute_b32 v2, v26, v12
	ds_bpermute_b32 v3, v26, v13
	;; [unrolled: 1-line block ×4, first 2 shown]
	v_and_b32_e32 v1, 0x3c0, v0
	v_cmp_eq_u32_e64 s[0:1], 64, v1
	s_waitcnt lgkmcnt(2)
	v_pk_add_f32 v[4:5], v[12:13], v[2:3]
	v_cmp_eq_u32_e32 vcc, 0, v28
	s_waitcnt lgkmcnt(0)
	v_pk_add_f32 v[2:3], v[10:11], v[6:7]
	s_barrier
	s_and_saveexec_b64 s[2:3], s[0:1]
	s_cbranch_execz .LBB304_58
; %bb.54:
	s_and_saveexec_b64 s[0:1], vcc
	s_cbranch_execz .LBB304_56
; %bb.55:
	v_mov_b32_e32 v1, 0x100
	v_lshl_add_u32 v1, v27, 2, v1
	ds_write2_b32 v1, v4, v5 offset1:32
	ds_write_b32 v1, v2 offset:256
.LBB304_56:
	s_or_b64 exec, exec, s[0:1]
	v_or_b32_e32 v1, 0x60, v27
	s_movk_i32 s0, 0x78
	v_cmp_gt_u32_e64 s[0:1], s0, v1
	s_and_b64 s[0:1], vcc, s[0:1]
	s_and_b64 exec, exec, s[0:1]
; %bb.57:
	v_mov_b32_e32 v1, 0x100
	v_lshl_add_u32 v1, v27, 2, v1
	ds_write_b32 v1, v3 offset:384
.LBB304_58:
	s_or_b64 exec, exec, s[2:3]
	v_cmp_gt_u32_e64 s[0:1], 64, v0
	v_lshrrev_b32_e32 v0, 1, v0
	s_waitcnt lgkmcnt(0)
	s_barrier
	s_and_saveexec_b64 s[6:7], s[0:1]
	s_cbranch_execz .LBB304_68
; %bb.59:
	s_and_saveexec_b64 s[2:3], vcc
	s_cbranch_execz .LBB304_61
; %bb.60:
	v_mov_b32_e32 v1, 0x100
	v_lshl_add_u32 v1, v0, 2, v1
	ds_read_b32 v1, v1
	s_waitcnt lgkmcnt(0)
	v_add_f32_e32 v4, v4, v1
.LBB304_61:
	s_or_b64 exec, exec, s[2:3]
	v_or_b32_e32 v1, 32, v0
	s_movk_i32 s8, 0x78
	v_cmp_gt_u32_e64 s[2:3], s8, v1
	s_and_b64 s[10:11], vcc, s[2:3]
	s_and_saveexec_b64 s[2:3], s[10:11]
	s_cbranch_execz .LBB304_63
; %bb.62:
	v_mov_b32_e32 v1, 0x100
	v_lshl_add_u32 v1, v0, 2, v1
	ds_read_b32 v1, v1 offset:128
	s_waitcnt lgkmcnt(0)
	v_add_f32_e32 v5, v5, v1
.LBB304_63:
	s_or_b64 exec, exec, s[2:3]
	v_or_b32_e32 v1, 64, v0
	v_cmp_gt_u32_e64 s[2:3], s8, v1
	s_and_b64 s[8:9], vcc, s[2:3]
	s_and_saveexec_b64 s[2:3], s[8:9]
	s_cbranch_execz .LBB304_65
; %bb.64:
	v_mov_b32_e32 v1, 0x100
	v_lshl_add_u32 v1, v0, 2, v1
	ds_read_b32 v1, v1 offset:256
	s_waitcnt lgkmcnt(0)
	v_add_f32_e32 v2, v2, v1
.LBB304_65:
	s_or_b64 exec, exec, s[2:3]
	v_or_b32_e32 v1, 0x60, v0
	s_movk_i32 s2, 0x78
	v_cmp_gt_u32_e64 s[2:3], s2, v1
	s_and_b64 s[8:9], vcc, s[2:3]
	s_and_saveexec_b64 s[2:3], s[8:9]
	s_cbranch_execz .LBB304_67
; %bb.66:
	v_mov_b32_e32 v1, 0x100
	v_lshl_add_u32 v1, v0, 2, v1
	ds_read_b32 v1, v1 offset:384
	s_waitcnt lgkmcnt(0)
	v_add_f32_e32 v3, v3, v1
.LBB304_67:
	s_or_b64 exec, exec, s[2:3]
.LBB304_68:
	s_or_b64 exec, exec, s[6:7]
	s_barrier
	s_and_saveexec_b64 s[2:3], s[0:1]
	s_cbranch_execz .LBB304_77
; %bb.69:
	s_mul_i32 s0, s16, s12
	s_mul_i32 s0, s0, s5
	s_mulk_i32 s0, 0x78
	s_ashr_i32 s1, s0, 31
	s_lshl_b64 s[0:1], s[0:1], 1
	s_add_u32 s2, s20, s0
	s_mul_i32 s0, s12, s18
	s_addc_u32 s3, s21, s1
	s_ashr_i32 s1, s0, 31
	s_lshl_b64 s[0:1], s[0:1], 1
	s_add_u32 s2, s2, s0
	s_mul_i32 s0, s4, 0x78
	s_addc_u32 s3, s3, s1
	s_ashr_i32 s1, s0, 31
	s_lshl_b64 s[0:1], s[0:1], 1
	s_add_u32 s2, s2, s0
	s_movk_i32 s5, 0x78
	s_addc_u32 s3, s3, s1
	v_lshlrev_b32_e32 v1, 1, v0
	s_and_saveexec_b64 s[0:1], vcc
	s_cbranch_execz .LBB304_71
; %bb.70:
	v_cvt_pk_bf16_f32 v4, v4, s0
	global_store_short v1, v4, s[2:3]
.LBB304_71:
	s_or_b64 exec, exec, s[0:1]
	v_or_b32_e32 v4, 32, v0
	v_cmp_gt_u32_e64 s[0:1], s5, v4
	s_and_b64 s[4:5], vcc, s[0:1]
	s_and_saveexec_b64 s[0:1], s[4:5]
	s_cbranch_execz .LBB304_73
; %bb.72:
	v_cvt_pk_bf16_f32 v4, v5, s0
	global_store_short v1, v4, s[2:3] offset:64
.LBB304_73:
	s_or_b64 exec, exec, s[0:1]
	v_or_b32_e32 v4, 64, v0
	s_movk_i32 s4, 0x78
	v_cmp_gt_u32_e64 s[0:1], s4, v4
	s_and_b64 s[6:7], vcc, s[0:1]
	s_and_saveexec_b64 s[0:1], s[6:7]
	s_cbranch_execz .LBB304_75
; %bb.74:
	v_cvt_pk_bf16_f32 v2, v2, s0
	global_store_short v1, v2, s[2:3] offset:128
.LBB304_75:
	s_or_b64 exec, exec, s[0:1]
	v_or_b32_e32 v0, 0x60, v0
	v_cmp_gt_u32_e64 s[0:1], s4, v0
	s_and_b64 s[0:1], vcc, s[0:1]
	s_and_b64 exec, exec, s[0:1]
	s_cbranch_execz .LBB304_77
; %bb.76:
	v_cvt_pk_bf16_f32 v0, v3, s0
	global_store_short v1, v0, s[2:3] offset:192
.LBB304_77:
	s_endpgm
	.section	.rodata,"a",@progbits
	.p2align	6, 0x0
	.amdhsa_kernel _ZN4vllm25paged_attention_v1_kernelI14__hip_bfloat16hLi120ELi16ELi128ELNS_18Fp8KVCacheDataTypeE1ELb0EEEvPT_PKS3_PKT0_S9_ifPKiSB_iPKfiiiSD_SD_iiiii
		.amdhsa_group_segment_fixed_size 256
		.amdhsa_private_segment_fixed_size 0
		.amdhsa_kernarg_size 384
		.amdhsa_user_sgpr_count 2
		.amdhsa_user_sgpr_dispatch_ptr 0
		.amdhsa_user_sgpr_queue_ptr 0
		.amdhsa_user_sgpr_kernarg_segment_ptr 1
		.amdhsa_user_sgpr_dispatch_id 0
		.amdhsa_user_sgpr_kernarg_preload_length 0
		.amdhsa_user_sgpr_kernarg_preload_offset 0
		.amdhsa_user_sgpr_private_segment_size 0
		.amdhsa_uses_dynamic_stack 0
		.amdhsa_enable_private_segment 0
		.amdhsa_system_sgpr_workgroup_id_x 1
		.amdhsa_system_sgpr_workgroup_id_y 1
		.amdhsa_system_sgpr_workgroup_id_z 1
		.amdhsa_system_sgpr_workgroup_info 0
		.amdhsa_system_vgpr_workitem_id 0
		.amdhsa_next_free_vgpr 64
		.amdhsa_next_free_sgpr 38
		.amdhsa_accum_offset 64
		.amdhsa_reserve_vcc 1
		.amdhsa_float_round_mode_32 0
		.amdhsa_float_round_mode_16_64 0
		.amdhsa_float_denorm_mode_32 3
		.amdhsa_float_denorm_mode_16_64 3
		.amdhsa_dx10_clamp 1
		.amdhsa_ieee_mode 1
		.amdhsa_fp16_overflow 0
		.amdhsa_tg_split 0
		.amdhsa_exception_fp_ieee_invalid_op 0
		.amdhsa_exception_fp_denorm_src 0
		.amdhsa_exception_fp_ieee_div_zero 0
		.amdhsa_exception_fp_ieee_overflow 0
		.amdhsa_exception_fp_ieee_underflow 0
		.amdhsa_exception_fp_ieee_inexact 0
		.amdhsa_exception_int_div_zero 0
	.end_amdhsa_kernel
	.section	.text._ZN4vllm25paged_attention_v1_kernelI14__hip_bfloat16hLi120ELi16ELi128ELNS_18Fp8KVCacheDataTypeE1ELb0EEEvPT_PKS3_PKT0_S9_ifPKiSB_iPKfiiiSD_SD_iiiii,"axG",@progbits,_ZN4vllm25paged_attention_v1_kernelI14__hip_bfloat16hLi120ELi16ELi128ELNS_18Fp8KVCacheDataTypeE1ELb0EEEvPT_PKS3_PKT0_S9_ifPKiSB_iPKfiiiSD_SD_iiiii,comdat
.Lfunc_end304:
	.size	_ZN4vllm25paged_attention_v1_kernelI14__hip_bfloat16hLi120ELi16ELi128ELNS_18Fp8KVCacheDataTypeE1ELb0EEEvPT_PKS3_PKT0_S9_ifPKiSB_iPKfiiiSD_SD_iiiii, .Lfunc_end304-_ZN4vllm25paged_attention_v1_kernelI14__hip_bfloat16hLi120ELi16ELi128ELNS_18Fp8KVCacheDataTypeE1ELb0EEEvPT_PKS3_PKT0_S9_ifPKiSB_iPKfiiiSD_SD_iiiii
                                        ; -- End function
	.set _ZN4vllm25paged_attention_v1_kernelI14__hip_bfloat16hLi120ELi16ELi128ELNS_18Fp8KVCacheDataTypeE1ELb0EEEvPT_PKS3_PKT0_S9_ifPKiSB_iPKfiiiSD_SD_iiiii.num_vgpr, 64
	.set _ZN4vllm25paged_attention_v1_kernelI14__hip_bfloat16hLi120ELi16ELi128ELNS_18Fp8KVCacheDataTypeE1ELb0EEEvPT_PKS3_PKT0_S9_ifPKiSB_iPKfiiiSD_SD_iiiii.num_agpr, 0
	.set _ZN4vllm25paged_attention_v1_kernelI14__hip_bfloat16hLi120ELi16ELi128ELNS_18Fp8KVCacheDataTypeE1ELb0EEEvPT_PKS3_PKT0_S9_ifPKiSB_iPKfiiiSD_SD_iiiii.numbered_sgpr, 38
	.set _ZN4vllm25paged_attention_v1_kernelI14__hip_bfloat16hLi120ELi16ELi128ELNS_18Fp8KVCacheDataTypeE1ELb0EEEvPT_PKS3_PKT0_S9_ifPKiSB_iPKfiiiSD_SD_iiiii.num_named_barrier, 0
	.set _ZN4vllm25paged_attention_v1_kernelI14__hip_bfloat16hLi120ELi16ELi128ELNS_18Fp8KVCacheDataTypeE1ELb0EEEvPT_PKS3_PKT0_S9_ifPKiSB_iPKfiiiSD_SD_iiiii.private_seg_size, 0
	.set _ZN4vllm25paged_attention_v1_kernelI14__hip_bfloat16hLi120ELi16ELi128ELNS_18Fp8KVCacheDataTypeE1ELb0EEEvPT_PKS3_PKT0_S9_ifPKiSB_iPKfiiiSD_SD_iiiii.uses_vcc, 1
	.set _ZN4vllm25paged_attention_v1_kernelI14__hip_bfloat16hLi120ELi16ELi128ELNS_18Fp8KVCacheDataTypeE1ELb0EEEvPT_PKS3_PKT0_S9_ifPKiSB_iPKfiiiSD_SD_iiiii.uses_flat_scratch, 0
	.set _ZN4vllm25paged_attention_v1_kernelI14__hip_bfloat16hLi120ELi16ELi128ELNS_18Fp8KVCacheDataTypeE1ELb0EEEvPT_PKS3_PKT0_S9_ifPKiSB_iPKfiiiSD_SD_iiiii.has_dyn_sized_stack, 0
	.set _ZN4vllm25paged_attention_v1_kernelI14__hip_bfloat16hLi120ELi16ELi128ELNS_18Fp8KVCacheDataTypeE1ELb0EEEvPT_PKS3_PKT0_S9_ifPKiSB_iPKfiiiSD_SD_iiiii.has_recursion, 0
	.set _ZN4vllm25paged_attention_v1_kernelI14__hip_bfloat16hLi120ELi16ELi128ELNS_18Fp8KVCacheDataTypeE1ELb0EEEvPT_PKS3_PKT0_S9_ifPKiSB_iPKfiiiSD_SD_iiiii.has_indirect_call, 0
	.section	.AMDGPU.csdata,"",@progbits
; Kernel info:
; codeLenInByte = 7208
; TotalNumSgprs: 44
; NumVgprs: 64
; NumAgprs: 0
; TotalNumVgprs: 64
; ScratchSize: 0
; MemoryBound: 0
; FloatMode: 240
; IeeeMode: 1
; LDSByteSize: 256 bytes/workgroup (compile time only)
; SGPRBlocks: 5
; VGPRBlocks: 7
; NumSGPRsForWavesPerEU: 44
; NumVGPRsForWavesPerEU: 64
; AccumOffset: 64
; Occupancy: 8
; WaveLimiterHint : 1
; COMPUTE_PGM_RSRC2:SCRATCH_EN: 0
; COMPUTE_PGM_RSRC2:USER_SGPR: 2
; COMPUTE_PGM_RSRC2:TRAP_HANDLER: 0
; COMPUTE_PGM_RSRC2:TGID_X_EN: 1
; COMPUTE_PGM_RSRC2:TGID_Y_EN: 1
; COMPUTE_PGM_RSRC2:TGID_Z_EN: 1
; COMPUTE_PGM_RSRC2:TIDIG_COMP_CNT: 0
; COMPUTE_PGM_RSRC3_GFX90A:ACCUM_OFFSET: 15
; COMPUTE_PGM_RSRC3_GFX90A:TG_SPLIT: 0
	.section	.text._ZN4vllm25paged_attention_v1_kernelI14__hip_bfloat16hLi128ELi16ELi128ELNS_18Fp8KVCacheDataTypeE1ELb0EEEvPT_PKS3_PKT0_S9_ifPKiSB_iPKfiiiSD_SD_iiiii,"axG",@progbits,_ZN4vllm25paged_attention_v1_kernelI14__hip_bfloat16hLi128ELi16ELi128ELNS_18Fp8KVCacheDataTypeE1ELb0EEEvPT_PKS3_PKT0_S9_ifPKiSB_iPKfiiiSD_SD_iiiii,comdat
	.protected	_ZN4vllm25paged_attention_v1_kernelI14__hip_bfloat16hLi128ELi16ELi128ELNS_18Fp8KVCacheDataTypeE1ELb0EEEvPT_PKS3_PKT0_S9_ifPKiSB_iPKfiiiSD_SD_iiiii ; -- Begin function _ZN4vllm25paged_attention_v1_kernelI14__hip_bfloat16hLi128ELi16ELi128ELNS_18Fp8KVCacheDataTypeE1ELb0EEEvPT_PKS3_PKT0_S9_ifPKiSB_iPKfiiiSD_SD_iiiii
	.globl	_ZN4vllm25paged_attention_v1_kernelI14__hip_bfloat16hLi128ELi16ELi128ELNS_18Fp8KVCacheDataTypeE1ELb0EEEvPT_PKS3_PKT0_S9_ifPKiSB_iPKfiiiSD_SD_iiiii
	.p2align	8
	.type	_ZN4vllm25paged_attention_v1_kernelI14__hip_bfloat16hLi128ELi16ELi128ELNS_18Fp8KVCacheDataTypeE1ELb0EEEvPT_PKS3_PKT0_S9_ifPKiSB_iPKfiiiSD_SD_iiiii,@function
_ZN4vllm25paged_attention_v1_kernelI14__hip_bfloat16hLi128ELi16ELi128ELNS_18Fp8KVCacheDataTypeE1ELb0EEEvPT_PKS3_PKT0_S9_ifPKiSB_iPKfiiiSD_SD_iiiii: ; @_ZN4vllm25paged_attention_v1_kernelI14__hip_bfloat16hLi128ELi16ELi128ELNS_18Fp8KVCacheDataTypeE1ELb0EEEvPT_PKS3_PKT0_S9_ifPKiSB_iPKfiiiSD_SD_iiiii
; %bb.0:
	s_load_dword s5, s[0:1], 0x80
	s_load_dwordx2 s[6:7], s[0:1], 0x30
	s_load_dwordx2 s[10:11], s[0:1], 0x20
	s_mov_b32 s20, s3
	s_ashr_i32 s21, s3, 31
	s_lshl_b64 s[8:9], s[20:21], 2
	s_waitcnt lgkmcnt(0)
	s_add_u32 s6, s6, s8
	s_addc_u32 s7, s7, s9
	s_abs_i32 s3, s10
	v_cvt_f32_u32_e32 v1, s3
	s_xor_b32 s8, s5, s10
	s_sub_i32 s10, 0, s3
	s_abs_i32 s9, s5
	v_rcp_iflag_f32_e32 v1, v1
	s_ashr_i32 s8, s8, 31
	v_mul_f32_e32 v1, 0x4f7ffffe, v1
	v_cvt_u32_f32_e32 v1, v1
	s_nop 0
	v_readfirstlane_b32 s12, v1
	s_mul_i32 s10, s10, s12
	s_mul_hi_u32 s10, s12, s10
	s_add_i32 s12, s12, s10
	s_mul_hi_u32 s10, s9, s12
	s_mul_i32 s12, s10, s3
	s_sub_i32 s9, s9, s12
	s_add_i32 s12, s10, 1
	s_sub_i32 s13, s9, s3
	s_cmp_ge_u32 s9, s3
	s_cselect_b32 s10, s12, s10
	s_cselect_b32 s9, s13, s9
	s_add_i32 s12, s10, 1
	s_cmp_ge_u32 s9, s3
	s_cselect_b32 s3, s12, s10
	s_xor_b32 s3, s3, s8
	s_sub_i32 s19, s3, s8
	s_abs_i32 s16, s19
	v_cvt_f32_u32_e32 v1, s16
	s_load_dwordx2 s[8:9], s[0:1], 0x40
	s_sub_i32 s3, 0, s16
	s_abs_i32 s17, s2
	v_rcp_iflag_f32_e32 v1, v1
	s_mov_b32 s10, 0
	v_mul_f32_e32 v1, 0x4f7ffffe, v1
	v_cvt_u32_f32_e32 v1, v1
	s_nop 0
	v_readfirstlane_b32 s12, v1
	s_mul_i32 s3, s3, s12
	s_mul_hi_u32 s3, s12, s3
	s_add_i32 s12, s12, s3
	s_waitcnt lgkmcnt(0)
	s_cmp_eq_u64 s[8:9], 0
	s_mul_hi_u32 s18, s17, s12
	s_cbranch_scc1 .LBB305_2
; %bb.1:
	s_ashr_i32 s3, s2, 31
	s_lshl_b64 s[12:13], s[2:3], 2
	s_add_u32 s8, s8, s12
	s_addc_u32 s9, s9, s13
	s_load_dword s10, s[8:9], 0x0
.LBB305_2:
	s_load_dword s21, s[6:7], 0x0
	s_load_dwordx4 s[12:15], s[0:1], 0x48
	s_ashr_i32 s8, s2, 31
	s_ashr_i32 s9, s19, 31
	v_and_b32_e32 v2, 3, v0
	s_lshl_b32 s22, s2, 7
	v_cmp_gt_u32_e64 s[6:7], 64, v0
	s_and_saveexec_b64 s[2:3], s[6:7]
	s_cbranch_execz .LBB305_4
; %bb.3:
	s_load_dwordx2 s[24:25], s[0:1], 0x8
	s_waitcnt lgkmcnt(0)
	s_mul_i32 s26, s12, s20
	s_ashr_i32 s27, s26, 31
	s_lshl_b64 s[26:27], s[26:27], 1
	v_lshlrev_b32_e32 v1, 2, v0
	s_add_u32 s12, s24, s26
	s_addc_u32 s15, s25, s27
	s_ashr_i32 s23, s22, 31
	s_lshl_b64 s[24:25], s[22:23], 1
	s_add_u32 s24, s12, s24
	s_addc_u32 s25, s15, s25
	global_load_dword v1, v1, s[24:25]
	v_and_b32_e32 v3, 0x3fc, v0
	v_lshl_add_u32 v3, v2, 6, v3
	s_waitcnt vmcnt(0)
	ds_write_b32 v3, v1
.LBB305_4:
	s_or_b64 exec, exec, s[2:3]
	s_waitcnt lgkmcnt(0)
	s_add_i32 s3, s21, 15
	s_ashr_i32 s12, s3, 31
	s_lshr_b32 s12, s12, 28
	s_add_i32 s3, s3, s12
	s_ashr_i32 s23, s3, 4
	s_xor_b32 s3, s8, s9
	s_mul_i32 s8, s18, s16
	s_sub_i32 s8, s17, s8
	s_add_i32 s9, s18, 1
	s_sub_i32 s12, s8, s16
	s_load_dwordx2 s[26:27], s[0:1], 0x28
	s_load_dword s2, s[0:1], 0x38
	s_cmp_ge_u32 s8, s16
	s_cselect_b32 s9, s9, s18
	s_cselect_b32 s8, s12, s8
	s_add_i32 s12, s9, 1
	s_cmp_ge_u32 s8, s16
	s_cselect_b32 s8, s12, s9
	v_lshrrev_b32_e32 v1, 6, v0
	s_xor_b32 s8, s8, s3
	s_waitcnt lgkmcnt(0)
	s_mul_i32 s28, s2, s20
	s_sub_i32 s33, s8, s3
	s_ashr_i32 s29, s28, 31
	v_cmp_gt_i32_e64 s[2:3], s23, v1
	v_cmp_le_i32_e32 vcc, s23, v1
	v_mbcnt_lo_u32_b32 v3, -1, 0
	s_barrier
                                        ; implicit-def: $vgpr9
                                        ; implicit-def: $vgpr11
                                        ; implicit-def: $vgpr10
	s_and_saveexec_b64 s[8:9], vcc
	s_xor_b64 s[8:9], exec, s[8:9]
; %bb.5:
	v_mbcnt_hi_u32_b32 v9, -1, v3
	v_and_b32_e32 v11, 64, v9
	v_add_u32_e32 v10, 64, v11
                                        ; implicit-def: $vgpr2
                                        ; implicit-def: $vgpr3
; %bb.6:
	s_or_saveexec_b64 s[34:35], s[8:9]
	s_load_dwordx2 s[24:25], s[0:1], 0x0
	s_load_dwordx2 s[30:31], s[0:1], 0x18
	s_load_dword s12, s[0:1], 0x88
	s_load_dwordx4 s[16:19], s[0:1], 0x58
	v_mov_b32_e32 v41, 0xff7fffff
	s_mul_i32 s33, s33, s14
	v_lshrrev_b32_e32 v8, 4, v0
	s_xor_b64 exec, exec, s[34:35]
	s_cbranch_execz .LBB305_12
; %bb.7:
	v_lshlrev_b32_e32 v9, 6, v2
	s_load_dwordx2 s[0:1], s[0:1], 0x10
	ds_read_b128 v[4:7], v9
	ds_read_b128 v[24:27], v9 offset:16
	ds_read_b128 v[32:35], v9 offset:32
	;; [unrolled: 1-line block ×3, first 2 shown]
	v_mbcnt_hi_u32_b32 v9, -1, v3
	v_and_b32_e32 v11, 64, v9
	v_add_u32_e32 v10, 64, v11
	v_xor_b32_e32 v3, 2, v9
	v_cmp_lt_i32_e32 vcc, v3, v10
	s_ashr_i32 s8, s33, 31
	v_bfe_u32 v41, v0, 2, 4
	v_cndmask_b32_e32 v3, v9, v3, vcc
	s_waitcnt lgkmcnt(0)
	s_add_u32 s0, s0, s33
	v_lshlrev_b32_e32 v36, 16, v42
	v_and_b32_e32 v37, 0xffff0000, v42
	v_lshlrev_b32_e32 v38, 16, v43
	v_and_b32_e32 v39, 0xffff0000, v43
	;; [unrolled: 2-line block ×4, first 2 shown]
	v_lshlrev_b32_e32 v45, 2, v3
	v_xor_b32_e32 v3, 1, v9
	s_load_dword s37, s[16:17], 0x0
	v_lshlrev_b32_e32 v50, 4, v41
	s_addc_u32 s1, s1, s8
	v_mov_b32_e32 v51, 0
	v_cmp_lt_i32_e32 vcc, v3, v10
	s_sub_i32 s38, 1, s21
	s_lshl_b64 s[8:9], s[28:29], 2
	v_lshl_add_u64 v[48:49], s[0:1], 0, v[50:51]
	v_lshlrev_b32_e32 v50, 1, v2
	v_lshlrev_b32_e32 v12, 16, v4
	v_and_b32_e32 v13, 0xffff0000, v4
	v_cndmask_b32_e32 v3, v9, v3, vcc
	v_lshlrev_b32_e32 v4, 2, v41
	s_add_u32 s8, s26, s8
	v_lshlrev_b32_e32 v46, 2, v3
	v_cmp_eq_u32_e32 vcc, 0, v2
	v_lshl_add_u64 v[2:3], v[48:49], 0, v[50:51]
	v_lshl_or_b32 v4, v1, 6, v4
	v_and_b32_e32 v50, 60, v8
	s_addc_u32 s9, s27, s9
	s_mov_b32 s36, s13
	v_lshlrev_b32_e32 v14, 16, v5
	v_and_b32_e32 v15, 0xffff0000, v5
	v_lshlrev_b32_e32 v16, 16, v6
	v_and_b32_e32 v17, 0xffff0000, v6
	;; [unrolled: 2-line block ×11, first 2 shown]
	v_cmp_neq_f32_e64 s[0:1], s10, 0
	v_lshl_or_b32 v47, v1, 4, v41
	v_add_u32_e32 v48, 0x110, v4
	v_lshl_add_u64 v[4:5], s[8:9], 0, v[50:51]
	v_mov_b32_e32 v41, 0xff7fffff
	s_mov_b64 s[14:15], 0
	s_mov_b32 s39, 0xffff
	v_mov_b32_e32 v49, v1
	s_branch .LBB305_9
.LBB305_8:                              ;   in Loop: Header=BB305_9 Depth=1
	s_or_b64 exec, exec, s[16:17]
	v_add_u32_e32 v49, 2, v49
	v_cmp_le_i32_e64 s[8:9], s23, v49
	v_add_u32_e32 v47, 32, v47
	v_add_u32_e32 v48, 0x80, v48
	s_or_b64 s[14:15], s[8:9], s[14:15]
	v_lshl_add_u64 v[4:5], v[4:5], 0, 8
	s_andn2_b64 exec, exec, s[14:15]
	s_cbranch_execz .LBB305_11
.LBB305_9:                              ; =>This Inner Loop Header: Depth=1
	global_load_dword v6, v[4:5], off
	s_waitcnt vmcnt(0) lgkmcnt(0)
	v_mad_i64_i32 v[6:7], s[8:9], v6, s36, v[2:3]
	global_load_ushort v56, v[6:7], off
	global_load_ushort v57, v[6:7], off offset:8
	global_load_ushort v58, v[6:7], off offset:256
	;; [unrolled: 1-line block ×14, first 2 shown]
	s_nop 0
	global_load_ushort v6, v[6:7], off offset:1800
	s_waitcnt vmcnt(15)
	v_and_b32_sdwa v7, s39, v56 dst_sel:DWORD dst_unused:UNUSED_PAD src0_sel:DWORD src1_sel:BYTE_0
	s_waitcnt vmcnt(14)
	v_and_b32_sdwa v65, s39, v57 dst_sel:DWORD dst_unused:UNUSED_PAD src0_sel:DWORD src1_sel:BYTE_0
	v_lshrrev_b16_e32 v57, 8, v57
	v_lshrrev_b16_e32 v56, 8, v56
	v_cvt_f32_fp8_e32 v65, v65
	v_cvt_f32_fp8_e32 v57, v57
	s_waitcnt vmcnt(13)
	v_and_b32_sdwa v66, s39, v58 dst_sel:DWORD dst_unused:UNUSED_PAD src0_sel:DWORD src1_sel:BYTE_0
	v_lshrrev_b16_e32 v58, 8, v58
	v_cvt_f32_fp8_e32 v7, v7
	v_cvt_f32_fp8_e32 v56, v56
	s_waitcnt vmcnt(12)
	v_and_b32_sdwa v67, s39, v59 dst_sel:DWORD dst_unused:UNUSED_PAD src0_sel:DWORD src1_sel:BYTE_0
	;; [unrolled: 5-line block ×4, first 2 shown]
	v_lshrrev_b16_e32 v61, 8, v61
	s_waitcnt lgkmcnt(0)
	v_mul_f32_e32 v65, s37, v65
	v_mul_f32_e32 v57, s37, v57
	v_cvt_f32_fp8_e32 v68, v68
	v_cvt_f32_fp8_e32 v60, v60
	s_waitcnt vmcnt(9)
	v_and_b32_sdwa v70, s39, v62 dst_sel:DWORD dst_unused:UNUSED_PAD src0_sel:DWORD src1_sel:BYTE_0
	v_lshrrev_b16_e32 v62, 8, v62
	v_mul_f32_e32 v7, s37, v7
	v_cvt_pk_bf16_f32 v65, v65, s0
	v_mul_f32_e32 v56, s37, v56
	v_cvt_pk_bf16_f32 v57, v57, s0
	v_cvt_f32_fp8_e32 v69, v69
	v_cvt_f32_fp8_e32 v61, v61
	s_waitcnt vmcnt(8)
	v_and_b32_sdwa v71, s39, v63 dst_sel:DWORD dst_unused:UNUSED_PAD src0_sel:DWORD src1_sel:BYTE_0
	v_lshrrev_b16_e32 v63, 8, v63
	v_cvt_pk_bf16_f32 v7, v7, s0
	v_lshlrev_b32_e32 v65, 16, v65
	v_cvt_pk_bf16_f32 v56, v56, s0
	v_lshlrev_b32_e32 v57, 16, v57
	v_cvt_f32_fp8_e32 v70, v70
	v_cvt_f32_fp8_e32 v62, v62
	v_mul_f32_e32 v66, s37, v66
	v_mul_f32_e32 v58, s37, v58
	s_waitcnt vmcnt(7)
	v_and_b32_sdwa v72, s39, v64 dst_sel:DWORD dst_unused:UNUSED_PAD src0_sel:DWORD src1_sel:BYTE_0
	v_lshrrev_b16_e32 v64, 8, v64
	v_lshlrev_b32_e32 v7, 16, v7
	v_mul_f32_e32 v65, v14, v65
	v_lshlrev_b32_e32 v56, 16, v56
	v_mul_f32_e32 v57, v15, v57
	v_cvt_f32_fp8_e32 v71, v71
	v_cvt_f32_fp8_e32 v63, v63
	v_mul_f32_e32 v67, s37, v67
	v_mul_f32_e32 v59, s37, v59
	v_cvt_pk_bf16_f32 v66, v66, s0
	v_cvt_pk_bf16_f32 v58, v58, s0
	s_waitcnt vmcnt(6)
	v_and_b32_sdwa v73, s39, v51 dst_sel:DWORD dst_unused:UNUSED_PAD src0_sel:DWORD src1_sel:BYTE_0
	v_lshrrev_b16_e32 v51, 8, v51
	v_fmac_f32_e32 v65, v12, v7
	v_fmac_f32_e32 v57, v13, v56
	v_cvt_f32_fp8_e32 v72, v72
	v_cvt_f32_fp8_e32 v64, v64
	v_mul_f32_e32 v68, s37, v68
	v_mul_f32_e32 v60, s37, v60
	v_cvt_pk_bf16_f32 v67, v67, s0
	v_cvt_pk_bf16_f32 v59, v59, s0
	v_lshlrev_b32_e32 v66, 16, v66
	v_lshlrev_b32_e32 v58, 16, v58
	s_waitcnt vmcnt(5)
	v_and_b32_sdwa v74, s39, v52 dst_sel:DWORD dst_unused:UNUSED_PAD src0_sel:DWORD src1_sel:BYTE_0
	v_lshrrev_b16_e32 v52, 8, v52
	v_cvt_f32_fp8_e32 v73, v73
	v_cvt_f32_fp8_e32 v51, v51
	v_mul_f32_e32 v69, s37, v69
	v_mul_f32_e32 v61, s37, v61
	v_cvt_pk_bf16_f32 v68, v68, s0
	v_cvt_pk_bf16_f32 v60, v60, s0
	v_lshlrev_b32_e32 v67, 16, v67
	v_lshlrev_b32_e32 v59, 16, v59
	v_fmac_f32_e32 v65, v16, v66
	v_fmac_f32_e32 v57, v17, v58
	s_waitcnt vmcnt(4)
	v_and_b32_sdwa v75, s39, v53 dst_sel:DWORD dst_unused:UNUSED_PAD src0_sel:DWORD src1_sel:BYTE_0
	v_lshrrev_b16_e32 v53, 8, v53
	v_cvt_f32_fp8_e32 v74, v74
	v_cvt_f32_fp8_e32 v52, v52
	v_mul_f32_e32 v70, s37, v70
	v_mul_f32_e32 v62, s37, v62
	v_cvt_pk_bf16_f32 v69, v69, s0
	v_cvt_pk_bf16_f32 v61, v61, s0
	v_lshlrev_b32_e32 v68, 16, v68
	v_lshlrev_b32_e32 v60, 16, v60
	v_fmac_f32_e32 v65, v18, v67
	v_fmac_f32_e32 v57, v19, v59
	;; [unrolled: 13-line block ×6, first 2 shown]
	v_cvt_f32_fp8_e32 v56, v56
	v_cvt_f32_fp8_e32 v6, v6
	v_mul_f32_e32 v75, s37, v75
	v_mul_f32_e32 v53, s37, v53
	v_cvt_pk_bf16_f32 v74, v74, s0
	v_cvt_pk_bf16_f32 v52, v52, s0
	v_lshlrev_b32_e32 v73, 16, v73
	v_fmac_f32_e32 v65, v28, v72
	v_fmac_f32_e32 v57, v29, v64
	v_lshlrev_b32_e32 v51, 16, v51
	v_mul_f32_e32 v76, s37, v76
	v_mul_f32_e32 v54, s37, v54
	v_cvt_pk_bf16_f32 v75, v75, s0
	v_cvt_pk_bf16_f32 v53, v53, s0
	v_fmac_f32_e32 v65, v30, v73
	v_fmac_f32_e32 v57, v31, v51
	v_lshlrev_b32_e32 v51, 16, v74
	v_lshlrev_b32_e32 v52, 16, v52
	v_mul_f32_e32 v77, s37, v77
	v_mul_f32_e32 v55, s37, v55
	v_cvt_pk_bf16_f32 v76, v76, s0
	v_cvt_pk_bf16_f32 v54, v54, s0
	v_fmac_f32_e32 v65, v32, v51
	v_fmac_f32_e32 v57, v33, v52
	v_lshlrev_b32_e32 v51, 16, v75
	;; [unrolled: 8-line block ×4, first 2 shown]
	v_lshlrev_b32_e32 v52, 16, v55
	v_cvt_pk_bf16_f32 v56, v56, s0
	v_cvt_pk_bf16_f32 v6, v6, s0
	v_fmac_f32_e32 v65, v38, v51
	v_fmac_f32_e32 v57, v39, v52
	v_lshlrev_b32_e32 v7, 16, v7
	v_lshlrev_b32_e32 v50, 16, v50
	v_fmac_f32_e32 v65, v40, v7
	v_fmac_f32_e32 v57, v42, v50
	v_lshlrev_b32_e32 v7, 16, v56
	v_lshlrev_b32_e32 v6, 16, v6
	v_fmac_f32_e32 v65, v43, v7
	v_fmac_f32_e32 v57, v44, v6
	v_add_f32_e32 v6, v65, v57
	ds_bpermute_b32 v7, v45, v6
	s_waitcnt lgkmcnt(0)
	v_add_f32_e32 v6, v6, v7
	ds_bpermute_b32 v7, v46, v6
	s_and_saveexec_b64 s[16:17], vcc
	s_cbranch_execz .LBB305_8
; %bb.10:                               ;   in Loop: Header=BB305_9 Depth=1
	v_add_u32_e32 v50, s38, v47
	v_cvt_f32_i32_e32 v50, v50
	s_waitcnt lgkmcnt(0)
	v_add_f32_e32 v6, v6, v7
	v_cmp_gt_i32_e64 s[8:9], s21, v47
	v_max_f32_e32 v7, v41, v41
	v_mul_f32_e32 v50, s10, v50
	v_cndmask_b32_e64 v50, 0, v50, s[0:1]
	v_fmac_f32_e32 v50, s11, v6
	v_cndmask_b32_e64 v6, 0, v50, s[8:9]
	ds_write_b32 v48, v6
	v_max_f32_e32 v6, v7, v50
	v_cndmask_b32_e64 v41, v41, v6, s[8:9]
	s_branch .LBB305_8
.LBB305_11:
	s_or_b64 exec, exec, s[14:15]
.LBB305_12:
	s_or_b64 exec, exec, s[34:35]
	v_xor_b32_e32 v2, 32, v9
	v_cmp_lt_i32_e32 vcc, v2, v10
	v_xor_b32_e32 v5, 16, v9
	v_max_f32_e32 v4, v41, v41
	v_cndmask_b32_e32 v2, v9, v2, vcc
	v_lshlrev_b32_e32 v2, 2, v2
	ds_bpermute_b32 v3, v2, v41
	v_cmp_lt_i32_e32 vcc, v5, v10
	v_xor_b32_e32 v6, 8, v9
	s_waitcnt lgkmcnt(0)
	v_xor_b32_e32 v7, 4, v9
	v_and_b32_e32 v20, 63, v0
	v_max_f32_e32 v3, v3, v3
	v_max_f32_e32 v4, v4, v3
	v_cndmask_b32_e32 v3, v9, v5, vcc
	v_lshlrev_b32_e32 v3, 2, v3
	ds_bpermute_b32 v5, v3, v4
	v_cmp_lt_i32_e32 vcc, v6, v10
	s_waitcnt lgkmcnt(0)
	v_max_f32_e32 v5, v5, v5
	v_max_f32_e32 v4, v4, v5
	v_cndmask_b32_e32 v5, v9, v6, vcc
	v_lshlrev_b32_e32 v6, 2, v5
	ds_bpermute_b32 v5, v6, v4
	v_cmp_lt_i32_e32 vcc, v7, v10
	s_waitcnt lgkmcnt(0)
	v_max_f32_e32 v5, v5, v5
	v_max_f32_e32 v5, v4, v5
	v_cndmask_b32_e32 v4, v9, v7, vcc
	v_lshlrev_b32_e32 v7, 2, v4
	ds_bpermute_b32 v12, v7, v5
	v_cmp_eq_u32_e32 vcc, 0, v20
	v_lshlrev_b32_e32 v4, 2, v1
	s_and_saveexec_b64 s[0:1], vcc
	s_cbranch_execz .LBB305_14
; %bb.13:
	s_waitcnt lgkmcnt(0)
	v_max_f32_e32 v12, v12, v12
	v_max_f32_e32 v5, v5, v5
	v_max_f32_e32 v5, v5, v12
	ds_write_b32 v4, v5 offset:256
.LBB305_14:
	s_or_b64 exec, exec, s[0:1]
	v_cmp_gt_u32_e64 s[0:1], 2, v20
	s_waitcnt lgkmcnt(0)
	v_mov_b32_e32 v12, 0xff7fffff
	v_lshlrev_b32_e32 v5, 2, v20
	s_barrier
	s_and_saveexec_b64 s[8:9], s[0:1]
; %bb.15:
	ds_read_b32 v12, v5 offset:256
; %bb.16:
	s_or_b64 exec, exec, s[8:9]
	v_xor_b32_e32 v13, 1, v9
	v_cmp_lt_i32_e64 s[8:9], v13, v10
	v_lshlrev_b32_e32 v11, 2, v11
	s_nop 0
	v_cndmask_b32_e64 v13, v9, v13, s[8:9]
	v_lshlrev_b32_e32 v21, 2, v13
	s_waitcnt lgkmcnt(0)
	ds_bpermute_b32 v13, v21, v12
	v_max_f32_e32 v12, v12, v12
	s_lshl_b32 s8, s23, 4
	s_min_i32 s34, s8, s21
	v_cmp_gt_i32_e64 s[8:9], s34, v0
	s_waitcnt lgkmcnt(0)
	v_max_f32_e32 v13, v13, v13
	v_max_f32_e32 v12, v12, v13
	ds_bpermute_b32 v12, v11, v12
	v_mov_b32_e32 v11, 0
	s_and_saveexec_b64 s[14:15], s[8:9]
	s_cbranch_execz .LBB305_20
; %bb.17:
	v_mov_b32_e32 v11, 0x110
	v_lshl_add_u32 v13, v0, 2, v11
	v_mov_b32_e32 v11, 0
	s_mov_b64 s[16:17], 0
	v_mov_b32_e32 v14, v0
.LBB305_18:                             ; =>This Inner Loop Header: Depth=1
	ds_read_b32 v15, v13
	v_add_u32_e32 v14, 0x80, v14
	v_cmp_le_i32_e64 s[10:11], s34, v14
	s_or_b64 s[16:17], s[10:11], s[16:17]
	s_waitcnt lgkmcnt(0)
	v_sub_f32_e32 v15, v15, v12
	v_mul_f32_e32 v15, 0x3fb8aa3b, v15
	v_exp_f32_e32 v15, v15
	ds_write_b32 v13, v15
	v_add_f32_e32 v11, v11, v15
	v_add_u32_e32 v13, 0x200, v13
	s_andn2_b64 exec, exec, s[16:17]
	s_cbranch_execnz .LBB305_18
; %bb.19:
	s_or_b64 exec, exec, s[16:17]
.LBB305_20:
	s_or_b64 exec, exec, s[14:15]
	ds_bpermute_b32 v2, v2, v11
	s_waitcnt lgkmcnt(0)
	v_add_f32_e32 v2, v11, v2
	ds_bpermute_b32 v3, v3, v2
	s_waitcnt lgkmcnt(0)
	v_add_f32_e32 v2, v2, v3
	ds_bpermute_b32 v3, v6, v2
	v_xor_b32_e32 v6, 2, v9
	v_cmp_lt_i32_e64 s[10:11], v6, v10
	s_waitcnt lgkmcnt(0)
	v_add_f32_e32 v2, v2, v3
	ds_bpermute_b32 v3, v7, v2
	v_cndmask_b32_e64 v6, v9, v6, s[10:11]
	s_waitcnt lgkmcnt(0)
	v_add_f32_e32 v2, v2, v3
	v_lshlrev_b32_e32 v3, 2, v6
	ds_bpermute_b32 v3, v3, v2
	s_waitcnt lgkmcnt(0)
	v_add_f32_e32 v2, v2, v3
	ds_bpermute_b32 v3, v21, v2
	s_waitcnt lgkmcnt(0)
	v_add_f32_e32 v2, v2, v3
	s_and_saveexec_b64 s[10:11], vcc
; %bb.21:
	ds_write_b32 v4, v2 offset:264
; %bb.22:
	s_or_b64 exec, exec, s[10:11]
	s_waitcnt lgkmcnt(0)
	s_barrier
	s_and_saveexec_b64 s[10:11], s[0:1]
; %bb.23:
	ds_read_b32 v2, v5 offset:264
; %bb.24:
	s_or_b64 exec, exec, s[10:11]
	s_waitcnt lgkmcnt(0)
	ds_bpermute_b32 v3, v21, v2
	v_lshlrev_b32_e32 v4, 2, v9
	s_waitcnt lgkmcnt(0)
	v_add_f32_e32 v2, v2, v3
	v_and_b32_e32 v3, 0xffffff00, v4
	ds_bpermute_b32 v2, v3, v2
	s_and_saveexec_b64 s[0:1], s[8:9]
	s_cbranch_execz .LBB305_37
; %bb.25:
	s_waitcnt lgkmcnt(0)
	v_add_f32_e32 v2, 0x358637bd, v2
	v_div_scale_f32 v3, s[8:9], v2, v2, 1.0
	v_rcp_f32_e32 v4, v3
	v_div_scale_f32 v5, vcc, 1.0, v2, 1.0
	s_movk_i32 s8, 0x7f
	v_fma_f32 v6, -v3, v4, 1.0
	v_fmac_f32_e32 v4, v6, v4
	v_mul_f32_e32 v6, v5, v4
	v_fma_f32 v7, -v3, v6, v5
	v_fmac_f32_e32 v6, v7, v4
	v_fma_f32 v3, -v3, v6, v5
	v_div_fmas_f32 v3, v3, v4, v6
	v_xad_u32 v4, v0, -1, s34
	v_div_fixup_f32 v2, v3, v2, 1.0
	v_cmp_lt_u32_e32 vcc, s8, v4
	s_mov_b64 s[10:11], -1
	v_mov_b32_e32 v3, v0
	s_and_saveexec_b64 s[8:9], vcc
	s_cbranch_execz .LBB305_34
; %bb.26:
	v_lshrrev_b32_e32 v4, 7, v4
	v_add_u32_e32 v6, -1, v4
	v_lshrrev_b32_e32 v5, 1, v6
	v_mov_b32_e32 v3, v2
	v_add_u32_e32 v5, 1, v5
	v_cmp_lt_u32_e32 vcc, 13, v6
	v_mov_b32_e32 v9, 0
	s_and_saveexec_b64 s[10:11], vcc
	s_cbranch_execz .LBB305_30
; %bb.27:
	v_mov_b32_e32 v7, 0x110
	v_and_b32_e32 v6, -8, v5
	v_lshl_add_u32 v7, v0, 2, v7
	s_mov_b32 s16, 0
	s_mov_b64 s[14:15], 0
.LBB305_28:                             ; =>This Inner Loop Header: Depth=1
	ds_read2st64_b32 v[10:11], v7 offset1:2
	ds_read2st64_b32 v[12:13], v7 offset0:4 offset1:6
	ds_read2st64_b32 v[14:15], v7 offset0:8 offset1:10
	;; [unrolled: 1-line block ×3, first 2 shown]
	v_add_u32_e32 v6, -8, v6
	s_waitcnt lgkmcnt(3)
	v_pk_mul_f32 v[10:11], v[2:3], v[10:11]
	s_waitcnt lgkmcnt(2)
	v_pk_mul_f32 v[12:13], v[2:3], v[12:13]
	ds_write2st64_b32 v7, v10, v11 offset1:2
	ds_write2st64_b32 v7, v12, v13 offset0:4 offset1:6
	ds_read2st64_b32 v[12:13], v7 offset0:16 offset1:18
	s_waitcnt lgkmcnt(4)
	v_pk_mul_f32 v[10:11], v[2:3], v[14:15]
	ds_write2st64_b32 v7, v10, v11 offset0:8 offset1:10
	s_waitcnt lgkmcnt(4)
	v_pk_mul_f32 v[10:11], v[2:3], v[16:17]
	ds_write2st64_b32 v7, v10, v11 offset0:12 offset1:14
	ds_read2st64_b32 v[10:11], v7 offset0:20 offset1:22
	s_waitcnt lgkmcnt(3)
	v_pk_mul_f32 v[12:13], v[2:3], v[12:13]
	ds_read2st64_b32 v[14:15], v7 offset0:24 offset1:26
	ds_write2st64_b32 v7, v12, v13 offset0:16 offset1:18
	ds_read2st64_b32 v[12:13], v7 offset0:28 offset1:30
	s_waitcnt lgkmcnt(3)
	v_pk_mul_f32 v[10:11], v[2:3], v[10:11]
	ds_write2st64_b32 v7, v10, v11 offset0:20 offset1:22
	s_waitcnt lgkmcnt(3)
	v_pk_mul_f32 v[10:11], v[2:3], v[14:15]
	ds_write2st64_b32 v7, v10, v11 offset0:24 offset1:26
	s_waitcnt lgkmcnt(2)
	v_pk_mul_f32 v[10:11], v[2:3], v[12:13]
	s_add_i32 s16, s16, 16
	v_cmp_eq_u32_e32 vcc, 0, v6
	ds_write2st64_b32 v7, v10, v11 offset0:28 offset1:30
	v_add_u32_e32 v7, 0x2000, v7
	s_or_b64 s[14:15], vcc, s[14:15]
	v_mov_b32_e32 v9, s16
	s_andn2_b64 exec, exec, s[14:15]
	s_cbranch_execnz .LBB305_28
; %bb.29:
	s_or_b64 exec, exec, s[14:15]
.LBB305_30:
	s_or_b64 exec, exec, s[10:11]
	v_and_b32_e32 v5, 7, v5
	v_cmp_ne_u32_e32 vcc, 0, v5
	s_and_saveexec_b64 s[10:11], vcc
	s_cbranch_execz .LBB305_33
; %bb.31:
	v_lshlrev_b32_e32 v6, 9, v9
	v_lshlrev_b32_e32 v7, 2, v0
	s_movk_i32 s14, 0x110
	v_add3_u32 v6, v6, v7, s14
	s_mov_b64 s[14:15], 0
.LBB305_32:                             ; =>This Inner Loop Header: Depth=1
	ds_read2st64_b32 v[10:11], v6 offset1:2
	v_add_u32_e32 v5, -1, v5
	v_cmp_eq_u32_e32 vcc, 0, v5
	s_or_b64 s[14:15], vcc, s[14:15]
	s_waitcnt lgkmcnt(0)
	v_pk_mul_f32 v[10:11], v[2:3], v[10:11]
	ds_write2st64_b32 v6, v10, v11 offset1:2
	v_add_u32_e32 v6, 0x400, v6
	s_andn2_b64 exec, exec, s[14:15]
	s_cbranch_execnz .LBB305_32
.LBB305_33:
	s_or_b64 exec, exec, s[10:11]
	v_add_u32_e32 v4, 1, v4
	v_and_b32_e32 v5, 0x3fffffe, v4
	v_cmp_ne_u32_e32 vcc, v4, v5
	v_lshl_add_u32 v3, v5, 7, v0
	s_orn2_b64 s[10:11], vcc, exec
.LBB305_34:
	s_or_b64 exec, exec, s[8:9]
	s_and_b64 exec, exec, s[10:11]
	s_cbranch_execz .LBB305_37
; %bb.35:
	v_mov_b32_e32 v4, 0x110
	v_lshl_add_u32 v4, v3, 2, v4
	s_mov_b64 s[8:9], 0
.LBB305_36:                             ; =>This Inner Loop Header: Depth=1
	ds_read_b32 v5, v4
	v_add_u32_e32 v3, 0x80, v3
	v_cmp_le_i32_e32 vcc, s34, v3
	s_or_b64 s[8:9], vcc, s[8:9]
	s_waitcnt lgkmcnt(0)
	v_mul_f32_e32 v5, v2, v5
	ds_write_b32 v4, v5
	v_add_u32_e32 v4, 0x200, v4
	s_andn2_b64 exec, exec, s[8:9]
	s_cbranch_execnz .LBB305_36
.LBB305_37:
	s_or_b64 exec, exec, s[0:1]
	v_mov_b32_e32 v11, 0
	v_and_b32_e32 v22, 1, v0
	v_mov_b32_e32 v10, v11
	v_mov_b32_e32 v13, v11
	;; [unrolled: 1-line block ×3, first 2 shown]
	s_waitcnt lgkmcnt(0)
	s_barrier
	s_and_saveexec_b64 s[8:9], s[2:3]
	s_cbranch_execz .LBB305_49
; %bb.38:
	s_ashr_i32 s1, s33, 31
	v_lshlrev_b32_e32 v2, 3, v0
	s_add_u32 s0, s30, s33
	s_addc_u32 s1, s31, s1
	v_and_b32_e32 v10, 0x1f8, v2
	s_load_dword s14, s[18:19], 0x0
	v_mov_b32_e32 v11, 0
	v_and_b32_e32 v3, 8, v2
	s_add_i32 s15, s23, -1
	v_lshl_add_u64 v[14:15], s[0:1], 0, v[10:11]
	v_lshlrev_b32_e32 v2, 4, v1
	s_lshl_b64 s[0:1], s[28:29], 2
	v_or3_b32 v23, v2, v3, 7
	v_lshlrev_b32_e32 v2, 5, v22
	s_add_u32 s0, s26, s0
	v_lshl_or_b32 v2, v1, 6, v2
	v_and_b32_e32 v10, 60, v8
	s_addc_u32 s1, s27, s1
	v_add_u32_e32 v24, 0x110, v2
	v_lshl_add_u64 v[16:17], s[0:1], 0, v[10:11]
	s_mov_b64 s[2:3], 0
	v_mov_b32_e32 v10, v11
	v_mov_b32_e32 v13, v11
	;; [unrolled: 1-line block ×3, first 2 shown]
	s_branch .LBB305_40
.LBB305_39:                             ;   in Loop: Header=BB305_40 Depth=1
	s_or_b64 exec, exec, s[0:1]
	v_cvt_pk_bf16_f32 v6, v6, s0
	v_cvt_pk_bf16_f32 v7, v7, s0
	v_cvt_pk_bf16_f32 v8, v8, s0
	v_cvt_pk_bf16_f32 v9, v9, s0
	v_lshlrev_b32_e32 v7, 16, v7
	v_lshlrev_b32_e32 v33, 16, v61
	;; [unrolled: 1-line block ×4, first 2 shown]
	v_mul_f32_e32 v33, v7, v33
	v_mul_f32_e32 v34, v6, v34
	v_lshlrev_b32_e32 v9, 16, v9
	v_lshlrev_b32_e32 v35, 16, v59
	v_lshlrev_b32_e32 v8, 16, v8
	v_lshlrev_b32_e32 v36, 16, v58
	v_cvt_pk_bf16_f32 v2, v2, s0
	v_cvt_pk_bf16_f32 v3, v3, s0
	;; [unrolled: 1-line block ×4, first 2 shown]
	v_mul_f32_e32 v35, v9, v35
	v_mul_f32_e32 v36, v8, v36
	v_lshlrev_b32_e32 v32, 16, v32
	v_lshlrev_b32_e32 v31, 16, v31
	;; [unrolled: 1-line block ×4, first 2 shown]
	v_cvt_pk_bf16_f32 v4, v4, s0
	v_cvt_pk_bf16_f32 v5, v5, s0
	;; [unrolled: 1-line block ×4, first 2 shown]
	v_lshlrev_b32_e32 v3, 16, v3
	v_lshlrev_b32_e32 v37, 16, v57
	;; [unrolled: 1-line block ×6, first 2 shown]
	v_mul_f32_e32 v32, v7, v32
	v_mul_f32_e32 v31, v6, v31
	;; [unrolled: 1-line block ×4, first 2 shown]
	v_lshlrev_b32_e32 v28, 16, v28
	v_lshlrev_b32_e32 v27, 16, v27
	v_mul_f32_e32 v37, v3, v37
	v_mul_f32_e32 v38, v2, v38
	v_lshlrev_b32_e32 v5, 16, v5
	v_lshlrev_b32_e32 v4, 16, v4
	v_add_f32_e32 v33, v34, v33
	v_lshlrev_b32_e32 v34, 16, v36
	v_lshlrev_b32_e32 v35, 16, v35
	v_cvt_pk_bf16_f32 v32, v32, s0
	v_cvt_pk_bf16_f32 v31, v31, s0
	;; [unrolled: 1-line block ×4, first 2 shown]
	v_mul_f32_e32 v28, v3, v28
	v_mul_f32_e32 v27, v2, v27
	v_lshlrev_b32_e32 v26, 16, v26
	v_lshlrev_b32_e32 v25, 16, v25
	v_cvt_pk_bf16_f32 v37, v37, s0
	v_cvt_pk_bf16_f32 v38, v38, s0
	v_lshlrev_b32_e32 v39, 16, v55
	v_lshlrev_b32_e32 v54, 16, v54
	v_add_f32_e32 v34, v34, v35
	v_cvt_pk_bf16_f32 v28, v28, s0
	v_cvt_pk_bf16_f32 v27, v27, s0
	v_mul_f32_e32 v26, v5, v26
	v_mul_f32_e32 v25, v4, v25
	v_lshlrev_b32_e32 v31, 16, v31
	v_lshlrev_b32_e32 v32, 16, v32
	;; [unrolled: 1-line block ×4, first 2 shown]
	v_mul_f32_e32 v39, v5, v39
	v_mul_f32_e32 v54, v4, v54
	v_add_f32_e32 v33, v34, v33
	v_lshlrev_b32_e32 v34, 16, v38
	v_lshlrev_b32_e32 v35, 16, v37
	v_cvt_pk_bf16_f32 v26, v26, s0
	v_cvt_pk_bf16_f32 v25, v25, s0
	v_add_f32_e32 v31, v31, v32
	v_add_f32_e32 v29, v29, v30
	v_lshlrev_b32_e32 v27, 16, v27
	v_lshlrev_b32_e32 v28, 16, v28
	v_cvt_pk_bf16_f32 v39, v39, s0
	v_cvt_pk_bf16_f32 v54, v54, s0
	v_add_f32_e32 v34, v34, v35
	v_add_f32_e32 v29, v29, v31
	;; [unrolled: 1-line block ×3, first 2 shown]
	v_lshlrev_b32_e32 v25, 16, v25
	v_lshlrev_b32_e32 v26, 16, v26
	v_add_f32_e32 v33, v34, v33
	v_lshlrev_b32_e32 v34, 16, v54
	v_lshlrev_b32_e32 v35, 16, v39
	v_add_f32_e32 v27, v27, v29
	v_add_f32_e32 v25, v25, v26
	;; [unrolled: 1-line block ×5, first 2 shown]
	v_lshlrev_b32_e32 v34, 16, v46
	v_add_f32_e32 v12, v12, v25
	v_lshlrev_b32_e32 v25, 16, v53
	v_add_f32_e32 v10, v10, v33
	v_lshlrev_b32_e32 v33, 16, v47
	v_mul_f32_e32 v34, v6, v34
	v_mul_f32_e32 v6, v6, v25
	v_lshlrev_b32_e32 v25, 16, v52
	v_mul_f32_e32 v33, v7, v33
	v_lshlrev_b32_e32 v36, 16, v44
	;; [unrolled: 2-line block ×3, first 2 shown]
	v_lshlrev_b32_e32 v35, 16, v45
	v_mul_f32_e32 v36, v8, v36
	v_mul_f32_e32 v8, v8, v25
	v_lshlrev_b32_e32 v25, 16, v50
	v_mul_f32_e32 v35, v9, v35
	v_lshlrev_b32_e32 v38, 16, v42
	;; [unrolled: 2-line block ×3, first 2 shown]
	v_mul_f32_e32 v38, v2, v38
	v_mul_f32_e32 v2, v2, v25
	v_cvt_pk_bf16_f32 v25, v2, s0
	v_lshlrev_b32_e32 v2, 16, v48
	v_mul_f32_e32 v2, v3, v2
	v_cvt_pk_bf16_f32 v33, v33, s0
	v_cvt_pk_bf16_f32 v34, v34, s0
	;; [unrolled: 1-line block ×3, first 2 shown]
	v_lshlrev_b32_e32 v2, 16, v19
	v_cvt_pk_bf16_f32 v35, v35, s0
	v_cvt_pk_bf16_f32 v36, v36, s0
	v_lshlrev_b32_e32 v37, 16, v43
	v_lshlrev_b32_e32 v34, 16, v34
	;; [unrolled: 1-line block ×3, first 2 shown]
	v_mul_f32_e32 v2, v4, v2
	v_mul_f32_e32 v37, v3, v37
	v_add_f32_e32 v33, v34, v33
	v_lshlrev_b32_e32 v34, 16, v36
	v_lshlrev_b32_e32 v35, 16, v35
	v_cvt_pk_bf16_f32 v19, v2, s0
	v_lshlrev_b32_e32 v2, 16, v18
	v_cvt_pk_bf16_f32 v37, v37, s0
	v_cvt_pk_bf16_f32 v38, v38, s0
	v_lshlrev_b32_e32 v39, 16, v41
	v_lshlrev_b32_e32 v40, 16, v40
	v_add_f32_e32 v34, v34, v35
	v_cvt_pk_bf16_f32 v6, v6, s0
	v_cvt_pk_bf16_f32 v7, v7, s0
	;; [unrolled: 1-line block ×4, first 2 shown]
	v_mul_f32_e32 v2, v5, v2
	v_mul_f32_e32 v39, v5, v39
	;; [unrolled: 1-line block ×3, first 2 shown]
	v_add_f32_e32 v33, v34, v33
	v_lshlrev_b32_e32 v34, 16, v38
	v_lshlrev_b32_e32 v35, 16, v37
	v_cvt_pk_bf16_f32 v18, v2, s0
	v_lshlrev_b32_e32 v3, 16, v7
	v_lshlrev_b32_e32 v5, 16, v6
	;; [unrolled: 1-line block ×4, first 2 shown]
	v_cvt_pk_bf16_f32 v39, v39, s0
	v_cvt_pk_bf16_f32 v40, v40, s0
	v_add_f32_e32 v34, v34, v35
	v_pk_add_f32 v[2:3], v[4:5], v[2:3]
	v_lshlrev_b32_e32 v5, 16, v26
	v_lshlrev_b32_e32 v7, 16, v25
	;; [unrolled: 1-line block ×4, first 2 shown]
	v_add_f32_e32 v33, v34, v33
	v_lshlrev_b32_e32 v34, 16, v40
	v_lshlrev_b32_e32 v35, 16, v39
	v_pk_add_f32 v[4:5], v[6:7], v[4:5]
	v_add_f32_e32 v2, v2, v3
	v_add_f32_e32 v34, v34, v35
	;; [unrolled: 1-line block ×3, first 2 shown]
	v_add_u32_e32 v1, 2, v1
	v_add_f32_e32 v33, v34, v33
	v_add_f32_e32 v2, v4, v2
	v_cmp_le_i32_e32 vcc, s23, v1
	v_add_f32_e32 v13, v13, v33
	v_add_f32_e32 v11, v11, v2
	v_add_u32_e32 v23, 32, v23
	v_add_u32_e32 v24, 0x80, v24
	s_or_b64 s[2:3], vcc, s[2:3]
	v_lshl_add_u64 v[16:17], v[16:17], 0, 8
	s_andn2_b64 exec, exec, s[2:3]
	s_cbranch_execz .LBB305_48
.LBB305_40:                             ; =>This Inner Loop Header: Depth=1
	global_load_dword v2, v[16:17], off
	v_add_u32_e32 v33, -7, v23
	v_cmp_eq_u32_e32 vcc, s15, v1
	v_add_u32_e32 v38, -6, v23
	v_add_u32_e32 v37, -5, v23
	;; [unrolled: 1-line block ×5, first 2 shown]
	s_waitcnt vmcnt(0)
	v_mad_i64_i32 v[18:19], s[0:1], v2, s13, v[14:15]
	global_load_dwordx2 v[26:27], v[18:19], off
	ds_read2_b64 v[6:9], v24 offset1:1
	ds_read2_b64 v[2:5], v24 offset0:2 offset1:3
	s_waitcnt vmcnt(0)
	v_and_b32_e32 v25, 0xff, v26
	v_bfe_u32 v28, v26, 8, 8
	v_bfe_u32 v29, v26, 16, 8
	v_lshrrev_b32_e32 v26, 24, v26
	v_and_b32_e32 v30, 0xff, v27
	v_bfe_u32 v31, v27, 8, 8
	v_bfe_u32 v32, v27, 16, 8
	v_lshrrev_b32_e32 v27, 24, v27
	v_cvt_f32_fp8_e32 v25, v25
	v_cvt_f32_fp8_e32 v28, v28
	;; [unrolled: 1-line block ×8, first 2 shown]
	s_waitcnt lgkmcnt(0)
	v_mul_f32_e32 v25, s14, v25
	v_mul_f32_e32 v28, s14, v28
	;; [unrolled: 1-line block ×8, first 2 shown]
	v_cvt_pk_bf16_f32 v31, v25, s0
	v_cvt_pk_bf16_f32 v32, v28, s0
	;; [unrolled: 1-line block ×8, first 2 shown]
	v_add_u32_e32 v39, -1, v23
	s_and_saveexec_b64 s[10:11], vcc
	s_cbranch_execz .LBB305_42
; %bb.41:                               ;   in Loop: Header=BB305_40 Depth=1
	v_cmp_gt_i32_e64 s[0:1], s21, v33
	s_nop 1
	v_cndmask_b32_e64 v31, 0, v31, s[0:1]
	v_cmp_gt_i32_e64 s[0:1], s21, v38
	s_nop 1
	v_cndmask_b32_e64 v32, 0, v32, s[0:1]
	v_cmp_gt_i32_e64 s[0:1], s21, v37
	s_nop 1
	v_cndmask_b32_e64 v29, 0, v29, s[0:1]
	v_cmp_gt_i32_e64 s[0:1], s21, v36
	s_nop 1
	v_cndmask_b32_e64 v30, 0, v30, s[0:1]
	v_cmp_gt_i32_e64 s[0:1], s21, v35
	s_nop 1
	v_cndmask_b32_e64 v27, 0, v27, s[0:1]
	v_cmp_gt_i32_e64 s[0:1], s21, v34
	s_nop 1
	v_cndmask_b32_e64 v28, 0, v28, s[0:1]
	v_cmp_gt_i32_e64 s[0:1], s21, v39
	s_nop 1
	v_cndmask_b32_e64 v25, 0, v25, s[0:1]
	v_cmp_gt_i32_e64 s[0:1], s21, v23
	s_nop 1
	v_cndmask_b32_e64 v26, 0, v26, s[0:1]
.LBB305_42:                             ;   in Loop: Header=BB305_40 Depth=1
	s_or_b64 exec, exec, s[10:11]
	global_load_dwordx2 v[40:41], v[18:19], off offset:512
	s_waitcnt vmcnt(0)
	v_and_b32_e32 v42, 0xff, v40
	v_bfe_u32 v43, v40, 8, 8
	v_bfe_u32 v44, v40, 16, 8
	v_lshrrev_b32_e32 v40, 24, v40
	v_and_b32_e32 v45, 0xff, v41
	v_bfe_u32 v46, v41, 8, 8
	v_bfe_u32 v47, v41, 16, 8
	v_lshrrev_b32_e32 v41, 24, v41
	v_cvt_f32_fp8_e32 v42, v42
	v_cvt_f32_fp8_e32 v43, v43
	v_cvt_f32_fp8_e32 v44, v44
	v_cvt_f32_fp8_e32 v40, v40
	v_cvt_f32_fp8_e32 v45, v45
	v_cvt_f32_fp8_e32 v46, v46
	v_cvt_f32_fp8_e32 v47, v47
	v_cvt_f32_fp8_e32 v41, v41
	v_mul_f32_e32 v42, s14, v42
	v_mul_f32_e32 v43, s14, v43
	v_mul_f32_e32 v44, s14, v44
	v_mul_f32_e32 v40, s14, v40
	v_mul_f32_e32 v48, s14, v45
	v_mul_f32_e32 v49, s14, v46
	v_mul_f32_e32 v50, s14, v47
	v_mul_f32_e32 v41, s14, v41
	v_cvt_pk_bf16_f32 v46, v42, s0
	v_cvt_pk_bf16_f32 v47, v43, s0
	v_cvt_pk_bf16_f32 v44, v44, s0
	v_cvt_pk_bf16_f32 v45, v40, s0
	v_cvt_pk_bf16_f32 v42, v48, s0
	v_cvt_pk_bf16_f32 v43, v49, s0
	v_cvt_pk_bf16_f32 v40, v50, s0
	v_cvt_pk_bf16_f32 v41, v41, s0
	s_and_saveexec_b64 s[10:11], vcc
	s_cbranch_execz .LBB305_44
; %bb.43:                               ;   in Loop: Header=BB305_40 Depth=1
	v_cmp_gt_i32_e64 s[0:1], s21, v33
	s_nop 1
	v_cndmask_b32_e64 v46, 0, v46, s[0:1]
	v_cmp_gt_i32_e64 s[0:1], s21, v38
	s_nop 1
	v_cndmask_b32_e64 v47, 0, v47, s[0:1]
	v_cmp_gt_i32_e64 s[0:1], s21, v37
	s_nop 1
	v_cndmask_b32_e64 v44, 0, v44, s[0:1]
	v_cmp_gt_i32_e64 s[0:1], s21, v36
	s_nop 1
	v_cndmask_b32_e64 v45, 0, v45, s[0:1]
	v_cmp_gt_i32_e64 s[0:1], s21, v35
	s_nop 1
	v_cndmask_b32_e64 v42, 0, v42, s[0:1]
	v_cmp_gt_i32_e64 s[0:1], s21, v34
	s_nop 1
	v_cndmask_b32_e64 v43, 0, v43, s[0:1]
	v_cmp_gt_i32_e64 s[0:1], s21, v39
	s_nop 1
	v_cndmask_b32_e64 v40, 0, v40, s[0:1]
	v_cmp_gt_i32_e64 s[0:1], s21, v23
	s_nop 1
	v_cndmask_b32_e64 v41, 0, v41, s[0:1]
.LBB305_44:                             ;   in Loop: Header=BB305_40 Depth=1
	s_or_b64 exec, exec, s[10:11]
	global_load_dwordx2 v[48:49], v[18:19], off offset:1024
	s_waitcnt vmcnt(0)
	v_and_b32_e32 v50, 0xff, v48
	v_bfe_u32 v51, v48, 8, 8
	v_bfe_u32 v52, v48, 16, 8
	v_lshrrev_b32_e32 v48, 24, v48
	v_and_b32_e32 v53, 0xff, v49
	v_bfe_u32 v54, v49, 8, 8
	v_bfe_u32 v55, v49, 16, 8
	v_lshrrev_b32_e32 v49, 24, v49
	v_cvt_f32_fp8_e32 v50, v50
	v_cvt_f32_fp8_e32 v51, v51
	v_cvt_f32_fp8_e32 v52, v52
	v_cvt_f32_fp8_e32 v48, v48
	v_cvt_f32_fp8_e32 v53, v53
	v_cvt_f32_fp8_e32 v54, v54
	v_cvt_f32_fp8_e32 v55, v55
	v_cvt_f32_fp8_e32 v49, v49
	v_mul_f32_e32 v50, s14, v50
	v_mul_f32_e32 v51, s14, v51
	v_mul_f32_e32 v52, s14, v52
	v_mul_f32_e32 v48, s14, v48
	v_mul_f32_e32 v53, s14, v53
	v_mul_f32_e32 v54, s14, v54
	v_mul_f32_e32 v55, s14, v55
	v_mul_f32_e32 v49, s14, v49
	v_cvt_pk_bf16_f32 v60, v50, s0
	v_cvt_pk_bf16_f32 v61, v51, s0
	v_cvt_pk_bf16_f32 v58, v52, s0
	v_cvt_pk_bf16_f32 v59, v48, s0
	v_cvt_pk_bf16_f32 v56, v53, s0
	v_cvt_pk_bf16_f32 v57, v54, s0
	v_cvt_pk_bf16_f32 v54, v55, s0
	v_cvt_pk_bf16_f32 v55, v49, s0
	;; [unrolled: 63-line block ×3, first 2 shown]
	s_and_saveexec_b64 s[0:1], vcc
	s_cbranch_execz .LBB305_39
; %bb.47:                               ;   in Loop: Header=BB305_40 Depth=1
	v_cmp_gt_i32_e32 vcc, s21, v33
	s_nop 1
	v_cndmask_b32_e32 v53, 0, v53, vcc
	v_cmp_gt_i32_e32 vcc, s21, v38
	s_nop 1
	v_cndmask_b32_e32 v52, 0, v52, vcc
	;; [unrolled: 3-line block ×8, first 2 shown]
	s_branch .LBB305_39
.LBB305_48:
	s_or_b64 exec, exec, s[2:3]
.LBB305_49:
	s_or_b64 exec, exec, s[8:9]
	ds_bpermute_b32 v2, v21, v12
	ds_bpermute_b32 v3, v21, v13
	;; [unrolled: 1-line block ×4, first 2 shown]
	v_and_b32_e32 v1, 0x3c1, v0
	v_cmp_ne_u32_e32 vcc, 64, v1
	s_waitcnt lgkmcnt(2)
	v_pk_add_f32 v[2:3], v[12:13], v[2:3]
	s_waitcnt lgkmcnt(0)
	s_barrier
	s_and_saveexec_b64 s[0:1], vcc
	s_xor_b64 s[0:1], exec, s[0:1]
; %bb.50:
                                        ; implicit-def: $vgpr20
; %bb.51:
	s_or_saveexec_b64 s[0:1], s[0:1]
	v_pk_add_f32 v[4:5], v[10:11], v[4:5]
	s_xor_b64 exec, exec, s[0:1]
	s_cbranch_execz .LBB305_53
; %bb.52:
	v_mov_b32_e32 v6, 0x110
	v_lshl_add_u32 v6, v20, 1, v6
	ds_write2_b32 v6, v2, v3 offset1:32
	ds_write2_b32 v6, v4, v5 offset0:64 offset1:96
.LBB305_53:
	s_or_b64 exec, exec, s[0:1]
	v_lshrrev_b32_e32 v0, 1, v0
	s_waitcnt lgkmcnt(0)
	s_barrier
	s_and_saveexec_b64 s[0:1], s[6:7]
	s_cbranch_execz .LBB305_60
; %bb.54:
	v_mov_b32_e32 v6, 0x110
	v_cmp_eq_u32_e32 vcc, 0, v22
	v_lshl_add_u32 v6, v0, 2, v6
	s_and_saveexec_b64 s[2:3], vcc
	s_cbranch_execnz .LBB305_63
; %bb.55:
	s_or_b64 exec, exec, s[2:3]
	s_and_saveexec_b64 s[2:3], vcc
	s_cbranch_execnz .LBB305_64
.LBB305_56:
	s_or_b64 exec, exec, s[2:3]
	s_and_saveexec_b64 s[2:3], vcc
	s_cbranch_execnz .LBB305_65
.LBB305_57:
	s_or_b64 exec, exec, s[2:3]
	s_and_saveexec_b64 s[2:3], vcc
	s_cbranch_execz .LBB305_59
.LBB305_58:
	ds_read_b32 v6, v6 offset:384
	s_waitcnt lgkmcnt(0)
	v_add_f32_e32 v5, v5, v6
.LBB305_59:
	s_or_b64 exec, exec, s[2:3]
.LBB305_60:
	s_or_b64 exec, exec, s[0:1]
	v_cmp_eq_u32_e32 vcc, 0, v1
	s_barrier
	s_and_saveexec_b64 s[0:1], vcc
	s_cbranch_execz .LBB305_62
; %bb.61:
	s_mul_i32 s0, s20, s12
	s_mul_i32 s0, s0, s5
	s_lshl_b32 s0, s0, 7
	s_ashr_i32 s1, s0, 31
	s_lshl_b64 s[0:1], s[0:1], 1
	s_add_u32 s2, s24, s0
	s_mul_i32 s0, s12, s22
	s_addc_u32 s3, s25, s1
	s_ashr_i32 s1, s0, 31
	s_lshl_b64 s[0:1], s[0:1], 1
	s_add_u32 s2, s2, s0
	s_addc_u32 s3, s3, s1
	s_lshl_b32 s0, s4, 7
	s_ashr_i32 s1, s0, 31
	s_lshl_b64 s[0:1], s[0:1], 1
	s_add_u32 s0, s2, s0
	s_addc_u32 s1, s3, s1
	v_lshlrev_b32_e32 v0, 1, v0
	v_cvt_pk_bf16_f32 v1, v2, s0
	global_store_short v0, v1, s[0:1]
	v_cvt_pk_bf16_f32 v1, v3, s0
	global_store_short v0, v1, s[0:1] offset:64
	v_cvt_pk_bf16_f32 v1, v4, s0
	global_store_short v0, v1, s[0:1] offset:128
	;; [unrolled: 2-line block ×3, first 2 shown]
.LBB305_62:
	s_endpgm
.LBB305_63:
	ds_read_b32 v7, v6
	s_waitcnt lgkmcnt(0)
	v_add_f32_e32 v2, v2, v7
	s_or_b64 exec, exec, s[2:3]
	s_and_saveexec_b64 s[2:3], vcc
	s_cbranch_execz .LBB305_56
.LBB305_64:
	ds_read_b32 v7, v6 offset:128
	s_waitcnt lgkmcnt(0)
	v_add_f32_e32 v3, v3, v7
	s_or_b64 exec, exec, s[2:3]
	s_and_saveexec_b64 s[2:3], vcc
	s_cbranch_execz .LBB305_57
.LBB305_65:
	ds_read_b32 v7, v6 offset:256
	s_waitcnt lgkmcnt(0)
	v_add_f32_e32 v4, v4, v7
	s_or_b64 exec, exec, s[2:3]
	s_and_saveexec_b64 s[2:3], vcc
	s_cbranch_execnz .LBB305_58
	s_branch .LBB305_59
	.section	.rodata,"a",@progbits
	.p2align	6, 0x0
	.amdhsa_kernel _ZN4vllm25paged_attention_v1_kernelI14__hip_bfloat16hLi128ELi16ELi128ELNS_18Fp8KVCacheDataTypeE1ELb0EEEvPT_PKS3_PKT0_S9_ifPKiSB_iPKfiiiSD_SD_iiiii
		.amdhsa_group_segment_fixed_size 272
		.amdhsa_private_segment_fixed_size 0
		.amdhsa_kernarg_size 384
		.amdhsa_user_sgpr_count 2
		.amdhsa_user_sgpr_dispatch_ptr 0
		.amdhsa_user_sgpr_queue_ptr 0
		.amdhsa_user_sgpr_kernarg_segment_ptr 1
		.amdhsa_user_sgpr_dispatch_id 0
		.amdhsa_user_sgpr_kernarg_preload_length 0
		.amdhsa_user_sgpr_kernarg_preload_offset 0
		.amdhsa_user_sgpr_private_segment_size 0
		.amdhsa_uses_dynamic_stack 0
		.amdhsa_enable_private_segment 0
		.amdhsa_system_sgpr_workgroup_id_x 1
		.amdhsa_system_sgpr_workgroup_id_y 1
		.amdhsa_system_sgpr_workgroup_id_z 1
		.amdhsa_system_sgpr_workgroup_info 0
		.amdhsa_system_vgpr_workitem_id 0
		.amdhsa_next_free_vgpr 78
		.amdhsa_next_free_sgpr 40
		.amdhsa_accum_offset 80
		.amdhsa_reserve_vcc 1
		.amdhsa_float_round_mode_32 0
		.amdhsa_float_round_mode_16_64 0
		.amdhsa_float_denorm_mode_32 3
		.amdhsa_float_denorm_mode_16_64 3
		.amdhsa_dx10_clamp 1
		.amdhsa_ieee_mode 1
		.amdhsa_fp16_overflow 0
		.amdhsa_tg_split 0
		.amdhsa_exception_fp_ieee_invalid_op 0
		.amdhsa_exception_fp_denorm_src 0
		.amdhsa_exception_fp_ieee_div_zero 0
		.amdhsa_exception_fp_ieee_overflow 0
		.amdhsa_exception_fp_ieee_underflow 0
		.amdhsa_exception_fp_ieee_inexact 0
		.amdhsa_exception_int_div_zero 0
	.end_amdhsa_kernel
	.section	.text._ZN4vllm25paged_attention_v1_kernelI14__hip_bfloat16hLi128ELi16ELi128ELNS_18Fp8KVCacheDataTypeE1ELb0EEEvPT_PKS3_PKT0_S9_ifPKiSB_iPKfiiiSD_SD_iiiii,"axG",@progbits,_ZN4vllm25paged_attention_v1_kernelI14__hip_bfloat16hLi128ELi16ELi128ELNS_18Fp8KVCacheDataTypeE1ELb0EEEvPT_PKS3_PKT0_S9_ifPKiSB_iPKfiiiSD_SD_iiiii,comdat
.Lfunc_end305:
	.size	_ZN4vllm25paged_attention_v1_kernelI14__hip_bfloat16hLi128ELi16ELi128ELNS_18Fp8KVCacheDataTypeE1ELb0EEEvPT_PKS3_PKT0_S9_ifPKiSB_iPKfiiiSD_SD_iiiii, .Lfunc_end305-_ZN4vllm25paged_attention_v1_kernelI14__hip_bfloat16hLi128ELi16ELi128ELNS_18Fp8KVCacheDataTypeE1ELb0EEEvPT_PKS3_PKT0_S9_ifPKiSB_iPKfiiiSD_SD_iiiii
                                        ; -- End function
	.set _ZN4vllm25paged_attention_v1_kernelI14__hip_bfloat16hLi128ELi16ELi128ELNS_18Fp8KVCacheDataTypeE1ELb0EEEvPT_PKS3_PKT0_S9_ifPKiSB_iPKfiiiSD_SD_iiiii.num_vgpr, 78
	.set _ZN4vllm25paged_attention_v1_kernelI14__hip_bfloat16hLi128ELi16ELi128ELNS_18Fp8KVCacheDataTypeE1ELb0EEEvPT_PKS3_PKT0_S9_ifPKiSB_iPKfiiiSD_SD_iiiii.num_agpr, 0
	.set _ZN4vllm25paged_attention_v1_kernelI14__hip_bfloat16hLi128ELi16ELi128ELNS_18Fp8KVCacheDataTypeE1ELb0EEEvPT_PKS3_PKT0_S9_ifPKiSB_iPKfiiiSD_SD_iiiii.numbered_sgpr, 40
	.set _ZN4vllm25paged_attention_v1_kernelI14__hip_bfloat16hLi128ELi16ELi128ELNS_18Fp8KVCacheDataTypeE1ELb0EEEvPT_PKS3_PKT0_S9_ifPKiSB_iPKfiiiSD_SD_iiiii.num_named_barrier, 0
	.set _ZN4vllm25paged_attention_v1_kernelI14__hip_bfloat16hLi128ELi16ELi128ELNS_18Fp8KVCacheDataTypeE1ELb0EEEvPT_PKS3_PKT0_S9_ifPKiSB_iPKfiiiSD_SD_iiiii.private_seg_size, 0
	.set _ZN4vllm25paged_attention_v1_kernelI14__hip_bfloat16hLi128ELi16ELi128ELNS_18Fp8KVCacheDataTypeE1ELb0EEEvPT_PKS3_PKT0_S9_ifPKiSB_iPKfiiiSD_SD_iiiii.uses_vcc, 1
	.set _ZN4vllm25paged_attention_v1_kernelI14__hip_bfloat16hLi128ELi16ELi128ELNS_18Fp8KVCacheDataTypeE1ELb0EEEvPT_PKS3_PKT0_S9_ifPKiSB_iPKfiiiSD_SD_iiiii.uses_flat_scratch, 0
	.set _ZN4vllm25paged_attention_v1_kernelI14__hip_bfloat16hLi128ELi16ELi128ELNS_18Fp8KVCacheDataTypeE1ELb0EEEvPT_PKS3_PKT0_S9_ifPKiSB_iPKfiiiSD_SD_iiiii.has_dyn_sized_stack, 0
	.set _ZN4vllm25paged_attention_v1_kernelI14__hip_bfloat16hLi128ELi16ELi128ELNS_18Fp8KVCacheDataTypeE1ELb0EEEvPT_PKS3_PKT0_S9_ifPKiSB_iPKfiiiSD_SD_iiiii.has_recursion, 0
	.set _ZN4vllm25paged_attention_v1_kernelI14__hip_bfloat16hLi128ELi16ELi128ELNS_18Fp8KVCacheDataTypeE1ELb0EEEvPT_PKS3_PKT0_S9_ifPKiSB_iPKfiiiSD_SD_iiiii.has_indirect_call, 0
	.section	.AMDGPU.csdata,"",@progbits
; Kernel info:
; codeLenInByte = 6764
; TotalNumSgprs: 46
; NumVgprs: 78
; NumAgprs: 0
; TotalNumVgprs: 78
; ScratchSize: 0
; MemoryBound: 0
; FloatMode: 240
; IeeeMode: 1
; LDSByteSize: 272 bytes/workgroup (compile time only)
; SGPRBlocks: 5
; VGPRBlocks: 9
; NumSGPRsForWavesPerEU: 46
; NumVGPRsForWavesPerEU: 78
; AccumOffset: 80
; Occupancy: 6
; WaveLimiterHint : 1
; COMPUTE_PGM_RSRC2:SCRATCH_EN: 0
; COMPUTE_PGM_RSRC2:USER_SGPR: 2
; COMPUTE_PGM_RSRC2:TRAP_HANDLER: 0
; COMPUTE_PGM_RSRC2:TGID_X_EN: 1
; COMPUTE_PGM_RSRC2:TGID_Y_EN: 1
; COMPUTE_PGM_RSRC2:TGID_Z_EN: 1
; COMPUTE_PGM_RSRC2:TIDIG_COMP_CNT: 0
; COMPUTE_PGM_RSRC3_GFX90A:ACCUM_OFFSET: 19
; COMPUTE_PGM_RSRC3_GFX90A:TG_SPLIT: 0
	.section	.text._ZN4vllm25paged_attention_v1_kernelI14__hip_bfloat16hLi192ELi16ELi128ELNS_18Fp8KVCacheDataTypeE1ELb0EEEvPT_PKS3_PKT0_S9_ifPKiSB_iPKfiiiSD_SD_iiiii,"axG",@progbits,_ZN4vllm25paged_attention_v1_kernelI14__hip_bfloat16hLi192ELi16ELi128ELNS_18Fp8KVCacheDataTypeE1ELb0EEEvPT_PKS3_PKT0_S9_ifPKiSB_iPKfiiiSD_SD_iiiii,comdat
	.protected	_ZN4vllm25paged_attention_v1_kernelI14__hip_bfloat16hLi192ELi16ELi128ELNS_18Fp8KVCacheDataTypeE1ELb0EEEvPT_PKS3_PKT0_S9_ifPKiSB_iPKfiiiSD_SD_iiiii ; -- Begin function _ZN4vllm25paged_attention_v1_kernelI14__hip_bfloat16hLi192ELi16ELi128ELNS_18Fp8KVCacheDataTypeE1ELb0EEEvPT_PKS3_PKT0_S9_ifPKiSB_iPKfiiiSD_SD_iiiii
	.globl	_ZN4vllm25paged_attention_v1_kernelI14__hip_bfloat16hLi192ELi16ELi128ELNS_18Fp8KVCacheDataTypeE1ELb0EEEvPT_PKS3_PKT0_S9_ifPKiSB_iPKfiiiSD_SD_iiiii
	.p2align	8
	.type	_ZN4vllm25paged_attention_v1_kernelI14__hip_bfloat16hLi192ELi16ELi128ELNS_18Fp8KVCacheDataTypeE1ELb0EEEvPT_PKS3_PKT0_S9_ifPKiSB_iPKfiiiSD_SD_iiiii,@function
_ZN4vllm25paged_attention_v1_kernelI14__hip_bfloat16hLi192ELi16ELi128ELNS_18Fp8KVCacheDataTypeE1ELb0EEEvPT_PKS3_PKT0_S9_ifPKiSB_iPKfiiiSD_SD_iiiii: ; @_ZN4vllm25paged_attention_v1_kernelI14__hip_bfloat16hLi192ELi16ELi128ELNS_18Fp8KVCacheDataTypeE1ELb0EEEvPT_PKS3_PKT0_S9_ifPKiSB_iPKfiiiSD_SD_iiiii
; %bb.0:
	s_load_dword s5, s[0:1], 0x80
	s_load_dwordx2 s[6:7], s[0:1], 0x30
	s_load_dwordx2 s[28:29], s[0:1], 0x20
	s_mov_b32 s16, s3
	s_ashr_i32 s17, s3, 31
	s_lshl_b64 s[8:9], s[16:17], 2
	s_waitcnt lgkmcnt(0)
	s_add_u32 s6, s6, s8
	s_addc_u32 s7, s7, s9
	s_abs_i32 s3, s28
	v_cvt_f32_u32_e32 v1, s3
	s_sub_i32 s10, 0, s3
	s_abs_i32 s9, s5
	s_xor_b32 s8, s5, s28
	v_rcp_iflag_f32_e32 v1, v1
	s_ashr_i32 s8, s8, 31
	s_mov_b32 s28, 0
	v_mul_f32_e32 v1, 0x4f7ffffe, v1
	v_cvt_u32_f32_e32 v1, v1
	s_nop 0
	v_readfirstlane_b32 s11, v1
	s_mul_i32 s10, s10, s11
	s_mul_hi_u32 s10, s11, s10
	s_add_i32 s11, s11, s10
	s_mul_hi_u32 s10, s9, s11
	s_mul_i32 s11, s10, s3
	s_sub_i32 s9, s9, s11
	s_add_i32 s11, s10, 1
	s_sub_i32 s12, s9, s3
	s_cmp_ge_u32 s9, s3
	s_cselect_b32 s10, s11, s10
	s_cselect_b32 s9, s12, s9
	s_add_i32 s11, s10, 1
	s_cmp_ge_u32 s9, s3
	s_cselect_b32 s3, s11, s10
	s_xor_b32 s3, s3, s8
	s_sub_i32 s12, s3, s8
	s_abs_i32 s10, s12
	v_cvt_f32_u32_e32 v1, s10
	s_load_dwordx2 s[8:9], s[0:1], 0x40
	s_sub_i32 s3, 0, s10
	s_abs_i32 s11, s2
	v_rcp_iflag_f32_e32 v1, v1
	s_nop 0
	v_mul_f32_e32 v1, 0x4f7ffffe, v1
	v_cvt_u32_f32_e32 v1, v1
	s_nop 0
	v_readfirstlane_b32 s13, v1
	s_mul_i32 s3, s3, s13
	s_mul_hi_u32 s3, s13, s3
	s_add_i32 s13, s13, s3
	s_waitcnt lgkmcnt(0)
	s_cmp_eq_u64 s[8:9], 0
	s_mul_hi_u32 s20, s11, s13
	s_cbranch_scc1 .LBB306_2
; %bb.1:
	s_ashr_i32 s3, s2, 31
	s_lshl_b64 s[14:15], s[2:3], 2
	s_add_u32 s8, s8, s14
	s_addc_u32 s9, s9, s15
	s_load_dword s28, s[8:9], 0x0
.LBB306_2:
	s_load_dword s17, s[6:7], 0x0
	s_ashr_i32 s7, s12, 31
	s_load_dwordx4 s[12:15], s[0:1], 0x48
	s_movk_i32 s8, 0x60
	s_ashr_i32 s6, s2, 31
	v_and_b32_e32 v2, 3, v0
	s_mul_i32 s18, s2, 0xc0
	v_cmp_gt_u32_e32 vcc, s8, v0
	s_and_saveexec_b64 s[2:3], vcc
	s_cbranch_execz .LBB306_4
; %bb.3:
	s_load_dwordx2 s[22:23], s[0:1], 0x8
	s_waitcnt lgkmcnt(0)
	s_mul_i32 s24, s12, s16
	s_ashr_i32 s25, s24, 31
	s_lshl_b64 s[24:25], s[24:25], 1
	v_lshlrev_b32_e32 v1, 2, v0
	s_add_u32 s9, s22, s24
	s_addc_u32 s12, s23, s25
	s_ashr_i32 s19, s18, 31
	s_lshl_b64 s[22:23], s[18:19], 1
	s_add_u32 s22, s9, s22
	s_addc_u32 s23, s12, s23
	global_load_dword v1, v1, s[22:23]
	v_and_b32_e32 v3, 0x3fc, v0
	v_mad_u32_u24 v3, v2, s8, v3
	s_waitcnt vmcnt(0)
	ds_write_b32 v3, v1
.LBB306_4:
	s_or_b64 exec, exec, s[2:3]
	s_waitcnt lgkmcnt(0)
	s_add_i32 s3, s17, 15
	s_ashr_i32 s8, s3, 31
	s_lshr_b32 s8, s8, 28
	s_add_i32 s3, s3, s8
	s_ashr_i32 s19, s3, 4
	s_xor_b32 s3, s6, s7
	s_mul_i32 s6, s20, s10
	s_sub_i32 s6, s11, s6
	s_add_i32 s7, s20, 1
	s_sub_i32 s8, s6, s10
	s_load_dwordx2 s[22:23], s[0:1], 0x28
	s_load_dword s2, s[0:1], 0x38
	s_cmp_ge_u32 s6, s10
	s_cselect_b32 s7, s7, s20
	s_cselect_b32 s6, s8, s6
	s_add_i32 s8, s7, 1
	s_cmp_ge_u32 s6, s10
	s_cselect_b32 s6, s8, s7
	v_lshrrev_b32_e32 v1, 6, v0
	s_xor_b32 s6, s6, s3
	s_waitcnt lgkmcnt(0)
	s_mul_i32 s24, s2, s16
	s_sub_i32 s33, s6, s3
	s_ashr_i32 s25, s24, 31
	v_cmp_gt_i32_e64 s[6:7], s19, v1
	v_cmp_le_i32_e32 vcc, s19, v1
	v_mbcnt_lo_u32_b32 v3, -1, 0
	s_barrier
                                        ; implicit-def: $vgpr9
                                        ; implicit-def: $vgpr11
                                        ; implicit-def: $vgpr10
	s_and_saveexec_b64 s[2:3], vcc
	s_xor_b64 s[2:3], exec, s[2:3]
; %bb.5:
	v_mbcnt_hi_u32_b32 v9, -1, v3
	v_and_b32_e32 v11, 64, v9
	v_add_u32_e32 v10, 64, v11
                                        ; implicit-def: $vgpr2
                                        ; implicit-def: $vgpr3
; %bb.6:
	s_or_saveexec_b64 s[30:31], s[2:3]
	s_load_dwordx2 s[20:21], s[0:1], 0x0
	s_load_dwordx2 s[26:27], s[0:1], 0x18
	s_load_dword s12, s[0:1], 0x88
	s_load_dwordx4 s[8:11], s[0:1], 0x58
	v_mov_b32_e32 v60, 0xff7fffff
	s_mul_i32 s33, s33, s14
	v_lshrrev_b32_e32 v8, 4, v0
	s_xor_b64 exec, exec, s[30:31]
	s_cbranch_execz .LBB306_12
; %bb.7:
	v_mul_u32_u24_e32 v9, 0x60, v2
	ds_read_b128 v[4:7], v9
	s_load_dwordx2 s[0:1], s[0:1], 0x10
	ds_read_b128 v[24:27], v9 offset:16
	ds_read_b128 v[32:35], v9 offset:32
	;; [unrolled: 1-line block ×3, first 2 shown]
	s_ashr_i32 s2, s33, 31
	v_bfe_u32 v60, v0, 2, 4
	s_waitcnt lgkmcnt(0)
	v_lshlrev_b32_e32 v12, 16, v4
	v_and_b32_e32 v13, 0xffff0000, v4
	v_lshlrev_b32_e32 v14, 16, v5
	v_and_b32_e32 v15, 0xffff0000, v5
	;; [unrolled: 2-line block ×4, first 2 shown]
	ds_read_b128 v[4:7], v9 offset:64
	ds_read_b128 v[56:59], v9 offset:80
	s_add_u32 s0, s0, s33
	v_mbcnt_hi_u32_b32 v9, -1, v3
	v_lshlrev_b32_e32 v66, 4, v60
	s_addc_u32 s1, s1, s2
	v_mov_b32_e32 v67, 0
	v_and_b32_e32 v11, 64, v9
	s_waitcnt lgkmcnt(1)
	v_lshlrev_b32_e32 v44, 16, v4
	v_and_b32_e32 v45, 0xffff0000, v4
	v_lshlrev_b32_e32 v46, 16, v5
	v_and_b32_e32 v47, 0xffff0000, v5
	v_lshl_add_u64 v[4:5], s[0:1], 0, v[66:67]
	v_lshlrev_b32_e32 v66, 1, v2
	v_add_u32_e32 v10, 64, v11
	v_cmp_eq_u32_e32 vcc, 0, v2
	v_xor_b32_e32 v2, 2, v9
	v_cmp_lt_i32_e64 s[0:1], v2, v10
	s_load_dword s35, s[8:9], 0x0
	s_sub_i32 s36, 1, s17
	v_cndmask_b32_e64 v2, v9, v2, s[0:1]
	v_lshlrev_b32_e32 v61, 2, v2
	v_xor_b32_e32 v2, 1, v9
	v_cmp_lt_i32_e64 s[0:1], v2, v10
	s_mov_b32 s34, s13
	v_lshlrev_b32_e32 v20, 16, v24
	v_cndmask_b32_e64 v2, v9, v2, s[0:1]
	s_lshl_b64 s[0:1], s[24:25], 2
	v_lshlrev_b32_e32 v62, 2, v2
	v_lshl_add_u64 v[2:3], v[4:5], 0, v[66:67]
	v_lshlrev_b32_e32 v4, 2, v60
	s_add_u32 s0, s22, s0
	v_lshl_or_b32 v4, v1, 6, v4
	v_and_b32_e32 v66, 60, v8
	s_addc_u32 s1, s23, s1
	v_and_b32_e32 v21, 0xffff0000, v24
	v_lshlrev_b32_e32 v22, 16, v25
	v_and_b32_e32 v23, 0xffff0000, v25
	v_lshlrev_b32_e32 v24, 16, v26
	;; [unrolled: 2-line block ×13, first 2 shown]
	v_and_b32_e32 v51, 0xffff0000, v7
	s_waitcnt lgkmcnt(0)
	v_lshlrev_b32_e32 v52, 16, v56
	v_and_b32_e32 v53, 0xffff0000, v56
	v_lshlrev_b32_e32 v54, 16, v57
	v_and_b32_e32 v55, 0xffff0000, v57
	;; [unrolled: 2-line block ×4, first 2 shown]
	v_cmp_neq_f32_e64 s[2:3], s28, 0
	v_lshl_or_b32 v63, v1, 4, v60
	v_add_u32_e32 v64, 0x190, v4
	v_lshl_add_u64 v[4:5], s[0:1], 0, v[66:67]
	s_mov_b64 s[8:9], 0
	s_mov_b32 s37, 0xffff
	v_mov_b32_e32 v60, 0xff7fffff
	v_mov_b32_e32 v65, v1
	s_branch .LBB306_9
.LBB306_8:                              ;   in Loop: Header=BB306_9 Depth=1
	s_or_b64 exec, exec, s[14:15]
	v_add_u32_e32 v65, 2, v65
	v_cmp_le_i32_e64 s[0:1], s19, v65
	v_add_u32_e32 v63, 32, v63
	v_add_u32_e32 v64, 0x80, v64
	s_or_b64 s[8:9], s[0:1], s[8:9]
	v_lshl_add_u64 v[4:5], v[4:5], 0, 8
	s_andn2_b64 exec, exec, s[8:9]
	s_cbranch_execz .LBB306_11
.LBB306_9:                              ; =>This Inner Loop Header: Depth=1
	global_load_dword v6, v[4:5], off
	s_waitcnt vmcnt(0) lgkmcnt(0)
	v_mad_i64_i32 v[6:7], s[0:1], v6, s34, v[2:3]
	global_load_ushort v83, v[6:7], off
	global_load_ushort v84, v[6:7], off offset:8
	global_load_ushort v85, v[6:7], off offset:256
	;; [unrolled: 1-line block ×22, first 2 shown]
	s_nop 0
	global_load_ushort v6, v[6:7], off offset:2824
	s_waitcnt vmcnt(23)
	v_and_b32_sdwa v7, s37, v83 dst_sel:DWORD dst_unused:UNUSED_PAD src0_sel:DWORD src1_sel:BYTE_0
	s_waitcnt vmcnt(22)
	v_and_b32_sdwa v89, s37, v84 dst_sel:DWORD dst_unused:UNUSED_PAD src0_sel:DWORD src1_sel:BYTE_0
	v_lshrrev_b16_e32 v84, 8, v84
	v_lshrrev_b16_e32 v83, 8, v83
	v_cvt_f32_fp8_e32 v84, v84
	s_waitcnt vmcnt(21)
	v_and_b32_sdwa v90, s37, v85 dst_sel:DWORD dst_unused:UNUSED_PAD src0_sel:DWORD src1_sel:BYTE_0
	v_lshrrev_b16_e32 v85, 8, v85
	v_cvt_f32_fp8_e32 v83, v83
	s_waitcnt vmcnt(20)
	v_and_b32_sdwa v91, s37, v86 dst_sel:DWORD dst_unused:UNUSED_PAD src0_sel:DWORD src1_sel:BYTE_0
	v_lshrrev_b16_e32 v86, 8, v86
	v_cvt_f32_fp8_e32 v89, v89
	v_cvt_f32_fp8_e32 v85, v85
	s_waitcnt vmcnt(19)
	v_and_b32_sdwa v92, s37, v87 dst_sel:DWORD dst_unused:UNUSED_PAD src0_sel:DWORD src1_sel:BYTE_0
	v_lshrrev_b16_e32 v87, 8, v87
	v_cvt_f32_fp8_e32 v7, v7
	;; [unrolled: 5-line block ×3, first 2 shown]
	v_cvt_f32_fp8_e32 v87, v87
	v_mul_f32_e32 v84, s35, v84
	s_waitcnt vmcnt(17)
	v_and_b32_sdwa v94, s37, v82 dst_sel:DWORD dst_unused:UNUSED_PAD src0_sel:DWORD src1_sel:BYTE_0
	v_lshrrev_b16_e32 v82, 8, v82
	v_cvt_f32_fp8_e32 v91, v91
	v_cvt_f32_fp8_e32 v88, v88
	v_mul_f32_e32 v83, s35, v83
	v_cvt_pk_bf16_f32 v84, v84, s0
	s_waitcnt vmcnt(16)
	v_and_b32_sdwa v95, s37, v81 dst_sel:DWORD dst_unused:UNUSED_PAD src0_sel:DWORD src1_sel:BYTE_0
	v_lshrrev_b16_e32 v81, 8, v81
	v_cvt_f32_fp8_e32 v92, v92
	v_cvt_f32_fp8_e32 v82, v82
	v_mul_f32_e32 v89, s35, v89
	v_mul_f32_e32 v85, s35, v85
	v_cvt_pk_bf16_f32 v83, v83, s0
	v_lshlrev_b32_e32 v84, 16, v84
	s_waitcnt vmcnt(15)
	v_and_b32_sdwa v96, s37, v80 dst_sel:DWORD dst_unused:UNUSED_PAD src0_sel:DWORD src1_sel:BYTE_0
	v_lshrrev_b16_e32 v80, 8, v80
	v_cvt_f32_fp8_e32 v93, v93
	v_cvt_f32_fp8_e32 v81, v81
	v_mul_f32_e32 v7, s35, v7
	v_mul_f32_e32 v86, s35, v86
	v_cvt_pk_bf16_f32 v89, v89, s0
	v_cvt_pk_bf16_f32 v85, v85, s0
	v_lshlrev_b32_e32 v83, 16, v83
	v_mul_f32_e32 v84, v15, v84
	s_waitcnt vmcnt(14)
	v_and_b32_sdwa v97, s37, v79 dst_sel:DWORD dst_unused:UNUSED_PAD src0_sel:DWORD src1_sel:BYTE_0
	v_lshrrev_b16_e32 v79, 8, v79
	v_cvt_f32_fp8_e32 v94, v94
	v_cvt_f32_fp8_e32 v80, v80
	v_mul_f32_e32 v90, s35, v90
	v_mul_f32_e32 v87, s35, v87
	v_cvt_pk_bf16_f32 v7, v7, s0
	v_cvt_pk_bf16_f32 v86, v86, s0
	v_lshlrev_b32_e32 v89, 16, v89
	v_lshlrev_b32_e32 v85, 16, v85
	v_fmac_f32_e32 v84, v13, v83
	s_waitcnt vmcnt(13)
	v_and_b32_sdwa v98, s37, v78 dst_sel:DWORD dst_unused:UNUSED_PAD src0_sel:DWORD src1_sel:BYTE_0
	v_lshrrev_b16_e32 v78, 8, v78
	v_cvt_f32_fp8_e32 v95, v95
	v_cvt_f32_fp8_e32 v79, v79
	v_mul_f32_e32 v91, s35, v91
	v_mul_f32_e32 v88, s35, v88
	v_cvt_pk_bf16_f32 v90, v90, s0
	v_cvt_pk_bf16_f32 v87, v87, s0
	v_lshlrev_b32_e32 v7, 16, v7
	v_lshlrev_b32_e32 v86, 16, v86
	v_mul_f32_e32 v89, v14, v89
	v_fmac_f32_e32 v84, v17, v85
	s_waitcnt vmcnt(12)
	v_and_b32_sdwa v99, s37, v77 dst_sel:DWORD dst_unused:UNUSED_PAD src0_sel:DWORD src1_sel:BYTE_0
	v_lshrrev_b16_e32 v77, 8, v77
	v_cvt_f32_fp8_e32 v96, v96
	v_cvt_f32_fp8_e32 v78, v78
	v_mul_f32_e32 v92, s35, v92
	v_mul_f32_e32 v82, s35, v82
	v_cvt_pk_bf16_f32 v91, v91, s0
	v_cvt_pk_bf16_f32 v88, v88, s0
	v_lshlrev_b32_e32 v90, 16, v90
	v_lshlrev_b32_e32 v87, 16, v87
	v_fmac_f32_e32 v89, v12, v7
	v_fmac_f32_e32 v84, v19, v86
	s_waitcnt vmcnt(11)
	v_and_b32_sdwa v100, s37, v76 dst_sel:DWORD dst_unused:UNUSED_PAD src0_sel:DWORD src1_sel:BYTE_0
	v_lshrrev_b16_e32 v76, 8, v76
	v_cvt_f32_fp8_e32 v97, v97
	v_cvt_f32_fp8_e32 v77, v77
	v_mul_f32_e32 v93, s35, v93
	v_mul_f32_e32 v81, s35, v81
	v_cvt_pk_bf16_f32 v92, v92, s0
	v_cvt_pk_bf16_f32 v82, v82, s0
	v_lshlrev_b32_e32 v91, 16, v91
	v_lshlrev_b32_e32 v88, 16, v88
	v_fmac_f32_e32 v89, v16, v90
	v_fmac_f32_e32 v84, v21, v87
	v_cvt_f32_fp8_e32 v98, v98
	v_cvt_f32_fp8_e32 v76, v76
	v_mul_f32_e32 v94, s35, v94
	v_mul_f32_e32 v80, s35, v80
	v_cvt_pk_bf16_f32 v93, v93, s0
	v_cvt_pk_bf16_f32 v81, v81, s0
	v_lshlrev_b32_e32 v92, 16, v92
	v_lshlrev_b32_e32 v82, 16, v82
	v_fmac_f32_e32 v89, v18, v91
	v_fmac_f32_e32 v84, v23, v88
	v_cvt_f32_fp8_e32 v99, v99
	v_mul_f32_e32 v95, s35, v95
	v_mul_f32_e32 v79, s35, v79
	v_cvt_pk_bf16_f32 v94, v94, s0
	v_cvt_pk_bf16_f32 v80, v80, s0
	v_lshlrev_b32_e32 v93, 16, v93
	v_lshlrev_b32_e32 v81, 16, v81
	v_fmac_f32_e32 v89, v20, v92
	v_fmac_f32_e32 v84, v25, v82
	s_waitcnt vmcnt(10)
	v_and_b32_sdwa v101, s37, v75 dst_sel:DWORD dst_unused:UNUSED_PAD src0_sel:DWORD src1_sel:BYTE_0
	v_cvt_f32_fp8_e32 v100, v100
	v_mul_f32_e32 v96, s35, v96
	v_mul_f32_e32 v78, s35, v78
	v_cvt_pk_bf16_f32 v95, v95, s0
	v_cvt_pk_bf16_f32 v79, v79, s0
	v_lshlrev_b32_e32 v94, 16, v94
	v_lshlrev_b32_e32 v80, 16, v80
	v_fmac_f32_e32 v89, v22, v93
	v_fmac_f32_e32 v84, v27, v81
	v_cvt_f32_fp8_e32 v101, v101
	v_mul_f32_e32 v97, s35, v97
	v_mul_f32_e32 v77, s35, v77
	v_cvt_pk_bf16_f32 v96, v96, s0
	v_cvt_pk_bf16_f32 v78, v78, s0
	v_lshlrev_b32_e32 v95, 16, v95
	v_lshlrev_b32_e32 v79, 16, v79
	v_fmac_f32_e32 v89, v24, v94
	v_fmac_f32_e32 v84, v29, v80
	v_mul_f32_e32 v98, s35, v98
	v_mul_f32_e32 v76, s35, v76
	v_cvt_pk_bf16_f32 v97, v97, s0
	v_cvt_pk_bf16_f32 v77, v77, s0
	v_lshlrev_b32_e32 v96, 16, v96
	v_lshlrev_b32_e32 v78, 16, v78
	v_fmac_f32_e32 v89, v26, v95
	v_fmac_f32_e32 v84, v31, v79
	v_mul_f32_e32 v99, s35, v99
	v_cvt_pk_bf16_f32 v98, v98, s0
	v_lshlrev_b32_e32 v97, 16, v97
	v_lshlrev_b32_e32 v77, 16, v77
	v_fmac_f32_e32 v89, v28, v96
	v_fmac_f32_e32 v84, v33, v78
	v_cvt_pk_bf16_f32 v7, v76, s0
	v_lshrrev_b16_e32 v75, 8, v75
	v_mul_f32_e32 v100, s35, v100
	v_cvt_pk_bf16_f32 v99, v99, s0
	v_lshlrev_b32_e32 v98, 16, v98
	v_fmac_f32_e32 v89, v30, v97
	v_fmac_f32_e32 v84, v35, v77
	v_lshlrev_b32_e32 v7, 16, v7
	v_cvt_f32_fp8_e32 v75, v75
	v_cvt_pk_bf16_f32 v100, v100, s0
	v_lshlrev_b32_e32 v99, 16, v99
	v_fmac_f32_e32 v89, v32, v98
	v_fmac_f32_e32 v84, v37, v7
	v_mul_f32_e32 v7, s35, v101
	v_lshlrev_b32_e32 v100, 16, v100
	v_fmac_f32_e32 v89, v34, v99
	v_cvt_pk_bf16_f32 v7, v7, s0
	v_fmac_f32_e32 v89, v36, v100
	v_lshlrev_b32_e32 v7, 16, v7
	v_fmac_f32_e32 v89, v38, v7
	v_mul_f32_e32 v7, s35, v75
	s_waitcnt vmcnt(9)
	v_and_b32_sdwa v75, s37, v74 dst_sel:DWORD dst_unused:UNUSED_PAD src0_sel:DWORD src1_sel:BYTE_0
	v_cvt_f32_fp8_e32 v75, v75
	v_cvt_pk_bf16_f32 v7, v7, s0
	v_lshrrev_b16_e32 v74, 8, v74
	v_lshlrev_b32_e32 v7, 16, v7
	v_cvt_f32_fp8_e32 v74, v74
	v_fmac_f32_e32 v84, v39, v7
	v_mul_f32_e32 v7, s35, v75
	v_cvt_pk_bf16_f32 v7, v7, s0
	v_lshlrev_b32_e32 v7, 16, v7
	v_fmac_f32_e32 v89, v40, v7
	v_mul_f32_e32 v7, s35, v74
	s_waitcnt vmcnt(8)
	v_and_b32_sdwa v74, s37, v73 dst_sel:DWORD dst_unused:UNUSED_PAD src0_sel:DWORD src1_sel:BYTE_0
	v_cvt_f32_fp8_e32 v74, v74
	v_cvt_pk_bf16_f32 v7, v7, s0
	v_lshrrev_b16_e32 v73, 8, v73
	v_lshlrev_b32_e32 v7, 16, v7
	v_cvt_f32_fp8_e32 v73, v73
	v_fmac_f32_e32 v84, v41, v7
	v_mul_f32_e32 v7, s35, v74
	v_cvt_pk_bf16_f32 v7, v7, s0
	v_lshlrev_b32_e32 v7, 16, v7
	v_fmac_f32_e32 v89, v42, v7
	v_mul_f32_e32 v7, s35, v73
	s_waitcnt vmcnt(7)
	v_and_b32_sdwa v73, s37, v72 dst_sel:DWORD dst_unused:UNUSED_PAD src0_sel:DWORD src1_sel:BYTE_0
	v_cvt_f32_fp8_e32 v73, v73
	v_cvt_pk_bf16_f32 v7, v7, s0
	v_lshrrev_b16_e32 v72, 8, v72
	v_lshlrev_b32_e32 v7, 16, v7
	v_cvt_f32_fp8_e32 v72, v72
	v_fmac_f32_e32 v84, v43, v7
	v_mul_f32_e32 v7, s35, v73
	v_cvt_pk_bf16_f32 v7, v7, s0
	v_lshlrev_b32_e32 v7, 16, v7
	v_fmac_f32_e32 v89, v44, v7
	v_mul_f32_e32 v7, s35, v72
	s_waitcnt vmcnt(6)
	v_and_b32_sdwa v72, s37, v71 dst_sel:DWORD dst_unused:UNUSED_PAD src0_sel:DWORD src1_sel:BYTE_0
	v_cvt_f32_fp8_e32 v72, v72
	v_cvt_pk_bf16_f32 v7, v7, s0
	v_lshrrev_b16_e32 v71, 8, v71
	v_lshlrev_b32_e32 v7, 16, v7
	v_cvt_f32_fp8_e32 v71, v71
	v_fmac_f32_e32 v84, v45, v7
	v_mul_f32_e32 v7, s35, v72
	v_cvt_pk_bf16_f32 v7, v7, s0
	v_lshlrev_b32_e32 v7, 16, v7
	v_fmac_f32_e32 v89, v46, v7
	v_mul_f32_e32 v7, s35, v71
	s_waitcnt vmcnt(5)
	v_and_b32_sdwa v71, s37, v70 dst_sel:DWORD dst_unused:UNUSED_PAD src0_sel:DWORD src1_sel:BYTE_0
	v_cvt_f32_fp8_e32 v71, v71
	v_cvt_pk_bf16_f32 v7, v7, s0
	v_lshrrev_b16_e32 v70, 8, v70
	v_lshlrev_b32_e32 v7, 16, v7
	v_cvt_f32_fp8_e32 v70, v70
	v_fmac_f32_e32 v84, v47, v7
	v_mul_f32_e32 v7, s35, v71
	v_cvt_pk_bf16_f32 v7, v7, s0
	v_lshlrev_b32_e32 v7, 16, v7
	v_fmac_f32_e32 v89, v48, v7
	v_mul_f32_e32 v7, s35, v70
	s_waitcnt vmcnt(4)
	v_and_b32_sdwa v70, s37, v69 dst_sel:DWORD dst_unused:UNUSED_PAD src0_sel:DWORD src1_sel:BYTE_0
	v_cvt_f32_fp8_e32 v70, v70
	v_cvt_pk_bf16_f32 v7, v7, s0
	v_lshrrev_b16_e32 v69, 8, v69
	v_lshlrev_b32_e32 v7, 16, v7
	v_cvt_f32_fp8_e32 v69, v69
	v_fmac_f32_e32 v84, v49, v7
	v_mul_f32_e32 v7, s35, v70
	v_cvt_pk_bf16_f32 v7, v7, s0
	v_lshlrev_b32_e32 v7, 16, v7
	v_fmac_f32_e32 v89, v50, v7
	v_mul_f32_e32 v7, s35, v69
	s_waitcnt vmcnt(3)
	v_and_b32_sdwa v69, s37, v68 dst_sel:DWORD dst_unused:UNUSED_PAD src0_sel:DWORD src1_sel:BYTE_0
	v_cvt_f32_fp8_e32 v69, v69
	v_cvt_pk_bf16_f32 v7, v7, s0
	v_lshrrev_b16_e32 v68, 8, v68
	v_lshlrev_b32_e32 v7, 16, v7
	v_cvt_f32_fp8_e32 v68, v68
	v_fmac_f32_e32 v84, v51, v7
	v_mul_f32_e32 v7, s35, v69
	v_cvt_pk_bf16_f32 v7, v7, s0
	v_lshlrev_b32_e32 v7, 16, v7
	v_fmac_f32_e32 v89, v52, v7
	v_mul_f32_e32 v7, s35, v68
	s_waitcnt vmcnt(2)
	v_and_b32_sdwa v68, s37, v67 dst_sel:DWORD dst_unused:UNUSED_PAD src0_sel:DWORD src1_sel:BYTE_0
	v_cvt_f32_fp8_e32 v68, v68
	v_lshrrev_b16_e32 v67, 8, v67
	v_cvt_f32_fp8_e32 v67, v67
	v_cvt_pk_bf16_f32 v7, v7, s0
	v_lshlrev_b32_e32 v7, 16, v7
	v_fmac_f32_e32 v84, v53, v7
	v_mul_f32_e32 v7, s35, v68
	v_cvt_pk_bf16_f32 v7, v7, s0
	v_mul_f32_e32 v67, s35, v67
	v_lshlrev_b32_e32 v7, 16, v7
	v_cvt_pk_bf16_f32 v67, v67, s0
	v_fmac_f32_e32 v89, v54, v7
	s_waitcnt vmcnt(1)
	v_and_b32_sdwa v7, s37, v66 dst_sel:DWORD dst_unused:UNUSED_PAD src0_sel:DWORD src1_sel:BYTE_0
	v_lshrrev_b16_e32 v66, 8, v66
	v_lshlrev_b32_e32 v67, 16, v67
	v_cvt_f32_fp8_e32 v7, v7
	v_cvt_f32_fp8_e32 v66, v66
	v_fmac_f32_e32 v84, v55, v67
	s_waitcnt vmcnt(0)
	v_and_b32_sdwa v67, s37, v6 dst_sel:DWORD dst_unused:UNUSED_PAD src0_sel:DWORD src1_sel:BYTE_0
	v_lshrrev_b16_e32 v6, 8, v6
	v_cvt_f32_fp8_e32 v67, v67
	v_cvt_f32_fp8_e32 v6, v6
	v_mul_f32_e32 v7, s35, v7
	v_mul_f32_e32 v66, s35, v66
	v_cvt_pk_bf16_f32 v7, v7, s0
	v_cvt_pk_bf16_f32 v66, v66, s0
	v_mul_f32_e32 v67, s35, v67
	v_mul_f32_e32 v6, s35, v6
	v_cvt_pk_bf16_f32 v67, v67, s0
	v_cvt_pk_bf16_f32 v6, v6, s0
	v_lshlrev_b32_e32 v7, 16, v7
	v_lshlrev_b32_e32 v66, 16, v66
	v_fmac_f32_e32 v89, v56, v7
	v_fmac_f32_e32 v84, v57, v66
	v_lshlrev_b32_e32 v7, 16, v67
	v_lshlrev_b32_e32 v6, 16, v6
	v_fmac_f32_e32 v89, v58, v7
	v_fmac_f32_e32 v84, v59, v6
	v_add_f32_e32 v6, v89, v84
	ds_bpermute_b32 v7, v61, v6
	s_waitcnt lgkmcnt(0)
	v_add_f32_e32 v6, v6, v7
	ds_bpermute_b32 v7, v62, v6
	s_and_saveexec_b64 s[14:15], vcc
	s_cbranch_execz .LBB306_8
; %bb.10:                               ;   in Loop: Header=BB306_9 Depth=1
	v_add_u32_e32 v66, s36, v63
	v_cvt_f32_i32_e32 v66, v66
	s_waitcnt lgkmcnt(0)
	v_add_f32_e32 v6, v6, v7
	v_cmp_gt_i32_e64 s[0:1], s17, v63
	v_max_f32_e32 v7, v60, v60
	v_mul_f32_e32 v66, s28, v66
	v_cndmask_b32_e64 v66, 0, v66, s[2:3]
	v_fmac_f32_e32 v66, s29, v6
	v_cndmask_b32_e64 v6, 0, v66, s[0:1]
	ds_write_b32 v64, v6
	v_max_f32_e32 v6, v7, v66
	v_cndmask_b32_e64 v60, v60, v6, s[0:1]
	s_branch .LBB306_8
.LBB306_11:
	s_or_b64 exec, exec, s[8:9]
.LBB306_12:
	s_or_b64 exec, exec, s[30:31]
	v_xor_b32_e32 v2, 32, v9
	v_cmp_lt_i32_e32 vcc, v2, v10
	v_xor_b32_e32 v5, 16, v9
	v_max_f32_e32 v4, v60, v60
	v_cndmask_b32_e32 v2, v9, v2, vcc
	v_lshlrev_b32_e32 v2, 2, v2
	ds_bpermute_b32 v3, v2, v60
	v_cmp_lt_i32_e32 vcc, v5, v10
	v_xor_b32_e32 v6, 8, v9
	s_waitcnt lgkmcnt(0)
	v_xor_b32_e32 v7, 4, v9
	v_and_b32_e32 v22, 63, v0
	v_max_f32_e32 v3, v3, v3
	v_max_f32_e32 v4, v4, v3
	v_cndmask_b32_e32 v3, v9, v5, vcc
	v_lshlrev_b32_e32 v3, 2, v3
	ds_bpermute_b32 v5, v3, v4
	v_cmp_lt_i32_e32 vcc, v6, v10
	s_waitcnt lgkmcnt(0)
	v_max_f32_e32 v5, v5, v5
	v_max_f32_e32 v4, v4, v5
	v_cndmask_b32_e32 v5, v9, v6, vcc
	v_lshlrev_b32_e32 v6, 2, v5
	ds_bpermute_b32 v5, v6, v4
	v_cmp_lt_i32_e32 vcc, v7, v10
	s_waitcnt lgkmcnt(0)
	v_max_f32_e32 v5, v5, v5
	v_max_f32_e32 v5, v4, v5
	v_cndmask_b32_e32 v4, v9, v7, vcc
	v_lshlrev_b32_e32 v7, 2, v4
	ds_bpermute_b32 v12, v7, v5
	v_cmp_eq_u32_e32 vcc, 0, v22
	v_lshlrev_b32_e32 v4, 2, v1
	s_and_saveexec_b64 s[0:1], vcc
	s_cbranch_execz .LBB306_14
; %bb.13:
	s_waitcnt lgkmcnt(0)
	v_max_f32_e32 v12, v12, v12
	v_max_f32_e32 v5, v5, v5
	;; [unrolled: 1-line block ×3, first 2 shown]
	ds_write_b32 v4, v5 offset:384
.LBB306_14:
	s_or_b64 exec, exec, s[0:1]
	v_cmp_gt_u32_e64 s[0:1], 2, v22
	s_waitcnt lgkmcnt(0)
	v_mov_b32_e32 v12, 0xff7fffff
	v_lshlrev_b32_e32 v5, 2, v22
	s_barrier
	s_and_saveexec_b64 s[2:3], s[0:1]
; %bb.15:
	ds_read_b32 v12, v5 offset:384
; %bb.16:
	s_or_b64 exec, exec, s[2:3]
	v_xor_b32_e32 v13, 1, v9
	v_cmp_lt_i32_e64 s[2:3], v13, v10
	v_lshlrev_b32_e32 v11, 2, v11
	s_nop 0
	v_cndmask_b32_e64 v13, v9, v13, s[2:3]
	v_lshlrev_b32_e32 v23, 2, v13
	s_waitcnt lgkmcnt(0)
	ds_bpermute_b32 v13, v23, v12
	v_max_f32_e32 v12, v12, v12
	s_lshl_b32 s2, s19, 4
	s_min_i32 s30, s2, s17
	v_cmp_gt_i32_e64 s[2:3], s30, v0
	s_waitcnt lgkmcnt(0)
	v_max_f32_e32 v13, v13, v13
	v_max_f32_e32 v12, v12, v13
	ds_bpermute_b32 v12, v11, v12
	v_mov_b32_e32 v11, 0
	s_and_saveexec_b64 s[14:15], s[2:3]
	s_cbranch_execz .LBB306_20
; %bb.17:
	v_mov_b32_e32 v11, 0x190
	v_lshl_add_u32 v13, v0, 2, v11
	v_mov_b32_e32 v11, 0
	s_mov_b64 s[28:29], 0
	v_mov_b32_e32 v14, v0
.LBB306_18:                             ; =>This Inner Loop Header: Depth=1
	ds_read_b32 v15, v13
	v_add_u32_e32 v14, 0x80, v14
	v_cmp_le_i32_e64 s[8:9], s30, v14
	s_or_b64 s[28:29], s[8:9], s[28:29]
	s_waitcnt lgkmcnt(0)
	v_sub_f32_e32 v15, v15, v12
	v_mul_f32_e32 v15, 0x3fb8aa3b, v15
	v_exp_f32_e32 v15, v15
	ds_write_b32 v13, v15
	v_add_f32_e32 v11, v11, v15
	v_add_u32_e32 v13, 0x200, v13
	s_andn2_b64 exec, exec, s[28:29]
	s_cbranch_execnz .LBB306_18
; %bb.19:
	s_or_b64 exec, exec, s[28:29]
.LBB306_20:
	s_or_b64 exec, exec, s[14:15]
	ds_bpermute_b32 v2, v2, v11
	s_waitcnt lgkmcnt(0)
	v_add_f32_e32 v2, v11, v2
	ds_bpermute_b32 v3, v3, v2
	s_waitcnt lgkmcnt(0)
	v_add_f32_e32 v2, v2, v3
	ds_bpermute_b32 v3, v6, v2
	v_xor_b32_e32 v6, 2, v9
	v_cmp_lt_i32_e64 s[8:9], v6, v10
	s_waitcnt lgkmcnt(0)
	v_add_f32_e32 v2, v2, v3
	ds_bpermute_b32 v3, v7, v2
	v_cndmask_b32_e64 v6, v9, v6, s[8:9]
	s_waitcnt lgkmcnt(0)
	v_add_f32_e32 v2, v2, v3
	v_lshlrev_b32_e32 v3, 2, v6
	ds_bpermute_b32 v3, v3, v2
	s_waitcnt lgkmcnt(0)
	v_add_f32_e32 v2, v2, v3
	ds_bpermute_b32 v3, v23, v2
	s_waitcnt lgkmcnt(0)
	v_add_f32_e32 v2, v2, v3
	s_and_saveexec_b64 s[8:9], vcc
; %bb.21:
	ds_write_b32 v4, v2 offset:392
; %bb.22:
	s_or_b64 exec, exec, s[8:9]
	s_waitcnt lgkmcnt(0)
	s_barrier
	s_and_saveexec_b64 s[8:9], s[0:1]
; %bb.23:
	ds_read_b32 v2, v5 offset:392
; %bb.24:
	s_or_b64 exec, exec, s[8:9]
	s_waitcnt lgkmcnt(0)
	ds_bpermute_b32 v3, v23, v2
	v_lshlrev_b32_e32 v4, 2, v9
	s_waitcnt lgkmcnt(0)
	v_add_f32_e32 v2, v2, v3
	v_and_b32_e32 v3, 0xffffff00, v4
	ds_bpermute_b32 v2, v3, v2
	s_and_saveexec_b64 s[0:1], s[2:3]
	s_cbranch_execz .LBB306_37
; %bb.25:
	s_waitcnt lgkmcnt(0)
	v_add_f32_e32 v2, 0x358637bd, v2
	v_div_scale_f32 v3, s[2:3], v2, v2, 1.0
	v_rcp_f32_e32 v4, v3
	v_div_scale_f32 v5, vcc, 1.0, v2, 1.0
	s_movk_i32 s2, 0x7f
	v_fma_f32 v6, -v3, v4, 1.0
	v_fmac_f32_e32 v4, v6, v4
	v_mul_f32_e32 v6, v5, v4
	v_fma_f32 v7, -v3, v6, v5
	v_fmac_f32_e32 v6, v7, v4
	v_fma_f32 v3, -v3, v6, v5
	v_div_fmas_f32 v3, v3, v4, v6
	v_xad_u32 v4, v0, -1, s30
	v_div_fixup_f32 v2, v3, v2, 1.0
	v_cmp_lt_u32_e32 vcc, s2, v4
	s_mov_b64 s[8:9], -1
	v_mov_b32_e32 v3, v0
	s_and_saveexec_b64 s[2:3], vcc
	s_cbranch_execz .LBB306_34
; %bb.26:
	v_lshrrev_b32_e32 v4, 7, v4
	v_add_u32_e32 v6, -1, v4
	v_lshrrev_b32_e32 v5, 1, v6
	v_mov_b32_e32 v3, v2
	v_add_u32_e32 v5, 1, v5
	v_cmp_lt_u32_e32 vcc, 13, v6
	v_mov_b32_e32 v9, 0
	s_and_saveexec_b64 s[8:9], vcc
	s_cbranch_execz .LBB306_30
; %bb.27:
	v_mov_b32_e32 v7, 0x190
	v_and_b32_e32 v6, -8, v5
	v_lshl_add_u32 v7, v0, 2, v7
	s_mov_b32 s28, 0
	s_mov_b64 s[14:15], 0
.LBB306_28:                             ; =>This Inner Loop Header: Depth=1
	ds_read2st64_b32 v[10:11], v7 offset1:2
	ds_read2st64_b32 v[12:13], v7 offset0:4 offset1:6
	ds_read2st64_b32 v[14:15], v7 offset0:8 offset1:10
	;; [unrolled: 1-line block ×3, first 2 shown]
	v_add_u32_e32 v6, -8, v6
	s_waitcnt lgkmcnt(3)
	v_pk_mul_f32 v[10:11], v[2:3], v[10:11]
	s_waitcnt lgkmcnt(2)
	v_pk_mul_f32 v[12:13], v[2:3], v[12:13]
	ds_write2st64_b32 v7, v10, v11 offset1:2
	ds_write2st64_b32 v7, v12, v13 offset0:4 offset1:6
	ds_read2st64_b32 v[12:13], v7 offset0:16 offset1:18
	s_waitcnt lgkmcnt(4)
	v_pk_mul_f32 v[10:11], v[2:3], v[14:15]
	ds_write2st64_b32 v7, v10, v11 offset0:8 offset1:10
	s_waitcnt lgkmcnt(4)
	v_pk_mul_f32 v[10:11], v[2:3], v[16:17]
	ds_write2st64_b32 v7, v10, v11 offset0:12 offset1:14
	ds_read2st64_b32 v[10:11], v7 offset0:20 offset1:22
	s_waitcnt lgkmcnt(3)
	v_pk_mul_f32 v[12:13], v[2:3], v[12:13]
	ds_read2st64_b32 v[14:15], v7 offset0:24 offset1:26
	ds_write2st64_b32 v7, v12, v13 offset0:16 offset1:18
	ds_read2st64_b32 v[12:13], v7 offset0:28 offset1:30
	s_waitcnt lgkmcnt(3)
	v_pk_mul_f32 v[10:11], v[2:3], v[10:11]
	ds_write2st64_b32 v7, v10, v11 offset0:20 offset1:22
	s_waitcnt lgkmcnt(3)
	v_pk_mul_f32 v[10:11], v[2:3], v[14:15]
	ds_write2st64_b32 v7, v10, v11 offset0:24 offset1:26
	s_waitcnt lgkmcnt(2)
	v_pk_mul_f32 v[10:11], v[2:3], v[12:13]
	s_add_i32 s28, s28, 16
	v_cmp_eq_u32_e32 vcc, 0, v6
	ds_write2st64_b32 v7, v10, v11 offset0:28 offset1:30
	v_add_u32_e32 v7, 0x2000, v7
	s_or_b64 s[14:15], vcc, s[14:15]
	v_mov_b32_e32 v9, s28
	s_andn2_b64 exec, exec, s[14:15]
	s_cbranch_execnz .LBB306_28
; %bb.29:
	s_or_b64 exec, exec, s[14:15]
.LBB306_30:
	s_or_b64 exec, exec, s[8:9]
	v_and_b32_e32 v5, 7, v5
	v_cmp_ne_u32_e32 vcc, 0, v5
	s_and_saveexec_b64 s[8:9], vcc
	s_cbranch_execz .LBB306_33
; %bb.31:
	v_lshlrev_b32_e32 v6, 9, v9
	v_lshlrev_b32_e32 v7, 2, v0
	s_movk_i32 s14, 0x190
	v_add3_u32 v6, v6, v7, s14
	s_mov_b64 s[14:15], 0
.LBB306_32:                             ; =>This Inner Loop Header: Depth=1
	ds_read2st64_b32 v[10:11], v6 offset1:2
	v_add_u32_e32 v5, -1, v5
	v_cmp_eq_u32_e32 vcc, 0, v5
	s_or_b64 s[14:15], vcc, s[14:15]
	s_waitcnt lgkmcnt(0)
	v_pk_mul_f32 v[10:11], v[2:3], v[10:11]
	ds_write2st64_b32 v6, v10, v11 offset1:2
	v_add_u32_e32 v6, 0x400, v6
	s_andn2_b64 exec, exec, s[14:15]
	s_cbranch_execnz .LBB306_32
.LBB306_33:
	s_or_b64 exec, exec, s[8:9]
	v_add_u32_e32 v4, 1, v4
	v_and_b32_e32 v5, 0x3fffffe, v4
	v_cmp_ne_u32_e32 vcc, v4, v5
	v_lshl_add_u32 v3, v5, 7, v0
	s_orn2_b64 s[8:9], vcc, exec
.LBB306_34:
	s_or_b64 exec, exec, s[2:3]
	s_and_b64 exec, exec, s[8:9]
	s_cbranch_execz .LBB306_37
; %bb.35:
	v_mov_b32_e32 v4, 0x190
	v_lshl_add_u32 v4, v3, 2, v4
	s_mov_b64 s[2:3], 0
.LBB306_36:                             ; =>This Inner Loop Header: Depth=1
	ds_read_b32 v5, v4
	v_add_u32_e32 v3, 0x80, v3
	v_cmp_le_i32_e32 vcc, s30, v3
	s_or_b64 s[2:3], vcc, s[2:3]
	s_waitcnt lgkmcnt(0)
	v_mul_f32_e32 v5, v2, v5
	ds_write_b32 v4, v5
	v_add_u32_e32 v4, 0x200, v4
	s_andn2_b64 exec, exec, s[2:3]
	s_cbranch_execnz .LBB306_36
.LBB306_37:
	s_or_b64 exec, exec, s[0:1]
	v_mov_b32_e32 v11, 0
	v_and_b32_e32 v24, 1, v0
	v_mov_b32_e32 v10, v11
	v_mov_b32_e32 v13, v11
	;; [unrolled: 1-line block ×5, first 2 shown]
	s_waitcnt lgkmcnt(0)
	s_barrier
	s_and_saveexec_b64 s[2:3], s[6:7]
	s_cbranch_execz .LBB306_53
; %bb.38:
	s_ashr_i32 s1, s33, 31
	v_lshlrev_b32_e32 v2, 3, v0
	s_add_u32 s0, s26, s33
	s_addc_u32 s1, s27, s1
	v_and_b32_e32 v10, 0x1f8, v2
	s_load_dword s10, s[10:11], 0x0
	v_mov_b32_e32 v11, 0
	v_and_b32_e32 v3, 8, v2
	s_add_i32 s11, s19, -1
	v_lshl_add_u64 v[16:17], s[0:1], 0, v[10:11]
	v_lshlrev_b32_e32 v2, 4, v1
	s_lshl_b64 s[0:1], s[24:25], 2
	v_or3_b32 v25, v2, v3, 7
	v_lshlrev_b32_e32 v2, 5, v24
	s_add_u32 s0, s22, s0
	v_lshl_or_b32 v2, v1, 6, v2
	v_and_b32_e32 v10, 60, v8
	s_addc_u32 s1, s23, s1
	v_add_u32_e32 v26, 0x190, v2
	v_lshl_add_u64 v[18:19], s[0:1], 0, v[10:11]
	s_mov_b64 s[6:7], 0
	v_mov_b32_e32 v10, v11
	v_mov_b32_e32 v13, v11
	v_mov_b32_e32 v12, v11
	v_mov_b32_e32 v15, v11
	v_mov_b32_e32 v14, v11
	s_branch .LBB306_40
.LBB306_39:                             ;   in Loop: Header=BB306_40 Depth=1
	s_or_b64 exec, exec, s[0:1]
	v_cvt_pk_bf16_f32 v6, v6, s0
	v_cvt_pk_bf16_f32 v7, v7, s0
	;; [unrolled: 1-line block ×4, first 2 shown]
	v_lshlrev_b32_e32 v7, 16, v7
	v_lshlrev_b32_e32 v43, 16, v79
	;; [unrolled: 1-line block ×4, first 2 shown]
	v_mul_f32_e32 v43, v7, v43
	v_mul_f32_e32 v44, v6, v44
	v_lshlrev_b32_e32 v9, 16, v9
	v_lshlrev_b32_e32 v45, 16, v77
	;; [unrolled: 1-line block ×4, first 2 shown]
	v_cvt_pk_bf16_f32 v2, v2, s0
	v_cvt_pk_bf16_f32 v3, v3, s0
	;; [unrolled: 1-line block ×4, first 2 shown]
	v_mul_f32_e32 v45, v9, v45
	v_mul_f32_e32 v46, v8, v46
	v_cvt_pk_bf16_f32 v45, v45, s0
	v_cvt_pk_bf16_f32 v46, v46, s0
	v_lshlrev_b32_e32 v3, 16, v3
	v_lshlrev_b32_e32 v47, 16, v75
	v_lshlrev_b32_e32 v2, 16, v2
	v_lshlrev_b32_e32 v48, 16, v74
	v_lshlrev_b32_e32 v44, 16, v44
	v_lshlrev_b32_e32 v43, 16, v43
	v_cvt_pk_bf16_f32 v4, v4, s0
	v_cvt_pk_bf16_f32 v5, v5, s0
	v_mul_f32_e32 v47, v3, v47
	v_mul_f32_e32 v48, v2, v48
	v_add_f32_e32 v43, v44, v43
	v_lshlrev_b32_e32 v44, 16, v46
	v_lshlrev_b32_e32 v45, 16, v45
	v_cvt_pk_bf16_f32 v47, v47, s0
	v_cvt_pk_bf16_f32 v48, v48, s0
	v_lshlrev_b32_e32 v5, 16, v5
	v_lshlrev_b32_e32 v49, 16, v73
	;; [unrolled: 1-line block ×4, first 2 shown]
	v_add_f32_e32 v44, v44, v45
	v_mul_f32_e32 v49, v5, v49
	v_mul_f32_e32 v72, v4, v72
	v_add_f32_e32 v43, v44, v43
	v_lshlrev_b32_e32 v44, 16, v48
	v_lshlrev_b32_e32 v45, 16, v47
	v_cvt_pk_bf16_f32 v49, v49, s0
	v_cvt_pk_bf16_f32 v72, v72, s0
	v_add_f32_e32 v44, v44, v45
	v_add_f32_e32 v43, v44, v43
	v_lshlrev_b32_e32 v44, 16, v72
	v_lshlrev_b32_e32 v45, 16, v49
	v_add_f32_e32 v44, v44, v45
	v_add_f32_e32 v43, v44, v43
	;; [unrolled: 1-line block ×3, first 2 shown]
	v_lshlrev_b32_e32 v43, 16, v65
	v_lshlrev_b32_e32 v44, 16, v64
	v_mul_f32_e32 v43, v7, v43
	v_mul_f32_e32 v44, v6, v44
	v_lshlrev_b32_e32 v45, 16, v63
	v_lshlrev_b32_e32 v46, 16, v62
	v_cvt_pk_bf16_f32 v43, v43, s0
	v_cvt_pk_bf16_f32 v44, v44, s0
	v_mul_f32_e32 v45, v9, v45
	v_mul_f32_e32 v46, v8, v46
	v_lshlrev_b32_e32 v34, 16, v34
	v_lshlrev_b32_e32 v33, 16, v33
	;; [unrolled: 1-line block ×4, first 2 shown]
	v_cvt_pk_bf16_f32 v45, v45, s0
	v_cvt_pk_bf16_f32 v46, v46, s0
	v_lshlrev_b32_e32 v47, 16, v61
	v_lshlrev_b32_e32 v48, 16, v60
	;; [unrolled: 1-line block ×4, first 2 shown]
	v_mul_f32_e32 v34, v7, v34
	v_mul_f32_e32 v33, v6, v33
	;; [unrolled: 1-line block ×4, first 2 shown]
	v_lshlrev_b32_e32 v30, 16, v30
	v_lshlrev_b32_e32 v29, 16, v29
	v_mul_f32_e32 v47, v3, v47
	v_mul_f32_e32 v48, v2, v48
	v_add_f32_e32 v43, v44, v43
	v_lshlrev_b32_e32 v44, 16, v46
	v_lshlrev_b32_e32 v45, 16, v45
	v_cvt_pk_bf16_f32 v34, v34, s0
	v_cvt_pk_bf16_f32 v33, v33, s0
	;; [unrolled: 1-line block ×4, first 2 shown]
	v_mul_f32_e32 v30, v3, v30
	v_mul_f32_e32 v29, v2, v29
	v_lshlrev_b32_e32 v28, 16, v28
	v_lshlrev_b32_e32 v27, 16, v27
	v_cvt_pk_bf16_f32 v47, v47, s0
	v_cvt_pk_bf16_f32 v48, v48, s0
	v_lshlrev_b32_e32 v49, 16, v59
	v_lshlrev_b32_e32 v58, 16, v58
	v_add_f32_e32 v44, v44, v45
	v_cvt_pk_bf16_f32 v30, v30, s0
	v_cvt_pk_bf16_f32 v29, v29, s0
	v_mul_f32_e32 v28, v5, v28
	v_mul_f32_e32 v27, v4, v27
	v_lshlrev_b32_e32 v33, 16, v33
	v_lshlrev_b32_e32 v34, 16, v34
	;; [unrolled: 1-line block ×4, first 2 shown]
	v_mul_f32_e32 v49, v5, v49
	v_mul_f32_e32 v58, v4, v58
	v_add_f32_e32 v43, v44, v43
	v_lshlrev_b32_e32 v44, 16, v48
	v_lshlrev_b32_e32 v45, 16, v47
	v_cvt_pk_bf16_f32 v28, v28, s0
	v_cvt_pk_bf16_f32 v27, v27, s0
	v_add_f32_e32 v33, v33, v34
	v_add_f32_e32 v31, v31, v32
	v_lshlrev_b32_e32 v29, 16, v29
	v_lshlrev_b32_e32 v30, 16, v30
	v_cvt_pk_bf16_f32 v49, v49, s0
	v_cvt_pk_bf16_f32 v58, v58, s0
	v_add_f32_e32 v44, v44, v45
	v_add_f32_e32 v31, v31, v33
	;; [unrolled: 1-line block ×3, first 2 shown]
	v_lshlrev_b32_e32 v27, 16, v27
	v_lshlrev_b32_e32 v28, 16, v28
	v_add_f32_e32 v43, v44, v43
	v_lshlrev_b32_e32 v44, 16, v58
	v_lshlrev_b32_e32 v45, 16, v49
	v_add_f32_e32 v29, v29, v31
	v_add_f32_e32 v27, v27, v28
	;; [unrolled: 1-line block ×5, first 2 shown]
	v_lshlrev_b32_e32 v44, 16, v56
	v_lshlrev_b32_e32 v41, 16, v41
	v_add_f32_e32 v14, v14, v27
	v_lshlrev_b32_e32 v27, 16, v71
	v_add_f32_e32 v13, v13, v43
	v_lshlrev_b32_e32 v43, 16, v57
	v_mul_f32_e32 v44, v6, v44
	v_lshlrev_b32_e32 v42, 16, v42
	v_mul_f32_e32 v41, v6, v41
	v_mul_f32_e32 v6, v6, v27
	v_lshlrev_b32_e32 v27, 16, v70
	v_mul_f32_e32 v43, v7, v43
	v_lshlrev_b32_e32 v46, 16, v54
	;; [unrolled: 2-line block ×4, first 2 shown]
	v_lshlrev_b32_e32 v45, 16, v55
	v_mul_f32_e32 v46, v8, v46
	v_lshlrev_b32_e32 v40, 16, v40
	v_mul_f32_e32 v39, v8, v39
	v_mul_f32_e32 v8, v8, v27
	v_lshlrev_b32_e32 v27, 16, v68
	v_mul_f32_e32 v45, v9, v45
	v_lshlrev_b32_e32 v48, 16, v52
	;; [unrolled: 2-line block ×4, first 2 shown]
	v_mul_f32_e32 v48, v2, v48
	v_mul_f32_e32 v37, v2, v37
	;; [unrolled: 1-line block ×3, first 2 shown]
	v_cvt_pk_bf16_f32 v27, v2, s0
	v_lshlrev_b32_e32 v2, 16, v66
	v_mul_f32_e32 v2, v3, v2
	v_cvt_pk_bf16_f32 v43, v43, s0
	v_cvt_pk_bf16_f32 v44, v44, s0
	;; [unrolled: 1-line block ×3, first 2 shown]
	v_lshlrev_b32_e32 v2, 16, v21
	v_cvt_pk_bf16_f32 v45, v45, s0
	v_cvt_pk_bf16_f32 v46, v46, s0
	v_lshlrev_b32_e32 v47, 16, v53
	v_lshlrev_b32_e32 v44, 16, v44
	;; [unrolled: 1-line block ×3, first 2 shown]
	v_mul_f32_e32 v2, v4, v2
	v_mul_f32_e32 v47, v3, v47
	v_add_f32_e32 v43, v44, v43
	v_lshlrev_b32_e32 v44, 16, v46
	v_lshlrev_b32_e32 v45, 16, v45
	;; [unrolled: 1-line block ×3, first 2 shown]
	v_cvt_pk_bf16_f32 v21, v2, s0
	v_lshlrev_b32_e32 v2, 16, v20
	v_cvt_pk_bf16_f32 v47, v47, s0
	v_cvt_pk_bf16_f32 v48, v48, s0
	v_lshlrev_b32_e32 v49, 16, v51
	v_lshlrev_b32_e32 v50, 16, v50
	v_add_f32_e32 v44, v44, v45
	v_cvt_pk_bf16_f32 v42, v42, s0
	v_cvt_pk_bf16_f32 v41, v41, s0
	;; [unrolled: 1-line block ×4, first 2 shown]
	v_mul_f32_e32 v38, v3, v38
	v_lshlrev_b32_e32 v36, 16, v36
	v_lshlrev_b32_e32 v35, 16, v35
	v_cvt_pk_bf16_f32 v6, v6, s0
	v_cvt_pk_bf16_f32 v7, v7, s0
	;; [unrolled: 1-line block ×4, first 2 shown]
	v_mul_f32_e32 v2, v5, v2
	v_mul_f32_e32 v49, v5, v49
	;; [unrolled: 1-line block ×3, first 2 shown]
	v_add_f32_e32 v43, v44, v43
	v_lshlrev_b32_e32 v44, 16, v48
	v_lshlrev_b32_e32 v45, 16, v47
	v_cvt_pk_bf16_f32 v38, v38, s0
	v_cvt_pk_bf16_f32 v37, v37, s0
	v_mul_f32_e32 v36, v5, v36
	v_mul_f32_e32 v35, v4, v35
	v_lshlrev_b32_e32 v41, 16, v41
	v_lshlrev_b32_e32 v42, 16, v42
	;; [unrolled: 1-line block ×4, first 2 shown]
	v_cvt_pk_bf16_f32 v20, v2, s0
	v_lshlrev_b32_e32 v3, 16, v7
	v_lshlrev_b32_e32 v5, 16, v6
	;; [unrolled: 1-line block ×4, first 2 shown]
	v_cvt_pk_bf16_f32 v49, v49, s0
	v_cvt_pk_bf16_f32 v50, v50, s0
	v_add_f32_e32 v44, v44, v45
	v_cvt_pk_bf16_f32 v36, v36, s0
	v_cvt_pk_bf16_f32 v35, v35, s0
	v_add_f32_e32 v41, v41, v42
	v_add_f32_e32 v39, v39, v40
	v_lshlrev_b32_e32 v37, 16, v37
	v_lshlrev_b32_e32 v38, 16, v38
	v_pk_add_f32 v[2:3], v[4:5], v[2:3]
	v_lshlrev_b32_e32 v5, 16, v28
	v_lshlrev_b32_e32 v7, 16, v27
	;; [unrolled: 1-line block ×4, first 2 shown]
	v_add_f32_e32 v43, v44, v43
	v_lshlrev_b32_e32 v44, 16, v50
	v_lshlrev_b32_e32 v45, 16, v49
	v_add_f32_e32 v39, v39, v41
	v_add_f32_e32 v37, v37, v38
	v_lshlrev_b32_e32 v35, 16, v35
	v_lshlrev_b32_e32 v36, 16, v36
	v_pk_add_f32 v[4:5], v[6:7], v[4:5]
	v_add_f32_e32 v2, v2, v3
	v_add_f32_e32 v44, v44, v45
	;; [unrolled: 1-line block ×5, first 2 shown]
	v_add_u32_e32 v1, 2, v1
	v_add_f32_e32 v43, v44, v43
	v_add_f32_e32 v35, v35, v37
	;; [unrolled: 1-line block ×3, first 2 shown]
	v_cmp_le_i32_e32 vcc, s19, v1
	v_add_f32_e32 v12, v12, v43
	v_add_f32_e32 v15, v15, v35
	;; [unrolled: 1-line block ×3, first 2 shown]
	v_add_u32_e32 v25, 32, v25
	v_add_u32_e32 v26, 0x80, v26
	s_or_b64 s[6:7], vcc, s[6:7]
	v_lshl_add_u64 v[18:19], v[18:19], 0, 8
	s_andn2_b64 exec, exec, s[6:7]
	s_cbranch_execz .LBB306_52
.LBB306_40:                             ; =>This Inner Loop Header: Depth=1
	global_load_dword v2, v[18:19], off
	v_add_u32_e32 v43, -7, v25
	v_cmp_eq_u32_e32 vcc, s11, v1
	v_add_u32_e32 v48, -6, v25
	v_add_u32_e32 v47, -5, v25
	;; [unrolled: 1-line block ×6, first 2 shown]
	s_waitcnt vmcnt(0)
	v_mad_i64_i32 v[20:21], s[0:1], v2, s13, v[16:17]
	global_load_dwordx2 v[28:29], v[20:21], off
	ds_read2_b64 v[6:9], v26 offset1:1
	ds_read2_b64 v[2:5], v26 offset0:2 offset1:3
	s_waitcnt vmcnt(0)
	v_and_b32_e32 v27, 0xff, v28
	v_bfe_u32 v30, v28, 8, 8
	v_bfe_u32 v31, v28, 16, 8
	v_lshrrev_b32_e32 v28, 24, v28
	v_and_b32_e32 v32, 0xff, v29
	v_bfe_u32 v33, v29, 8, 8
	v_bfe_u32 v34, v29, 16, 8
	v_lshrrev_b32_e32 v29, 24, v29
	v_cvt_f32_fp8_e32 v27, v27
	v_cvt_f32_fp8_e32 v30, v30
	;; [unrolled: 1-line block ×8, first 2 shown]
	s_waitcnt lgkmcnt(0)
	v_mul_f32_e32 v27, s10, v27
	v_mul_f32_e32 v30, s10, v30
	v_mul_f32_e32 v31, s10, v31
	v_mul_f32_e32 v28, s10, v28
	v_mul_f32_e32 v35, s10, v32
	v_mul_f32_e32 v36, s10, v33
	v_mul_f32_e32 v37, s10, v34
	v_mul_f32_e32 v38, s10, v29
	v_cvt_pk_bf16_f32 v33, v27, s0
	v_cvt_pk_bf16_f32 v34, v30, s0
	v_cvt_pk_bf16_f32 v31, v31, s0
	v_cvt_pk_bf16_f32 v32, v28, s0
	v_cvt_pk_bf16_f32 v29, v35, s0
	v_cvt_pk_bf16_f32 v30, v36, s0
	v_cvt_pk_bf16_f32 v27, v37, s0
	v_cvt_pk_bf16_f32 v28, v38, s0
	s_and_saveexec_b64 s[8:9], vcc
	s_cbranch_execz .LBB306_42
; %bb.41:                               ;   in Loop: Header=BB306_40 Depth=1
	v_cmp_gt_i32_e64 s[0:1], s17, v43
	s_nop 1
	v_cndmask_b32_e64 v33, 0, v33, s[0:1]
	v_cmp_gt_i32_e64 s[0:1], s17, v48
	s_nop 1
	v_cndmask_b32_e64 v34, 0, v34, s[0:1]
	v_cmp_gt_i32_e64 s[0:1], s17, v47
	s_nop 1
	v_cndmask_b32_e64 v31, 0, v31, s[0:1]
	v_cmp_gt_i32_e64 s[0:1], s17, v46
	s_nop 1
	v_cndmask_b32_e64 v32, 0, v32, s[0:1]
	v_cmp_gt_i32_e64 s[0:1], s17, v45
	s_nop 1
	v_cndmask_b32_e64 v29, 0, v29, s[0:1]
	v_cmp_gt_i32_e64 s[0:1], s17, v44
	s_nop 1
	v_cndmask_b32_e64 v30, 0, v30, s[0:1]
	v_cmp_gt_i32_e64 s[0:1], s17, v49
	s_nop 1
	v_cndmask_b32_e64 v27, 0, v27, s[0:1]
	v_cmp_gt_i32_e64 s[0:1], s17, v25
	s_nop 1
	v_cndmask_b32_e64 v28, 0, v28, s[0:1]
.LBB306_42:                             ;   in Loop: Header=BB306_40 Depth=1
	s_or_b64 exec, exec, s[8:9]
	global_load_dwordx2 v[36:37], v[20:21], off offset:512
	s_waitcnt vmcnt(0)
	v_and_b32_e32 v35, 0xff, v36
	v_bfe_u32 v38, v36, 8, 8
	v_bfe_u32 v39, v36, 16, 8
	v_lshrrev_b32_e32 v36, 24, v36
	v_and_b32_e32 v40, 0xff, v37
	v_bfe_u32 v41, v37, 8, 8
	v_bfe_u32 v42, v37, 16, 8
	v_lshrrev_b32_e32 v37, 24, v37
	v_cvt_f32_fp8_e32 v35, v35
	v_cvt_f32_fp8_e32 v38, v38
	v_cvt_f32_fp8_e32 v39, v39
	v_cvt_f32_fp8_e32 v36, v36
	v_cvt_f32_fp8_e32 v40, v40
	v_cvt_f32_fp8_e32 v41, v41
	v_cvt_f32_fp8_e32 v42, v42
	v_cvt_f32_fp8_e32 v37, v37
	v_mul_f32_e32 v35, s10, v35
	v_mul_f32_e32 v38, s10, v38
	v_mul_f32_e32 v39, s10, v39
	v_mul_f32_e32 v36, s10, v36
	v_mul_f32_e32 v50, s10, v40
	v_mul_f32_e32 v51, s10, v41
	v_mul_f32_e32 v52, s10, v42
	v_mul_f32_e32 v53, s10, v37
	v_cvt_pk_bf16_f32 v41, v35, s0
	v_cvt_pk_bf16_f32 v42, v38, s0
	v_cvt_pk_bf16_f32 v39, v39, s0
	v_cvt_pk_bf16_f32 v40, v36, s0
	v_cvt_pk_bf16_f32 v37, v50, s0
	v_cvt_pk_bf16_f32 v38, v51, s0
	v_cvt_pk_bf16_f32 v35, v52, s0
	v_cvt_pk_bf16_f32 v36, v53, s0
	s_and_saveexec_b64 s[8:9], vcc
	s_cbranch_execz .LBB306_44
; %bb.43:                               ;   in Loop: Header=BB306_40 Depth=1
	v_cmp_gt_i32_e64 s[0:1], s17, v43
	s_nop 1
	v_cndmask_b32_e64 v41, 0, v41, s[0:1]
	v_cmp_gt_i32_e64 s[0:1], s17, v48
	s_nop 1
	v_cndmask_b32_e64 v42, 0, v42, s[0:1]
	v_cmp_gt_i32_e64 s[0:1], s17, v47
	s_nop 1
	v_cndmask_b32_e64 v39, 0, v39, s[0:1]
	v_cmp_gt_i32_e64 s[0:1], s17, v46
	s_nop 1
	v_cndmask_b32_e64 v40, 0, v40, s[0:1]
	v_cmp_gt_i32_e64 s[0:1], s17, v45
	s_nop 1
	v_cndmask_b32_e64 v37, 0, v37, s[0:1]
	v_cmp_gt_i32_e64 s[0:1], s17, v44
	s_nop 1
	v_cndmask_b32_e64 v38, 0, v38, s[0:1]
	v_cmp_gt_i32_e64 s[0:1], s17, v49
	s_nop 1
	v_cndmask_b32_e64 v35, 0, v35, s[0:1]
	v_cmp_gt_i32_e64 s[0:1], s17, v25
	s_nop 1
	v_cndmask_b32_e64 v36, 0, v36, s[0:1]
.LBB306_44:                             ;   in Loop: Header=BB306_40 Depth=1
	s_or_b64 exec, exec, s[8:9]
	global_load_dwordx2 v[50:51], v[20:21], off offset:1024
	s_waitcnt vmcnt(0)
	v_and_b32_e32 v52, 0xff, v50
	v_bfe_u32 v53, v50, 8, 8
	v_bfe_u32 v54, v50, 16, 8
	v_lshrrev_b32_e32 v50, 24, v50
	v_and_b32_e32 v55, 0xff, v51
	v_bfe_u32 v56, v51, 8, 8
	v_bfe_u32 v57, v51, 16, 8
	v_lshrrev_b32_e32 v51, 24, v51
	v_cvt_f32_fp8_e32 v52, v52
	v_cvt_f32_fp8_e32 v53, v53
	v_cvt_f32_fp8_e32 v54, v54
	v_cvt_f32_fp8_e32 v50, v50
	v_cvt_f32_fp8_e32 v55, v55
	v_cvt_f32_fp8_e32 v56, v56
	v_cvt_f32_fp8_e32 v57, v57
	v_cvt_f32_fp8_e32 v51, v51
	;; [unrolled: 63-line block ×5, first 2 shown]
	v_mul_f32_e32 v66, s10, v66
	v_mul_f32_e32 v67, s10, v67
	v_mul_f32_e32 v68, s10, v68
	v_mul_f32_e32 v20, s10, v20
	v_mul_f32_e32 v80, s10, v69
	v_mul_f32_e32 v81, s10, v70
	v_mul_f32_e32 v82, s10, v71
	v_mul_f32_e32 v83, s10, v21
	v_cvt_pk_bf16_f32 v71, v66, s0
	v_cvt_pk_bf16_f32 v70, v67, s0
	;; [unrolled: 1-line block ×8, first 2 shown]
	s_and_saveexec_b64 s[0:1], vcc
	s_cbranch_execz .LBB306_39
; %bb.51:                               ;   in Loop: Header=BB306_40 Depth=1
	v_cmp_gt_i32_e32 vcc, s17, v43
	s_nop 1
	v_cndmask_b32_e32 v71, 0, v71, vcc
	v_cmp_gt_i32_e32 vcc, s17, v48
	s_nop 1
	v_cndmask_b32_e32 v70, 0, v70, vcc
	v_cmp_gt_i32_e32 vcc, s17, v47
	s_nop 1
	v_cndmask_b32_e32 v69, 0, v69, vcc
	v_cmp_gt_i32_e32 vcc, s17, v46
	s_nop 1
	v_cndmask_b32_e32 v68, 0, v68, vcc
	v_cmp_gt_i32_e32 vcc, s17, v45
	s_nop 1
	v_cndmask_b32_e32 v67, 0, v67, vcc
	v_cmp_gt_i32_e32 vcc, s17, v44
	s_nop 1
	v_cndmask_b32_e32 v66, 0, v66, vcc
	v_cmp_gt_i32_e32 vcc, s17, v49
	s_nop 1
	v_cndmask_b32_e32 v21, 0, v21, vcc
	v_cmp_gt_i32_e32 vcc, s17, v25
	s_nop 1
	v_cndmask_b32_e32 v20, 0, v20, vcc
	s_branch .LBB306_39
.LBB306_52:
	s_or_b64 exec, exec, s[6:7]
.LBB306_53:
	s_or_b64 exec, exec, s[2:3]
	ds_bpermute_b32 v2, v23, v14
	ds_bpermute_b32 v3, v23, v15
	;; [unrolled: 1-line block ×4, first 2 shown]
	v_and_b32_e32 v1, 0x3c1, v0
	v_cmp_ne_u32_e32 vcc, 64, v1
	s_waitcnt lgkmcnt(2)
	v_pk_add_f32 v[4:5], v[14:15], v[2:3]
	s_waitcnt lgkmcnt(0)
	v_pk_add_f32 v[2:3], v[12:13], v[6:7]
	ds_bpermute_b32 v6, v23, v10
	ds_bpermute_b32 v7, v23, v11
	s_barrier
	s_waitcnt lgkmcnt(0)
	s_and_saveexec_b64 s[0:1], vcc
	s_xor_b64 s[0:1], exec, s[0:1]
; %bb.54:
                                        ; implicit-def: $vgpr22
; %bb.55:
	s_or_saveexec_b64 s[0:1], s[0:1]
	v_pk_add_f32 v[6:7], v[10:11], v[6:7]
	s_xor_b64 exec, exec, s[0:1]
	s_cbranch_execz .LBB306_57
; %bb.56:
	v_mov_b32_e32 v8, 0x190
	v_lshl_add_u32 v8, v22, 1, v8
	ds_write2_b32 v8, v4, v5 offset1:32
	ds_write2_b32 v8, v2, v3 offset0:64 offset1:96
	ds_write2_b32 v8, v6, v7 offset0:128 offset1:160
.LBB306_57:
	s_or_b64 exec, exec, s[0:1]
	v_cmp_gt_u32_e32 vcc, 64, v0
	v_lshrrev_b32_e32 v0, 1, v0
	s_waitcnt lgkmcnt(0)
	s_barrier
	s_and_saveexec_b64 s[0:1], vcc
	s_cbranch_execz .LBB306_66
; %bb.58:
	v_mov_b32_e32 v8, 0x190
	v_cmp_eq_u32_e32 vcc, 0, v24
	v_lshl_add_u32 v8, v0, 2, v8
	s_and_saveexec_b64 s[2:3], vcc
	s_cbranch_execnz .LBB306_69
; %bb.59:
	s_or_b64 exec, exec, s[2:3]
	s_and_saveexec_b64 s[2:3], vcc
	s_cbranch_execnz .LBB306_70
.LBB306_60:
	s_or_b64 exec, exec, s[2:3]
	s_and_saveexec_b64 s[2:3], vcc
	s_cbranch_execnz .LBB306_71
.LBB306_61:
	s_or_b64 exec, exec, s[2:3]
	s_and_saveexec_b64 s[2:3], vcc
	s_cbranch_execnz .LBB306_72
.LBB306_62:
	s_or_b64 exec, exec, s[2:3]
	s_and_saveexec_b64 s[2:3], vcc
	s_cbranch_execnz .LBB306_73
.LBB306_63:
	s_or_b64 exec, exec, s[2:3]
	s_and_saveexec_b64 s[2:3], vcc
	s_cbranch_execz .LBB306_65
.LBB306_64:
	ds_read_b32 v8, v8 offset:640
	s_waitcnt lgkmcnt(0)
	v_add_f32_e32 v7, v7, v8
.LBB306_65:
	s_or_b64 exec, exec, s[2:3]
.LBB306_66:
	s_or_b64 exec, exec, s[0:1]
	v_cmp_eq_u32_e32 vcc, 0, v1
	s_barrier
	s_and_saveexec_b64 s[0:1], vcc
	s_cbranch_execz .LBB306_68
; %bb.67:
	s_mul_i32 s0, s16, s12
	s_mul_i32 s0, s0, s5
	s_mulk_i32 s0, 0xc0
	s_ashr_i32 s1, s0, 31
	s_lshl_b64 s[0:1], s[0:1], 1
	s_add_u32 s2, s20, s0
	s_mul_i32 s0, s12, s18
	s_addc_u32 s3, s21, s1
	s_ashr_i32 s1, s0, 31
	s_lshl_b64 s[0:1], s[0:1], 1
	s_add_u32 s2, s2, s0
	s_mul_i32 s0, s4, 0xc0
	s_addc_u32 s3, s3, s1
	s_ashr_i32 s1, s0, 31
	s_lshl_b64 s[0:1], s[0:1], 1
	s_add_u32 s0, s2, s0
	s_addc_u32 s1, s3, s1
	v_lshlrev_b32_e32 v0, 1, v0
	v_cvt_pk_bf16_f32 v1, v4, s0
	global_store_short v0, v1, s[0:1]
	v_cvt_pk_bf16_f32 v1, v5, s0
	global_store_short v0, v1, s[0:1] offset:64
	v_cvt_pk_bf16_f32 v1, v2, s0
	global_store_short v0, v1, s[0:1] offset:128
	v_cvt_pk_bf16_f32 v1, v3, s0
	global_store_short v0, v1, s[0:1] offset:192
	v_cvt_pk_bf16_f32 v1, v6, s0
	global_store_short v0, v1, s[0:1] offset:256
	v_cvt_pk_bf16_f32 v1, v7, s0
	global_store_short v0, v1, s[0:1] offset:320
.LBB306_68:
	s_endpgm
.LBB306_69:
	ds_read_b32 v9, v8
	s_waitcnt lgkmcnt(0)
	v_add_f32_e32 v4, v4, v9
	s_or_b64 exec, exec, s[2:3]
	s_and_saveexec_b64 s[2:3], vcc
	s_cbranch_execz .LBB306_60
.LBB306_70:
	ds_read_b32 v9, v8 offset:128
	s_waitcnt lgkmcnt(0)
	v_add_f32_e32 v5, v5, v9
	s_or_b64 exec, exec, s[2:3]
	s_and_saveexec_b64 s[2:3], vcc
	s_cbranch_execz .LBB306_61
.LBB306_71:
	ds_read_b32 v9, v8 offset:256
	s_waitcnt lgkmcnt(0)
	v_add_f32_e32 v2, v2, v9
	s_or_b64 exec, exec, s[2:3]
	s_and_saveexec_b64 s[2:3], vcc
	s_cbranch_execz .LBB306_62
.LBB306_72:
	ds_read_b32 v9, v8 offset:384
	s_waitcnt lgkmcnt(0)
	v_add_f32_e32 v3, v3, v9
	s_or_b64 exec, exec, s[2:3]
	s_and_saveexec_b64 s[2:3], vcc
	s_cbranch_execz .LBB306_63
.LBB306_73:
	ds_read_b32 v9, v8 offset:512
	s_waitcnt lgkmcnt(0)
	v_add_f32_e32 v6, v6, v9
	s_or_b64 exec, exec, s[2:3]
	s_and_saveexec_b64 s[2:3], vcc
	s_cbranch_execnz .LBB306_64
	s_branch .LBB306_65
	.section	.rodata,"a",@progbits
	.p2align	6, 0x0
	.amdhsa_kernel _ZN4vllm25paged_attention_v1_kernelI14__hip_bfloat16hLi192ELi16ELi128ELNS_18Fp8KVCacheDataTypeE1ELb0EEEvPT_PKS3_PKT0_S9_ifPKiSB_iPKfiiiSD_SD_iiiii
		.amdhsa_group_segment_fixed_size 400
		.amdhsa_private_segment_fixed_size 0
		.amdhsa_kernarg_size 384
		.amdhsa_user_sgpr_count 2
		.amdhsa_user_sgpr_dispatch_ptr 0
		.amdhsa_user_sgpr_queue_ptr 0
		.amdhsa_user_sgpr_kernarg_segment_ptr 1
		.amdhsa_user_sgpr_dispatch_id 0
		.amdhsa_user_sgpr_kernarg_preload_length 0
		.amdhsa_user_sgpr_kernarg_preload_offset 0
		.amdhsa_user_sgpr_private_segment_size 0
		.amdhsa_uses_dynamic_stack 0
		.amdhsa_enable_private_segment 0
		.amdhsa_system_sgpr_workgroup_id_x 1
		.amdhsa_system_sgpr_workgroup_id_y 1
		.amdhsa_system_sgpr_workgroup_id_z 1
		.amdhsa_system_sgpr_workgroup_info 0
		.amdhsa_system_vgpr_workitem_id 0
		.amdhsa_next_free_vgpr 102
		.amdhsa_next_free_sgpr 38
		.amdhsa_accum_offset 104
		.amdhsa_reserve_vcc 1
		.amdhsa_float_round_mode_32 0
		.amdhsa_float_round_mode_16_64 0
		.amdhsa_float_denorm_mode_32 3
		.amdhsa_float_denorm_mode_16_64 3
		.amdhsa_dx10_clamp 1
		.amdhsa_ieee_mode 1
		.amdhsa_fp16_overflow 0
		.amdhsa_tg_split 0
		.amdhsa_exception_fp_ieee_invalid_op 0
		.amdhsa_exception_fp_denorm_src 0
		.amdhsa_exception_fp_ieee_div_zero 0
		.amdhsa_exception_fp_ieee_overflow 0
		.amdhsa_exception_fp_ieee_underflow 0
		.amdhsa_exception_fp_ieee_inexact 0
		.amdhsa_exception_int_div_zero 0
	.end_amdhsa_kernel
	.section	.text._ZN4vllm25paged_attention_v1_kernelI14__hip_bfloat16hLi192ELi16ELi128ELNS_18Fp8KVCacheDataTypeE1ELb0EEEvPT_PKS3_PKT0_S9_ifPKiSB_iPKfiiiSD_SD_iiiii,"axG",@progbits,_ZN4vllm25paged_attention_v1_kernelI14__hip_bfloat16hLi192ELi16ELi128ELNS_18Fp8KVCacheDataTypeE1ELb0EEEvPT_PKS3_PKT0_S9_ifPKiSB_iPKfiiiSD_SD_iiiii,comdat
.Lfunc_end306:
	.size	_ZN4vllm25paged_attention_v1_kernelI14__hip_bfloat16hLi192ELi16ELi128ELNS_18Fp8KVCacheDataTypeE1ELb0EEEvPT_PKS3_PKT0_S9_ifPKiSB_iPKfiiiSD_SD_iiiii, .Lfunc_end306-_ZN4vllm25paged_attention_v1_kernelI14__hip_bfloat16hLi192ELi16ELi128ELNS_18Fp8KVCacheDataTypeE1ELb0EEEvPT_PKS3_PKT0_S9_ifPKiSB_iPKfiiiSD_SD_iiiii
                                        ; -- End function
	.set _ZN4vllm25paged_attention_v1_kernelI14__hip_bfloat16hLi192ELi16ELi128ELNS_18Fp8KVCacheDataTypeE1ELb0EEEvPT_PKS3_PKT0_S9_ifPKiSB_iPKfiiiSD_SD_iiiii.num_vgpr, 102
	.set _ZN4vllm25paged_attention_v1_kernelI14__hip_bfloat16hLi192ELi16ELi128ELNS_18Fp8KVCacheDataTypeE1ELb0EEEvPT_PKS3_PKT0_S9_ifPKiSB_iPKfiiiSD_SD_iiiii.num_agpr, 0
	.set _ZN4vllm25paged_attention_v1_kernelI14__hip_bfloat16hLi192ELi16ELi128ELNS_18Fp8KVCacheDataTypeE1ELb0EEEvPT_PKS3_PKT0_S9_ifPKiSB_iPKfiiiSD_SD_iiiii.numbered_sgpr, 38
	.set _ZN4vllm25paged_attention_v1_kernelI14__hip_bfloat16hLi192ELi16ELi128ELNS_18Fp8KVCacheDataTypeE1ELb0EEEvPT_PKS3_PKT0_S9_ifPKiSB_iPKfiiiSD_SD_iiiii.num_named_barrier, 0
	.set _ZN4vllm25paged_attention_v1_kernelI14__hip_bfloat16hLi192ELi16ELi128ELNS_18Fp8KVCacheDataTypeE1ELb0EEEvPT_PKS3_PKT0_S9_ifPKiSB_iPKfiiiSD_SD_iiiii.private_seg_size, 0
	.set _ZN4vllm25paged_attention_v1_kernelI14__hip_bfloat16hLi192ELi16ELi128ELNS_18Fp8KVCacheDataTypeE1ELb0EEEvPT_PKS3_PKT0_S9_ifPKiSB_iPKfiiiSD_SD_iiiii.uses_vcc, 1
	.set _ZN4vllm25paged_attention_v1_kernelI14__hip_bfloat16hLi192ELi16ELi128ELNS_18Fp8KVCacheDataTypeE1ELb0EEEvPT_PKS3_PKT0_S9_ifPKiSB_iPKfiiiSD_SD_iiiii.uses_flat_scratch, 0
	.set _ZN4vllm25paged_attention_v1_kernelI14__hip_bfloat16hLi192ELi16ELi128ELNS_18Fp8KVCacheDataTypeE1ELb0EEEvPT_PKS3_PKT0_S9_ifPKiSB_iPKfiiiSD_SD_iiiii.has_dyn_sized_stack, 0
	.set _ZN4vllm25paged_attention_v1_kernelI14__hip_bfloat16hLi192ELi16ELi128ELNS_18Fp8KVCacheDataTypeE1ELb0EEEvPT_PKS3_PKT0_S9_ifPKiSB_iPKfiiiSD_SD_iiiii.has_recursion, 0
	.set _ZN4vllm25paged_attention_v1_kernelI14__hip_bfloat16hLi192ELi16ELi128ELNS_18Fp8KVCacheDataTypeE1ELb0EEEvPT_PKS3_PKT0_S9_ifPKiSB_iPKfiiiSD_SD_iiiii.has_indirect_call, 0
	.section	.AMDGPU.csdata,"",@progbits
; Kernel info:
; codeLenInByte = 8776
; TotalNumSgprs: 44
; NumVgprs: 102
; NumAgprs: 0
; TotalNumVgprs: 102
; ScratchSize: 0
; MemoryBound: 0
; FloatMode: 240
; IeeeMode: 1
; LDSByteSize: 400 bytes/workgroup (compile time only)
; SGPRBlocks: 5
; VGPRBlocks: 12
; NumSGPRsForWavesPerEU: 44
; NumVGPRsForWavesPerEU: 102
; AccumOffset: 104
; Occupancy: 4
; WaveLimiterHint : 1
; COMPUTE_PGM_RSRC2:SCRATCH_EN: 0
; COMPUTE_PGM_RSRC2:USER_SGPR: 2
; COMPUTE_PGM_RSRC2:TRAP_HANDLER: 0
; COMPUTE_PGM_RSRC2:TGID_X_EN: 1
; COMPUTE_PGM_RSRC2:TGID_Y_EN: 1
; COMPUTE_PGM_RSRC2:TGID_Z_EN: 1
; COMPUTE_PGM_RSRC2:TIDIG_COMP_CNT: 0
; COMPUTE_PGM_RSRC3_GFX90A:ACCUM_OFFSET: 25
; COMPUTE_PGM_RSRC3_GFX90A:TG_SPLIT: 0
	.section	.text._ZN4vllm25paged_attention_v1_kernelI14__hip_bfloat16hLi256ELi16ELi128ELNS_18Fp8KVCacheDataTypeE1ELb0EEEvPT_PKS3_PKT0_S9_ifPKiSB_iPKfiiiSD_SD_iiiii,"axG",@progbits,_ZN4vllm25paged_attention_v1_kernelI14__hip_bfloat16hLi256ELi16ELi128ELNS_18Fp8KVCacheDataTypeE1ELb0EEEvPT_PKS3_PKT0_S9_ifPKiSB_iPKfiiiSD_SD_iiiii,comdat
	.protected	_ZN4vllm25paged_attention_v1_kernelI14__hip_bfloat16hLi256ELi16ELi128ELNS_18Fp8KVCacheDataTypeE1ELb0EEEvPT_PKS3_PKT0_S9_ifPKiSB_iPKfiiiSD_SD_iiiii ; -- Begin function _ZN4vllm25paged_attention_v1_kernelI14__hip_bfloat16hLi256ELi16ELi128ELNS_18Fp8KVCacheDataTypeE1ELb0EEEvPT_PKS3_PKT0_S9_ifPKiSB_iPKfiiiSD_SD_iiiii
	.globl	_ZN4vllm25paged_attention_v1_kernelI14__hip_bfloat16hLi256ELi16ELi128ELNS_18Fp8KVCacheDataTypeE1ELb0EEEvPT_PKS3_PKT0_S9_ifPKiSB_iPKfiiiSD_SD_iiiii
	.p2align	8
	.type	_ZN4vllm25paged_attention_v1_kernelI14__hip_bfloat16hLi256ELi16ELi128ELNS_18Fp8KVCacheDataTypeE1ELb0EEEvPT_PKS3_PKT0_S9_ifPKiSB_iPKfiiiSD_SD_iiiii,@function
_ZN4vllm25paged_attention_v1_kernelI14__hip_bfloat16hLi256ELi16ELi128ELNS_18Fp8KVCacheDataTypeE1ELb0EEEvPT_PKS3_PKT0_S9_ifPKiSB_iPKfiiiSD_SD_iiiii: ; @_ZN4vllm25paged_attention_v1_kernelI14__hip_bfloat16hLi256ELi16ELi128ELNS_18Fp8KVCacheDataTypeE1ELb0EEEvPT_PKS3_PKT0_S9_ifPKiSB_iPKfiiiSD_SD_iiiii
; %bb.0:
	s_load_dword s5, s[0:1], 0x80
	s_load_dwordx2 s[6:7], s[0:1], 0x30
	s_load_dwordx2 s[28:29], s[0:1], 0x20
	s_mov_b32 s16, s3
	s_ashr_i32 s17, s3, 31
	s_lshl_b64 s[8:9], s[16:17], 2
	s_waitcnt lgkmcnt(0)
	s_add_u32 s6, s6, s8
	s_addc_u32 s7, s7, s9
	s_abs_i32 s3, s28
	v_cvt_f32_u32_e32 v1, s3
	s_sub_i32 s10, 0, s3
	s_abs_i32 s9, s5
	s_xor_b32 s8, s5, s28
	v_rcp_iflag_f32_e32 v1, v1
	s_ashr_i32 s8, s8, 31
	s_mov_b32 s28, 0
	v_mul_f32_e32 v1, 0x4f7ffffe, v1
	v_cvt_u32_f32_e32 v1, v1
	s_nop 0
	v_readfirstlane_b32 s11, v1
	s_mul_i32 s10, s10, s11
	s_mul_hi_u32 s10, s11, s10
	s_add_i32 s11, s11, s10
	s_mul_hi_u32 s10, s9, s11
	s_mul_i32 s11, s10, s3
	s_sub_i32 s9, s9, s11
	s_add_i32 s11, s10, 1
	s_sub_i32 s12, s9, s3
	s_cmp_ge_u32 s9, s3
	s_cselect_b32 s10, s11, s10
	s_cselect_b32 s9, s12, s9
	s_add_i32 s11, s10, 1
	s_cmp_ge_u32 s9, s3
	s_cselect_b32 s3, s11, s10
	s_xor_b32 s3, s3, s8
	s_sub_i32 s12, s3, s8
	s_abs_i32 s10, s12
	v_cvt_f32_u32_e32 v1, s10
	s_load_dwordx2 s[8:9], s[0:1], 0x40
	s_sub_i32 s3, 0, s10
	s_abs_i32 s11, s2
	v_rcp_iflag_f32_e32 v1, v1
	s_nop 0
	v_mul_f32_e32 v1, 0x4f7ffffe, v1
	v_cvt_u32_f32_e32 v1, v1
	s_nop 0
	v_readfirstlane_b32 s13, v1
	s_mul_i32 s3, s3, s13
	s_mul_hi_u32 s3, s13, s3
	s_add_i32 s13, s13, s3
	s_waitcnt lgkmcnt(0)
	s_cmp_eq_u64 s[8:9], 0
	s_mul_hi_u32 s20, s11, s13
	s_cbranch_scc1 .LBB307_2
; %bb.1:
	s_ashr_i32 s3, s2, 31
	s_lshl_b64 s[14:15], s[2:3], 2
	s_add_u32 s8, s8, s14
	s_addc_u32 s9, s9, s15
	s_load_dword s28, s[8:9], 0x0
.LBB307_2:
	s_load_dword s17, s[6:7], 0x0
	s_ashr_i32 s7, s12, 31
	s_load_dwordx4 s[12:15], s[0:1], 0x48
	s_ashr_i32 s6, s2, 31
	s_lshl_b32 s18, s2, 8
	s_movk_i32 s2, 0x80
	v_and_b32_e32 v2, 3, v0
	v_cmp_gt_u32_e32 vcc, s2, v0
	s_and_saveexec_b64 s[2:3], vcc
	s_cbranch_execz .LBB307_4
; %bb.3:
	s_load_dwordx2 s[8:9], s[0:1], 0x8
	s_waitcnt lgkmcnt(0)
	s_mul_i32 s22, s12, s16
	s_ashr_i32 s23, s22, 31
	s_lshl_b64 s[22:23], s[22:23], 1
	v_lshlrev_b32_e32 v1, 2, v0
	s_add_u32 s12, s8, s22
	s_addc_u32 s15, s9, s23
	s_ashr_i32 s19, s18, 31
	s_lshl_b64 s[8:9], s[18:19], 1
	s_add_u32 s8, s12, s8
	s_addc_u32 s9, s15, s9
	global_load_dword v1, v1, s[8:9]
	v_and_b32_e32 v3, 0x3fc, v0
	v_lshl_add_u32 v3, v2, 7, v3
	s_waitcnt vmcnt(0)
	ds_write_b32 v3, v1
.LBB307_4:
	s_or_b64 exec, exec, s[2:3]
	s_waitcnt lgkmcnt(0)
	s_add_i32 s3, s17, 15
	s_ashr_i32 s8, s3, 31
	s_lshr_b32 s8, s8, 28
	s_add_i32 s3, s3, s8
	s_ashr_i32 s19, s3, 4
	s_xor_b32 s3, s6, s7
	s_mul_i32 s6, s20, s10
	s_sub_i32 s6, s11, s6
	s_add_i32 s7, s20, 1
	s_sub_i32 s8, s6, s10
	s_load_dwordx2 s[22:23], s[0:1], 0x28
	s_load_dword s2, s[0:1], 0x38
	s_cmp_ge_u32 s6, s10
	s_cselect_b32 s7, s7, s20
	s_cselect_b32 s6, s8, s6
	s_add_i32 s8, s7, 1
	s_cmp_ge_u32 s6, s10
	s_cselect_b32 s6, s8, s7
	v_lshrrev_b32_e32 v1, 6, v0
	s_xor_b32 s6, s6, s3
	s_waitcnt lgkmcnt(0)
	s_mul_i32 s24, s2, s16
	s_sub_i32 s33, s6, s3
	s_ashr_i32 s25, s24, 31
	v_cmp_gt_i32_e64 s[6:7], s19, v1
	v_cmp_le_i32_e32 vcc, s19, v1
	v_mbcnt_lo_u32_b32 v3, -1, 0
	s_barrier
                                        ; implicit-def: $vgpr9
                                        ; implicit-def: $vgpr11
                                        ; implicit-def: $vgpr10
	s_and_saveexec_b64 s[2:3], vcc
	s_xor_b64 s[2:3], exec, s[2:3]
; %bb.5:
	v_mbcnt_hi_u32_b32 v9, -1, v3
	v_and_b32_e32 v11, 64, v9
	v_add_u32_e32 v10, 64, v11
                                        ; implicit-def: $vgpr2
                                        ; implicit-def: $vgpr3
; %bb.6:
	s_or_saveexec_b64 s[30:31], s[2:3]
	s_load_dwordx2 s[20:21], s[0:1], 0x0
	s_load_dwordx2 s[26:27], s[0:1], 0x18
	s_load_dword s12, s[0:1], 0x88
	s_load_dwordx4 s[8:11], s[0:1], 0x58
	v_mov_b32_e32 v76, 0xff7fffff
	s_mul_i32 s33, s33, s14
	v_lshrrev_b32_e32 v8, 4, v0
	s_xor_b64 exec, exec, s[30:31]
	s_cbranch_execz .LBB307_12
; %bb.7:
	v_lshlrev_b32_e32 v9, 7, v2
	ds_read_b128 v[4:7], v9
	ds_read_b128 v[24:27], v9 offset:16
	ds_read_b128 v[32:35], v9 offset:32
	;; [unrolled: 1-line block ×3, first 2 shown]
	s_load_dwordx2 s[0:1], s[0:1], 0x10
	s_waitcnt lgkmcnt(0)
	v_lshlrev_b32_e32 v12, 16, v4
	v_and_b32_e32 v13, 0xffff0000, v4
	v_lshlrev_b32_e32 v14, 16, v5
	v_and_b32_e32 v15, 0xffff0000, v5
	;; [unrolled: 2-line block ×4, first 2 shown]
	ds_read_b128 v[4:7], v9 offset:64
	ds_read_b128 v[56:59], v9 offset:80
	s_ashr_i32 s2, s33, 31
	ds_read_b128 v[72:75], v9 offset:112
	s_add_u32 s0, s0, s33
	s_waitcnt lgkmcnt(2)
	v_lshlrev_b32_e32 v44, 16, v4
	v_and_b32_e32 v45, 0xffff0000, v4
	v_lshlrev_b32_e32 v46, 16, v5
	v_and_b32_e32 v47, 0xffff0000, v5
	;; [unrolled: 2-line block ×4, first 2 shown]
	ds_read_b128 v[4:7], v9 offset:96
	v_bfe_u32 v76, v0, 2, 4
	v_mbcnt_hi_u32_b32 v9, -1, v3
	s_addc_u32 s1, s1, s2
	v_and_b32_e32 v11, 64, v9
	s_waitcnt lgkmcnt(0)
	v_lshlrev_b32_e32 v60, 16, v4
	v_and_b32_e32 v61, 0xffff0000, v4
	v_lshlrev_b32_e32 v62, 16, v5
	v_and_b32_e32 v63, 0xffff0000, v5
	v_lshlrev_b32_e32 v4, 4, v76
	v_mov_b32_e32 v5, 0
	v_lshlrev_b32_e32 v64, 16, v6
	v_and_b32_e32 v65, 0xffff0000, v6
	v_lshlrev_b32_e32 v66, 16, v7
	v_and_b32_e32 v67, 0xffff0000, v7
	v_lshl_add_u64 v[6:7], s[0:1], 0, v[4:5]
	v_lshlrev_b32_e32 v4, 1, v2
	v_cmp_eq_u32_e32 vcc, 0, v2
	v_add_u32_e32 v10, 64, v11
	v_xor_b32_e32 v2, 2, v9
	v_cmp_lt_i32_e64 s[0:1], v2, v10
	s_load_dword s35, s[8:9], 0x0
	s_sub_i32 s36, 1, s17
	v_cndmask_b32_e64 v2, v9, v2, s[0:1]
	v_lshlrev_b32_e32 v77, 2, v2
	v_xor_b32_e32 v2, 1, v9
	v_cmp_lt_i32_e64 s[0:1], v2, v10
	v_lshlrev_b32_e32 v20, 16, v24
	v_and_b32_e32 v21, 0xffff0000, v24
	v_cndmask_b32_e64 v2, v9, v2, s[0:1]
	v_lshlrev_b32_e32 v78, 2, v2
	v_lshl_add_u64 v[2:3], v[6:7], 0, v[4:5]
	v_lshlrev_b32_e32 v4, 2, v76
	s_lshl_b64 s[0:1], s[24:25], 2
	v_lshl_or_b32 v4, v1, 6, v4
	s_add_u32 s0, s22, s0
	v_add_u32_e32 v80, 0x210, v4
	v_and_b32_e32 v4, 60, v8
	s_addc_u32 s1, s23, s1
	v_lshlrev_b32_e32 v22, 16, v25
	v_and_b32_e32 v23, 0xffff0000, v25
	v_lshlrev_b32_e32 v24, 16, v26
	v_and_b32_e32 v25, 0xffff0000, v26
	;; [unrolled: 2-line block ×19, first 2 shown]
	s_mov_b32 s34, s13
	v_cmp_neq_f32_e64 s[2:3], s28, 0
	v_lshl_or_b32 v79, v1, 4, v76
	v_lshl_add_u64 v[4:5], s[0:1], 0, v[4:5]
	s_mov_b64 s[8:9], 0
	s_mov_b32 s37, 0xffff
	v_mov_b32_e32 v76, 0xff7fffff
	v_mov_b32_e32 v81, v1
	s_branch .LBB307_9
.LBB307_8:                              ;   in Loop: Header=BB307_9 Depth=1
	s_or_b64 exec, exec, s[14:15]
	v_add_u32_e32 v81, 2, v81
	v_cmp_le_i32_e64 s[0:1], s19, v81
	v_add_u32_e32 v79, 32, v79
	v_add_u32_e32 v80, 0x80, v80
	s_or_b64 s[8:9], s[0:1], s[8:9]
	v_lshl_add_u64 v[4:5], v[4:5], 0, 8
	s_andn2_b64 exec, exec, s[8:9]
	s_cbranch_execz .LBB307_11
.LBB307_9:                              ; =>This Inner Loop Header: Depth=1
	global_load_dword v6, v[4:5], off
	s_waitcnt vmcnt(0) lgkmcnt(0)
	v_mad_i64_i32 v[6:7], s[0:1], v6, s34, v[2:3]
	global_load_ushort v111, v[6:7], off
	global_load_ushort v112, v[6:7], off offset:8
	global_load_ushort v110, v[6:7], off offset:256
	;; [unrolled: 1-line block ×30, first 2 shown]
	s_nop 0
	global_load_ushort v6, v[6:7], off offset:3848
	s_waitcnt vmcnt(31)
	v_and_b32_sdwa v7, s37, v111 dst_sel:DWORD dst_unused:UNUSED_PAD src0_sel:DWORD src1_sel:BYTE_0
	s_waitcnt vmcnt(30)
	v_and_b32_sdwa v113, s37, v112 dst_sel:DWORD dst_unused:UNUSED_PAD src0_sel:DWORD src1_sel:BYTE_0
	v_lshrrev_b16_e32 v112, 8, v112
	v_lshrrev_b16_e32 v111, 8, v111
	s_waitcnt vmcnt(29)
	v_and_b32_sdwa v114, s37, v110 dst_sel:DWORD dst_unused:UNUSED_PAD src0_sel:DWORD src1_sel:BYTE_0
	s_waitcnt vmcnt(28)
	v_and_b32_sdwa v115, s37, v109 dst_sel:DWORD dst_unused:UNUSED_PAD src0_sel:DWORD src1_sel:BYTE_0
	;; [unrolled: 2-line block ×10, first 2 shown]
	v_lshrrev_b16_e32 v101, 8, v101
	v_cvt_f32_fp8_e32 v112, v112
	v_lshrrev_b16_e32 v110, 8, v110
	v_cvt_f32_fp8_e32 v7, v7
	v_cvt_f32_fp8_e32 v113, v113
	;; [unrolled: 1-line block ×14, first 2 shown]
	v_lshrrev_b16_e32 v109, 8, v109
	v_cvt_f32_fp8_e32 v110, v110
	v_lshrrev_b16_e32 v108, 8, v108
	v_cvt_f32_fp8_e32 v109, v109
	;; [unrolled: 2-line block ×3, first 2 shown]
	s_waitcnt lgkmcnt(0)
	v_mul_f32_e32 v112, s35, v112
	v_lshrrev_b16_e32 v106, 8, v106
	v_cvt_f32_fp8_e32 v107, v107
	v_mul_f32_e32 v7, s35, v7
	v_mul_f32_e32 v113, s35, v113
	;; [unrolled: 1-line block ×14, first 2 shown]
	v_cvt_pk_bf16_f32 v112, v112, s0
	v_lshrrev_b16_e32 v105, 8, v105
	v_cvt_f32_fp8_e32 v106, v106
	v_mul_f32_e32 v110, s35, v110
	v_cvt_pk_bf16_f32 v7, v7, s0
	v_cvt_pk_bf16_f32 v113, v113, s0
	;; [unrolled: 1-line block ×14, first 2 shown]
	v_lshlrev_b32_e32 v112, 16, v112
	v_lshrrev_b16_e32 v104, 8, v104
	v_cvt_f32_fp8_e32 v105, v105
	v_mul_f32_e32 v109, s35, v109
	v_cvt_pk_bf16_f32 v110, v110, s0
	v_lshlrev_b32_e32 v125, 16, v7
	v_lshlrev_b32_e32 v7, 16, v113
	v_lshlrev_b32_e32 v111, 16, v111
	v_lshlrev_b32_e32 v113, 16, v114
	v_lshlrev_b32_e32 v114, 16, v115
	v_lshlrev_b32_e32 v115, 16, v116
	v_lshlrev_b32_e32 v116, 16, v117
	v_lshlrev_b32_e32 v117, 16, v118
	v_lshlrev_b32_e32 v118, 16, v119
	v_lshlrev_b32_e32 v119, 16, v120
	v_lshlrev_b32_e32 v120, 16, v121
	v_lshlrev_b32_e32 v121, 16, v122
	v_lshlrev_b32_e32 v122, 16, v123
	v_lshlrev_b32_e32 v123, 16, v101
	v_mul_f32_e32 v101, v15, v112
	v_lshrrev_b16_e32 v103, 8, v103
	v_cvt_f32_fp8_e32 v104, v104
	v_mul_f32_e32 v108, s35, v108
	v_cvt_pk_bf16_f32 v109, v109, s0
	v_lshlrev_b32_e32 v110, 16, v110
	v_mul_f32_e32 v7, v14, v7
	v_fmac_f32_e32 v101, v13, v111
	v_lshrrev_b16_e32 v102, 8, v102
	v_cvt_f32_fp8_e32 v103, v103
	v_mul_f32_e32 v107, s35, v107
	v_cvt_pk_bf16_f32 v108, v108, s0
	v_lshlrev_b32_e32 v109, 16, v109
	v_fmac_f32_e32 v7, v12, v125
	v_fmac_f32_e32 v101, v17, v110
	v_cvt_f32_fp8_e32 v102, v102
	v_mul_f32_e32 v106, s35, v106
	v_cvt_pk_bf16_f32 v107, v107, s0
	v_lshlrev_b32_e32 v108, 16, v108
	v_fmac_f32_e32 v7, v16, v113
	v_fmac_f32_e32 v101, v19, v109
	v_mul_f32_e32 v105, s35, v105
	v_cvt_pk_bf16_f32 v106, v106, s0
	v_lshlrev_b32_e32 v107, 16, v107
	v_fmac_f32_e32 v7, v18, v114
	v_fmac_f32_e32 v101, v21, v108
	s_waitcnt vmcnt(19)
	v_and_b32_sdwa v124, s37, v100 dst_sel:DWORD dst_unused:UNUSED_PAD src0_sel:DWORD src1_sel:BYTE_0
	v_mul_f32_e32 v104, s35, v104
	v_cvt_pk_bf16_f32 v105, v105, s0
	v_lshlrev_b32_e32 v106, 16, v106
	v_fmac_f32_e32 v7, v20, v115
	v_fmac_f32_e32 v101, v23, v107
	v_cvt_f32_fp8_e32 v124, v124
	v_mul_f32_e32 v103, s35, v103
	v_cvt_pk_bf16_f32 v104, v104, s0
	v_lshlrev_b32_e32 v105, 16, v105
	v_fmac_f32_e32 v7, v22, v116
	v_fmac_f32_e32 v101, v25, v106
	v_mul_f32_e32 v102, s35, v102
	v_cvt_pk_bf16_f32 v103, v103, s0
	v_lshlrev_b32_e32 v104, 16, v104
	v_fmac_f32_e32 v7, v24, v117
	v_fmac_f32_e32 v101, v27, v105
	v_cvt_pk_bf16_f32 v102, v102, s0
	v_lshlrev_b32_e32 v103, 16, v103
	v_fmac_f32_e32 v7, v26, v118
	v_fmac_f32_e32 v101, v29, v104
	v_lshlrev_b32_e32 v102, 16, v102
	v_fmac_f32_e32 v7, v28, v119
	v_fmac_f32_e32 v101, v31, v103
	;; [unrolled: 1-line block ×4, first 2 shown]
	v_mul_f32_e32 v102, s35, v124
	v_lshrrev_b16_e32 v100, 8, v100
	v_fmac_f32_e32 v7, v32, v121
	v_cvt_f32_fp8_e32 v100, v100
	v_cvt_pk_bf16_f32 v102, v102, s0
	v_fmac_f32_e32 v7, v34, v122
	v_lshlrev_b32_e32 v102, 16, v102
	v_fmac_f32_e32 v7, v36, v102
	s_waitcnt vmcnt(18)
	v_and_b32_sdwa v102, s37, v99 dst_sel:DWORD dst_unused:UNUSED_PAD src0_sel:DWORD src1_sel:BYTE_0
	v_cvt_f32_fp8_e32 v102, v102
	v_mul_f32_e32 v100, s35, v100
	v_cvt_pk_bf16_f32 v100, v100, s0
	v_fmac_f32_e32 v101, v35, v123
	v_lshlrev_b32_e32 v100, 16, v100
	v_fmac_f32_e32 v101, v37, v100
	v_mul_f32_e32 v100, s35, v102
	v_lshrrev_b16_e32 v99, 8, v99
	v_cvt_f32_fp8_e32 v99, v99
	v_cvt_pk_bf16_f32 v100, v100, s0
	v_lshlrev_b32_e32 v100, 16, v100
	v_fmac_f32_e32 v7, v38, v100
	s_waitcnt vmcnt(17)
	v_and_b32_sdwa v100, s37, v98 dst_sel:DWORD dst_unused:UNUSED_PAD src0_sel:DWORD src1_sel:BYTE_0
	v_cvt_f32_fp8_e32 v100, v100
	v_mul_f32_e32 v99, s35, v99
	v_cvt_pk_bf16_f32 v99, v99, s0
	v_lshlrev_b32_e32 v99, 16, v99
	v_fmac_f32_e32 v101, v39, v99
	v_mul_f32_e32 v99, s35, v100
	v_lshrrev_b16_e32 v98, 8, v98
	v_cvt_f32_fp8_e32 v98, v98
	v_cvt_pk_bf16_f32 v99, v99, s0
	v_lshlrev_b32_e32 v99, 16, v99
	v_fmac_f32_e32 v7, v40, v99
	s_waitcnt vmcnt(16)
	v_and_b32_sdwa v99, s37, v97 dst_sel:DWORD dst_unused:UNUSED_PAD src0_sel:DWORD src1_sel:BYTE_0
	v_cvt_f32_fp8_e32 v99, v99
	v_mul_f32_e32 v98, s35, v98
	v_cvt_pk_bf16_f32 v98, v98, s0
	;; [unrolled: 13-line block ×15, first 2 shown]
	v_lshlrev_b32_e32 v85, 16, v85
	v_fmac_f32_e32 v101, v67, v85
	v_mul_f32_e32 v85, s35, v86
	v_lshrrev_b16_e32 v84, 8, v84
	v_cvt_f32_fp8_e32 v84, v84
	v_cvt_pk_bf16_f32 v85, v85, s0
	v_lshlrev_b32_e32 v85, 16, v85
	v_fmac_f32_e32 v7, v68, v85
	s_waitcnt vmcnt(2)
	v_and_b32_sdwa v85, s37, v83 dst_sel:DWORD dst_unused:UNUSED_PAD src0_sel:DWORD src1_sel:BYTE_0
	v_cvt_f32_fp8_e32 v85, v85
	v_lshrrev_b16_e32 v83, 8, v83
	v_mul_f32_e32 v84, s35, v84
	v_cvt_f32_fp8_e32 v83, v83
	v_cvt_pk_bf16_f32 v84, v84, s0
	v_lshlrev_b32_e32 v84, 16, v84
	v_fmac_f32_e32 v101, v69, v84
	v_mul_f32_e32 v84, s35, v85
	v_cvt_pk_bf16_f32 v84, v84, s0
	v_mul_f32_e32 v83, s35, v83
	v_lshlrev_b32_e32 v84, 16, v84
	v_cvt_pk_bf16_f32 v83, v83, s0
	v_fmac_f32_e32 v7, v70, v84
	s_waitcnt vmcnt(1)
	v_and_b32_sdwa v84, s37, v82 dst_sel:DWORD dst_unused:UNUSED_PAD src0_sel:DWORD src1_sel:BYTE_0
	v_lshrrev_b16_e32 v82, 8, v82
	v_lshlrev_b32_e32 v83, 16, v83
	v_cvt_f32_fp8_e32 v84, v84
	v_cvt_f32_fp8_e32 v82, v82
	v_fmac_f32_e32 v101, v71, v83
	s_waitcnt vmcnt(0)
	v_and_b32_sdwa v83, s37, v6 dst_sel:DWORD dst_unused:UNUSED_PAD src0_sel:DWORD src1_sel:BYTE_0
	v_lshrrev_b16_e32 v6, 8, v6
	v_cvt_f32_fp8_e32 v83, v83
	v_cvt_f32_fp8_e32 v6, v6
	v_mul_f32_e32 v84, s35, v84
	v_mul_f32_e32 v82, s35, v82
	v_cvt_pk_bf16_f32 v84, v84, s0
	v_cvt_pk_bf16_f32 v82, v82, s0
	v_mul_f32_e32 v83, s35, v83
	v_mul_f32_e32 v6, s35, v6
	v_cvt_pk_bf16_f32 v83, v83, s0
	v_cvt_pk_bf16_f32 v6, v6, s0
	v_lshlrev_b32_e32 v84, 16, v84
	v_lshlrev_b32_e32 v82, 16, v82
	v_fmac_f32_e32 v7, v72, v84
	v_fmac_f32_e32 v101, v73, v82
	v_lshlrev_b32_e32 v82, 16, v83
	v_lshlrev_b32_e32 v6, 16, v6
	v_fmac_f32_e32 v7, v74, v82
	v_fmac_f32_e32 v101, v75, v6
	v_add_f32_e32 v6, v7, v101
	ds_bpermute_b32 v7, v77, v6
	s_waitcnt lgkmcnt(0)
	v_add_f32_e32 v6, v6, v7
	ds_bpermute_b32 v7, v78, v6
	s_and_saveexec_b64 s[14:15], vcc
	s_cbranch_execz .LBB307_8
; %bb.10:                               ;   in Loop: Header=BB307_9 Depth=1
	v_add_u32_e32 v82, s36, v79
	v_cvt_f32_i32_e32 v82, v82
	s_waitcnt lgkmcnt(0)
	v_add_f32_e32 v6, v6, v7
	v_cmp_gt_i32_e64 s[0:1], s17, v79
	v_max_f32_e32 v7, v76, v76
	v_mul_f32_e32 v82, s28, v82
	v_cndmask_b32_e64 v82, 0, v82, s[2:3]
	v_fmac_f32_e32 v82, s29, v6
	v_cndmask_b32_e64 v6, 0, v82, s[0:1]
	ds_write_b32 v80, v6
	v_max_f32_e32 v6, v7, v82
	v_cndmask_b32_e64 v76, v76, v6, s[0:1]
	s_branch .LBB307_8
.LBB307_11:
	s_or_b64 exec, exec, s[8:9]
.LBB307_12:
	s_or_b64 exec, exec, s[30:31]
	v_xor_b32_e32 v2, 32, v9
	v_cmp_lt_i32_e32 vcc, v2, v10
	v_xor_b32_e32 v5, 16, v9
	v_max_f32_e32 v4, v76, v76
	v_cndmask_b32_e32 v2, v9, v2, vcc
	v_lshlrev_b32_e32 v2, 2, v2
	ds_bpermute_b32 v3, v2, v76
	v_cmp_lt_i32_e32 vcc, v5, v10
	v_xor_b32_e32 v6, 8, v9
	s_waitcnt lgkmcnt(0)
	v_xor_b32_e32 v7, 4, v9
	v_and_b32_e32 v24, 63, v0
	v_max_f32_e32 v3, v3, v3
	v_max_f32_e32 v4, v4, v3
	v_cndmask_b32_e32 v3, v9, v5, vcc
	v_lshlrev_b32_e32 v3, 2, v3
	ds_bpermute_b32 v5, v3, v4
	v_cmp_lt_i32_e32 vcc, v6, v10
	s_waitcnt lgkmcnt(0)
	v_max_f32_e32 v5, v5, v5
	v_max_f32_e32 v4, v4, v5
	v_cndmask_b32_e32 v5, v9, v6, vcc
	v_lshlrev_b32_e32 v6, 2, v5
	ds_bpermute_b32 v5, v6, v4
	v_cmp_lt_i32_e32 vcc, v7, v10
	s_waitcnt lgkmcnt(0)
	v_max_f32_e32 v5, v5, v5
	v_max_f32_e32 v5, v4, v5
	v_cndmask_b32_e32 v4, v9, v7, vcc
	v_lshlrev_b32_e32 v7, 2, v4
	ds_bpermute_b32 v12, v7, v5
	v_cmp_eq_u32_e32 vcc, 0, v24
	v_lshlrev_b32_e32 v4, 2, v1
	s_and_saveexec_b64 s[0:1], vcc
	s_cbranch_execz .LBB307_14
; %bb.13:
	s_waitcnt lgkmcnt(0)
	v_max_f32_e32 v12, v12, v12
	v_max_f32_e32 v5, v5, v5
	;; [unrolled: 1-line block ×3, first 2 shown]
	ds_write_b32 v4, v5 offset:512
.LBB307_14:
	s_or_b64 exec, exec, s[0:1]
	v_cmp_gt_u32_e64 s[0:1], 2, v24
	s_waitcnt lgkmcnt(0)
	v_mov_b32_e32 v12, 0xff7fffff
	v_lshlrev_b32_e32 v5, 2, v24
	s_barrier
	s_and_saveexec_b64 s[2:3], s[0:1]
; %bb.15:
	ds_read_b32 v12, v5 offset:512
; %bb.16:
	s_or_b64 exec, exec, s[2:3]
	v_xor_b32_e32 v13, 1, v9
	v_cmp_lt_i32_e64 s[2:3], v13, v10
	v_lshlrev_b32_e32 v11, 2, v11
	s_nop 0
	v_cndmask_b32_e64 v13, v9, v13, s[2:3]
	v_lshlrev_b32_e32 v25, 2, v13
	s_waitcnt lgkmcnt(0)
	ds_bpermute_b32 v13, v25, v12
	v_max_f32_e32 v12, v12, v12
	s_lshl_b32 s2, s19, 4
	s_min_i32 s30, s2, s17
	v_cmp_gt_i32_e64 s[2:3], s30, v0
	s_waitcnt lgkmcnt(0)
	v_max_f32_e32 v13, v13, v13
	v_max_f32_e32 v12, v12, v13
	ds_bpermute_b32 v12, v11, v12
	v_mov_b32_e32 v11, 0
	s_and_saveexec_b64 s[14:15], s[2:3]
	s_cbranch_execz .LBB307_20
; %bb.17:
	v_mov_b32_e32 v11, 0x210
	v_lshl_add_u32 v13, v0, 2, v11
	v_mov_b32_e32 v11, 0
	s_mov_b64 s[28:29], 0
	v_mov_b32_e32 v14, v0
.LBB307_18:                             ; =>This Inner Loop Header: Depth=1
	ds_read_b32 v15, v13
	v_add_u32_e32 v14, 0x80, v14
	v_cmp_le_i32_e64 s[8:9], s30, v14
	s_or_b64 s[28:29], s[8:9], s[28:29]
	s_waitcnt lgkmcnt(0)
	v_sub_f32_e32 v15, v15, v12
	v_mul_f32_e32 v15, 0x3fb8aa3b, v15
	v_exp_f32_e32 v15, v15
	ds_write_b32 v13, v15
	v_add_f32_e32 v11, v11, v15
	v_add_u32_e32 v13, 0x200, v13
	s_andn2_b64 exec, exec, s[28:29]
	s_cbranch_execnz .LBB307_18
; %bb.19:
	s_or_b64 exec, exec, s[28:29]
.LBB307_20:
	s_or_b64 exec, exec, s[14:15]
	ds_bpermute_b32 v2, v2, v11
	s_waitcnt lgkmcnt(0)
	v_add_f32_e32 v2, v11, v2
	ds_bpermute_b32 v3, v3, v2
	s_waitcnt lgkmcnt(0)
	v_add_f32_e32 v2, v2, v3
	ds_bpermute_b32 v3, v6, v2
	v_xor_b32_e32 v6, 2, v9
	v_cmp_lt_i32_e64 s[8:9], v6, v10
	s_waitcnt lgkmcnt(0)
	v_add_f32_e32 v2, v2, v3
	ds_bpermute_b32 v3, v7, v2
	v_cndmask_b32_e64 v6, v9, v6, s[8:9]
	s_waitcnt lgkmcnt(0)
	v_add_f32_e32 v2, v2, v3
	v_lshlrev_b32_e32 v3, 2, v6
	ds_bpermute_b32 v3, v3, v2
	s_waitcnt lgkmcnt(0)
	v_add_f32_e32 v2, v2, v3
	ds_bpermute_b32 v3, v25, v2
	s_waitcnt lgkmcnt(0)
	v_add_f32_e32 v2, v2, v3
	s_and_saveexec_b64 s[8:9], vcc
; %bb.21:
	ds_write_b32 v4, v2 offset:520
; %bb.22:
	s_or_b64 exec, exec, s[8:9]
	s_waitcnt lgkmcnt(0)
	s_barrier
	s_and_saveexec_b64 s[8:9], s[0:1]
; %bb.23:
	ds_read_b32 v2, v5 offset:520
; %bb.24:
	s_or_b64 exec, exec, s[8:9]
	s_waitcnt lgkmcnt(0)
	ds_bpermute_b32 v3, v25, v2
	v_lshlrev_b32_e32 v4, 2, v9
	s_waitcnt lgkmcnt(0)
	v_add_f32_e32 v2, v2, v3
	v_and_b32_e32 v3, 0xffffff00, v4
	ds_bpermute_b32 v2, v3, v2
	s_and_saveexec_b64 s[0:1], s[2:3]
	s_cbranch_execz .LBB307_37
; %bb.25:
	s_waitcnt lgkmcnt(0)
	v_add_f32_e32 v2, 0x358637bd, v2
	v_div_scale_f32 v3, s[2:3], v2, v2, 1.0
	v_rcp_f32_e32 v4, v3
	v_div_scale_f32 v5, vcc, 1.0, v2, 1.0
	s_movk_i32 s2, 0x7f
	v_fma_f32 v6, -v3, v4, 1.0
	v_fmac_f32_e32 v4, v6, v4
	v_mul_f32_e32 v6, v5, v4
	v_fma_f32 v7, -v3, v6, v5
	v_fmac_f32_e32 v6, v7, v4
	v_fma_f32 v3, -v3, v6, v5
	v_div_fmas_f32 v3, v3, v4, v6
	v_xad_u32 v4, v0, -1, s30
	v_div_fixup_f32 v2, v3, v2, 1.0
	v_cmp_lt_u32_e32 vcc, s2, v4
	s_mov_b64 s[8:9], -1
	v_mov_b32_e32 v3, v0
	s_and_saveexec_b64 s[2:3], vcc
	s_cbranch_execz .LBB307_34
; %bb.26:
	v_lshrrev_b32_e32 v4, 7, v4
	v_add_u32_e32 v6, -1, v4
	v_lshrrev_b32_e32 v5, 1, v6
	v_mov_b32_e32 v3, v2
	v_add_u32_e32 v5, 1, v5
	v_cmp_lt_u32_e32 vcc, 13, v6
	v_mov_b32_e32 v9, 0
	s_and_saveexec_b64 s[8:9], vcc
	s_cbranch_execz .LBB307_30
; %bb.27:
	v_mov_b32_e32 v7, 0x210
	v_and_b32_e32 v6, -8, v5
	v_lshl_add_u32 v7, v0, 2, v7
	s_mov_b32 s28, 0
	s_mov_b64 s[14:15], 0
.LBB307_28:                             ; =>This Inner Loop Header: Depth=1
	ds_read2st64_b32 v[10:11], v7 offset1:2
	ds_read2st64_b32 v[12:13], v7 offset0:4 offset1:6
	ds_read2st64_b32 v[14:15], v7 offset0:8 offset1:10
	;; [unrolled: 1-line block ×3, first 2 shown]
	v_add_u32_e32 v6, -8, v6
	s_waitcnt lgkmcnt(3)
	v_pk_mul_f32 v[10:11], v[2:3], v[10:11]
	s_waitcnt lgkmcnt(2)
	v_pk_mul_f32 v[12:13], v[2:3], v[12:13]
	ds_write2st64_b32 v7, v10, v11 offset1:2
	ds_write2st64_b32 v7, v12, v13 offset0:4 offset1:6
	ds_read2st64_b32 v[12:13], v7 offset0:16 offset1:18
	s_waitcnt lgkmcnt(4)
	v_pk_mul_f32 v[10:11], v[2:3], v[14:15]
	ds_write2st64_b32 v7, v10, v11 offset0:8 offset1:10
	s_waitcnt lgkmcnt(4)
	v_pk_mul_f32 v[10:11], v[2:3], v[16:17]
	ds_write2st64_b32 v7, v10, v11 offset0:12 offset1:14
	ds_read2st64_b32 v[10:11], v7 offset0:20 offset1:22
	s_waitcnt lgkmcnt(3)
	v_pk_mul_f32 v[12:13], v[2:3], v[12:13]
	ds_read2st64_b32 v[14:15], v7 offset0:24 offset1:26
	ds_write2st64_b32 v7, v12, v13 offset0:16 offset1:18
	ds_read2st64_b32 v[12:13], v7 offset0:28 offset1:30
	s_waitcnt lgkmcnt(3)
	v_pk_mul_f32 v[10:11], v[2:3], v[10:11]
	ds_write2st64_b32 v7, v10, v11 offset0:20 offset1:22
	s_waitcnt lgkmcnt(3)
	v_pk_mul_f32 v[10:11], v[2:3], v[14:15]
	ds_write2st64_b32 v7, v10, v11 offset0:24 offset1:26
	s_waitcnt lgkmcnt(2)
	v_pk_mul_f32 v[10:11], v[2:3], v[12:13]
	s_add_i32 s28, s28, 16
	v_cmp_eq_u32_e32 vcc, 0, v6
	ds_write2st64_b32 v7, v10, v11 offset0:28 offset1:30
	v_add_u32_e32 v7, 0x2000, v7
	s_or_b64 s[14:15], vcc, s[14:15]
	v_mov_b32_e32 v9, s28
	s_andn2_b64 exec, exec, s[14:15]
	s_cbranch_execnz .LBB307_28
; %bb.29:
	s_or_b64 exec, exec, s[14:15]
.LBB307_30:
	s_or_b64 exec, exec, s[8:9]
	v_and_b32_e32 v5, 7, v5
	v_cmp_ne_u32_e32 vcc, 0, v5
	s_and_saveexec_b64 s[8:9], vcc
	s_cbranch_execz .LBB307_33
; %bb.31:
	v_lshlrev_b32_e32 v6, 9, v9
	v_lshlrev_b32_e32 v7, 2, v0
	s_movk_i32 s14, 0x210
	v_add3_u32 v6, v6, v7, s14
	s_mov_b64 s[14:15], 0
.LBB307_32:                             ; =>This Inner Loop Header: Depth=1
	ds_read2st64_b32 v[10:11], v6 offset1:2
	v_add_u32_e32 v5, -1, v5
	v_cmp_eq_u32_e32 vcc, 0, v5
	s_or_b64 s[14:15], vcc, s[14:15]
	s_waitcnt lgkmcnt(0)
	v_pk_mul_f32 v[10:11], v[2:3], v[10:11]
	ds_write2st64_b32 v6, v10, v11 offset1:2
	v_add_u32_e32 v6, 0x400, v6
	s_andn2_b64 exec, exec, s[14:15]
	s_cbranch_execnz .LBB307_32
.LBB307_33:
	s_or_b64 exec, exec, s[8:9]
	v_add_u32_e32 v4, 1, v4
	v_and_b32_e32 v5, 0x3fffffe, v4
	v_cmp_ne_u32_e32 vcc, v4, v5
	v_lshl_add_u32 v3, v5, 7, v0
	s_orn2_b64 s[8:9], vcc, exec
.LBB307_34:
	s_or_b64 exec, exec, s[2:3]
	s_and_b64 exec, exec, s[8:9]
	s_cbranch_execz .LBB307_37
; %bb.35:
	v_mov_b32_e32 v4, 0x210
	v_lshl_add_u32 v4, v3, 2, v4
	s_mov_b64 s[2:3], 0
.LBB307_36:                             ; =>This Inner Loop Header: Depth=1
	ds_read_b32 v5, v4
	v_add_u32_e32 v3, 0x80, v3
	v_cmp_le_i32_e32 vcc, s30, v3
	s_or_b64 s[2:3], vcc, s[2:3]
	s_waitcnt lgkmcnt(0)
	v_mul_f32_e32 v5, v2, v5
	ds_write_b32 v4, v5
	v_add_u32_e32 v4, 0x200, v4
	s_andn2_b64 exec, exec, s[2:3]
	s_cbranch_execnz .LBB307_36
.LBB307_37:
	s_or_b64 exec, exec, s[0:1]
	v_mov_b32_e32 v11, 0
	v_and_b32_e32 v26, 1, v0
	v_mov_b32_e32 v10, v11
	v_mov_b32_e32 v13, v11
	;; [unrolled: 1-line block ×7, first 2 shown]
	s_waitcnt lgkmcnt(0)
	s_barrier
	s_and_saveexec_b64 s[2:3], s[6:7]
	s_cbranch_execz .LBB307_57
; %bb.38:
	s_ashr_i32 s1, s33, 31
	v_lshlrev_b32_e32 v2, 3, v0
	s_add_u32 s0, s26, s33
	s_addc_u32 s1, s27, s1
	v_and_b32_e32 v10, 0x1f8, v2
	s_load_dword s10, s[10:11], 0x0
	v_mov_b32_e32 v11, 0
	v_and_b32_e32 v3, 8, v2
	s_add_i32 s11, s19, -1
	v_lshl_add_u64 v[18:19], s[0:1], 0, v[10:11]
	v_lshlrev_b32_e32 v2, 4, v1
	s_lshl_b64 s[0:1], s[24:25], 2
	v_or3_b32 v27, v2, v3, 7
	v_lshlrev_b32_e32 v2, 5, v26
	s_add_u32 s0, s22, s0
	v_lshl_or_b32 v2, v1, 6, v2
	v_and_b32_e32 v10, 60, v8
	s_addc_u32 s1, s23, s1
	v_add_u32_e32 v28, 0x210, v2
	v_lshl_add_u64 v[20:21], s[0:1], 0, v[10:11]
	s_mov_b64 s[6:7], 0
	v_mov_b32_e32 v10, v11
	v_mov_b32_e32 v13, v11
	;; [unrolled: 1-line block ×7, first 2 shown]
	s_branch .LBB307_40
.LBB307_39:                             ;   in Loop: Header=BB307_40 Depth=1
	s_or_b64 exec, exec, s[0:1]
	v_cvt_pk_bf16_f32 v7, v7, s0
	v_cvt_pk_bf16_f32 v45, v2, s0
	;; [unrolled: 1-line block ×3, first 2 shown]
	v_lshlrev_b32_e32 v2, 16, v7
	v_lshlrev_b32_e32 v3, 16, v97
	v_cvt_pk_bf16_f32 v6, v6, s0
	v_mul_f32_e32 v3, v2, v3
	v_cvt_pk_bf16_f32 v48, v3, s0
	v_lshlrev_b32_e32 v6, 16, v6
	v_lshlrev_b32_e32 v3, 16, v96
	v_cvt_pk_bf16_f32 v9, v9, s0
	v_mul_f32_e32 v3, v6, v3
	v_cvt_pk_bf16_f32 v47, v4, s0
	v_cvt_pk_bf16_f32 v49, v3, s0
	v_lshlrev_b32_e32 v3, 16, v9
	v_lshlrev_b32_e32 v4, 16, v95
	v_cvt_pk_bf16_f32 v8, v8, s0
	v_mul_f32_e32 v4, v3, v4
	v_cvt_pk_bf16_f32 v50, v4, s0
	v_lshlrev_b32_e32 v7, 16, v8
	v_lshlrev_b32_e32 v4, 16, v94
	v_mul_f32_e32 v4, v7, v4
	v_cvt_pk_bf16_f32 v58, v4, s0
	v_lshlrev_b32_e32 v4, 16, v46
	v_lshlrev_b32_e32 v8, 16, v93
	;; [unrolled: 4-line block ×3, first 2 shown]
	v_cvt_pk_bf16_f32 v5, v5, s0
	v_mul_f32_e32 v9, v8, v9
	v_cvt_pk_bf16_f32 v45, v9, s0
	v_lshlrev_b32_e32 v5, 16, v5
	v_lshlrev_b32_e32 v9, 16, v91
	v_mul_f32_e32 v9, v5, v9
	v_cvt_pk_bf16_f32 v91, v9, s0
	v_lshlrev_b32_e32 v9, 16, v47
	v_lshlrev_b32_e32 v47, 16, v90
	;; [unrolled: 1-line block ×4, first 2 shown]
	v_mul_f32_e32 v47, v9, v47
	v_add_f32_e32 v48, v49, v48
	v_lshlrev_b32_e32 v49, 16, v58
	v_lshlrev_b32_e32 v50, 16, v50
	v_cvt_pk_bf16_f32 v47, v47, s0
	v_add_f32_e32 v49, v49, v50
	v_lshlrev_b32_e32 v45, 16, v45
	v_lshlrev_b32_e32 v46, 16, v46
	v_add_f32_e32 v48, v49, v48
	v_add_f32_e32 v45, v45, v46
	v_lshlrev_b32_e32 v46, 16, v47
	v_lshlrev_b32_e32 v47, 16, v91
	v_add_f32_e32 v45, v45, v48
	v_add_f32_e32 v46, v46, v47
	;; [unrolled: 1-line block ×4, first 2 shown]
	v_lshlrev_b32_e32 v45, 16, v89
	v_lshlrev_b32_e32 v46, 16, v88
	v_mul_f32_e32 v45, v2, v45
	v_mul_f32_e32 v46, v6, v46
	v_lshlrev_b32_e32 v47, 16, v87
	v_lshlrev_b32_e32 v48, 16, v86
	v_cvt_pk_bf16_f32 v45, v45, s0
	v_cvt_pk_bf16_f32 v46, v46, s0
	v_mul_f32_e32 v47, v3, v47
	v_mul_f32_e32 v48, v7, v48
	v_cvt_pk_bf16_f32 v47, v47, s0
	v_cvt_pk_bf16_f32 v48, v48, s0
	v_lshlrev_b32_e32 v49, 16, v85
	v_lshlrev_b32_e32 v50, 16, v84
	;; [unrolled: 1-line block ×4, first 2 shown]
	v_mul_f32_e32 v49, v4, v49
	v_mul_f32_e32 v50, v8, v50
	v_add_f32_e32 v45, v46, v45
	v_lshlrev_b32_e32 v46, 16, v48
	v_lshlrev_b32_e32 v47, 16, v47
	v_cvt_pk_bf16_f32 v49, v49, s0
	v_cvt_pk_bf16_f32 v50, v50, s0
	v_lshlrev_b32_e32 v58, 16, v83
	v_lshlrev_b32_e32 v82, 16, v82
	v_add_f32_e32 v46, v46, v47
	v_mul_f32_e32 v58, v5, v58
	v_mul_f32_e32 v82, v9, v82
	v_add_f32_e32 v45, v46, v45
	v_lshlrev_b32_e32 v46, 16, v50
	v_lshlrev_b32_e32 v47, 16, v49
	v_cvt_pk_bf16_f32 v58, v58, s0
	v_cvt_pk_bf16_f32 v82, v82, s0
	v_add_f32_e32 v46, v46, v47
	v_add_f32_e32 v45, v46, v45
	v_lshlrev_b32_e32 v46, 16, v82
	v_lshlrev_b32_e32 v47, 16, v58
	v_add_f32_e32 v46, v46, v47
	v_add_f32_e32 v45, v46, v45
	;; [unrolled: 1-line block ×3, first 2 shown]
	v_lshlrev_b32_e32 v45, 16, v75
	v_lshlrev_b32_e32 v46, 16, v74
	v_mul_f32_e32 v45, v2, v45
	v_mul_f32_e32 v46, v6, v46
	v_lshlrev_b32_e32 v47, 16, v73
	v_lshlrev_b32_e32 v48, 16, v72
	v_cvt_pk_bf16_f32 v45, v45, s0
	v_cvt_pk_bf16_f32 v46, v46, s0
	v_mul_f32_e32 v47, v3, v47
	v_mul_f32_e32 v48, v7, v48
	v_cvt_pk_bf16_f32 v47, v47, s0
	v_cvt_pk_bf16_f32 v48, v48, s0
	v_lshlrev_b32_e32 v49, 16, v71
	v_lshlrev_b32_e32 v50, 16, v70
	;; [unrolled: 1-line block ×4, first 2 shown]
	v_mul_f32_e32 v49, v4, v49
	v_mul_f32_e32 v50, v8, v50
	v_add_f32_e32 v45, v46, v45
	v_lshlrev_b32_e32 v46, 16, v48
	v_lshlrev_b32_e32 v47, 16, v47
	v_cvt_pk_bf16_f32 v49, v49, s0
	v_cvt_pk_bf16_f32 v50, v50, s0
	v_lshlrev_b32_e32 v58, 16, v69
	v_lshlrev_b32_e32 v68, 16, v68
	v_add_f32_e32 v46, v46, v47
	v_mul_f32_e32 v58, v5, v58
	v_mul_f32_e32 v68, v9, v68
	v_add_f32_e32 v45, v46, v45
	v_lshlrev_b32_e32 v46, 16, v50
	v_lshlrev_b32_e32 v47, 16, v49
	v_cvt_pk_bf16_f32 v58, v58, s0
	v_cvt_pk_bf16_f32 v68, v68, s0
	v_add_f32_e32 v46, v46, v47
	v_add_f32_e32 v45, v46, v45
	v_lshlrev_b32_e32 v46, 16, v68
	v_lshlrev_b32_e32 v47, 16, v58
	v_add_f32_e32 v46, v46, v47
	v_add_f32_e32 v45, v46, v45
	v_add_f32_e32 v12, v12, v45
	v_lshlrev_b32_e32 v45, 16, v67
	v_lshlrev_b32_e32 v46, 16, v66
	v_mul_f32_e32 v45, v2, v45
	v_mul_f32_e32 v46, v6, v46
	v_lshlrev_b32_e32 v47, 16, v65
	v_lshlrev_b32_e32 v48, 16, v64
	v_cvt_pk_bf16_f32 v45, v45, s0
	v_cvt_pk_bf16_f32 v46, v46, s0
	v_mul_f32_e32 v47, v3, v47
	v_mul_f32_e32 v48, v7, v48
	v_lshlrev_b32_e32 v36, 16, v36
	v_lshlrev_b32_e32 v35, 16, v35
	;; [unrolled: 1-line block ×4, first 2 shown]
	v_cvt_pk_bf16_f32 v47, v47, s0
	v_cvt_pk_bf16_f32 v48, v48, s0
	v_lshlrev_b32_e32 v49, 16, v63
	v_lshlrev_b32_e32 v50, 16, v62
	;; [unrolled: 1-line block ×4, first 2 shown]
	v_mul_f32_e32 v36, v2, v36
	v_mul_f32_e32 v35, v6, v35
	;; [unrolled: 1-line block ×4, first 2 shown]
	v_lshlrev_b32_e32 v32, 16, v32
	v_lshlrev_b32_e32 v31, 16, v31
	v_mul_f32_e32 v49, v4, v49
	v_mul_f32_e32 v50, v8, v50
	v_add_f32_e32 v45, v46, v45
	v_lshlrev_b32_e32 v46, 16, v48
	v_lshlrev_b32_e32 v47, 16, v47
	v_cvt_pk_bf16_f32 v36, v36, s0
	v_cvt_pk_bf16_f32 v35, v35, s0
	;; [unrolled: 1-line block ×4, first 2 shown]
	v_mul_f32_e32 v32, v4, v32
	v_mul_f32_e32 v31, v8, v31
	v_lshlrev_b32_e32 v30, 16, v30
	v_lshlrev_b32_e32 v29, 16, v29
	v_cvt_pk_bf16_f32 v49, v49, s0
	v_cvt_pk_bf16_f32 v50, v50, s0
	v_lshlrev_b32_e32 v58, 16, v61
	v_lshlrev_b32_e32 v60, 16, v60
	v_add_f32_e32 v46, v46, v47
	v_cvt_pk_bf16_f32 v32, v32, s0
	v_cvt_pk_bf16_f32 v31, v31, s0
	v_mul_f32_e32 v30, v5, v30
	v_mul_f32_e32 v29, v9, v29
	v_lshlrev_b32_e32 v35, 16, v35
	v_lshlrev_b32_e32 v36, 16, v36
	;; [unrolled: 1-line block ×4, first 2 shown]
	v_mul_f32_e32 v58, v5, v58
	v_mul_f32_e32 v60, v9, v60
	v_add_f32_e32 v45, v46, v45
	v_lshlrev_b32_e32 v46, 16, v50
	v_lshlrev_b32_e32 v47, 16, v49
	v_cvt_pk_bf16_f32 v30, v30, s0
	v_cvt_pk_bf16_f32 v29, v29, s0
	v_add_f32_e32 v35, v35, v36
	v_add_f32_e32 v33, v33, v34
	v_lshlrev_b32_e32 v31, 16, v31
	v_lshlrev_b32_e32 v32, 16, v32
	v_cvt_pk_bf16_f32 v58, v58, s0
	v_cvt_pk_bf16_f32 v60, v60, s0
	v_add_f32_e32 v46, v46, v47
	v_add_f32_e32 v33, v33, v35
	;; [unrolled: 1-line block ×3, first 2 shown]
	v_lshlrev_b32_e32 v29, 16, v29
	v_lshlrev_b32_e32 v30, 16, v30
	v_add_f32_e32 v45, v46, v45
	v_lshlrev_b32_e32 v46, 16, v60
	v_lshlrev_b32_e32 v47, 16, v58
	v_add_f32_e32 v31, v31, v33
	v_add_f32_e32 v29, v29, v30
	v_add_f32_e32 v46, v46, v47
	v_add_f32_e32 v29, v29, v31
	v_add_f32_e32 v45, v46, v45
	v_lshlrev_b32_e32 v46, 16, v57
	v_lshlrev_b32_e32 v43, 16, v43
	v_add_f32_e32 v16, v16, v29
	v_lshlrev_b32_e32 v29, 16, v81
	v_add_f32_e32 v15, v15, v45
	v_lshlrev_b32_e32 v45, 16, v59
	v_mul_f32_e32 v46, v6, v46
	v_lshlrev_b32_e32 v44, 16, v44
	v_mul_f32_e32 v43, v6, v43
	v_mul_f32_e32 v6, v6, v29
	v_lshlrev_b32_e32 v29, 16, v80
	v_mul_f32_e32 v45, v2, v45
	v_lshlrev_b32_e32 v48, 16, v55
	;; [unrolled: 2-line block ×4, first 2 shown]
	v_lshlrev_b32_e32 v47, 16, v56
	v_mul_f32_e32 v48, v7, v48
	v_lshlrev_b32_e32 v42, 16, v42
	v_mul_f32_e32 v41, v7, v41
	v_mul_f32_e32 v7, v7, v29
	v_lshlrev_b32_e32 v29, 16, v78
	v_mul_f32_e32 v47, v3, v47
	v_mul_f32_e32 v42, v3, v42
	;; [unrolled: 1-line block ×3, first 2 shown]
	v_cvt_pk_bf16_f32 v29, v3, s0
	v_lshlrev_b32_e32 v3, 16, v77
	v_lshlrev_b32_e32 v50, 16, v53
	;; [unrolled: 1-line block ×3, first 2 shown]
	v_mul_f32_e32 v3, v8, v3
	v_mul_f32_e32 v50, v8, v50
	;; [unrolled: 1-line block ×3, first 2 shown]
	v_cvt_pk_bf16_f32 v8, v3, s0
	v_lshlrev_b32_e32 v3, 16, v76
	v_mul_f32_e32 v3, v4, v3
	v_cvt_pk_bf16_f32 v45, v45, s0
	v_cvt_pk_bf16_f32 v46, v46, s0
	v_cvt_pk_bf16_f32 v30, v3, s0
	v_lshlrev_b32_e32 v3, 16, v23
	v_cvt_pk_bf16_f32 v47, v47, s0
	v_cvt_pk_bf16_f32 v48, v48, s0
	v_lshlrev_b32_e32 v49, 16, v54
	v_lshlrev_b32_e32 v51, 16, v51
	;; [unrolled: 1-line block ×5, first 2 shown]
	v_mul_f32_e32 v3, v9, v3
	v_mul_f32_e32 v49, v4, v49
	;; [unrolled: 1-line block ×3, first 2 shown]
	v_add_f32_e32 v45, v46, v45
	v_lshlrev_b32_e32 v46, 16, v48
	v_lshlrev_b32_e32 v47, 16, v47
	;; [unrolled: 1-line block ×3, first 2 shown]
	v_mul_f32_e32 v37, v9, v37
	v_cvt_pk_bf16_f32 v9, v3, s0
	v_lshlrev_b32_e32 v3, 16, v22
	v_cvt_pk_bf16_f32 v49, v49, s0
	v_cvt_pk_bf16_f32 v50, v50, s0
	v_lshlrev_b32_e32 v52, 16, v52
	v_add_f32_e32 v46, v46, v47
	v_cvt_pk_bf16_f32 v44, v44, s0
	v_cvt_pk_bf16_f32 v43, v43, s0
	;; [unrolled: 1-line block ×4, first 2 shown]
	v_mul_f32_e32 v40, v4, v40
	v_lshlrev_b32_e32 v38, 16, v38
	v_cvt_pk_bf16_f32 v6, v6, s0
	v_cvt_pk_bf16_f32 v2, v2, s0
	;; [unrolled: 1-line block ×3, first 2 shown]
	v_mul_f32_e32 v3, v5, v3
	v_mul_f32_e32 v52, v5, v52
	v_add_f32_e32 v45, v46, v45
	v_lshlrev_b32_e32 v46, 16, v50
	v_lshlrev_b32_e32 v47, 16, v49
	v_cvt_pk_bf16_f32 v40, v40, s0
	v_cvt_pk_bf16_f32 v39, v39, s0
	v_mul_f32_e32 v38, v5, v38
	v_lshlrev_b32_e32 v43, 16, v43
	v_lshlrev_b32_e32 v44, 16, v44
	;; [unrolled: 1-line block ×4, first 2 shown]
	v_cvt_pk_bf16_f32 v22, v3, s0
	v_lshlrev_b32_e32 v3, 16, v2
	v_lshlrev_b32_e32 v5, 16, v6
	;; [unrolled: 1-line block ×4, first 2 shown]
	v_cvt_pk_bf16_f32 v52, v52, s0
	v_cvt_pk_bf16_f32 v51, v51, s0
	v_add_f32_e32 v46, v46, v47
	v_cvt_pk_bf16_f32 v38, v38, s0
	v_cvt_pk_bf16_f32 v37, v37, s0
	v_add_f32_e32 v43, v43, v44
	v_add_f32_e32 v41, v41, v42
	v_lshlrev_b32_e32 v39, 16, v39
	v_lshlrev_b32_e32 v40, 16, v40
	v_pk_add_f32 v[2:3], v[4:5], v[2:3]
	v_lshlrev_b32_e32 v5, 16, v30
	v_lshlrev_b32_e32 v7, 16, v8
	;; [unrolled: 1-line block ×4, first 2 shown]
	v_add_f32_e32 v45, v46, v45
	v_lshlrev_b32_e32 v46, 16, v51
	v_lshlrev_b32_e32 v47, 16, v52
	v_add_f32_e32 v41, v41, v43
	v_add_f32_e32 v39, v39, v40
	v_lshlrev_b32_e32 v37, 16, v37
	v_lshlrev_b32_e32 v38, 16, v38
	v_pk_add_f32 v[4:5], v[6:7], v[4:5]
	v_add_f32_e32 v2, v2, v3
	v_add_f32_e32 v46, v46, v47
	;; [unrolled: 1-line block ×5, first 2 shown]
	v_add_u32_e32 v1, 2, v1
	v_add_f32_e32 v45, v46, v45
	v_add_f32_e32 v37, v37, v39
	v_add_f32_e32 v2, v4, v2
	v_cmp_le_i32_e32 vcc, s19, v1
	v_add_f32_e32 v14, v14, v45
	v_add_f32_e32 v17, v17, v37
	;; [unrolled: 1-line block ×3, first 2 shown]
	v_add_u32_e32 v27, 32, v27
	v_add_u32_e32 v28, 0x80, v28
	s_or_b64 s[6:7], vcc, s[6:7]
	v_lshl_add_u64 v[20:21], v[20:21], 0, 8
	s_andn2_b64 exec, exec, s[6:7]
	s_cbranch_execz .LBB307_56
.LBB307_40:                             ; =>This Inner Loop Header: Depth=1
	global_load_dword v2, v[20:21], off
	v_add_u32_e32 v45, -7, v27
	v_cmp_eq_u32_e32 vcc, s11, v1
	v_add_u32_e32 v50, -6, v27
	v_add_u32_e32 v49, -5, v27
	;; [unrolled: 1-line block ×6, first 2 shown]
	s_waitcnt vmcnt(0)
	v_mad_i64_i32 v[22:23], s[0:1], v2, s13, v[18:19]
	global_load_dwordx2 v[30:31], v[22:23], off
	ds_read2_b64 v[6:9], v28 offset1:1
	ds_read2_b64 v[2:5], v28 offset0:2 offset1:3
	s_waitcnt vmcnt(0)
	v_and_b32_e32 v29, 0xff, v30
	v_bfe_u32 v32, v30, 8, 8
	v_bfe_u32 v33, v30, 16, 8
	v_lshrrev_b32_e32 v30, 24, v30
	v_and_b32_e32 v34, 0xff, v31
	v_bfe_u32 v35, v31, 8, 8
	v_bfe_u32 v36, v31, 16, 8
	v_lshrrev_b32_e32 v31, 24, v31
	v_cvt_f32_fp8_e32 v29, v29
	v_cvt_f32_fp8_e32 v32, v32
	;; [unrolled: 1-line block ×8, first 2 shown]
	s_waitcnt lgkmcnt(0)
	v_mul_f32_e32 v29, s10, v29
	v_mul_f32_e32 v32, s10, v32
	v_mul_f32_e32 v33, s10, v33
	v_mul_f32_e32 v30, s10, v30
	v_mul_f32_e32 v37, s10, v34
	v_mul_f32_e32 v38, s10, v35
	v_mul_f32_e32 v39, s10, v36
	v_mul_f32_e32 v40, s10, v31
	v_cvt_pk_bf16_f32 v35, v29, s0
	v_cvt_pk_bf16_f32 v36, v32, s0
	v_cvt_pk_bf16_f32 v33, v33, s0
	v_cvt_pk_bf16_f32 v34, v30, s0
	v_cvt_pk_bf16_f32 v31, v37, s0
	v_cvt_pk_bf16_f32 v32, v38, s0
	v_cvt_pk_bf16_f32 v29, v39, s0
	v_cvt_pk_bf16_f32 v30, v40, s0
	s_and_saveexec_b64 s[8:9], vcc
	s_cbranch_execz .LBB307_42
; %bb.41:                               ;   in Loop: Header=BB307_40 Depth=1
	v_cmp_gt_i32_e64 s[0:1], s17, v45
	s_nop 1
	v_cndmask_b32_e64 v35, 0, v35, s[0:1]
	v_cmp_gt_i32_e64 s[0:1], s17, v50
	s_nop 1
	v_cndmask_b32_e64 v36, 0, v36, s[0:1]
	v_cmp_gt_i32_e64 s[0:1], s17, v49
	s_nop 1
	v_cndmask_b32_e64 v33, 0, v33, s[0:1]
	v_cmp_gt_i32_e64 s[0:1], s17, v48
	s_nop 1
	v_cndmask_b32_e64 v34, 0, v34, s[0:1]
	v_cmp_gt_i32_e64 s[0:1], s17, v47
	s_nop 1
	v_cndmask_b32_e64 v31, 0, v31, s[0:1]
	v_cmp_gt_i32_e64 s[0:1], s17, v46
	s_nop 1
	v_cndmask_b32_e64 v32, 0, v32, s[0:1]
	v_cmp_gt_i32_e64 s[0:1], s17, v58
	s_nop 1
	v_cndmask_b32_e64 v29, 0, v29, s[0:1]
	v_cmp_gt_i32_e64 s[0:1], s17, v27
	s_nop 1
	v_cndmask_b32_e64 v30, 0, v30, s[0:1]
.LBB307_42:                             ;   in Loop: Header=BB307_40 Depth=1
	s_or_b64 exec, exec, s[8:9]
	global_load_dwordx2 v[38:39], v[22:23], off offset:512
	s_waitcnt vmcnt(0)
	v_and_b32_e32 v37, 0xff, v38
	v_bfe_u32 v40, v38, 8, 8
	v_bfe_u32 v41, v38, 16, 8
	v_lshrrev_b32_e32 v38, 24, v38
	v_and_b32_e32 v42, 0xff, v39
	v_bfe_u32 v43, v39, 8, 8
	v_bfe_u32 v44, v39, 16, 8
	v_lshrrev_b32_e32 v39, 24, v39
	v_cvt_f32_fp8_e32 v37, v37
	v_cvt_f32_fp8_e32 v40, v40
	v_cvt_f32_fp8_e32 v41, v41
	v_cvt_f32_fp8_e32 v38, v38
	v_cvt_f32_fp8_e32 v42, v42
	v_cvt_f32_fp8_e32 v43, v43
	v_cvt_f32_fp8_e32 v44, v44
	v_cvt_f32_fp8_e32 v39, v39
	v_mul_f32_e32 v37, s10, v37
	v_mul_f32_e32 v40, s10, v40
	v_mul_f32_e32 v41, s10, v41
	v_mul_f32_e32 v38, s10, v38
	v_mul_f32_e32 v51, s10, v42
	v_mul_f32_e32 v52, s10, v43
	v_mul_f32_e32 v53, s10, v44
	v_mul_f32_e32 v54, s10, v39
	v_cvt_pk_bf16_f32 v43, v37, s0
	v_cvt_pk_bf16_f32 v44, v40, s0
	v_cvt_pk_bf16_f32 v41, v41, s0
	v_cvt_pk_bf16_f32 v42, v38, s0
	v_cvt_pk_bf16_f32 v39, v51, s0
	v_cvt_pk_bf16_f32 v40, v52, s0
	v_cvt_pk_bf16_f32 v37, v53, s0
	v_cvt_pk_bf16_f32 v38, v54, s0
	s_and_saveexec_b64 s[8:9], vcc
	s_cbranch_execz .LBB307_44
; %bb.43:                               ;   in Loop: Header=BB307_40 Depth=1
	v_cmp_gt_i32_e64 s[0:1], s17, v45
	s_nop 1
	v_cndmask_b32_e64 v43, 0, v43, s[0:1]
	v_cmp_gt_i32_e64 s[0:1], s17, v50
	s_nop 1
	v_cndmask_b32_e64 v44, 0, v44, s[0:1]
	v_cmp_gt_i32_e64 s[0:1], s17, v49
	s_nop 1
	v_cndmask_b32_e64 v41, 0, v41, s[0:1]
	v_cmp_gt_i32_e64 s[0:1], s17, v48
	s_nop 1
	v_cndmask_b32_e64 v42, 0, v42, s[0:1]
	v_cmp_gt_i32_e64 s[0:1], s17, v47
	s_nop 1
	v_cndmask_b32_e64 v39, 0, v39, s[0:1]
	v_cmp_gt_i32_e64 s[0:1], s17, v46
	s_nop 1
	v_cndmask_b32_e64 v40, 0, v40, s[0:1]
	v_cmp_gt_i32_e64 s[0:1], s17, v58
	s_nop 1
	v_cndmask_b32_e64 v37, 0, v37, s[0:1]
	v_cmp_gt_i32_e64 s[0:1], s17, v27
	s_nop 1
	v_cndmask_b32_e64 v38, 0, v38, s[0:1]
.LBB307_44:                             ;   in Loop: Header=BB307_40 Depth=1
	s_or_b64 exec, exec, s[8:9]
	global_load_dwordx2 v[52:53], v[22:23], off offset:1024
	s_waitcnt vmcnt(0)
	v_and_b32_e32 v51, 0xff, v52
	v_bfe_u32 v54, v52, 8, 8
	v_bfe_u32 v55, v52, 16, 8
	v_lshrrev_b32_e32 v52, 24, v52
	v_and_b32_e32 v56, 0xff, v53
	v_bfe_u32 v57, v53, 8, 8
	v_bfe_u32 v59, v53, 16, 8
	v_lshrrev_b32_e32 v53, 24, v53
	v_cvt_f32_fp8_e32 v51, v51
	v_cvt_f32_fp8_e32 v54, v54
	v_cvt_f32_fp8_e32 v55, v55
	v_cvt_f32_fp8_e32 v52, v52
	v_cvt_f32_fp8_e32 v56, v56
	v_cvt_f32_fp8_e32 v57, v57
	v_cvt_f32_fp8_e32 v59, v59
	v_cvt_f32_fp8_e32 v53, v53
	;; [unrolled: 63-line block ×7, first 2 shown]
	v_mul_f32_e32 v76, s10, v76
	v_mul_f32_e32 v77, s10, v77
	;; [unrolled: 1-line block ×8, first 2 shown]
	v_cvt_pk_bf16_f32 v81, v76, s0
	v_cvt_pk_bf16_f32 v80, v77, s0
	;; [unrolled: 1-line block ×8, first 2 shown]
	s_and_saveexec_b64 s[0:1], vcc
	s_cbranch_execz .LBB307_39
; %bb.55:                               ;   in Loop: Header=BB307_40 Depth=1
	v_cmp_gt_i32_e32 vcc, s17, v45
	s_nop 1
	v_cndmask_b32_e32 v81, 0, v81, vcc
	v_cmp_gt_i32_e32 vcc, s17, v50
	s_nop 1
	v_cndmask_b32_e32 v80, 0, v80, vcc
	;; [unrolled: 3-line block ×8, first 2 shown]
	s_branch .LBB307_39
.LBB307_56:
	s_or_b64 exec, exec, s[6:7]
.LBB307_57:
	s_or_b64 exec, exec, s[2:3]
	ds_bpermute_b32 v2, v25, v16
	ds_bpermute_b32 v3, v25, v17
	;; [unrolled: 1-line block ×6, first 2 shown]
	s_waitcnt lgkmcnt(4)
	v_pk_add_f32 v[6:7], v[16:17], v[2:3]
	v_and_b32_e32 v1, 0x3c1, v0
	s_waitcnt lgkmcnt(2)
	v_pk_add_f32 v[2:3], v[12:13], v[8:9]
	ds_bpermute_b32 v8, v25, v10
	ds_bpermute_b32 v9, v25, v11
	s_waitcnt lgkmcnt(2)
	v_pk_add_f32 v[4:5], v[14:15], v[4:5]
	v_cmp_ne_u32_e32 vcc, 64, v1
	s_waitcnt lgkmcnt(0)
	s_barrier
	s_and_saveexec_b64 s[0:1], vcc
	s_xor_b64 s[0:1], exec, s[0:1]
; %bb.58:
                                        ; implicit-def: $vgpr24
; %bb.59:
	s_or_saveexec_b64 s[0:1], s[0:1]
	v_pk_add_f32 v[8:9], v[10:11], v[8:9]
	s_xor_b64 exec, exec, s[0:1]
	s_cbranch_execz .LBB307_61
; %bb.60:
	v_mov_b32_e32 v10, 0x210
	v_lshl_add_u32 v10, v24, 1, v10
	ds_write2_b32 v10, v6, v7 offset1:32
	ds_write2_b32 v10, v4, v5 offset0:64 offset1:96
	ds_write2_b32 v10, v2, v3 offset0:128 offset1:160
	;; [unrolled: 1-line block ×3, first 2 shown]
.LBB307_61:
	s_or_b64 exec, exec, s[0:1]
	v_cmp_gt_u32_e32 vcc, 64, v0
	v_lshrrev_b32_e32 v0, 1, v0
	s_waitcnt lgkmcnt(0)
	s_barrier
	s_and_saveexec_b64 s[0:1], vcc
	s_cbranch_execz .LBB307_72
; %bb.62:
	v_mov_b32_e32 v10, 0x210
	v_cmp_eq_u32_e32 vcc, 0, v26
	v_lshl_add_u32 v10, v0, 2, v10
	s_and_saveexec_b64 s[2:3], vcc
	s_cbranch_execnz .LBB307_75
; %bb.63:
	s_or_b64 exec, exec, s[2:3]
	s_and_saveexec_b64 s[2:3], vcc
	s_cbranch_execnz .LBB307_76
.LBB307_64:
	s_or_b64 exec, exec, s[2:3]
	s_and_saveexec_b64 s[2:3], vcc
	s_cbranch_execnz .LBB307_77
.LBB307_65:
	s_or_b64 exec, exec, s[2:3]
	s_and_saveexec_b64 s[2:3], vcc
	s_cbranch_execnz .LBB307_78
.LBB307_66:
	s_or_b64 exec, exec, s[2:3]
	s_and_saveexec_b64 s[2:3], vcc
	s_cbranch_execnz .LBB307_79
.LBB307_67:
	s_or_b64 exec, exec, s[2:3]
	s_and_saveexec_b64 s[2:3], vcc
	s_cbranch_execnz .LBB307_80
.LBB307_68:
	s_or_b64 exec, exec, s[2:3]
	s_and_saveexec_b64 s[2:3], vcc
	s_cbranch_execnz .LBB307_81
.LBB307_69:
	s_or_b64 exec, exec, s[2:3]
	s_and_saveexec_b64 s[2:3], vcc
	s_cbranch_execz .LBB307_71
.LBB307_70:
	ds_read_b32 v10, v10 offset:896
	s_waitcnt lgkmcnt(0)
	v_add_f32_e32 v9, v9, v10
.LBB307_71:
	s_or_b64 exec, exec, s[2:3]
.LBB307_72:
	s_or_b64 exec, exec, s[0:1]
	v_cmp_eq_u32_e32 vcc, 0, v1
	s_barrier
	s_and_saveexec_b64 s[0:1], vcc
	s_cbranch_execz .LBB307_74
; %bb.73:
	s_mul_i32 s0, s16, s12
	s_mul_i32 s0, s0, s5
	s_lshl_b32 s0, s0, 8
	s_ashr_i32 s1, s0, 31
	s_lshl_b64 s[0:1], s[0:1], 1
	s_add_u32 s2, s20, s0
	s_mul_i32 s0, s12, s18
	s_addc_u32 s3, s21, s1
	s_ashr_i32 s1, s0, 31
	s_lshl_b64 s[0:1], s[0:1], 1
	s_add_u32 s2, s2, s0
	s_addc_u32 s3, s3, s1
	s_lshl_b32 s0, s4, 8
	s_ashr_i32 s1, s0, 31
	s_lshl_b64 s[0:1], s[0:1], 1
	s_add_u32 s0, s2, s0
	s_addc_u32 s1, s3, s1
	v_lshlrev_b32_e32 v0, 1, v0
	v_cvt_pk_bf16_f32 v1, v6, s0
	global_store_short v0, v1, s[0:1]
	v_cvt_pk_bf16_f32 v1, v7, s0
	global_store_short v0, v1, s[0:1] offset:64
	v_cvt_pk_bf16_f32 v1, v4, s0
	global_store_short v0, v1, s[0:1] offset:128
	;; [unrolled: 2-line block ×7, first 2 shown]
.LBB307_74:
	s_endpgm
.LBB307_75:
	ds_read_b32 v11, v10
	s_waitcnt lgkmcnt(0)
	v_add_f32_e32 v6, v6, v11
	s_or_b64 exec, exec, s[2:3]
	s_and_saveexec_b64 s[2:3], vcc
	s_cbranch_execz .LBB307_64
.LBB307_76:
	ds_read_b32 v11, v10 offset:128
	s_waitcnt lgkmcnt(0)
	v_add_f32_e32 v7, v7, v11
	s_or_b64 exec, exec, s[2:3]
	s_and_saveexec_b64 s[2:3], vcc
	s_cbranch_execz .LBB307_65
.LBB307_77:
	ds_read_b32 v11, v10 offset:256
	s_waitcnt lgkmcnt(0)
	v_add_f32_e32 v4, v4, v11
	s_or_b64 exec, exec, s[2:3]
	s_and_saveexec_b64 s[2:3], vcc
	s_cbranch_execz .LBB307_66
.LBB307_78:
	ds_read_b32 v11, v10 offset:384
	s_waitcnt lgkmcnt(0)
	v_add_f32_e32 v5, v5, v11
	s_or_b64 exec, exec, s[2:3]
	s_and_saveexec_b64 s[2:3], vcc
	s_cbranch_execz .LBB307_67
.LBB307_79:
	ds_read_b32 v11, v10 offset:512
	s_waitcnt lgkmcnt(0)
	v_add_f32_e32 v2, v2, v11
	s_or_b64 exec, exec, s[2:3]
	s_and_saveexec_b64 s[2:3], vcc
	s_cbranch_execz .LBB307_68
.LBB307_80:
	ds_read_b32 v11, v10 offset:640
	s_waitcnt lgkmcnt(0)
	v_add_f32_e32 v3, v3, v11
	s_or_b64 exec, exec, s[2:3]
	s_and_saveexec_b64 s[2:3], vcc
	s_cbranch_execz .LBB307_69
.LBB307_81:
	ds_read_b32 v11, v10 offset:768
	s_waitcnt lgkmcnt(0)
	v_add_f32_e32 v8, v8, v11
	s_or_b64 exec, exec, s[2:3]
	s_and_saveexec_b64 s[2:3], vcc
	s_cbranch_execnz .LBB307_70
	s_branch .LBB307_71
	.section	.rodata,"a",@progbits
	.p2align	6, 0x0
	.amdhsa_kernel _ZN4vllm25paged_attention_v1_kernelI14__hip_bfloat16hLi256ELi16ELi128ELNS_18Fp8KVCacheDataTypeE1ELb0EEEvPT_PKS3_PKT0_S9_ifPKiSB_iPKfiiiSD_SD_iiiii
		.amdhsa_group_segment_fixed_size 528
		.amdhsa_private_segment_fixed_size 0
		.amdhsa_kernarg_size 384
		.amdhsa_user_sgpr_count 2
		.amdhsa_user_sgpr_dispatch_ptr 0
		.amdhsa_user_sgpr_queue_ptr 0
		.amdhsa_user_sgpr_kernarg_segment_ptr 1
		.amdhsa_user_sgpr_dispatch_id 0
		.amdhsa_user_sgpr_kernarg_preload_length 0
		.amdhsa_user_sgpr_kernarg_preload_offset 0
		.amdhsa_user_sgpr_private_segment_size 0
		.amdhsa_uses_dynamic_stack 0
		.amdhsa_enable_private_segment 0
		.amdhsa_system_sgpr_workgroup_id_x 1
		.amdhsa_system_sgpr_workgroup_id_y 1
		.amdhsa_system_sgpr_workgroup_id_z 1
		.amdhsa_system_sgpr_workgroup_info 0
		.amdhsa_system_vgpr_workitem_id 0
		.amdhsa_next_free_vgpr 126
		.amdhsa_next_free_sgpr 38
		.amdhsa_accum_offset 128
		.amdhsa_reserve_vcc 1
		.amdhsa_float_round_mode_32 0
		.amdhsa_float_round_mode_16_64 0
		.amdhsa_float_denorm_mode_32 3
		.amdhsa_float_denorm_mode_16_64 3
		.amdhsa_dx10_clamp 1
		.amdhsa_ieee_mode 1
		.amdhsa_fp16_overflow 0
		.amdhsa_tg_split 0
		.amdhsa_exception_fp_ieee_invalid_op 0
		.amdhsa_exception_fp_denorm_src 0
		.amdhsa_exception_fp_ieee_div_zero 0
		.amdhsa_exception_fp_ieee_overflow 0
		.amdhsa_exception_fp_ieee_underflow 0
		.amdhsa_exception_fp_ieee_inexact 0
		.amdhsa_exception_int_div_zero 0
	.end_amdhsa_kernel
	.section	.text._ZN4vllm25paged_attention_v1_kernelI14__hip_bfloat16hLi256ELi16ELi128ELNS_18Fp8KVCacheDataTypeE1ELb0EEEvPT_PKS3_PKT0_S9_ifPKiSB_iPKfiiiSD_SD_iiiii,"axG",@progbits,_ZN4vllm25paged_attention_v1_kernelI14__hip_bfloat16hLi256ELi16ELi128ELNS_18Fp8KVCacheDataTypeE1ELb0EEEvPT_PKS3_PKT0_S9_ifPKiSB_iPKfiiiSD_SD_iiiii,comdat
.Lfunc_end307:
	.size	_ZN4vllm25paged_attention_v1_kernelI14__hip_bfloat16hLi256ELi16ELi128ELNS_18Fp8KVCacheDataTypeE1ELb0EEEvPT_PKS3_PKT0_S9_ifPKiSB_iPKfiiiSD_SD_iiiii, .Lfunc_end307-_ZN4vllm25paged_attention_v1_kernelI14__hip_bfloat16hLi256ELi16ELi128ELNS_18Fp8KVCacheDataTypeE1ELb0EEEvPT_PKS3_PKT0_S9_ifPKiSB_iPKfiiiSD_SD_iiiii
                                        ; -- End function
	.set _ZN4vllm25paged_attention_v1_kernelI14__hip_bfloat16hLi256ELi16ELi128ELNS_18Fp8KVCacheDataTypeE1ELb0EEEvPT_PKS3_PKT0_S9_ifPKiSB_iPKfiiiSD_SD_iiiii.num_vgpr, 126
	.set _ZN4vllm25paged_attention_v1_kernelI14__hip_bfloat16hLi256ELi16ELi128ELNS_18Fp8KVCacheDataTypeE1ELb0EEEvPT_PKS3_PKT0_S9_ifPKiSB_iPKfiiiSD_SD_iiiii.num_agpr, 0
	.set _ZN4vllm25paged_attention_v1_kernelI14__hip_bfloat16hLi256ELi16ELi128ELNS_18Fp8KVCacheDataTypeE1ELb0EEEvPT_PKS3_PKT0_S9_ifPKiSB_iPKfiiiSD_SD_iiiii.numbered_sgpr, 38
	.set _ZN4vllm25paged_attention_v1_kernelI14__hip_bfloat16hLi256ELi16ELi128ELNS_18Fp8KVCacheDataTypeE1ELb0EEEvPT_PKS3_PKT0_S9_ifPKiSB_iPKfiiiSD_SD_iiiii.num_named_barrier, 0
	.set _ZN4vllm25paged_attention_v1_kernelI14__hip_bfloat16hLi256ELi16ELi128ELNS_18Fp8KVCacheDataTypeE1ELb0EEEvPT_PKS3_PKT0_S9_ifPKiSB_iPKfiiiSD_SD_iiiii.private_seg_size, 0
	.set _ZN4vllm25paged_attention_v1_kernelI14__hip_bfloat16hLi256ELi16ELi128ELNS_18Fp8KVCacheDataTypeE1ELb0EEEvPT_PKS3_PKT0_S9_ifPKiSB_iPKfiiiSD_SD_iiiii.uses_vcc, 1
	.set _ZN4vllm25paged_attention_v1_kernelI14__hip_bfloat16hLi256ELi16ELi128ELNS_18Fp8KVCacheDataTypeE1ELb0EEEvPT_PKS3_PKT0_S9_ifPKiSB_iPKfiiiSD_SD_iiiii.uses_flat_scratch, 0
	.set _ZN4vllm25paged_attention_v1_kernelI14__hip_bfloat16hLi256ELi16ELi128ELNS_18Fp8KVCacheDataTypeE1ELb0EEEvPT_PKS3_PKT0_S9_ifPKiSB_iPKfiiiSD_SD_iiiii.has_dyn_sized_stack, 0
	.set _ZN4vllm25paged_attention_v1_kernelI14__hip_bfloat16hLi256ELi16ELi128ELNS_18Fp8KVCacheDataTypeE1ELb0EEEvPT_PKS3_PKT0_S9_ifPKiSB_iPKfiiiSD_SD_iiiii.has_recursion, 0
	.set _ZN4vllm25paged_attention_v1_kernelI14__hip_bfloat16hLi256ELi16ELi128ELNS_18Fp8KVCacheDataTypeE1ELb0EEEvPT_PKS3_PKT0_S9_ifPKiSB_iPKfiiiSD_SD_iiiii.has_indirect_call, 0
	.section	.AMDGPU.csdata,"",@progbits
; Kernel info:
; codeLenInByte = 10740
; TotalNumSgprs: 44
; NumVgprs: 126
; NumAgprs: 0
; TotalNumVgprs: 126
; ScratchSize: 0
; MemoryBound: 0
; FloatMode: 240
; IeeeMode: 1
; LDSByteSize: 528 bytes/workgroup (compile time only)
; SGPRBlocks: 5
; VGPRBlocks: 15
; NumSGPRsForWavesPerEU: 44
; NumVGPRsForWavesPerEU: 126
; AccumOffset: 128
; Occupancy: 4
; WaveLimiterHint : 1
; COMPUTE_PGM_RSRC2:SCRATCH_EN: 0
; COMPUTE_PGM_RSRC2:USER_SGPR: 2
; COMPUTE_PGM_RSRC2:TRAP_HANDLER: 0
; COMPUTE_PGM_RSRC2:TGID_X_EN: 1
; COMPUTE_PGM_RSRC2:TGID_Y_EN: 1
; COMPUTE_PGM_RSRC2:TGID_Z_EN: 1
; COMPUTE_PGM_RSRC2:TIDIG_COMP_CNT: 0
; COMPUTE_PGM_RSRC3_GFX90A:ACCUM_OFFSET: 31
; COMPUTE_PGM_RSRC3_GFX90A:TG_SPLIT: 0
	.section	.text._ZN4vllm25paged_attention_v1_kernelI14__hip_bfloat16hLi32ELi32ELi128ELNS_18Fp8KVCacheDataTypeE1ELb1EEEvPT_PKS3_PKT0_S9_ifPKiSB_iPKfiiiSD_SD_iiiii,"axG",@progbits,_ZN4vllm25paged_attention_v1_kernelI14__hip_bfloat16hLi32ELi32ELi128ELNS_18Fp8KVCacheDataTypeE1ELb1EEEvPT_PKS3_PKT0_S9_ifPKiSB_iPKfiiiSD_SD_iiiii,comdat
	.protected	_ZN4vllm25paged_attention_v1_kernelI14__hip_bfloat16hLi32ELi32ELi128ELNS_18Fp8KVCacheDataTypeE1ELb1EEEvPT_PKS3_PKT0_S9_ifPKiSB_iPKfiiiSD_SD_iiiii ; -- Begin function _ZN4vllm25paged_attention_v1_kernelI14__hip_bfloat16hLi32ELi32ELi128ELNS_18Fp8KVCacheDataTypeE1ELb1EEEvPT_PKS3_PKT0_S9_ifPKiSB_iPKfiiiSD_SD_iiiii
	.globl	_ZN4vllm25paged_attention_v1_kernelI14__hip_bfloat16hLi32ELi32ELi128ELNS_18Fp8KVCacheDataTypeE1ELb1EEEvPT_PKS3_PKT0_S9_ifPKiSB_iPKfiiiSD_SD_iiiii
	.p2align	8
	.type	_ZN4vllm25paged_attention_v1_kernelI14__hip_bfloat16hLi32ELi32ELi128ELNS_18Fp8KVCacheDataTypeE1ELb1EEEvPT_PKS3_PKT0_S9_ifPKiSB_iPKfiiiSD_SD_iiiii,@function
_ZN4vllm25paged_attention_v1_kernelI14__hip_bfloat16hLi32ELi32ELi128ELNS_18Fp8KVCacheDataTypeE1ELb1EEEvPT_PKS3_PKT0_S9_ifPKiSB_iPKfiiiSD_SD_iiiii: ; @_ZN4vllm25paged_attention_v1_kernelI14__hip_bfloat16hLi32ELi32ELi128ELNS_18Fp8KVCacheDataTypeE1ELb1EEEvPT_PKS3_PKT0_S9_ifPKiSB_iPKfiiiSD_SD_iiiii
; %bb.0:
	s_load_dword s5, s[0:1], 0x80
	s_load_dwordx2 s[6:7], s[0:1], 0x30
	s_load_dwordx2 s[36:37], s[0:1], 0x20
	s_mov_b32 s10, s3
	s_ashr_i32 s11, s3, 31
	s_lshl_b64 s[8:9], s[10:11], 2
	s_waitcnt lgkmcnt(0)
	s_add_u32 s6, s6, s8
	s_addc_u32 s7, s7, s9
	s_abs_i32 s3, s36
	v_cvt_f32_u32_e32 v1, s3
	s_sub_i32 s11, 0, s3
	s_abs_i32 s9, s5
	s_xor_b32 s8, s5, s36
	v_rcp_iflag_f32_e32 v1, v1
	s_ashr_i32 s8, s8, 31
	s_mov_b32 s44, 0
	v_mul_f32_e32 v1, 0x4f7ffffe, v1
	v_cvt_u32_f32_e32 v1, v1
	s_nop 0
	v_readfirstlane_b32 s12, v1
	s_mul_i32 s11, s11, s12
	s_mul_hi_u32 s11, s12, s11
	s_add_i32 s12, s12, s11
	s_mul_hi_u32 s11, s9, s12
	s_mul_i32 s12, s11, s3
	s_sub_i32 s9, s9, s12
	s_add_i32 s12, s11, 1
	s_sub_i32 s13, s9, s3
	s_cmp_ge_u32 s9, s3
	s_cselect_b32 s11, s12, s11
	s_cselect_b32 s9, s13, s9
	s_add_i32 s12, s11, 1
	s_cmp_ge_u32 s9, s3
	s_cselect_b32 s3, s12, s11
	s_xor_b32 s3, s3, s8
	s_sub_i32 s15, s3, s8
	s_abs_i32 s12, s15
	v_cvt_f32_u32_e32 v1, s12
	s_load_dwordx2 s[8:9], s[0:1], 0x40
	s_sub_i32 s3, 0, s12
	s_abs_i32 s13, s2
	v_rcp_iflag_f32_e32 v1, v1
	s_nop 0
	v_mul_f32_e32 v1, 0x4f7ffffe, v1
	v_cvt_u32_f32_e32 v1, v1
	s_nop 0
	v_readfirstlane_b32 s11, v1
	s_mul_i32 s3, s3, s11
	s_mul_hi_u32 s3, s11, s3
	s_add_i32 s11, s11, s3
	s_waitcnt lgkmcnt(0)
	s_cmp_eq_u64 s[8:9], 0
	s_mul_hi_u32 s14, s13, s11
	s_cbranch_scc1 .LBB308_2
; %bb.1:
	s_ashr_i32 s3, s2, 31
	s_lshl_b64 s[16:17], s[2:3], 2
	s_add_u32 s8, s8, s16
	s_addc_u32 s9, s9, s17
	s_load_dword s44, s[8:9], 0x0
.LBB308_2:
	s_load_dword s11, s[6:7], 0x0
	s_load_dwordx4 s[16:19], s[0:1], 0x48
	s_ashr_i32 s8, s2, 31
	s_ashr_i32 s9, s15, 31
	v_and_b32_e32 v2, 1, v0
	s_lshl_b32 s24, s2, 5
	v_cmp_gt_u32_e32 vcc, 8, v0
	v_lshlrev_b32_e32 v6, 3, v0
	s_and_saveexec_b64 s[6:7], vcc
	s_cbranch_execz .LBB308_4
; %bb.3:
	s_load_dwordx2 s[20:21], s[0:1], 0x8
	s_waitcnt lgkmcnt(0)
	s_mul_i32 s22, s16, s10
	s_ashr_i32 s23, s22, 31
	s_lshl_b64 s[22:23], s[22:23], 1
	v_lshlrev_b32_e32 v1, 2, v0
	s_add_u32 s3, s20, s22
	s_addc_u32 s15, s21, s23
	s_ashr_i32 s25, s24, 31
	s_lshl_b64 s[20:21], s[24:25], 1
	s_add_u32 s20, s3, s20
	s_addc_u32 s21, s15, s21
	global_load_dwordx2 v[4:5], v6, s[20:21]
	v_and_b32_e32 v1, 0xff8, v1
	v_lshl_add_u32 v1, v2, 5, v1
	s_waitcnt vmcnt(0)
	ds_write_b64 v1, v[4:5]
.LBB308_4:
	s_or_b64 exec, exec, s[6:7]
	s_mul_i32 s7, s14, s12
	s_sub_i32 s7, s13, s7
	s_xor_b32 s6, s8, s9
	s_add_i32 s8, s14, 1
	s_sub_i32 s9, s7, s12
	s_load_dwordx4 s[20:23], s[0:1], 0x68
	s_load_dword s3, s[0:1], 0x78
	s_cmp_ge_u32 s7, s12
	s_cselect_b32 s8, s8, s14
	s_cselect_b32 s7, s9, s7
	s_add_i32 s9, s8, 1
	s_cmp_ge_u32 s7, s12
	s_cselect_b32 s7, s9, s8
	s_waitcnt lgkmcnt(0)
	s_abs_i32 s25, s23
	v_cvt_f32_u32_e32 v1, s25
	s_xor_b32 s7, s7, s6
	s_sub_i32 s43, s7, s6
	s_sub_i32 s6, 0, s25
	v_rcp_iflag_f32_e32 v1, v1
	s_add_i32 s12, s11, -1
	s_abs_i32 s8, s12
	v_mul_f32_e32 v1, 0x4f7ffffe, v1
	v_cvt_u32_f32_e32 v1, v1
	s_barrier
	v_readfirstlane_b32 s33, v1
	s_mul_i32 s6, s6, s33
	s_mul_hi_u32 s6, s33, s6
	s_add_i32 s33, s33, s6
	s_cmp_lt_i32 s3, 0
	s_mul_hi_u32 s9, s8, s33
	s_cbranch_scc0 .LBB308_6
; %bb.5:
	s_mul_i32 s6, s20, s36
	s_add_i32 s6, s43, s6
	s_mul_i32 s6, s6, s3
	s_sub_i32 s36, 1, s6
	s_mov_b64 s[6:7], 0
	s_branch .LBB308_7
.LBB308_6:
	s_mov_b64 s[6:7], -1
                                        ; implicit-def: $sgpr36
.LBB308_7:
	s_load_dwordx2 s[28:29], s[0:1], 0x28
	s_ashr_i32 s19, s12, 31
	s_andn2_b64 vcc, exec, s[6:7]
	s_ashr_i32 s23, s23, 31
	s_cbranch_vccnz .LBB308_9
; %bb.8:
	s_mul_i32 s6, s5, s20
	s_add_i32 s2, s6, s2
	s_mul_i32 s2, s2, s3
	s_add_i32 s36, s2, 1
.LBB308_9:
	s_load_dword s2, s[0:1], 0x38
	s_load_dwordx2 s[26:27], s[0:1], 0x0
	s_load_dwordx2 s[34:35], s[0:1], 0x18
	s_load_dword s16, s[0:1], 0x88
	s_load_dwordx4 s[12:15], s[0:1], 0x58
	s_mul_i32 s3, s9, s25
	s_waitcnt lgkmcnt(0)
	s_mul_i32 s30, s2, s10
	s_sub_i32 s3, s8, s3
	s_ashr_i32 s31, s30, 31
	s_xor_b32 s2, s19, s23
	s_add_i32 s6, s9, 1
	s_sub_i32 s7, s3, s25
	s_cmp_ge_u32 s3, s25
	s_cselect_b32 s6, s6, s9
	s_cselect_b32 s3, s7, s3
	s_add_i32 s7, s6, 1
	s_cmp_ge_u32 s3, s25
	s_cselect_b32 s3, s7, s6
	s_xor_b32 s3, s3, s2
	s_sub_i32 s42, s3, s2
	s_add_i32 s2, s11, 31
	s_ashr_i32 s3, s2, 31
	s_lshr_b32 s3, s3, 27
	s_add_i32 s2, s2, s3
	s_ashr_i32 s20, s2, 5
	v_lshrrev_b32_e32 v1, 6, v0
	v_cmp_gt_i32_e64 s[6:7], s20, v1
	v_mov_b32_e32 v11, 0xff7fffff
	s_mul_i32 s43, s43, s18
	v_lshrrev_b32_e32 v7, 4, v0
	v_lshlrev_b32_e32 v18, 5, v1
	v_mbcnt_lo_u32_b32 v8, -1, 0
	s_and_saveexec_b64 s[18:19], s[6:7]
	s_cbranch_execz .LBB308_21
; %bb.10:
	s_load_dwordx2 s[0:1], s[0:1], 0x10
	s_sub_i32 s45, s42, s21
	s_ashr_i32 s2, s43, 31
	v_bfe_u32 v9, v0, 1, 5
	v_mov_b32_e32 v5, 0
	s_waitcnt lgkmcnt(0)
	s_add_u32 s0, s0, s43
	s_addc_u32 s1, s1, s2
	s_abs_i32 s46, s22
	v_cvt_f32_u32_e32 v3, s46
	v_lshlrev_b32_e32 v4, 4, v9
	v_lshl_add_u64 v[14:15], s[0:1], 0, v[4:5]
	s_sub_i32 s0, 0, s46
	v_rcp_iflag_f32_e32 v3, v3
	v_cmp_eq_u32_e32 vcc, 0, v2
	v_lshlrev_b32_e32 v10, 5, v2
	v_lshlrev_b32_e32 v4, 2, v2
	v_mul_f32_e32 v3, 0x4f7ffffe, v3
	v_cvt_u32_f32_e32 v3, v3
	v_subrev_u32_e32 v11, s11, v9
	v_mbcnt_hi_u32_b32 v17, -1, v8
	s_mov_b32 s47, s17
	v_mul_lo_u32 v2, s0, v3
	v_mul_hi_u32 v2, v3, v2
	v_add_u32_e32 v12, v3, v2
	v_lshl_add_u64 v[2:3], v[14:15], 0, v[4:5]
	s_lshl_b64 s[0:1], s[30:31], 2
	v_add_u32_e32 v14, 1, v11
	v_lshlrev_b32_e32 v11, 2, v9
	s_add_u32 s0, s28, s0
	v_lshl_or_b32 v11, v1, 7, v11
	v_and_b32_e32 v4, 60, v7
	s_addc_u32 s1, s29, s1
	v_add_u32_e32 v15, 0x50, v11
	v_and_b32_e32 v11, 64, v17
	v_cmp_neq_f32_e64 s[2:3], s44, 0
	v_lshl_add_u64 v[4:5], s[0:1], 0, v[4:5]
	v_lshlrev_b32_e32 v13, 5, v1
	v_mov_b32_e32 v16, 0xff7fffff
	s_mov_b64 s[38:39], 0
	v_xor_b32_e32 v19, 1, v17
	v_add_u32_e32 v20, 64, v11
	v_mov_b32_e32 v11, 0xff7fffff
	v_mov_b32_e32 v21, v1
	s_branch .LBB308_13
.LBB308_11:                             ;   in Loop: Header=BB308_13 Depth=1
	s_or_b64 exec, exec, s[40:41]
.LBB308_12:                             ;   in Loop: Header=BB308_13 Depth=1
	s_or_b64 exec, exec, s[8:9]
	v_add_u32_e32 v21, 2, v21
	v_cmp_le_i32_e64 s[0:1], s20, v21
	v_lshl_add_u64 v[4:5], v[4:5], 0, 8
	v_add_u32_e32 v13, 64, v13
	s_or_b64 s[38:39], s[0:1], s[38:39]
	v_add_u32_e32 v15, 0x100, v15
	s_andn2_b64 exec, exec, s[38:39]
	s_cbranch_execz .LBB308_20
.LBB308_13:                             ; =>This Inner Loop Header: Depth=1
	v_mul_hi_u32 v22, v13, s33
	s_waitcnt lgkmcnt(0)
	v_mul_lo_u32 v23, v22, s25
	v_sub_u32_e32 v23, v13, v23
	v_add_u32_e32 v24, 1, v22
	v_cmp_le_u32_e64 s[0:1], s25, v23
	s_nop 1
	v_cndmask_b32_e64 v22, v22, v24, s[0:1]
	v_subrev_u32_e32 v24, s25, v23
	v_cndmask_b32_e64 v23, v23, v24, s[0:1]
	v_add_u32_e32 v24, 1, v22
	v_cmp_le_u32_e64 s[0:1], s25, v23
	s_nop 1
	v_cndmask_b32_e64 v22, v22, v24, s[0:1]
	v_xor_b32_e32 v22, s23, v22
	v_subrev_u32_e32 v22, s23, v22
	v_add_u32_e32 v23, s36, v22
	v_sub_u32_e32 v25, 0, v23
	v_ashrrev_i32_e32 v24, 31, v23
	v_max_i32_e32 v23, v23, v25
	v_mul_hi_u32 v25, v23, v12
	v_mul_lo_u32 v25, v25, s46
	v_sub_u32_e32 v23, v23, v25
	v_subrev_u32_e32 v25, s46, v23
	v_cmp_le_u32_e64 s[0:1], s46, v23
	v_cmp_ge_i32_e64 s[8:9], s45, v22
	s_nop 0
	v_cndmask_b32_e64 v23, v23, v25, s[0:1]
	v_subrev_u32_e32 v25, s46, v23
	v_cmp_le_u32_e64 s[0:1], s46, v23
	s_nop 1
	v_cndmask_b32_e64 v23, v23, v25, s[0:1]
	v_xor_b32_e32 v23, v23, v24
	v_sub_u32_e32 v23, v23, v24
	v_cmp_ne_u32_e64 s[0:1], 0, v23
	s_and_b64 s[0:1], s[0:1], s[8:9]
	s_and_saveexec_b64 s[8:9], s[0:1]
	s_xor_b64 s[0:1], exec, s[8:9]
	s_cbranch_execz .LBB308_17
; %bb.14:                               ;   in Loop: Header=BB308_13 Depth=1
	s_and_saveexec_b64 s[8:9], vcc
; %bb.15:                               ;   in Loop: Header=BB308_13 Depth=1
	ds_write_b32 v15, v16
; %bb.16:                               ;   in Loop: Header=BB308_13 Depth=1
	s_or_b64 exec, exec, s[8:9]
.LBB308_17:                             ;   in Loop: Header=BB308_13 Depth=1
	s_andn2_saveexec_b64 s[8:9], s[0:1]
	s_cbranch_execz .LBB308_12
; %bb.18:                               ;   in Loop: Header=BB308_13 Depth=1
	global_load_dword v22, v[4:5], off
	s_waitcnt vmcnt(0)
	v_mad_i64_i32 v[22:23], s[0:1], v22, s47, v[2:3]
	global_load_dword v30, v[22:23], off
	global_load_dword v31, v[22:23], off offset:8
	global_load_dword v32, v[22:23], off offset:512
	;; [unrolled: 1-line block ×3, first 2 shown]
	v_cmp_lt_i32_e64 s[0:1], v19, v20
	ds_read_b128 v[22:25], v10
	ds_read_b128 v[26:29], v10 offset:16
	v_cndmask_b32_e64 v34, v17, v19, s[0:1]
	s_load_dword s0, s[12:13], 0x0
	v_lshlrev_b32_e32 v34, 2, v34
	s_waitcnt lgkmcnt(0)
	v_lshlrev_b32_e32 v37, 16, v24
	v_and_b32_e32 v24, 0xffff0000, v24
	v_lshlrev_b32_e32 v35, 16, v22
	v_lshlrev_b32_e32 v38, 16, v25
	v_and_b32_e32 v22, 0xffff0000, v22
	v_lshlrev_b32_e32 v36, 16, v23
	v_lshlrev_b32_e32 v39, 16, v26
	v_and_b32_e32 v25, 0xffff0000, v25
	v_and_b32_e32 v26, 0xffff0000, v26
	v_lshlrev_b32_e32 v40, 16, v27
	v_lshlrev_b32_e32 v41, 16, v28
	v_and_b32_e32 v23, 0xffff0000, v23
	v_and_b32_e32 v28, 0xffff0000, v28
	v_lshlrev_b32_e32 v42, 16, v29
	v_and_b32_e32 v27, 0xffff0000, v27
	v_and_b32_e32 v29, 0xffff0000, v29
	s_waitcnt vmcnt(3)
	v_and_b32_e32 v43, 0xff, v30
	s_waitcnt vmcnt(2)
	v_and_b32_e32 v46, 0xff, v31
	v_bfe_u32 v47, v31, 8, 8
	v_bfe_u32 v44, v30, 8, 8
	;; [unrolled: 1-line block ×3, first 2 shown]
	v_cvt_f32_fp8_e32 v46, v46
	v_cvt_f32_fp8_e32 v47, v47
	v_bfe_u32 v45, v30, 16, 8
	v_lshrrev_b32_e32 v31, 24, v31
	s_waitcnt vmcnt(1)
	v_and_b32_e32 v49, 0xff, v32
	v_bfe_u32 v50, v32, 8, 8
	v_cvt_f32_fp8_e32 v43, v43
	v_cvt_f32_fp8_e32 v44, v44
	;; [unrolled: 1-line block ×3, first 2 shown]
	v_lshrrev_b32_e32 v30, 24, v30
	v_bfe_u32 v51, v32, 16, 8
	s_waitcnt vmcnt(0)
	v_and_b32_e32 v52, 0xff, v33
	v_bfe_u32 v53, v33, 8, 8
	v_cvt_f32_fp8_e32 v45, v45
	v_cvt_f32_fp8_e32 v31, v31
	;; [unrolled: 1-line block ×4, first 2 shown]
	v_lshrrev_b32_e32 v32, 24, v32
	v_bfe_u32 v54, v33, 16, 8
	v_cvt_f32_fp8_e32 v30, v30
	v_cvt_f32_fp8_e32 v51, v51
	;; [unrolled: 1-line block ×4, first 2 shown]
	v_lshrrev_b32_e32 v33, 24, v33
	v_cvt_f32_fp8_e32 v32, v32
	v_cvt_f32_fp8_e32 v54, v54
	v_mul_f32_e32 v46, s0, v46
	v_mul_f32_e32 v47, s0, v47
	v_cvt_f32_fp8_e32 v33, v33
	v_mul_f32_e32 v43, s0, v43
	v_mul_f32_e32 v44, s0, v44
	;; [unrolled: 1-line block ×3, first 2 shown]
	v_cvt_pk_bf16_f32 v46, v46, s0
	v_cvt_pk_bf16_f32 v47, v47, s0
	v_mul_f32_e32 v45, s0, v45
	v_mul_f32_e32 v31, s0, v31
	;; [unrolled: 1-line block ×4, first 2 shown]
	v_cvt_pk_bf16_f32 v43, v43, s0
	v_cvt_pk_bf16_f32 v44, v44, s0
	;; [unrolled: 1-line block ×3, first 2 shown]
	v_lshlrev_b32_e32 v46, 16, v46
	v_lshlrev_b32_e32 v47, 16, v47
	v_mul_f32_e32 v30, s0, v30
	v_mul_f32_e32 v51, s0, v51
	;; [unrolled: 1-line block ×4, first 2 shown]
	v_cvt_pk_bf16_f32 v45, v45, s0
	v_cvt_pk_bf16_f32 v31, v31, s0
	v_cvt_pk_bf16_f32 v49, v49, s0
	v_cvt_pk_bf16_f32 v50, v50, s0
	v_lshlrev_b32_e32 v43, 16, v43
	v_lshlrev_b32_e32 v44, 16, v44
	;; [unrolled: 1-line block ×3, first 2 shown]
	v_mul_f32_e32 v37, v37, v46
	v_mul_f32_e32 v24, v24, v47
	;; [unrolled: 1-line block ×4, first 2 shown]
	v_cvt_pk_bf16_f32 v30, v30, s0
	v_cvt_pk_bf16_f32 v51, v51, s0
	;; [unrolled: 1-line block ×4, first 2 shown]
	v_lshlrev_b32_e32 v45, 16, v45
	v_lshlrev_b32_e32 v31, 16, v31
	;; [unrolled: 1-line block ×4, first 2 shown]
	v_mul_f32_e32 v38, v38, v48
	v_fmac_f32_e32 v37, v35, v43
	v_fmac_f32_e32 v24, v22, v44
	v_mul_f32_e32 v33, s0, v33
	v_cvt_pk_bf16_f32 v32, v32, s0
	v_cvt_pk_bf16_f32 v54, v54, s0
	v_lshlrev_b32_e32 v30, 16, v30
	v_lshlrev_b32_e32 v51, 16, v51
	;; [unrolled: 1-line block ×4, first 2 shown]
	v_mul_f32_e32 v25, v25, v31
	v_fmac_f32_e32 v38, v36, v45
	v_fmac_f32_e32 v37, v39, v49
	;; [unrolled: 1-line block ×3, first 2 shown]
	v_cvt_pk_bf16_f32 v33, v33, s0
	v_lshlrev_b32_e32 v32, 16, v32
	v_lshlrev_b32_e32 v54, 16, v54
	v_fmac_f32_e32 v25, v23, v30
	v_fmac_f32_e32 v38, v40, v51
	;; [unrolled: 1-line block ×4, first 2 shown]
	v_lshlrev_b32_e32 v33, 16, v33
	v_fmac_f32_e32 v25, v27, v32
	v_fmac_f32_e32 v38, v42, v54
	v_add_f32_e32 v22, v37, v24
	v_fmac_f32_e32 v25, v29, v33
	v_add_f32_e32 v22, v22, v38
	v_add_f32_e32 v22, v25, v22
	ds_bpermute_b32 v23, v34, v22
	s_and_saveexec_b64 s[40:41], vcc
	s_cbranch_execz .LBB308_11
; %bb.19:                               ;   in Loop: Header=BB308_13 Depth=1
	v_add_u32_e32 v24, v14, v13
	v_cvt_f32_i32_e32 v24, v24
	s_waitcnt lgkmcnt(0)
	v_add_f32_e32 v22, v22, v23
	v_add_u32_e32 v25, v9, v13
	v_cmp_gt_i32_e64 s[0:1], s11, v25
	v_mul_f32_e32 v23, s44, v24
	v_cndmask_b32_e64 v23, 0, v23, s[2:3]
	v_fmac_f32_e32 v23, s37, v22
	v_cndmask_b32_e64 v22, 0, v23, s[0:1]
	ds_write_b32 v15, v22
	v_max_f32_e32 v22, v11, v11
	v_max_f32_e32 v22, v22, v23
	v_cndmask_b32_e64 v11, v11, v22, s[0:1]
	s_branch .LBB308_11
.LBB308_20:
	s_or_b64 exec, exec, s[38:39]
.LBB308_21:
	s_or_b64 exec, exec, s[18:19]
	v_mbcnt_hi_u32_b32 v2, -1, v8
	v_and_b32_e32 v12, 64, v2
	v_add_u32_e32 v13, 64, v12
	v_xor_b32_e32 v3, 32, v2
	v_cmp_lt_i32_e32 vcc, v3, v13
	v_xor_b32_e32 v8, 16, v2
	v_max_f32_e32 v5, v11, v11
	v_cndmask_b32_e32 v3, v2, v3, vcc
	v_lshlrev_b32_e32 v3, 2, v3
	ds_bpermute_b32 v4, v3, v11
	v_cmp_lt_i32_e32 vcc, v8, v13
	v_xor_b32_e32 v9, 8, v2
	v_xor_b32_e32 v10, 4, v2
	;; [unrolled: 1-line block ×3, first 2 shown]
	s_waitcnt lgkmcnt(0)
	v_max_f32_e32 v4, v4, v4
	v_max_f32_e32 v5, v5, v4
	v_cndmask_b32_e32 v4, v2, v8, vcc
	v_lshlrev_b32_e32 v4, 2, v4
	ds_bpermute_b32 v8, v4, v5
	v_cmp_lt_i32_e32 vcc, v9, v13
	v_and_b32_e32 v19, 63, v0
	s_waitcnt lgkmcnt(0)
	v_max_f32_e32 v8, v8, v8
	v_max_f32_e32 v8, v5, v8
	v_cndmask_b32_e32 v5, v2, v9, vcc
	v_lshlrev_b32_e32 v5, 2, v5
	ds_bpermute_b32 v9, v5, v8
	v_cmp_lt_i32_e32 vcc, v10, v13
	s_waitcnt lgkmcnt(0)
	v_max_f32_e32 v9, v9, v9
	v_max_f32_e32 v9, v8, v9
	v_cndmask_b32_e32 v8, v2, v10, vcc
	v_lshlrev_b32_e32 v8, 2, v8
	ds_bpermute_b32 v10, v8, v9
	v_cmp_lt_i32_e32 vcc, v11, v13
	s_waitcnt lgkmcnt(0)
	v_max_f32_e32 v10, v10, v10
	v_max_f32_e32 v10, v9, v10
	v_cndmask_b32_e32 v9, v2, v11, vcc
	v_lshlrev_b32_e32 v20, 2, v9
	ds_bpermute_b32 v11, v20, v10
	v_cmp_eq_u32_e32 vcc, 0, v19
	v_lshlrev_b32_e32 v9, 2, v1
	s_and_saveexec_b64 s[0:1], vcc
	s_cbranch_execz .LBB308_23
; %bb.22:
	s_waitcnt lgkmcnt(0)
	v_max_f32_e32 v11, v11, v11
	v_max_f32_e32 v10, v10, v10
	;; [unrolled: 1-line block ×3, first 2 shown]
	ds_write_b32 v9, v10 offset:64
.LBB308_23:
	s_or_b64 exec, exec, s[0:1]
	v_cmp_gt_u32_e64 s[0:1], 2, v19
	s_waitcnt lgkmcnt(0)
	v_mov_b32_e32 v11, 0xff7fffff
	v_lshlrev_b32_e32 v10, 2, v19
	s_barrier
	s_and_saveexec_b64 s[2:3], s[0:1]
; %bb.24:
	ds_read_b32 v11, v10 offset:64
; %bb.25:
	s_or_b64 exec, exec, s[2:3]
	v_xor_b32_e32 v14, 1, v2
	v_cmp_lt_i32_e64 s[2:3], v14, v13
	v_lshlrev_b32_e32 v12, 2, v12
	s_nop 0
	v_cndmask_b32_e64 v13, v2, v14, s[2:3]
	v_lshlrev_b32_e32 v21, 2, v13
	s_waitcnt lgkmcnt(0)
	ds_bpermute_b32 v13, v21, v11
	v_max_f32_e32 v11, v11, v11
	s_lshl_b32 s2, s20, 5
	s_min_i32 s37, s2, s11
	v_cmp_gt_i32_e64 s[2:3], s37, v0
	s_waitcnt lgkmcnt(0)
	v_max_f32_e32 v13, v13, v13
	v_max_f32_e32 v11, v11, v13
	ds_bpermute_b32 v12, v12, v11
	v_mov_b32_e32 v11, 0
	s_and_saveexec_b64 s[12:13], s[2:3]
	s_cbranch_execz .LBB308_29
; %bb.26:
	v_mov_b32_e32 v11, 0x50
	v_lshl_add_u32 v13, v0, 2, v11
	v_mov_b32_e32 v11, 0
	s_mov_b64 s[18:19], 0
	v_mov_b32_e32 v14, v0
.LBB308_27:                             ; =>This Inner Loop Header: Depth=1
	ds_read_b32 v15, v13
	v_add_u32_e32 v14, 0x80, v14
	v_cmp_le_i32_e64 s[8:9], s37, v14
	s_or_b64 s[18:19], s[8:9], s[18:19]
	s_waitcnt lgkmcnt(0)
	v_sub_f32_e32 v15, v15, v12
	v_mul_f32_e32 v15, 0x3fb8aa3b, v15
	v_exp_f32_e32 v15, v15
	ds_write_b32 v13, v15
	v_add_f32_e32 v11, v11, v15
	v_add_u32_e32 v13, 0x200, v13
	s_andn2_b64 exec, exec, s[18:19]
	s_cbranch_execnz .LBB308_27
; %bb.28:
	s_or_b64 exec, exec, s[18:19]
.LBB308_29:
	s_or_b64 exec, exec, s[12:13]
	ds_bpermute_b32 v3, v3, v11
	s_waitcnt lgkmcnt(0)
	v_add_f32_e32 v3, v11, v3
	ds_bpermute_b32 v4, v4, v3
	s_waitcnt lgkmcnt(0)
	v_add_f32_e32 v3, v3, v4
	;; [unrolled: 3-line block ×6, first 2 shown]
	s_and_saveexec_b64 s[8:9], vcc
; %bb.30:
	ds_write_b32 v9, v3 offset:72
; %bb.31:
	s_or_b64 exec, exec, s[8:9]
	s_waitcnt lgkmcnt(0)
	s_barrier
	s_and_saveexec_b64 s[8:9], s[0:1]
; %bb.32:
	ds_read_b32 v3, v10 offset:72
; %bb.33:
	s_or_b64 exec, exec, s[8:9]
	s_waitcnt lgkmcnt(0)
	ds_bpermute_b32 v4, v21, v3
	v_lshlrev_b32_e32 v2, 2, v2
	v_and_b32_e32 v2, 0x100, v2
	s_waitcnt lgkmcnt(0)
	v_add_f32_e32 v3, v3, v4
	ds_bpermute_b32 v2, v2, v3
	s_and_saveexec_b64 s[0:1], s[2:3]
	s_cbranch_execz .LBB308_46
; %bb.34:
	s_waitcnt lgkmcnt(0)
	v_add_f32_e32 v2, 0x358637bd, v2
	v_div_scale_f32 v3, s[2:3], v2, v2, 1.0
	v_rcp_f32_e32 v4, v3
	v_div_scale_f32 v5, vcc, 1.0, v2, 1.0
	s_movk_i32 s2, 0x7f
	v_fma_f32 v8, -v3, v4, 1.0
	v_fmac_f32_e32 v4, v8, v4
	v_mul_f32_e32 v8, v5, v4
	v_fma_f32 v9, -v3, v8, v5
	v_fmac_f32_e32 v8, v9, v4
	v_fma_f32 v3, -v3, v8, v5
	v_div_fmas_f32 v3, v3, v4, v8
	v_xad_u32 v4, v0, -1, s37
	v_div_fixup_f32 v2, v3, v2, 1.0
	v_cmp_lt_u32_e32 vcc, s2, v4
	s_mov_b64 s[8:9], -1
	v_mov_b32_e32 v3, v0
	s_and_saveexec_b64 s[2:3], vcc
	s_cbranch_execz .LBB308_43
; %bb.35:
	v_lshrrev_b32_e32 v4, 7, v4
	v_add_u32_e32 v8, -1, v4
	v_lshrrev_b32_e32 v5, 1, v8
	v_mov_b32_e32 v3, v2
	v_add_u32_e32 v5, 1, v5
	v_cmp_lt_u32_e32 vcc, 13, v8
	v_mov_b32_e32 v10, 0
	s_and_saveexec_b64 s[8:9], vcc
	s_cbranch_execz .LBB308_39
; %bb.36:
	v_mov_b32_e32 v9, 0x50
	v_and_b32_e32 v8, -8, v5
	v_lshl_add_u32 v9, v0, 2, v9
	s_mov_b32 s18, 0
	s_mov_b64 s[12:13], 0
.LBB308_37:                             ; =>This Inner Loop Header: Depth=1
	ds_read2st64_b32 v[10:11], v9 offset1:2
	ds_read2st64_b32 v[12:13], v9 offset0:4 offset1:6
	ds_read2st64_b32 v[14:15], v9 offset0:8 offset1:10
	;; [unrolled: 1-line block ×3, first 2 shown]
	v_add_u32_e32 v8, -8, v8
	s_waitcnt lgkmcnt(3)
	v_pk_mul_f32 v[10:11], v[2:3], v[10:11]
	s_waitcnt lgkmcnt(2)
	v_pk_mul_f32 v[12:13], v[2:3], v[12:13]
	ds_write2st64_b32 v9, v10, v11 offset1:2
	ds_write2st64_b32 v9, v12, v13 offset0:4 offset1:6
	ds_read2st64_b32 v[12:13], v9 offset0:16 offset1:18
	s_waitcnt lgkmcnt(4)
	v_pk_mul_f32 v[10:11], v[2:3], v[14:15]
	ds_write2st64_b32 v9, v10, v11 offset0:8 offset1:10
	s_waitcnt lgkmcnt(4)
	v_pk_mul_f32 v[10:11], v[2:3], v[16:17]
	ds_write2st64_b32 v9, v10, v11 offset0:12 offset1:14
	ds_read2st64_b32 v[10:11], v9 offset0:20 offset1:22
	s_waitcnt lgkmcnt(3)
	v_pk_mul_f32 v[12:13], v[2:3], v[12:13]
	ds_read2st64_b32 v[14:15], v9 offset0:24 offset1:26
	ds_write2st64_b32 v9, v12, v13 offset0:16 offset1:18
	ds_read2st64_b32 v[12:13], v9 offset0:28 offset1:30
	s_waitcnt lgkmcnt(3)
	v_pk_mul_f32 v[10:11], v[2:3], v[10:11]
	ds_write2st64_b32 v9, v10, v11 offset0:20 offset1:22
	s_waitcnt lgkmcnt(3)
	v_pk_mul_f32 v[10:11], v[2:3], v[14:15]
	ds_write2st64_b32 v9, v10, v11 offset0:24 offset1:26
	s_waitcnt lgkmcnt(2)
	v_pk_mul_f32 v[10:11], v[2:3], v[12:13]
	s_add_i32 s18, s18, 16
	v_cmp_eq_u32_e32 vcc, 0, v8
	ds_write2st64_b32 v9, v10, v11 offset0:28 offset1:30
	v_add_u32_e32 v9, 0x2000, v9
	s_or_b64 s[12:13], vcc, s[12:13]
	v_mov_b32_e32 v10, s18
	s_andn2_b64 exec, exec, s[12:13]
	s_cbranch_execnz .LBB308_37
; %bb.38:
	s_or_b64 exec, exec, s[12:13]
.LBB308_39:
	s_or_b64 exec, exec, s[8:9]
	v_and_b32_e32 v5, 7, v5
	v_cmp_ne_u32_e32 vcc, 0, v5
	s_and_saveexec_b64 s[8:9], vcc
	s_cbranch_execz .LBB308_42
; %bb.40:
	v_lshlrev_b32_e32 v8, 9, v10
	v_lshlrev_b32_e32 v9, 2, v0
	s_movk_i32 s12, 0x50
	v_add3_u32 v8, v8, v9, s12
	s_mov_b64 s[12:13], 0
.LBB308_41:                             ; =>This Inner Loop Header: Depth=1
	ds_read2st64_b32 v[10:11], v8 offset1:2
	v_add_u32_e32 v5, -1, v5
	v_cmp_eq_u32_e32 vcc, 0, v5
	s_or_b64 s[12:13], vcc, s[12:13]
	s_waitcnt lgkmcnt(0)
	v_pk_mul_f32 v[10:11], v[2:3], v[10:11]
	ds_write2st64_b32 v8, v10, v11 offset1:2
	v_add_u32_e32 v8, 0x400, v8
	s_andn2_b64 exec, exec, s[12:13]
	s_cbranch_execnz .LBB308_41
.LBB308_42:
	s_or_b64 exec, exec, s[8:9]
	v_add_u32_e32 v4, 1, v4
	v_and_b32_e32 v5, 0x3fffffe, v4
	v_cmp_ne_u32_e32 vcc, v4, v5
	v_lshl_add_u32 v3, v5, 7, v0
	s_orn2_b64 s[8:9], vcc, exec
.LBB308_43:
	s_or_b64 exec, exec, s[2:3]
	s_and_b64 exec, exec, s[8:9]
	s_cbranch_execz .LBB308_46
; %bb.44:
	v_mov_b32_e32 v4, 0x50
	v_lshl_add_u32 v4, v3, 2, v4
	s_mov_b64 s[2:3], 0
.LBB308_45:                             ; =>This Inner Loop Header: Depth=1
	ds_read_b32 v5, v4
	v_add_u32_e32 v3, 0x80, v3
	v_cmp_le_i32_e32 vcc, s37, v3
	s_or_b64 s[2:3], vcc, s[2:3]
	s_waitcnt lgkmcnt(0)
	v_mul_f32_e32 v5, v2, v5
	ds_write_b32 v4, v5
	v_add_u32_e32 v4, 0x200, v4
	s_andn2_b64 exec, exec, s[2:3]
	s_cbranch_execnz .LBB308_45
.LBB308_46:
	s_or_b64 exec, exec, s[0:1]
	v_mov_b32_e32 v11, 0
	v_and_b32_e32 v22, 3, v0
	v_mov_b32_e32 v10, v11
	s_waitcnt lgkmcnt(0)
	s_barrier
	s_and_saveexec_b64 s[2:3], s[6:7]
	s_cbranch_execz .LBB308_56
; %bb.47:
	s_sub_i32 s18, s42, s21
	s_ashr_i32 s1, s43, 31
	s_add_u32 s0, s34, s43
	s_addc_u32 s1, s35, s1
	s_abs_i32 s19, s22
	v_cvt_f32_u32_e32 v2, s19
	v_and_b32_e32 v10, 0x1f8, v6
	v_mov_b32_e32 v11, 0
	v_lshl_add_u64 v[12:13], s[0:1], 0, v[10:11]
	v_rcp_iflag_f32_e32 v2, v2
	s_sub_i32 s0, 0, s19
	s_add_i32 s21, s20, -1
	v_and_b32_e32 v10, 60, v7
	v_mul_f32_e32 v2, 0x4f7ffffe, v2
	v_cvt_u32_f32_e32 v2, v2
	v_and_b32_e32 v23, 24, v6
	s_mov_b64 s[6:7], 0
	v_mul_lo_u32 v3, s0, v2
	v_mul_hi_u32 v3, v2, v3
	s_lshl_b64 s[0:1], s[30:31], 2
	v_add_u32_e32 v24, v2, v3
	s_add_u32 s0, s28, s0
	v_lshlrev_b32_e32 v2, 5, v22
	s_addc_u32 s1, s29, s1
	v_lshl_or_b32 v2, v1, 7, v2
	v_lshl_add_u64 v[14:15], s[0:1], 0, v[10:11]
	v_add_u32_e32 v25, 0x50, v2
	v_mov_b32_e32 v10, v11
	s_branch .LBB308_50
.LBB308_48:                             ;   in Loop: Header=BB308_50 Depth=1
	s_or_b64 exec, exec, s[0:1]
	v_cvt_pk_bf16_f32 v6, v6, s0
	v_cvt_pk_bf16_f32 v8, v8, s0
	;; [unrolled: 1-line block ×3, first 2 shown]
	v_lshlrev_b32_e32 v26, 16, v34
	v_lshlrev_b32_e32 v34, 16, v6
	v_lshlrev_b32_e32 v6, 16, v33
	v_lshlrev_b32_e32 v33, 16, v8
	v_lshlrev_b32_e32 v8, 16, v31
	v_lshlrev_b32_e32 v31, 16, v2
	v_lshlrev_b32_e32 v2, 16, v29
	v_cvt_pk_bf16_f32 v5, v5, s0
	v_mul_f32_e32 v2, v31, v2
	v_cvt_pk_bf16_f32 v7, v7, s0
	v_cvt_pk_bf16_f32 v29, v2, s0
	v_lshlrev_b32_e32 v5, 16, v5
	v_lshlrev_b32_e32 v2, 16, v28
	v_cvt_pk_bf16_f32 v9, v9, s0
	v_cvt_pk_bf16_f32 v4, v4, s0
	v_lshlrev_b32_e32 v7, 16, v7
	v_mul_f32_e32 v2, v5, v2
	v_cvt_pk_bf16_f32 v3, v3, s0
	v_mul_f32_e32 v26, v7, v26
	v_mul_f32_e32 v6, v34, v6
	v_lshlrev_b32_e32 v9, 16, v9
	v_lshlrev_b32_e32 v32, 16, v32
	v_cvt_pk_bf16_f32 v28, v2, s0
	v_lshlrev_b32_e32 v35, 16, v4
	v_lshlrev_b32_e32 v2, 16, v27
	v_cvt_pk_bf16_f32 v26, v26, s0
	v_cvt_pk_bf16_f32 v6, v6, s0
	v_mul_f32_e32 v32, v9, v32
	v_mul_f32_e32 v8, v33, v8
	v_lshlrev_b32_e32 v3, 16, v3
	v_lshlrev_b32_e32 v30, 16, v30
	v_mul_f32_e32 v2, v35, v2
	v_cvt_pk_bf16_f32 v32, v32, s0
	v_cvt_pk_bf16_f32 v8, v8, s0
	v_mul_f32_e32 v30, v3, v30
	v_cvt_pk_bf16_f32 v27, v2, s0
	v_lshlrev_b32_e32 v2, 16, v6
	v_lshlrev_b32_e32 v4, 16, v26
	v_cvt_pk_bf16_f32 v30, v30, s0
	v_add_f32_e32 v2, v4, v2
	v_lshlrev_b32_e32 v4, 16, v8
	v_lshlrev_b32_e32 v6, 16, v32
	v_add_f32_e32 v4, v6, v4
	v_lshlrev_b32_e32 v6, 16, v29
	v_lshlrev_b32_e32 v8, 16, v30
	v_add_f32_e32 v6, v8, v6
	v_lshlrev_b32_e32 v8, 16, v27
	v_lshlrev_b32_e32 v27, 16, v46
	v_mul_f32_e32 v7, v7, v27
	v_lshlrev_b32_e32 v27, 16, v45
	v_mul_f32_e32 v27, v33, v27
	v_lshlrev_b32_e32 v26, 16, v28
	v_cvt_pk_bf16_f32 v28, v27, s0
	v_lshlrev_b32_e32 v27, 16, v44
	v_mul_f32_e32 v9, v9, v27
	v_lshlrev_b32_e32 v27, 16, v43
	v_add_f32_e32 v8, v26, v8
	v_lshlrev_b32_e32 v26, 16, v47
	v_mul_f32_e32 v27, v31, v27
	v_mul_f32_e32 v26, v34, v26
	v_cvt_pk_bf16_f32 v29, v27, s0
	v_lshlrev_b32_e32 v27, 16, v42
	v_lshlrev_b32_e32 v17, 16, v17
	;; [unrolled: 1-line block ×3, first 2 shown]
	v_cvt_pk_bf16_f32 v26, v26, s0
	v_cvt_pk_bf16_f32 v7, v7, s0
	;; [unrolled: 1-line block ×3, first 2 shown]
	v_mul_f32_e32 v3, v3, v27
	v_mul_f32_e32 v17, v35, v17
	;; [unrolled: 1-line block ×3, first 2 shown]
	v_cvt_pk_bf16_f32 v3, v3, s0
	v_cvt_pk_bf16_f32 v30, v17, s0
	v_cvt_pk_bf16_f32 v5, v5, s0
	v_lshlrev_b32_e32 v17, 16, v7
	v_lshlrev_b32_e32 v27, 16, v26
	;; [unrolled: 1-line block ×4, first 2 shown]
	v_pk_add_f32 v[16:17], v[26:27], v[16:17]
	v_lshlrev_b32_e32 v27, 16, v3
	v_lshlrev_b32_e32 v29, 16, v29
	;; [unrolled: 1-line block ×4, first 2 shown]
	v_pk_add_f32 v[26:27], v[28:29], v[26:27]
	v_mov_b32_e32 v5, v16
	v_mov_b32_e32 v3, v17
	;; [unrolled: 1-line block ×3, first 2 shown]
	v_pk_add_f32 v[2:3], v[4:5], v[2:3]
	v_mov_b32_e32 v9, v26
	v_pk_add_f32 v[2:3], v[6:7], v[2:3]
	s_nop 0
	v_pk_add_f32 v[2:3], v[8:9], v[2:3]
	s_nop 0
	v_pk_add_f32 v[10:11], v[10:11], v[2:3]
.LBB308_49:                             ;   in Loop: Header=BB308_50 Depth=1
	s_or_b64 exec, exec, s[8:9]
	v_add_u32_e32 v1, 2, v1
	v_cmp_le_i32_e32 vcc, s20, v1
	v_lshl_add_u64 v[14:15], v[14:15], 0, 8
	v_add_u32_e32 v18, 64, v18
	s_or_b64 s[6:7], vcc, s[6:7]
	v_add_u32_e32 v25, 0x100, v25
	s_andn2_b64 exec, exec, s[6:7]
	s_cbranch_execz .LBB308_55
.LBB308_50:                             ; =>This Inner Loop Header: Depth=1
	v_mul_hi_u32 v2, v18, s33
	v_mul_lo_u32 v3, v2, s25
	v_sub_u32_e32 v3, v18, v3
	v_add_u32_e32 v4, 1, v2
	v_cmp_le_u32_e32 vcc, s25, v3
	s_nop 1
	v_cndmask_b32_e32 v2, v2, v4, vcc
	v_subrev_u32_e32 v4, s25, v3
	v_cndmask_b32_e32 v3, v3, v4, vcc
	v_add_u32_e32 v4, 1, v2
	v_cmp_le_u32_e32 vcc, s25, v3
	s_nop 1
	v_cndmask_b32_e32 v2, v2, v4, vcc
	v_xor_b32_e32 v2, s23, v2
	v_subrev_u32_e32 v2, s23, v2
	v_add_u32_e32 v3, s36, v2
	v_sub_u32_e32 v5, 0, v3
	v_ashrrev_i32_e32 v4, 31, v3
	v_max_i32_e32 v3, v3, v5
	v_mul_hi_u32 v5, v3, v24
	v_mul_lo_u32 v5, v5, s19
	v_sub_u32_e32 v3, v3, v5
	v_subrev_u32_e32 v5, s19, v3
	v_cmp_le_u32_e32 vcc, s19, v3
	v_cmp_lt_i32_e64 s[0:1], s18, v2
	s_nop 0
	v_cndmask_b32_e32 v3, v3, v5, vcc
	v_subrev_u32_e32 v5, s19, v3
	v_cmp_le_u32_e32 vcc, s19, v3
	s_nop 1
	v_cndmask_b32_e32 v3, v3, v5, vcc
	v_xor_b32_e32 v3, v3, v4
	v_sub_u32_e32 v3, v3, v4
	v_cmp_eq_u32_e32 vcc, 0, v3
	s_or_b64 s[0:1], vcc, s[0:1]
	s_and_saveexec_b64 s[8:9], s[0:1]
	s_cbranch_execz .LBB308_49
; %bb.51:                               ;   in Loop: Header=BB308_50 Depth=1
	global_load_dword v2, v[14:15], off
	v_add_u32_e32 v26, v23, v18
	v_cmp_eq_u32_e32 vcc, s21, v1
	v_add_u32_e32 v40, 1, v26
	v_add_u32_e32 v39, 2, v26
	v_add_u32_e32 v38, 3, v26
	v_add_u32_e32 v37, 4, v26
	v_add_u32_e32 v36, 5, v26
	v_add_u32_e32 v35, 6, v26
	s_waitcnt vmcnt(0)
	v_mad_i64_i32 v[16:17], s[0:1], v2, s17, v[12:13]
	global_load_dwordx2 v[28:29], v[16:17], off
	ds_read2_b64 v[6:9], v25 offset1:1
	ds_read2_b64 v[2:5], v25 offset0:2 offset1:3
	s_load_dword s22, s[14:15], 0x0
	s_waitcnt vmcnt(0)
	v_and_b32_e32 v27, 0xff, v28
	v_bfe_u32 v30, v28, 8, 8
	v_bfe_u32 v31, v28, 16, 8
	v_lshrrev_b32_e32 v28, 24, v28
	v_and_b32_e32 v32, 0xff, v29
	v_bfe_u32 v33, v29, 8, 8
	v_bfe_u32 v34, v29, 16, 8
	v_lshrrev_b32_e32 v29, 24, v29
	v_cvt_f32_fp8_e32 v27, v27
	v_cvt_f32_fp8_e32 v30, v30
	;; [unrolled: 1-line block ×8, first 2 shown]
	s_waitcnt lgkmcnt(0)
	v_mul_f32_e32 v27, s22, v27
	v_mul_f32_e32 v30, s22, v30
	;; [unrolled: 1-line block ×8, first 2 shown]
	v_cvt_pk_bf16_f32 v33, v27, s0
	v_cvt_pk_bf16_f32 v34, v30, s0
	;; [unrolled: 1-line block ×8, first 2 shown]
	v_add_u32_e32 v41, 7, v26
	s_and_saveexec_b64 s[12:13], vcc
	s_cbranch_execz .LBB308_53
; %bb.52:                               ;   in Loop: Header=BB308_50 Depth=1
	v_cmp_gt_i32_e64 s[0:1], s11, v26
	s_nop 1
	v_cndmask_b32_e64 v33, 0, v33, s[0:1]
	v_cmp_gt_i32_e64 s[0:1], s11, v40
	s_nop 1
	v_cndmask_b32_e64 v34, 0, v34, s[0:1]
	;; [unrolled: 3-line block ×8, first 2 shown]
.LBB308_53:                             ;   in Loop: Header=BB308_50 Depth=1
	s_or_b64 exec, exec, s[12:13]
	global_load_dwordx2 v[16:17], v[16:17], off offset:512
	s_waitcnt vmcnt(0)
	v_and_b32_e32 v42, 0xff, v16
	v_bfe_u32 v43, v16, 8, 8
	v_bfe_u32 v44, v16, 16, 8
	v_lshrrev_b32_e32 v16, 24, v16
	v_and_b32_e32 v45, 0xff, v17
	v_bfe_u32 v46, v17, 8, 8
	v_bfe_u32 v47, v17, 16, 8
	v_lshrrev_b32_e32 v17, 24, v17
	v_cvt_f32_fp8_e32 v42, v42
	v_cvt_f32_fp8_e32 v43, v43
	;; [unrolled: 1-line block ×8, first 2 shown]
	v_mul_f32_e32 v42, s22, v42
	v_mul_f32_e32 v43, s22, v43
	;; [unrolled: 1-line block ×8, first 2 shown]
	v_cvt_pk_bf16_f32 v47, v42, s0
	v_cvt_pk_bf16_f32 v46, v43, s0
	;; [unrolled: 1-line block ×8, first 2 shown]
	s_and_saveexec_b64 s[0:1], vcc
	s_cbranch_execz .LBB308_48
; %bb.54:                               ;   in Loop: Header=BB308_50 Depth=1
	v_cmp_gt_i32_e32 vcc, s11, v26
	s_nop 1
	v_cndmask_b32_e32 v47, 0, v47, vcc
	v_cmp_gt_i32_e32 vcc, s11, v40
	s_nop 1
	v_cndmask_b32_e32 v46, 0, v46, vcc
	;; [unrolled: 3-line block ×8, first 2 shown]
	s_branch .LBB308_48
.LBB308_55:
	s_or_b64 exec, exec, s[6:7]
.LBB308_56:
	s_or_b64 exec, exec, s[2:3]
	ds_bpermute_b32 v2, v20, v10
	ds_bpermute_b32 v3, v20, v11
	v_and_b32_e32 v1, 0x3c3, v0
	v_cmp_eq_u32_e32 vcc, 64, v1
	s_waitcnt lgkmcnt(0)
	s_barrier
	v_pk_add_f32 v[2:3], v[10:11], v[2:3]
	ds_bpermute_b32 v4, v21, v2
	ds_bpermute_b32 v5, v21, v3
	s_waitcnt lgkmcnt(0)
	v_pk_add_f32 v[2:3], v[2:3], v[4:5]
	s_and_saveexec_b64 s[0:1], vcc
; %bb.57:
	v_add_u32_e32 v4, 0x50, v19
	ds_write2_b32 v4, v2, v3 offset1:16
; %bb.58:
	s_or_b64 exec, exec, s[0:1]
	v_cmp_gt_u32_e32 vcc, 64, v0
	v_lshrrev_b32_e32 v0, 2, v0
	s_waitcnt lgkmcnt(0)
	s_barrier
	s_and_saveexec_b64 s[0:1], vcc
	s_cbranch_execz .LBB308_64
; %bb.59:
	v_mov_b32_e32 v4, 0x50
	v_cmp_eq_u32_e32 vcc, 0, v22
	v_lshl_add_u32 v4, v0, 2, v4
	s_and_saveexec_b64 s[2:3], vcc
	s_cbranch_execz .LBB308_61
; %bb.60:
	ds_read_b32 v5, v4
	s_waitcnt lgkmcnt(0)
	v_add_f32_e32 v2, v2, v5
.LBB308_61:
	s_or_b64 exec, exec, s[2:3]
	s_and_saveexec_b64 s[2:3], vcc
	s_cbranch_execz .LBB308_63
; %bb.62:
	ds_read_b32 v4, v4 offset:64
	s_waitcnt lgkmcnt(0)
	v_add_f32_e32 v3, v3, v4
.LBB308_63:
	s_or_b64 exec, exec, s[2:3]
.LBB308_64:
	s_or_b64 exec, exec, s[0:1]
	v_cmp_eq_u32_e32 vcc, 0, v1
	s_barrier
	s_and_saveexec_b64 s[0:1], vcc
	s_cbranch_execz .LBB308_66
; %bb.65:
	s_mul_i32 s0, s10, s16
	s_mul_i32 s0, s0, s5
	s_lshl_b32 s0, s0, 5
	s_ashr_i32 s1, s0, 31
	s_lshl_b64 s[0:1], s[0:1], 1
	s_add_u32 s2, s26, s0
	s_mul_i32 s0, s16, s24
	s_addc_u32 s3, s27, s1
	s_ashr_i32 s1, s0, 31
	s_lshl_b64 s[0:1], s[0:1], 1
	s_add_u32 s2, s2, s0
	s_addc_u32 s3, s3, s1
	s_lshl_b32 s0, s4, 5
	s_ashr_i32 s1, s0, 31
	s_lshl_b64 s[0:1], s[0:1], 1
	s_add_u32 s0, s2, s0
	s_addc_u32 s1, s3, s1
	v_cvt_pk_bf16_f32 v1, v2, s0
	v_lshlrev_b32_e32 v0, 1, v0
	global_store_short v0, v1, s[0:1]
	v_cvt_pk_bf16_f32 v1, v3, s0
	global_store_short v0, v1, s[0:1] offset:32
.LBB308_66:
	s_endpgm
	.section	.rodata,"a",@progbits
	.p2align	6, 0x0
	.amdhsa_kernel _ZN4vllm25paged_attention_v1_kernelI14__hip_bfloat16hLi32ELi32ELi128ELNS_18Fp8KVCacheDataTypeE1ELb1EEEvPT_PKS3_PKT0_S9_ifPKiSB_iPKfiiiSD_SD_iiiii
		.amdhsa_group_segment_fixed_size 80
		.amdhsa_private_segment_fixed_size 0
		.amdhsa_kernarg_size 384
		.amdhsa_user_sgpr_count 2
		.amdhsa_user_sgpr_dispatch_ptr 0
		.amdhsa_user_sgpr_queue_ptr 0
		.amdhsa_user_sgpr_kernarg_segment_ptr 1
		.amdhsa_user_sgpr_dispatch_id 0
		.amdhsa_user_sgpr_kernarg_preload_length 0
		.amdhsa_user_sgpr_kernarg_preload_offset 0
		.amdhsa_user_sgpr_private_segment_size 0
		.amdhsa_uses_dynamic_stack 0
		.amdhsa_enable_private_segment 0
		.amdhsa_system_sgpr_workgroup_id_x 1
		.amdhsa_system_sgpr_workgroup_id_y 1
		.amdhsa_system_sgpr_workgroup_id_z 1
		.amdhsa_system_sgpr_workgroup_info 0
		.amdhsa_system_vgpr_workitem_id 0
		.amdhsa_next_free_vgpr 55
		.amdhsa_next_free_sgpr 48
		.amdhsa_accum_offset 56
		.amdhsa_reserve_vcc 1
		.amdhsa_float_round_mode_32 0
		.amdhsa_float_round_mode_16_64 0
		.amdhsa_float_denorm_mode_32 3
		.amdhsa_float_denorm_mode_16_64 3
		.amdhsa_dx10_clamp 1
		.amdhsa_ieee_mode 1
		.amdhsa_fp16_overflow 0
		.amdhsa_tg_split 0
		.amdhsa_exception_fp_ieee_invalid_op 0
		.amdhsa_exception_fp_denorm_src 0
		.amdhsa_exception_fp_ieee_div_zero 0
		.amdhsa_exception_fp_ieee_overflow 0
		.amdhsa_exception_fp_ieee_underflow 0
		.amdhsa_exception_fp_ieee_inexact 0
		.amdhsa_exception_int_div_zero 0
	.end_amdhsa_kernel
	.section	.text._ZN4vllm25paged_attention_v1_kernelI14__hip_bfloat16hLi32ELi32ELi128ELNS_18Fp8KVCacheDataTypeE1ELb1EEEvPT_PKS3_PKT0_S9_ifPKiSB_iPKfiiiSD_SD_iiiii,"axG",@progbits,_ZN4vllm25paged_attention_v1_kernelI14__hip_bfloat16hLi32ELi32ELi128ELNS_18Fp8KVCacheDataTypeE1ELb1EEEvPT_PKS3_PKT0_S9_ifPKiSB_iPKfiiiSD_SD_iiiii,comdat
.Lfunc_end308:
	.size	_ZN4vllm25paged_attention_v1_kernelI14__hip_bfloat16hLi32ELi32ELi128ELNS_18Fp8KVCacheDataTypeE1ELb1EEEvPT_PKS3_PKT0_S9_ifPKiSB_iPKfiiiSD_SD_iiiii, .Lfunc_end308-_ZN4vllm25paged_attention_v1_kernelI14__hip_bfloat16hLi32ELi32ELi128ELNS_18Fp8KVCacheDataTypeE1ELb1EEEvPT_PKS3_PKT0_S9_ifPKiSB_iPKfiiiSD_SD_iiiii
                                        ; -- End function
	.set _ZN4vllm25paged_attention_v1_kernelI14__hip_bfloat16hLi32ELi32ELi128ELNS_18Fp8KVCacheDataTypeE1ELb1EEEvPT_PKS3_PKT0_S9_ifPKiSB_iPKfiiiSD_SD_iiiii.num_vgpr, 55
	.set _ZN4vllm25paged_attention_v1_kernelI14__hip_bfloat16hLi32ELi32ELi128ELNS_18Fp8KVCacheDataTypeE1ELb1EEEvPT_PKS3_PKT0_S9_ifPKiSB_iPKfiiiSD_SD_iiiii.num_agpr, 0
	.set _ZN4vllm25paged_attention_v1_kernelI14__hip_bfloat16hLi32ELi32ELi128ELNS_18Fp8KVCacheDataTypeE1ELb1EEEvPT_PKS3_PKT0_S9_ifPKiSB_iPKfiiiSD_SD_iiiii.numbered_sgpr, 48
	.set _ZN4vllm25paged_attention_v1_kernelI14__hip_bfloat16hLi32ELi32ELi128ELNS_18Fp8KVCacheDataTypeE1ELb1EEEvPT_PKS3_PKT0_S9_ifPKiSB_iPKfiiiSD_SD_iiiii.num_named_barrier, 0
	.set _ZN4vllm25paged_attention_v1_kernelI14__hip_bfloat16hLi32ELi32ELi128ELNS_18Fp8KVCacheDataTypeE1ELb1EEEvPT_PKS3_PKT0_S9_ifPKiSB_iPKfiiiSD_SD_iiiii.private_seg_size, 0
	.set _ZN4vllm25paged_attention_v1_kernelI14__hip_bfloat16hLi32ELi32ELi128ELNS_18Fp8KVCacheDataTypeE1ELb1EEEvPT_PKS3_PKT0_S9_ifPKiSB_iPKfiiiSD_SD_iiiii.uses_vcc, 1
	.set _ZN4vllm25paged_attention_v1_kernelI14__hip_bfloat16hLi32ELi32ELi128ELNS_18Fp8KVCacheDataTypeE1ELb1EEEvPT_PKS3_PKT0_S9_ifPKiSB_iPKfiiiSD_SD_iiiii.uses_flat_scratch, 0
	.set _ZN4vllm25paged_attention_v1_kernelI14__hip_bfloat16hLi32ELi32ELi128ELNS_18Fp8KVCacheDataTypeE1ELb1EEEvPT_PKS3_PKT0_S9_ifPKiSB_iPKfiiiSD_SD_iiiii.has_dyn_sized_stack, 0
	.set _ZN4vllm25paged_attention_v1_kernelI14__hip_bfloat16hLi32ELi32ELi128ELNS_18Fp8KVCacheDataTypeE1ELb1EEEvPT_PKS3_PKT0_S9_ifPKiSB_iPKfiiiSD_SD_iiiii.has_recursion, 0
	.set _ZN4vllm25paged_attention_v1_kernelI14__hip_bfloat16hLi32ELi32ELi128ELNS_18Fp8KVCacheDataTypeE1ELb1EEEvPT_PKS3_PKT0_S9_ifPKiSB_iPKfiiiSD_SD_iiiii.has_indirect_call, 0
	.section	.AMDGPU.csdata,"",@progbits
; Kernel info:
; codeLenInByte = 5464
; TotalNumSgprs: 54
; NumVgprs: 55
; NumAgprs: 0
; TotalNumVgprs: 55
; ScratchSize: 0
; MemoryBound: 0
; FloatMode: 240
; IeeeMode: 1
; LDSByteSize: 80 bytes/workgroup (compile time only)
; SGPRBlocks: 6
; VGPRBlocks: 6
; NumSGPRsForWavesPerEU: 54
; NumVGPRsForWavesPerEU: 55
; AccumOffset: 56
; Occupancy: 8
; WaveLimiterHint : 1
; COMPUTE_PGM_RSRC2:SCRATCH_EN: 0
; COMPUTE_PGM_RSRC2:USER_SGPR: 2
; COMPUTE_PGM_RSRC2:TRAP_HANDLER: 0
; COMPUTE_PGM_RSRC2:TGID_X_EN: 1
; COMPUTE_PGM_RSRC2:TGID_Y_EN: 1
; COMPUTE_PGM_RSRC2:TGID_Z_EN: 1
; COMPUTE_PGM_RSRC2:TIDIG_COMP_CNT: 0
; COMPUTE_PGM_RSRC3_GFX90A:ACCUM_OFFSET: 13
; COMPUTE_PGM_RSRC3_GFX90A:TG_SPLIT: 0
	.section	.text._ZN4vllm25paged_attention_v1_kernelI14__hip_bfloat16hLi64ELi32ELi128ELNS_18Fp8KVCacheDataTypeE1ELb1EEEvPT_PKS3_PKT0_S9_ifPKiSB_iPKfiiiSD_SD_iiiii,"axG",@progbits,_ZN4vllm25paged_attention_v1_kernelI14__hip_bfloat16hLi64ELi32ELi128ELNS_18Fp8KVCacheDataTypeE1ELb1EEEvPT_PKS3_PKT0_S9_ifPKiSB_iPKfiiiSD_SD_iiiii,comdat
	.protected	_ZN4vllm25paged_attention_v1_kernelI14__hip_bfloat16hLi64ELi32ELi128ELNS_18Fp8KVCacheDataTypeE1ELb1EEEvPT_PKS3_PKT0_S9_ifPKiSB_iPKfiiiSD_SD_iiiii ; -- Begin function _ZN4vllm25paged_attention_v1_kernelI14__hip_bfloat16hLi64ELi32ELi128ELNS_18Fp8KVCacheDataTypeE1ELb1EEEvPT_PKS3_PKT0_S9_ifPKiSB_iPKfiiiSD_SD_iiiii
	.globl	_ZN4vllm25paged_attention_v1_kernelI14__hip_bfloat16hLi64ELi32ELi128ELNS_18Fp8KVCacheDataTypeE1ELb1EEEvPT_PKS3_PKT0_S9_ifPKiSB_iPKfiiiSD_SD_iiiii
	.p2align	8
	.type	_ZN4vllm25paged_attention_v1_kernelI14__hip_bfloat16hLi64ELi32ELi128ELNS_18Fp8KVCacheDataTypeE1ELb1EEEvPT_PKS3_PKT0_S9_ifPKiSB_iPKfiiiSD_SD_iiiii,@function
_ZN4vllm25paged_attention_v1_kernelI14__hip_bfloat16hLi64ELi32ELi128ELNS_18Fp8KVCacheDataTypeE1ELb1EEEvPT_PKS3_PKT0_S9_ifPKiSB_iPKfiiiSD_SD_iiiii: ; @_ZN4vllm25paged_attention_v1_kernelI14__hip_bfloat16hLi64ELi32ELi128ELNS_18Fp8KVCacheDataTypeE1ELb1EEEvPT_PKS3_PKT0_S9_ifPKiSB_iPKfiiiSD_SD_iiiii
; %bb.0:
	s_load_dword s5, s[0:1], 0x80
	s_load_dwordx2 s[6:7], s[0:1], 0x30
	s_load_dwordx2 s[36:37], s[0:1], 0x20
	s_mov_b32 s10, s3
	s_ashr_i32 s11, s3, 31
	s_lshl_b64 s[8:9], s[10:11], 2
	s_waitcnt lgkmcnt(0)
	s_add_u32 s6, s6, s8
	s_addc_u32 s7, s7, s9
	s_abs_i32 s3, s36
	v_cvt_f32_u32_e32 v1, s3
	s_sub_i32 s11, 0, s3
	s_abs_i32 s9, s5
	s_xor_b32 s8, s5, s36
	v_rcp_iflag_f32_e32 v1, v1
	s_ashr_i32 s8, s8, 31
	s_mov_b32 s44, 0
	v_mul_f32_e32 v1, 0x4f7ffffe, v1
	v_cvt_u32_f32_e32 v1, v1
	s_nop 0
	v_readfirstlane_b32 s12, v1
	s_mul_i32 s11, s11, s12
	s_mul_hi_u32 s11, s12, s11
	s_add_i32 s12, s12, s11
	s_mul_hi_u32 s11, s9, s12
	s_mul_i32 s12, s11, s3
	s_sub_i32 s9, s9, s12
	s_add_i32 s12, s11, 1
	s_sub_i32 s13, s9, s3
	s_cmp_ge_u32 s9, s3
	s_cselect_b32 s11, s12, s11
	s_cselect_b32 s9, s13, s9
	s_add_i32 s12, s11, 1
	s_cmp_ge_u32 s9, s3
	s_cselect_b32 s3, s12, s11
	s_xor_b32 s3, s3, s8
	s_sub_i32 s14, s3, s8
	s_abs_i32 s11, s14
	v_cvt_f32_u32_e32 v1, s11
	s_load_dwordx2 s[8:9], s[0:1], 0x40
	s_sub_i32 s3, 0, s11
	s_abs_i32 s12, s2
	v_rcp_iflag_f32_e32 v1, v1
	s_nop 0
	v_mul_f32_e32 v1, 0x4f7ffffe, v1
	v_cvt_u32_f32_e32 v1, v1
	s_nop 0
	v_readfirstlane_b32 s13, v1
	s_mul_i32 s3, s3, s13
	s_mul_hi_u32 s3, s13, s3
	s_add_i32 s13, s13, s3
	s_waitcnt lgkmcnt(0)
	s_cmp_eq_u64 s[8:9], 0
	s_mul_hi_u32 s13, s12, s13
	s_cbranch_scc1 .LBB309_2
; %bb.1:
	s_ashr_i32 s3, s2, 31
	s_lshl_b64 s[16:17], s[2:3], 2
	s_add_u32 s8, s8, s16
	s_addc_u32 s9, s9, s17
	s_load_dword s44, s[8:9], 0x0
.LBB309_2:
	s_load_dword s33, s[6:7], 0x0
	s_load_dwordx4 s[16:19], s[0:1], 0x48
	s_ashr_i32 s8, s2, 31
	s_ashr_i32 s9, s14, 31
	v_and_b32_e32 v2, 1, v0
	s_lshl_b32 s24, s2, 6
	v_cmp_gt_u32_e32 vcc, 16, v0
	v_lshlrev_b32_e32 v8, 3, v0
	s_and_saveexec_b64 s[6:7], vcc
	s_cbranch_execz .LBB309_4
; %bb.3:
	s_load_dwordx2 s[14:15], s[0:1], 0x8
	s_waitcnt lgkmcnt(0)
	s_mul_i32 s20, s16, s10
	s_ashr_i32 s21, s20, 31
	s_lshl_b64 s[20:21], s[20:21], 1
	v_lshlrev_b32_e32 v1, 2, v0
	s_add_u32 s3, s14, s20
	s_addc_u32 s16, s15, s21
	s_ashr_i32 s25, s24, 31
	s_lshl_b64 s[14:15], s[24:25], 1
	s_add_u32 s14, s3, s14
	s_addc_u32 s15, s16, s15
	global_load_dwordx2 v[4:5], v8, s[14:15]
	v_and_b32_e32 v1, 0xff8, v1
	v_lshl_add_u32 v1, v2, 6, v1
	s_waitcnt vmcnt(0)
	ds_write_b64 v1, v[4:5]
.LBB309_4:
	s_or_b64 exec, exec, s[6:7]
	s_mul_i32 s7, s13, s11
	s_sub_i32 s7, s12, s7
	s_xor_b32 s6, s8, s9
	s_add_i32 s8, s13, 1
	s_sub_i32 s9, s7, s11
	s_load_dwordx4 s[20:23], s[0:1], 0x68
	s_load_dword s3, s[0:1], 0x78
	s_cmp_ge_u32 s7, s11
	s_cselect_b32 s8, s8, s13
	s_cselect_b32 s7, s9, s7
	s_add_i32 s9, s8, 1
	s_cmp_ge_u32 s7, s11
	s_cselect_b32 s7, s9, s8
	s_waitcnt lgkmcnt(0)
	s_abs_i32 s16, s23
	v_cvt_f32_u32_e32 v1, s16
	s_xor_b32 s7, s7, s6
	s_sub_i32 s43, s7, s6
	s_sub_i32 s6, 0, s16
	v_rcp_iflag_f32_e32 v1, v1
	s_add_i32 s11, s33, -1
	s_abs_i32 s8, s11
	v_mul_f32_e32 v1, 0x4f7ffffe, v1
	v_cvt_u32_f32_e32 v1, v1
	s_barrier
	v_readfirstlane_b32 s25, v1
	s_mul_i32 s6, s6, s25
	s_mul_hi_u32 s6, s25, s6
	s_add_i32 s25, s25, s6
	s_cmp_lt_i32 s3, 0
	s_mul_hi_u32 s9, s8, s25
	s_cbranch_scc0 .LBB309_6
; %bb.5:
	s_mul_i32 s6, s20, s36
	s_add_i32 s6, s43, s6
	s_mul_i32 s6, s6, s3
	s_sub_i32 s36, 1, s6
	s_mov_b64 s[6:7], 0
	s_branch .LBB309_7
.LBB309_6:
	s_mov_b64 s[6:7], -1
                                        ; implicit-def: $sgpr36
.LBB309_7:
	s_load_dwordx2 s[28:29], s[0:1], 0x28
	s_ashr_i32 s19, s11, 31
	s_andn2_b64 vcc, exec, s[6:7]
	s_ashr_i32 s23, s23, 31
	s_cbranch_vccnz .LBB309_9
; %bb.8:
	s_mul_i32 s6, s5, s20
	s_add_i32 s2, s6, s2
	s_mul_i32 s2, s2, s3
	s_add_i32 s36, s2, 1
.LBB309_9:
	s_load_dword s2, s[0:1], 0x38
	s_load_dwordx2 s[26:27], s[0:1], 0x0
	s_load_dwordx2 s[34:35], s[0:1], 0x18
	s_load_dword s11, s[0:1], 0x88
	s_load_dwordx4 s[12:15], s[0:1], 0x58
	s_mul_i32 s3, s9, s16
	s_waitcnt lgkmcnt(0)
	s_mul_i32 s30, s2, s10
	s_sub_i32 s3, s8, s3
	s_ashr_i32 s31, s30, 31
	s_xor_b32 s2, s19, s23
	s_add_i32 s6, s9, 1
	s_sub_i32 s7, s3, s16
	s_cmp_ge_u32 s3, s16
	s_cselect_b32 s6, s6, s9
	s_cselect_b32 s3, s7, s3
	s_add_i32 s7, s6, 1
	s_cmp_ge_u32 s3, s16
	s_cselect_b32 s3, s7, s6
	s_xor_b32 s3, s3, s2
	s_sub_i32 s42, s3, s2
	s_add_i32 s2, s33, 31
	s_ashr_i32 s3, s2, 31
	s_lshr_b32 s3, s3, 27
	s_add_i32 s2, s2, s3
	s_ashr_i32 s20, s2, 5
	v_lshrrev_b32_e32 v1, 6, v0
	v_cmp_gt_i32_e64 s[6:7], s20, v1
	v_mov_b32_e32 v13, 0xff7fffff
	s_mul_i32 s43, s43, s18
	v_lshrrev_b32_e32 v9, 4, v0
	v_lshlrev_b32_e32 v20, 5, v1
	v_mbcnt_lo_u32_b32 v10, -1, 0
	s_and_saveexec_b64 s[18:19], s[6:7]
	s_cbranch_execz .LBB309_21
; %bb.10:
	s_load_dwordx2 s[0:1], s[0:1], 0x10
	s_sub_i32 s45, s42, s21
	s_ashr_i32 s2, s43, 31
	v_bfe_u32 v11, v0, 1, 5
	v_mov_b32_e32 v5, 0
	s_waitcnt lgkmcnt(0)
	s_add_u32 s0, s0, s43
	s_addc_u32 s1, s1, s2
	s_abs_i32 s46, s22
	v_cvt_f32_u32_e32 v3, s46
	v_lshlrev_b32_e32 v4, 4, v11
	v_lshl_add_u64 v[6:7], s[0:1], 0, v[4:5]
	s_sub_i32 s0, 0, s46
	v_rcp_iflag_f32_e32 v3, v3
	v_cmp_eq_u32_e32 vcc, 0, v2
	v_lshlrev_b32_e32 v12, 6, v2
	v_lshlrev_b32_e32 v4, 2, v2
	v_mul_f32_e32 v3, 0x4f7ffffe, v3
	v_cvt_u32_f32_e32 v3, v3
	v_mbcnt_hi_u32_b32 v19, -1, v10
	s_mov_b32 s47, s17
	v_cmp_neq_f32_e64 s[2:3], s44, 0
	v_mul_lo_u32 v2, s0, v3
	v_mul_hi_u32 v2, v3, v2
	v_add_u32_e32 v14, v3, v2
	v_lshl_add_u64 v[2:3], v[6:7], 0, v[4:5]
	v_subrev_u32_e32 v6, s33, v11
	s_lshl_b64 s[0:1], s[30:31], 2
	v_add_u32_e32 v16, 1, v6
	v_lshlrev_b32_e32 v6, 2, v11
	s_add_u32 s0, s28, s0
	v_lshl_or_b32 v6, v1, 7, v6
	v_and_b32_e32 v4, 60, v9
	s_addc_u32 s1, s29, s1
	v_add_u32_e32 v17, 0x90, v6
	v_and_b32_e32 v6, 64, v19
	v_lshl_add_u64 v[4:5], s[0:1], 0, v[4:5]
	v_lshlrev_b32_e32 v15, 5, v1
	v_mov_b32_e32 v18, 0xff7fffff
	s_mov_b64 s[38:39], 0
	v_xor_b32_e32 v21, 1, v19
	v_add_u32_e32 v22, 64, v6
	v_mov_b32_e32 v13, 0xff7fffff
	v_mov_b32_e32 v23, v1
	s_branch .LBB309_13
.LBB309_11:                             ;   in Loop: Header=BB309_13 Depth=1
	s_or_b64 exec, exec, s[40:41]
.LBB309_12:                             ;   in Loop: Header=BB309_13 Depth=1
	s_or_b64 exec, exec, s[8:9]
	v_add_u32_e32 v23, 2, v23
	v_cmp_le_i32_e64 s[0:1], s20, v23
	v_lshl_add_u64 v[4:5], v[4:5], 0, 8
	v_add_u32_e32 v15, 64, v15
	s_or_b64 s[38:39], s[0:1], s[38:39]
	v_add_u32_e32 v17, 0x100, v17
	s_andn2_b64 exec, exec, s[38:39]
	s_cbranch_execz .LBB309_20
.LBB309_13:                             ; =>This Inner Loop Header: Depth=1
	v_mul_hi_u32 v6, v15, s25
	s_waitcnt lgkmcnt(0)
	v_mul_lo_u32 v7, v6, s16
	v_sub_u32_e32 v7, v15, v7
	v_add_u32_e32 v24, 1, v6
	v_cmp_le_u32_e64 s[0:1], s16, v7
	s_nop 1
	v_cndmask_b32_e64 v6, v6, v24, s[0:1]
	v_subrev_u32_e32 v24, s16, v7
	v_cndmask_b32_e64 v7, v7, v24, s[0:1]
	v_add_u32_e32 v24, 1, v6
	v_cmp_le_u32_e64 s[0:1], s16, v7
	s_nop 1
	v_cndmask_b32_e64 v6, v6, v24, s[0:1]
	v_xor_b32_e32 v6, s23, v6
	v_subrev_u32_e32 v6, s23, v6
	v_add_u32_e32 v7, s36, v6
	v_sub_u32_e32 v25, 0, v7
	v_ashrrev_i32_e32 v24, 31, v7
	v_max_i32_e32 v7, v7, v25
	v_mul_hi_u32 v25, v7, v14
	v_mul_lo_u32 v25, v25, s46
	v_sub_u32_e32 v7, v7, v25
	v_subrev_u32_e32 v25, s46, v7
	v_cmp_le_u32_e64 s[0:1], s46, v7
	v_cmp_ge_i32_e64 s[8:9], s45, v6
	s_nop 0
	v_cndmask_b32_e64 v7, v7, v25, s[0:1]
	v_subrev_u32_e32 v25, s46, v7
	v_cmp_le_u32_e64 s[0:1], s46, v7
	s_nop 1
	v_cndmask_b32_e64 v7, v7, v25, s[0:1]
	v_xor_b32_e32 v7, v7, v24
	v_sub_u32_e32 v7, v7, v24
	v_cmp_ne_u32_e64 s[0:1], 0, v7
	s_and_b64 s[0:1], s[0:1], s[8:9]
	s_and_saveexec_b64 s[8:9], s[0:1]
	s_xor_b64 s[0:1], exec, s[8:9]
	s_cbranch_execz .LBB309_17
; %bb.14:                               ;   in Loop: Header=BB309_13 Depth=1
	s_and_saveexec_b64 s[8:9], vcc
; %bb.15:                               ;   in Loop: Header=BB309_13 Depth=1
	ds_write_b32 v17, v18
; %bb.16:                               ;   in Loop: Header=BB309_13 Depth=1
	s_or_b64 exec, exec, s[8:9]
.LBB309_17:                             ;   in Loop: Header=BB309_13 Depth=1
	s_andn2_saveexec_b64 s[8:9], s[0:1]
	s_cbranch_execz .LBB309_12
; %bb.18:                               ;   in Loop: Header=BB309_13 Depth=1
	global_load_dword v6, v[4:5], off
	s_waitcnt vmcnt(0)
	v_mad_i64_i32 v[6:7], s[0:1], v6, s47, v[2:3]
	global_load_dword v47, v[6:7], off
	global_load_dword v64, v[6:7], off offset:8
	global_load_dword v65, v[6:7], off offset:512
	;; [unrolled: 1-line block ×6, first 2 shown]
	ds_read_b128 v[48:51], v12
	ds_read_b128 v[52:55], v12 offset:16
	ds_read_b128 v[56:59], v12 offset:32
	;; [unrolled: 1-line block ×3, first 2 shown]
	global_load_dword v6, v[6:7], off offset:1544
	s_load_dword s40, s[12:13], 0x0
	v_cmp_lt_i32_e64 s[0:1], v21, v22
	s_waitcnt lgkmcnt(0)
	v_lshlrev_b32_e32 v29, 16, v58
	v_lshlrev_b32_e32 v26, 16, v61
	v_and_b32_e32 v42, 0xffff0000, v58
	v_and_b32_e32 v38, 0xffff0000, v61
	v_lshlrev_b32_e32 v31, 16, v56
	v_lshlrev_b32_e32 v30, 16, v57
	;; [unrolled: 1-line block ×3, first 2 shown]
	v_and_b32_e32 v45, 0xffff0000, v56
	v_and_b32_e32 v43, 0xffff0000, v57
	;; [unrolled: 1-line block ×3, first 2 shown]
	v_lshlrev_b32_e32 v27, 16, v60
	v_lshlrev_b32_e32 v25, 16, v62
	v_and_b32_e32 v39, 0xffff0000, v60
	v_and_b32_e32 v37, 0xffff0000, v62
	v_lshlrev_b32_e32 v24, 16, v63
	v_and_b32_e32 v34, 0xffff0000, v63
	v_lshlrev_b32_e32 v70, 16, v50
	v_lshlrev_b32_e32 v71, 16, v51
	v_and_b32_e32 v51, 0xffff0000, v51
	v_lshlrev_b32_e32 v46, 16, v48
	v_lshlrev_b32_e32 v44, 16, v49
	v_and_b32_e32 v49, 0xffff0000, v49
	v_and_b32_e32 v50, 0xffff0000, v50
	v_lshlrev_b32_e32 v40, 16, v52
	v_and_b32_e32 v48, 0xffff0000, v48
	v_and_b32_e32 v52, 0xffff0000, v52
	v_lshlrev_b32_e32 v35, 16, v53
	v_lshlrev_b32_e32 v33, 16, v54
	;; [unrolled: 1-line block ×3, first 2 shown]
	v_and_b32_e32 v54, 0xffff0000, v54
	v_and_b32_e32 v53, 0xffff0000, v53
	;; [unrolled: 1-line block ×3, first 2 shown]
	v_cndmask_b32_e64 v36, v19, v21, s[0:1]
	v_lshlrev_b32_e32 v36, 2, v36
	s_waitcnt vmcnt(7)
	v_and_b32_e32 v7, 0xff, v47
	s_waitcnt vmcnt(6)
	v_and_b32_e32 v58, 0xff, v64
	v_lshrrev_b32_e32 v61, 24, v64
	v_bfe_u32 v56, v47, 8, 8
	v_bfe_u32 v57, v47, 16, 8
	v_lshrrev_b32_e32 v47, 24, v47
	v_bfe_u32 v59, v64, 8, 8
	v_cvt_f32_fp8_e32 v58, v58
	v_cvt_f32_fp8_e32 v61, v61
	v_bfe_u32 v60, v64, 16, 8
	s_waitcnt vmcnt(5)
	v_and_b32_e32 v62, 0xff, v65
	v_cvt_f32_fp8_e32 v7, v7
	v_cvt_f32_fp8_e32 v59, v59
	;; [unrolled: 1-line block ×3, first 2 shown]
	v_bfe_u32 v63, v65, 8, 8
	v_cvt_f32_fp8_e32 v56, v56
	v_cvt_f32_fp8_e32 v60, v60
	v_cvt_f32_fp8_e32 v62, v62
	v_bfe_u32 v64, v65, 16, 8
	v_cvt_f32_fp8_e32 v57, v57
	v_cvt_f32_fp8_e32 v63, v63
	s_waitcnt vmcnt(4)
	v_and_b32_e32 v72, 0xff, v66
	v_cvt_f32_fp8_e32 v64, v64
	v_mul_f32_e32 v58, s40, v58
	v_mul_f32_e32 v61, s40, v61
	v_bfe_u32 v74, v66, 16, 8
	v_cvt_f32_fp8_e32 v72, v72
	v_mul_f32_e32 v7, s40, v7
	v_mul_f32_e32 v59, s40, v59
	;; [unrolled: 1-line block ×3, first 2 shown]
	v_cvt_pk_bf16_f32 v58, v58, s0
	v_cvt_pk_bf16_f32 v61, v61, s0
	v_bfe_u32 v73, v66, 8, 8
	s_waitcnt vmcnt(3)
	v_and_b32_e32 v75, 0xff, v67
	v_cvt_f32_fp8_e32 v74, v74
	v_mul_f32_e32 v56, s40, v56
	v_mul_f32_e32 v60, s40, v60
	;; [unrolled: 1-line block ×3, first 2 shown]
	v_cvt_pk_bf16_f32 v7, v7, s0
	v_cvt_pk_bf16_f32 v59, v59, s0
	v_cvt_pk_bf16_f32 v47, v47, s0
	v_lshlrev_b32_e32 v58, 16, v58
	v_lshlrev_b32_e32 v61, 16, v61
	v_lshrrev_b32_e32 v65, 24, v65
	v_bfe_u32 v76, v67, 8, 8
	v_bfe_u32 v77, v67, 16, 8
	v_cvt_f32_fp8_e32 v73, v73
	v_cvt_f32_fp8_e32 v75, v75
	v_mul_f32_e32 v57, s40, v57
	v_mul_f32_e32 v63, s40, v63
	v_cvt_pk_bf16_f32 v56, v56, s0
	v_cvt_pk_bf16_f32 v60, v60, s0
	;; [unrolled: 1-line block ×3, first 2 shown]
	v_lshlrev_b32_e32 v7, 16, v7
	v_lshlrev_b32_e32 v59, 16, v59
	v_mul_f32_e32 v58, v70, v58
	v_mul_f32_e32 v51, v51, v61
	v_lshlrev_b32_e32 v47, 16, v47
	v_lshrrev_b32_e32 v66, 24, v66
	s_waitcnt vmcnt(2)
	v_and_b32_e32 v78, 0xff, v68
	v_bfe_u32 v79, v68, 8, 8
	v_cvt_f32_fp8_e32 v65, v65
	v_cvt_f32_fp8_e32 v76, v76
	;; [unrolled: 1-line block ×3, first 2 shown]
	v_mul_f32_e32 v64, s40, v64
	v_cvt_pk_bf16_f32 v57, v57, s0
	v_cvt_pk_bf16_f32 v63, v63, s0
	v_lshlrev_b32_e32 v56, 16, v56
	v_lshlrev_b32_e32 v60, 16, v60
	v_mul_f32_e32 v50, v50, v59
	v_fmac_f32_e32 v58, v46, v7
	v_fmac_f32_e32 v51, v49, v47
	v_lshlrev_b32_e32 v49, 16, v62
	v_lshrrev_b32_e32 v67, 24, v67
	v_bfe_u32 v80, v68, 16, 8
	s_waitcnt vmcnt(1)
	v_bfe_u32 v82, v69, 8, 8
	v_cvt_f32_fp8_e32 v66, v66
	v_cvt_f32_fp8_e32 v78, v78
	;; [unrolled: 1-line block ×3, first 2 shown]
	v_mul_f32_e32 v72, s40, v72
	v_cvt_pk_bf16_f32 v64, v64, s0
	v_lshlrev_b32_e32 v57, 16, v57
	v_mul_f32_e32 v59, v71, v60
	v_fmac_f32_e32 v50, v48, v56
	v_fmac_f32_e32 v58, v40, v49
	v_lshlrev_b32_e32 v49, 16, v63
	v_lshrrev_b32_e32 v68, 24, v68
	v_and_b32_e32 v81, 0xff, v69
	v_bfe_u32 v83, v69, 16, 8
	v_cvt_f32_fp8_e32 v67, v67
	v_cvt_f32_fp8_e32 v80, v80
	;; [unrolled: 1-line block ×3, first 2 shown]
	v_mul_f32_e32 v74, s40, v74
	v_cvt_pk_bf16_f32 v72, v72, s0
	v_fmac_f32_e32 v59, v44, v57
	v_fmac_f32_e32 v50, v52, v49
	v_lshlrev_b32_e32 v49, 16, v64
	v_lshrrev_b32_e32 v69, 24, v69
	v_cvt_f32_fp8_e32 v68, v68
	v_cvt_f32_fp8_e32 v81, v81
	v_cvt_f32_fp8_e32 v83, v83
	v_mul_f32_e32 v73, s40, v73
	v_mul_f32_e32 v75, s40, v75
	v_cvt_pk_bf16_f32 v74, v74, s0
	s_waitcnt vmcnt(0)
	v_and_b32_e32 v47, 0xff, v6
	v_bfe_u32 v48, v6, 8, 8
	v_fmac_f32_e32 v59, v35, v49
	v_lshlrev_b32_e32 v35, 16, v72
	v_cvt_f32_fp8_e32 v69, v69
	v_mul_f32_e32 v65, s40, v65
	v_mul_f32_e32 v76, s40, v76
	;; [unrolled: 1-line block ×3, first 2 shown]
	v_cvt_pk_bf16_f32 v73, v73, s0
	v_cvt_pk_bf16_f32 v75, v75, s0
	v_cvt_f32_fp8_e32 v47, v47
	v_cvt_f32_fp8_e32 v48, v48
	v_bfe_u32 v40, v6, 16, 8
	v_lshrrev_b32_e32 v6, 24, v6
	v_fmac_f32_e32 v58, v33, v35
	v_lshlrev_b32_e32 v33, 16, v74
	v_mul_f32_e32 v66, s40, v66
	v_mul_f32_e32 v78, s40, v78
	;; [unrolled: 1-line block ×3, first 2 shown]
	v_cvt_pk_bf16_f32 v65, v65, s0
	v_cvt_pk_bf16_f32 v76, v76, s0
	;; [unrolled: 1-line block ×3, first 2 shown]
	v_cvt_f32_fp8_e32 v40, v40
	v_cvt_f32_fp8_e32 v6, v6
	v_lshlrev_b32_e32 v49, 16, v73
	v_fmac_f32_e32 v59, v32, v33
	v_lshlrev_b32_e32 v32, 16, v75
	v_mul_f32_e32 v67, s40, v67
	v_mul_f32_e32 v80, s40, v80
	v_mul_f32_e32 v82, s40, v82
	v_cvt_pk_bf16_f32 v66, v66, s0
	v_cvt_pk_bf16_f32 v78, v78, s0
	;; [unrolled: 1-line block ×3, first 2 shown]
	v_lshlrev_b32_e32 v52, 16, v65
	v_fmac_f32_e32 v50, v54, v49
	v_lshlrev_b32_e32 v33, 16, v76
	v_fmac_f32_e32 v58, v31, v32
	v_lshlrev_b32_e32 v31, 16, v77
	v_mul_f32_e32 v68, s40, v68
	v_mul_f32_e32 v81, s40, v81
	v_cvt_pk_bf16_f32 v67, v67, s0
	v_cvt_pk_bf16_f32 v80, v80, s0
	;; [unrolled: 1-line block ×3, first 2 shown]
	v_mul_f32_e32 v44, s40, v83
	v_fmac_f32_e32 v51, v53, v52
	v_lshlrev_b32_e32 v35, 16, v66
	v_fmac_f32_e32 v50, v45, v33
	v_fmac_f32_e32 v59, v30, v31
	v_lshlrev_b32_e32 v30, 16, v78
	v_lshlrev_b32_e32 v31, 16, v79
	v_cvt_pk_bf16_f32 v68, v68, s0
	v_cvt_pk_bf16_f32 v81, v81, s0
	;; [unrolled: 1-line block ×3, first 2 shown]
	v_mul_f32_e32 v46, s40, v69
	v_mul_f32_e32 v47, s40, v47
	;; [unrolled: 1-line block ×3, first 2 shown]
	v_fmac_f32_e32 v51, v55, v35
	v_lshlrev_b32_e32 v32, 16, v67
	v_fmac_f32_e32 v58, v29, v30
	v_fmac_f32_e32 v50, v42, v31
	v_lshlrev_b32_e32 v29, 16, v80
	v_lshlrev_b32_e32 v7, 16, v7
	v_cvt_pk_bf16_f32 v46, v46, s0
	v_cvt_pk_bf16_f32 v47, v47, s0
	;; [unrolled: 1-line block ×3, first 2 shown]
	v_mul_f32_e32 v40, s40, v40
	v_mul_f32_e32 v6, s40, v6
	v_fmac_f32_e32 v51, v43, v32
	v_lshlrev_b32_e32 v30, 16, v68
	v_fmac_f32_e32 v59, v28, v29
	v_lshlrev_b32_e32 v28, 16, v81
	;; [unrolled: 2-line block ×3, first 2 shown]
	v_cvt_pk_bf16_f32 v40, v40, s0
	v_cvt_pk_bf16_f32 v6, v6, s0
	v_fmac_f32_e32 v51, v41, v30
	v_fmac_f32_e32 v58, v27, v28
	v_lshlrev_b32_e32 v27, 16, v46
	v_fmac_f32_e32 v59, v26, v7
	v_lshlrev_b32_e32 v7, 16, v47
	v_lshlrev_b32_e32 v26, 16, v48
	v_fmac_f32_e32 v51, v38, v27
	v_fmac_f32_e32 v58, v25, v7
	;; [unrolled: 1-line block ×3, first 2 shown]
	v_lshlrev_b32_e32 v7, 16, v40
	v_lshlrev_b32_e32 v6, 16, v6
	v_fmac_f32_e32 v59, v24, v7
	v_fmac_f32_e32 v51, v34, v6
	v_add_f32_e32 v6, v58, v50
	v_add_f32_e32 v6, v6, v59
	;; [unrolled: 1-line block ×3, first 2 shown]
	ds_bpermute_b32 v7, v36, v6
	s_and_saveexec_b64 s[40:41], vcc
	s_cbranch_execz .LBB309_11
; %bb.19:                               ;   in Loop: Header=BB309_13 Depth=1
	v_add_u32_e32 v24, v16, v15
	v_cvt_f32_i32_e32 v24, v24
	s_waitcnt lgkmcnt(0)
	v_add_f32_e32 v6, v6, v7
	v_add_u32_e32 v25, v11, v15
	v_cmp_gt_i32_e64 s[0:1], s33, v25
	v_mul_f32_e32 v7, s44, v24
	v_cndmask_b32_e64 v7, 0, v7, s[2:3]
	v_fmac_f32_e32 v7, s37, v6
	v_cndmask_b32_e64 v6, 0, v7, s[0:1]
	ds_write_b32 v17, v6
	v_max_f32_e32 v6, v13, v13
	v_max_f32_e32 v6, v6, v7
	v_cndmask_b32_e64 v13, v13, v6, s[0:1]
	s_branch .LBB309_11
.LBB309_20:
	s_or_b64 exec, exec, s[38:39]
.LBB309_21:
	s_or_b64 exec, exec, s[18:19]
	v_mbcnt_hi_u32_b32 v2, -1, v10
	v_and_b32_e32 v11, 64, v2
	v_add_u32_e32 v12, 64, v11
	v_xor_b32_e32 v3, 32, v2
	v_cmp_lt_i32_e32 vcc, v3, v12
	v_xor_b32_e32 v6, 16, v2
	v_max_f32_e32 v5, v13, v13
	v_cndmask_b32_e32 v3, v2, v3, vcc
	v_lshlrev_b32_e32 v3, 2, v3
	ds_bpermute_b32 v4, v3, v13
	v_cmp_lt_i32_e32 vcc, v6, v12
	s_waitcnt lgkmcnt(1)
	v_xor_b32_e32 v7, 8, v2
	v_xor_b32_e32 v10, 4, v2
	;; [unrolled: 1-line block ×3, first 2 shown]
	s_waitcnt lgkmcnt(0)
	v_max_f32_e32 v4, v4, v4
	v_max_f32_e32 v5, v5, v4
	v_cndmask_b32_e32 v4, v2, v6, vcc
	v_lshlrev_b32_e32 v4, 2, v4
	ds_bpermute_b32 v6, v4, v5
	v_cmp_lt_i32_e32 vcc, v7, v12
	v_and_b32_e32 v21, 63, v0
	s_waitcnt lgkmcnt(0)
	v_max_f32_e32 v6, v6, v6
	v_max_f32_e32 v6, v5, v6
	v_cndmask_b32_e32 v5, v2, v7, vcc
	v_lshlrev_b32_e32 v5, 2, v5
	ds_bpermute_b32 v7, v5, v6
	v_cmp_lt_i32_e32 vcc, v10, v12
	s_waitcnt lgkmcnt(0)
	v_max_f32_e32 v7, v7, v7
	v_max_f32_e32 v7, v6, v7
	v_cndmask_b32_e32 v6, v2, v10, vcc
	v_lshlrev_b32_e32 v6, 2, v6
	ds_bpermute_b32 v10, v6, v7
	v_cmp_lt_i32_e32 vcc, v13, v12
	s_waitcnt lgkmcnt(0)
	v_max_f32_e32 v10, v10, v10
	v_max_f32_e32 v10, v7, v10
	v_cndmask_b32_e32 v7, v2, v13, vcc
	v_lshlrev_b32_e32 v22, 2, v7
	ds_bpermute_b32 v13, v22, v10
	v_cmp_eq_u32_e32 vcc, 0, v21
	v_lshlrev_b32_e32 v7, 2, v1
	s_and_saveexec_b64 s[0:1], vcc
	s_cbranch_execz .LBB309_23
; %bb.22:
	s_waitcnt lgkmcnt(0)
	v_max_f32_e32 v13, v13, v13
	v_max_f32_e32 v10, v10, v10
	;; [unrolled: 1-line block ×3, first 2 shown]
	ds_write_b32 v7, v10 offset:128
.LBB309_23:
	s_or_b64 exec, exec, s[0:1]
	v_cmp_gt_u32_e64 s[0:1], 2, v21
	s_waitcnt lgkmcnt(0)
	v_mov_b32_e32 v13, 0xff7fffff
	v_lshlrev_b32_e32 v10, 2, v21
	s_barrier
	s_and_saveexec_b64 s[2:3], s[0:1]
; %bb.24:
	ds_read_b32 v13, v10 offset:128
; %bb.25:
	s_or_b64 exec, exec, s[2:3]
	v_xor_b32_e32 v14, 1, v2
	v_cmp_lt_i32_e64 s[2:3], v14, v12
	v_lshlrev_b32_e32 v11, 2, v11
	s_nop 0
	v_cndmask_b32_e64 v12, v2, v14, s[2:3]
	v_lshlrev_b32_e32 v23, 2, v12
	s_waitcnt lgkmcnt(0)
	ds_bpermute_b32 v12, v23, v13
	v_max_f32_e32 v13, v13, v13
	s_lshl_b32 s2, s20, 5
	s_min_i32 s37, s2, s33
	v_cmp_gt_i32_e64 s[2:3], s37, v0
	s_waitcnt lgkmcnt(0)
	v_max_f32_e32 v12, v12, v12
	v_max_f32_e32 v12, v13, v12
	ds_bpermute_b32 v12, v11, v12
	v_mov_b32_e32 v11, 0
	s_and_saveexec_b64 s[12:13], s[2:3]
	s_cbranch_execz .LBB309_29
; %bb.26:
	v_mov_b32_e32 v11, 0x90
	v_lshl_add_u32 v13, v0, 2, v11
	v_mov_b32_e32 v11, 0
	s_mov_b64 s[18:19], 0
	v_mov_b32_e32 v14, v0
.LBB309_27:                             ; =>This Inner Loop Header: Depth=1
	ds_read_b32 v15, v13
	v_add_u32_e32 v14, 0x80, v14
	v_cmp_le_i32_e64 s[8:9], s37, v14
	s_or_b64 s[18:19], s[8:9], s[18:19]
	s_waitcnt lgkmcnt(0)
	v_sub_f32_e32 v15, v15, v12
	v_mul_f32_e32 v15, 0x3fb8aa3b, v15
	v_exp_f32_e32 v15, v15
	ds_write_b32 v13, v15
	v_add_f32_e32 v11, v11, v15
	v_add_u32_e32 v13, 0x200, v13
	s_andn2_b64 exec, exec, s[18:19]
	s_cbranch_execnz .LBB309_27
; %bb.28:
	s_or_b64 exec, exec, s[18:19]
.LBB309_29:
	s_or_b64 exec, exec, s[12:13]
	ds_bpermute_b32 v3, v3, v11
	s_waitcnt lgkmcnt(0)
	v_add_f32_e32 v3, v11, v3
	ds_bpermute_b32 v4, v4, v3
	s_waitcnt lgkmcnt(0)
	v_add_f32_e32 v3, v3, v4
	;; [unrolled: 3-line block ×6, first 2 shown]
	s_and_saveexec_b64 s[8:9], vcc
; %bb.30:
	ds_write_b32 v7, v3 offset:136
; %bb.31:
	s_or_b64 exec, exec, s[8:9]
	s_waitcnt lgkmcnt(0)
	s_barrier
	s_and_saveexec_b64 s[8:9], s[0:1]
; %bb.32:
	ds_read_b32 v3, v10 offset:136
; %bb.33:
	s_or_b64 exec, exec, s[8:9]
	s_waitcnt lgkmcnt(0)
	ds_bpermute_b32 v4, v23, v3
	v_lshlrev_b32_e32 v2, 2, v2
	v_and_b32_e32 v2, 0x100, v2
	s_waitcnt lgkmcnt(0)
	v_add_f32_e32 v3, v3, v4
	ds_bpermute_b32 v2, v2, v3
	s_and_saveexec_b64 s[0:1], s[2:3]
	s_cbranch_execz .LBB309_46
; %bb.34:
	s_waitcnt lgkmcnt(0)
	v_add_f32_e32 v2, 0x358637bd, v2
	v_div_scale_f32 v3, s[2:3], v2, v2, 1.0
	v_rcp_f32_e32 v4, v3
	v_div_scale_f32 v5, vcc, 1.0, v2, 1.0
	s_movk_i32 s2, 0x7f
	v_fma_f32 v6, -v3, v4, 1.0
	v_fmac_f32_e32 v4, v6, v4
	v_mul_f32_e32 v6, v5, v4
	v_fma_f32 v7, -v3, v6, v5
	v_fmac_f32_e32 v6, v7, v4
	v_fma_f32 v3, -v3, v6, v5
	v_div_fmas_f32 v3, v3, v4, v6
	v_xad_u32 v4, v0, -1, s37
	v_div_fixup_f32 v2, v3, v2, 1.0
	v_cmp_lt_u32_e32 vcc, s2, v4
	s_mov_b64 s[8:9], -1
	v_mov_b32_e32 v3, v0
	s_and_saveexec_b64 s[2:3], vcc
	s_cbranch_execz .LBB309_43
; %bb.35:
	v_lshrrev_b32_e32 v4, 7, v4
	v_add_u32_e32 v6, -1, v4
	v_lshrrev_b32_e32 v5, 1, v6
	v_mov_b32_e32 v3, v2
	v_add_u32_e32 v5, 1, v5
	v_cmp_lt_u32_e32 vcc, 13, v6
	v_mov_b32_e32 v10, 0
	s_and_saveexec_b64 s[8:9], vcc
	s_cbranch_execz .LBB309_39
; %bb.36:
	v_mov_b32_e32 v7, 0x90
	v_and_b32_e32 v6, -8, v5
	v_lshl_add_u32 v7, v0, 2, v7
	s_mov_b32 s18, 0
	s_mov_b64 s[12:13], 0
.LBB309_37:                             ; =>This Inner Loop Header: Depth=1
	ds_read2st64_b32 v[10:11], v7 offset1:2
	ds_read2st64_b32 v[12:13], v7 offset0:4 offset1:6
	ds_read2st64_b32 v[14:15], v7 offset0:8 offset1:10
	ds_read2st64_b32 v[16:17], v7 offset0:12 offset1:14
	v_add_u32_e32 v6, -8, v6
	s_waitcnt lgkmcnt(3)
	v_pk_mul_f32 v[10:11], v[2:3], v[10:11]
	s_waitcnt lgkmcnt(2)
	v_pk_mul_f32 v[12:13], v[2:3], v[12:13]
	ds_write2st64_b32 v7, v10, v11 offset1:2
	ds_write2st64_b32 v7, v12, v13 offset0:4 offset1:6
	ds_read2st64_b32 v[12:13], v7 offset0:16 offset1:18
	s_waitcnt lgkmcnt(4)
	v_pk_mul_f32 v[10:11], v[2:3], v[14:15]
	ds_write2st64_b32 v7, v10, v11 offset0:8 offset1:10
	s_waitcnt lgkmcnt(4)
	v_pk_mul_f32 v[10:11], v[2:3], v[16:17]
	ds_write2st64_b32 v7, v10, v11 offset0:12 offset1:14
	ds_read2st64_b32 v[10:11], v7 offset0:20 offset1:22
	s_waitcnt lgkmcnt(3)
	v_pk_mul_f32 v[12:13], v[2:3], v[12:13]
	ds_read2st64_b32 v[14:15], v7 offset0:24 offset1:26
	ds_write2st64_b32 v7, v12, v13 offset0:16 offset1:18
	ds_read2st64_b32 v[12:13], v7 offset0:28 offset1:30
	s_waitcnt lgkmcnt(3)
	v_pk_mul_f32 v[10:11], v[2:3], v[10:11]
	ds_write2st64_b32 v7, v10, v11 offset0:20 offset1:22
	s_waitcnt lgkmcnt(3)
	v_pk_mul_f32 v[10:11], v[2:3], v[14:15]
	ds_write2st64_b32 v7, v10, v11 offset0:24 offset1:26
	s_waitcnt lgkmcnt(2)
	v_pk_mul_f32 v[10:11], v[2:3], v[12:13]
	s_add_i32 s18, s18, 16
	v_cmp_eq_u32_e32 vcc, 0, v6
	ds_write2st64_b32 v7, v10, v11 offset0:28 offset1:30
	v_add_u32_e32 v7, 0x2000, v7
	s_or_b64 s[12:13], vcc, s[12:13]
	v_mov_b32_e32 v10, s18
	s_andn2_b64 exec, exec, s[12:13]
	s_cbranch_execnz .LBB309_37
; %bb.38:
	s_or_b64 exec, exec, s[12:13]
.LBB309_39:
	s_or_b64 exec, exec, s[8:9]
	v_and_b32_e32 v5, 7, v5
	v_cmp_ne_u32_e32 vcc, 0, v5
	s_and_saveexec_b64 s[8:9], vcc
	s_cbranch_execz .LBB309_42
; %bb.40:
	v_lshlrev_b32_e32 v6, 9, v10
	v_lshlrev_b32_e32 v7, 2, v0
	s_movk_i32 s12, 0x90
	v_add3_u32 v6, v6, v7, s12
	s_mov_b64 s[12:13], 0
.LBB309_41:                             ; =>This Inner Loop Header: Depth=1
	ds_read2st64_b32 v[10:11], v6 offset1:2
	v_add_u32_e32 v5, -1, v5
	v_cmp_eq_u32_e32 vcc, 0, v5
	s_or_b64 s[12:13], vcc, s[12:13]
	s_waitcnt lgkmcnt(0)
	v_pk_mul_f32 v[10:11], v[2:3], v[10:11]
	ds_write2st64_b32 v6, v10, v11 offset1:2
	v_add_u32_e32 v6, 0x400, v6
	s_andn2_b64 exec, exec, s[12:13]
	s_cbranch_execnz .LBB309_41
.LBB309_42:
	s_or_b64 exec, exec, s[8:9]
	v_add_u32_e32 v4, 1, v4
	v_and_b32_e32 v5, 0x3fffffe, v4
	v_cmp_ne_u32_e32 vcc, v4, v5
	v_lshl_add_u32 v3, v5, 7, v0
	s_orn2_b64 s[8:9], vcc, exec
.LBB309_43:
	s_or_b64 exec, exec, s[2:3]
	s_and_b64 exec, exec, s[8:9]
	s_cbranch_execz .LBB309_46
; %bb.44:
	v_mov_b32_e32 v4, 0x90
	v_lshl_add_u32 v4, v3, 2, v4
	s_mov_b64 s[2:3], 0
.LBB309_45:                             ; =>This Inner Loop Header: Depth=1
	ds_read_b32 v5, v4
	v_add_u32_e32 v3, 0x80, v3
	v_cmp_le_i32_e32 vcc, s37, v3
	s_or_b64 s[2:3], vcc, s[2:3]
	s_waitcnt lgkmcnt(0)
	v_mul_f32_e32 v5, v2, v5
	ds_write_b32 v4, v5
	v_add_u32_e32 v4, 0x200, v4
	s_andn2_b64 exec, exec, s[2:3]
	s_cbranch_execnz .LBB309_45
.LBB309_46:
	s_or_b64 exec, exec, s[0:1]
	v_mov_b32_e32 v13, 0
	v_and_b32_e32 v24, 3, v0
	v_mov_b32_e32 v12, 0
	v_mov_b32_e32 v11, 0
	;; [unrolled: 1-line block ×3, first 2 shown]
	s_waitcnt lgkmcnt(0)
	s_barrier
	s_and_saveexec_b64 s[2:3], s[6:7]
	s_cbranch_execz .LBB309_60
; %bb.47:
	s_sub_i32 s18, s42, s21
	s_ashr_i32 s1, s43, 31
	s_add_u32 s0, s34, s43
	s_addc_u32 s1, s35, s1
	s_abs_i32 s19, s22
	v_cvt_f32_u32_e32 v2, s19
	v_and_b32_e32 v10, 0x1f8, v8
	v_mov_b32_e32 v11, 0
	v_lshl_add_u64 v[14:15], s[0:1], 0, v[10:11]
	v_rcp_iflag_f32_e32 v2, v2
	s_sub_i32 s0, 0, s19
	s_add_i32 s21, s20, -1
	v_and_b32_e32 v10, 60, v9
	v_mul_f32_e32 v2, 0x4f7ffffe, v2
	v_cvt_u32_f32_e32 v2, v2
	v_and_b32_e32 v25, 24, v8
	s_mov_b64 s[6:7], 0
	v_mov_b32_e32 v12, v11
	v_mul_lo_u32 v3, s0, v2
	v_mul_hi_u32 v3, v2, v3
	s_lshl_b64 s[0:1], s[30:31], 2
	v_add_u32_e32 v26, v2, v3
	s_add_u32 s0, s28, s0
	v_lshlrev_b32_e32 v2, 5, v24
	s_addc_u32 s1, s29, s1
	v_lshl_or_b32 v2, v1, 7, v2
	v_lshl_add_u64 v[16:17], s[0:1], 0, v[10:11]
	v_add_u32_e32 v27, 0x90, v2
	v_mov_b32_e32 v10, v11
	v_mov_b32_e32 v13, v11
	s_branch .LBB309_50
.LBB309_48:                             ;   in Loop: Header=BB309_50 Depth=1
	s_or_b64 exec, exec, s[0:1]
	v_cvt_pk_bf16_f32 v6, v6, s0
	v_cvt_pk_bf16_f32 v7, v7, s0
	;; [unrolled: 1-line block ×4, first 2 shown]
	v_lshlrev_b32_e32 v7, 16, v7
	v_lshlrev_b32_e32 v36, 16, v65
	v_lshlrev_b32_e32 v6, 16, v6
	v_lshlrev_b32_e32 v37, 16, v64
	v_mul_f32_e32 v36, v7, v36
	v_mul_f32_e32 v37, v6, v37
	v_lshlrev_b32_e32 v9, 16, v9
	v_lshlrev_b32_e32 v38, 16, v63
	;; [unrolled: 1-line block ×4, first 2 shown]
	v_cvt_pk_bf16_f32 v2, v2, s0
	v_cvt_pk_bf16_f32 v3, v3, s0
	;; [unrolled: 1-line block ×4, first 2 shown]
	v_mul_f32_e32 v38, v9, v38
	v_mul_f32_e32 v39, v8, v39
	v_lshlrev_b32_e32 v35, 16, v35
	v_lshlrev_b32_e32 v34, 16, v34
	v_lshlrev_b32_e32 v33, 16, v33
	v_lshlrev_b32_e32 v32, 16, v32
	v_cvt_pk_bf16_f32 v4, v4, s0
	v_cvt_pk_bf16_f32 v5, v5, s0
	;; [unrolled: 1-line block ×4, first 2 shown]
	v_lshlrev_b32_e32 v3, 16, v3
	v_lshlrev_b32_e32 v40, 16, v61
	;; [unrolled: 1-line block ×6, first 2 shown]
	v_mul_f32_e32 v35, v7, v35
	v_mul_f32_e32 v34, v6, v34
	;; [unrolled: 1-line block ×4, first 2 shown]
	v_lshlrev_b32_e32 v31, 16, v31
	v_lshlrev_b32_e32 v30, 16, v30
	v_mul_f32_e32 v40, v3, v40
	v_mul_f32_e32 v41, v2, v41
	v_lshlrev_b32_e32 v5, 16, v5
	v_lshlrev_b32_e32 v4, 16, v4
	v_add_f32_e32 v36, v37, v36
	v_lshlrev_b32_e32 v37, 16, v39
	v_lshlrev_b32_e32 v38, 16, v38
	v_cvt_pk_bf16_f32 v35, v35, s0
	v_cvt_pk_bf16_f32 v34, v34, s0
	;; [unrolled: 1-line block ×4, first 2 shown]
	v_mul_f32_e32 v31, v3, v31
	v_mul_f32_e32 v30, v2, v30
	v_lshlrev_b32_e32 v29, 16, v29
	v_lshlrev_b32_e32 v28, 16, v28
	v_cvt_pk_bf16_f32 v40, v40, s0
	v_cvt_pk_bf16_f32 v41, v41, s0
	v_lshlrev_b32_e32 v42, 16, v59
	v_lshlrev_b32_e32 v43, 16, v58
	v_add_f32_e32 v37, v37, v38
	v_cvt_pk_bf16_f32 v31, v31, s0
	v_cvt_pk_bf16_f32 v30, v30, s0
	v_mul_f32_e32 v29, v5, v29
	v_mul_f32_e32 v28, v4, v28
	v_lshlrev_b32_e32 v34, 16, v34
	v_lshlrev_b32_e32 v35, 16, v35
	;; [unrolled: 1-line block ×4, first 2 shown]
	v_mul_f32_e32 v42, v5, v42
	v_mul_f32_e32 v43, v4, v43
	v_add_f32_e32 v36, v37, v36
	v_lshlrev_b32_e32 v37, 16, v41
	v_lshlrev_b32_e32 v38, 16, v40
	v_cvt_pk_bf16_f32 v29, v29, s0
	v_cvt_pk_bf16_f32 v28, v28, s0
	v_add_f32_e32 v34, v34, v35
	v_add_f32_e32 v32, v32, v33
	v_lshlrev_b32_e32 v30, 16, v30
	v_lshlrev_b32_e32 v31, 16, v31
	v_cvt_pk_bf16_f32 v42, v42, s0
	v_cvt_pk_bf16_f32 v43, v43, s0
	v_add_f32_e32 v37, v37, v38
	v_add_f32_e32 v32, v32, v34
	;; [unrolled: 1-line block ×3, first 2 shown]
	v_lshlrev_b32_e32 v28, 16, v28
	v_lshlrev_b32_e32 v29, 16, v29
	v_add_f32_e32 v36, v37, v36
	v_lshlrev_b32_e32 v37, 16, v43
	v_lshlrev_b32_e32 v38, 16, v42
	v_add_f32_e32 v30, v30, v32
	v_add_f32_e32 v28, v28, v29
	;; [unrolled: 1-line block ×5, first 2 shown]
	v_lshlrev_b32_e32 v37, 16, v50
	v_add_f32_e32 v10, v10, v28
	v_lshlrev_b32_e32 v28, 16, v57
	v_add_f32_e32 v12, v12, v36
	v_lshlrev_b32_e32 v36, 16, v51
	v_mul_f32_e32 v37, v6, v37
	v_mul_f32_e32 v6, v6, v28
	v_lshlrev_b32_e32 v28, 16, v56
	v_mul_f32_e32 v36, v7, v36
	v_lshlrev_b32_e32 v39, 16, v48
	;; [unrolled: 2-line block ×3, first 2 shown]
	v_lshlrev_b32_e32 v38, 16, v49
	v_mul_f32_e32 v39, v8, v39
	v_mul_f32_e32 v8, v8, v28
	v_lshlrev_b32_e32 v28, 16, v54
	v_mul_f32_e32 v38, v9, v38
	v_lshlrev_b32_e32 v41, 16, v46
	;; [unrolled: 2-line block ×3, first 2 shown]
	v_mul_f32_e32 v41, v2, v41
	v_mul_f32_e32 v2, v2, v28
	v_cvt_pk_bf16_f32 v28, v2, s0
	v_lshlrev_b32_e32 v2, 16, v52
	v_mul_f32_e32 v2, v3, v2
	v_cvt_pk_bf16_f32 v36, v36, s0
	v_cvt_pk_bf16_f32 v37, v37, s0
	;; [unrolled: 1-line block ×3, first 2 shown]
	v_lshlrev_b32_e32 v2, 16, v19
	v_cvt_pk_bf16_f32 v38, v38, s0
	v_cvt_pk_bf16_f32 v39, v39, s0
	v_lshlrev_b32_e32 v40, 16, v47
	v_lshlrev_b32_e32 v37, 16, v37
	;; [unrolled: 1-line block ×3, first 2 shown]
	v_mul_f32_e32 v2, v4, v2
	v_mul_f32_e32 v40, v3, v40
	v_add_f32_e32 v36, v37, v36
	v_lshlrev_b32_e32 v37, 16, v39
	v_lshlrev_b32_e32 v38, 16, v38
	v_cvt_pk_bf16_f32 v19, v2, s0
	v_lshlrev_b32_e32 v2, 16, v18
	v_cvt_pk_bf16_f32 v40, v40, s0
	v_cvt_pk_bf16_f32 v41, v41, s0
	v_lshlrev_b32_e32 v42, 16, v45
	v_lshlrev_b32_e32 v43, 16, v44
	v_add_f32_e32 v37, v37, v38
	v_cvt_pk_bf16_f32 v6, v6, s0
	v_cvt_pk_bf16_f32 v7, v7, s0
	;; [unrolled: 1-line block ×4, first 2 shown]
	v_mul_f32_e32 v2, v5, v2
	v_mul_f32_e32 v42, v5, v42
	;; [unrolled: 1-line block ×3, first 2 shown]
	v_add_f32_e32 v36, v37, v36
	v_lshlrev_b32_e32 v37, 16, v41
	v_lshlrev_b32_e32 v38, 16, v40
	v_cvt_pk_bf16_f32 v18, v2, s0
	v_lshlrev_b32_e32 v3, 16, v7
	v_lshlrev_b32_e32 v5, 16, v6
	v_lshlrev_b32_e32 v2, 16, v9
	v_lshlrev_b32_e32 v4, 16, v8
	v_cvt_pk_bf16_f32 v42, v42, s0
	v_cvt_pk_bf16_f32 v43, v43, s0
	v_add_f32_e32 v37, v37, v38
	v_pk_add_f32 v[2:3], v[4:5], v[2:3]
	v_lshlrev_b32_e32 v5, 16, v29
	v_lshlrev_b32_e32 v7, 16, v28
	;; [unrolled: 1-line block ×4, first 2 shown]
	v_add_f32_e32 v36, v37, v36
	v_lshlrev_b32_e32 v37, 16, v43
	v_lshlrev_b32_e32 v38, 16, v42
	v_pk_add_f32 v[4:5], v[6:7], v[4:5]
	v_add_f32_e32 v2, v2, v3
	v_add_f32_e32 v37, v37, v38
	;; [unrolled: 1-line block ×7, first 2 shown]
.LBB309_49:                             ;   in Loop: Header=BB309_50 Depth=1
	s_or_b64 exec, exec, s[8:9]
	v_add_u32_e32 v1, 2, v1
	v_cmp_le_i32_e32 vcc, s20, v1
	v_lshl_add_u64 v[16:17], v[16:17], 0, 8
	v_add_u32_e32 v20, 64, v20
	s_or_b64 s[6:7], vcc, s[6:7]
	v_add_u32_e32 v27, 0x100, v27
	s_andn2_b64 exec, exec, s[6:7]
	s_cbranch_execz .LBB309_59
.LBB309_50:                             ; =>This Inner Loop Header: Depth=1
	v_mul_hi_u32 v2, v20, s25
	v_mul_lo_u32 v3, v2, s16
	v_sub_u32_e32 v3, v20, v3
	v_add_u32_e32 v4, 1, v2
	v_cmp_le_u32_e32 vcc, s16, v3
	s_nop 1
	v_cndmask_b32_e32 v2, v2, v4, vcc
	v_subrev_u32_e32 v4, s16, v3
	v_cndmask_b32_e32 v3, v3, v4, vcc
	v_add_u32_e32 v4, 1, v2
	v_cmp_le_u32_e32 vcc, s16, v3
	s_nop 1
	v_cndmask_b32_e32 v2, v2, v4, vcc
	v_xor_b32_e32 v2, s23, v2
	v_subrev_u32_e32 v2, s23, v2
	v_add_u32_e32 v3, s36, v2
	v_sub_u32_e32 v5, 0, v3
	v_ashrrev_i32_e32 v4, 31, v3
	v_max_i32_e32 v3, v3, v5
	v_mul_hi_u32 v5, v3, v26
	v_mul_lo_u32 v5, v5, s19
	v_sub_u32_e32 v3, v3, v5
	v_subrev_u32_e32 v5, s19, v3
	v_cmp_le_u32_e32 vcc, s19, v3
	v_cmp_lt_i32_e64 s[0:1], s18, v2
	s_nop 0
	v_cndmask_b32_e32 v3, v3, v5, vcc
	v_subrev_u32_e32 v5, s19, v3
	v_cmp_le_u32_e32 vcc, s19, v3
	s_nop 1
	v_cndmask_b32_e32 v3, v3, v5, vcc
	v_xor_b32_e32 v3, v3, v4
	v_sub_u32_e32 v3, v3, v4
	v_cmp_eq_u32_e32 vcc, 0, v3
	s_or_b64 s[0:1], vcc, s[0:1]
	s_and_saveexec_b64 s[8:9], s[0:1]
	s_cbranch_execz .LBB309_49
; %bb.51:                               ;   in Loop: Header=BB309_50 Depth=1
	global_load_dword v2, v[16:17], off
	v_add_u32_e32 v36, v25, v20
	v_cmp_eq_u32_e32 vcc, s21, v1
	v_add_u32_e32 v42, 1, v36
	v_add_u32_e32 v41, 2, v36
	;; [unrolled: 1-line block ×6, first 2 shown]
	s_waitcnt vmcnt(0)
	v_mad_i64_i32 v[18:19], s[0:1], v2, s17, v[14:15]
	global_load_dwordx2 v[28:29], v[18:19], off
	ds_read2_b64 v[6:9], v27 offset1:1
	ds_read2_b64 v[2:5], v27 offset0:2 offset1:3
	s_load_dword s22, s[14:15], 0x0
	s_waitcnt vmcnt(0)
	v_and_b32_e32 v30, 0xff, v28
	v_bfe_u32 v31, v28, 8, 8
	v_bfe_u32 v32, v28, 16, 8
	v_lshrrev_b32_e32 v28, 24, v28
	v_and_b32_e32 v33, 0xff, v29
	v_bfe_u32 v34, v29, 8, 8
	v_bfe_u32 v35, v29, 16, 8
	v_lshrrev_b32_e32 v29, 24, v29
	v_cvt_f32_fp8_e32 v30, v30
	v_cvt_f32_fp8_e32 v31, v31
	;; [unrolled: 1-line block ×8, first 2 shown]
	s_waitcnt lgkmcnt(0)
	v_mul_f32_e32 v30, s22, v30
	v_mul_f32_e32 v31, s22, v31
	;; [unrolled: 1-line block ×8, first 2 shown]
	v_cvt_pk_bf16_f32 v34, v30, s0
	v_cvt_pk_bf16_f32 v35, v31, s0
	;; [unrolled: 1-line block ×8, first 2 shown]
	v_add_u32_e32 v43, 7, v36
	s_and_saveexec_b64 s[12:13], vcc
	s_cbranch_execz .LBB309_53
; %bb.52:                               ;   in Loop: Header=BB309_50 Depth=1
	v_cmp_gt_i32_e64 s[0:1], s33, v36
	s_nop 1
	v_cndmask_b32_e64 v34, 0, v34, s[0:1]
	v_cmp_gt_i32_e64 s[0:1], s33, v42
	s_nop 1
	v_cndmask_b32_e64 v35, 0, v35, s[0:1]
	v_cmp_gt_i32_e64 s[0:1], s33, v41
	s_nop 1
	v_cndmask_b32_e64 v32, 0, v32, s[0:1]
	v_cmp_gt_i32_e64 s[0:1], s33, v40
	s_nop 1
	v_cndmask_b32_e64 v33, 0, v33, s[0:1]
	v_cmp_gt_i32_e64 s[0:1], s33, v39
	s_nop 1
	v_cndmask_b32_e64 v30, 0, v30, s[0:1]
	v_cmp_gt_i32_e64 s[0:1], s33, v38
	s_nop 1
	v_cndmask_b32_e64 v31, 0, v31, s[0:1]
	v_cmp_gt_i32_e64 s[0:1], s33, v37
	s_nop 1
	v_cndmask_b32_e64 v28, 0, v28, s[0:1]
	v_cmp_gt_i32_e64 s[0:1], s33, v43
	s_nop 1
	v_cndmask_b32_e64 v29, 0, v29, s[0:1]
.LBB309_53:                             ;   in Loop: Header=BB309_50 Depth=1
	s_or_b64 exec, exec, s[12:13]
	global_load_dwordx2 v[44:45], v[18:19], off offset:512
	s_waitcnt vmcnt(0)
	v_and_b32_e32 v46, 0xff, v44
	v_bfe_u32 v47, v44, 8, 8
	v_bfe_u32 v48, v44, 16, 8
	v_lshrrev_b32_e32 v44, 24, v44
	v_and_b32_e32 v49, 0xff, v45
	v_bfe_u32 v50, v45, 8, 8
	v_bfe_u32 v51, v45, 16, 8
	v_lshrrev_b32_e32 v45, 24, v45
	v_cvt_f32_fp8_e32 v46, v46
	v_cvt_f32_fp8_e32 v47, v47
	v_cvt_f32_fp8_e32 v48, v48
	v_cvt_f32_fp8_e32 v44, v44
	v_cvt_f32_fp8_e32 v49, v49
	v_cvt_f32_fp8_e32 v50, v50
	v_cvt_f32_fp8_e32 v51, v51
	v_cvt_f32_fp8_e32 v45, v45
	v_mul_f32_e32 v46, s22, v46
	v_mul_f32_e32 v47, s22, v47
	v_mul_f32_e32 v48, s22, v48
	v_mul_f32_e32 v44, s22, v44
	v_mul_f32_e32 v52, s22, v49
	v_mul_f32_e32 v53, s22, v50
	v_mul_f32_e32 v54, s22, v51
	v_mul_f32_e32 v45, s22, v45
	v_cvt_pk_bf16_f32 v50, v46, s0
	v_cvt_pk_bf16_f32 v51, v47, s0
	v_cvt_pk_bf16_f32 v48, v48, s0
	v_cvt_pk_bf16_f32 v49, v44, s0
	v_cvt_pk_bf16_f32 v46, v52, s0
	v_cvt_pk_bf16_f32 v47, v53, s0
	v_cvt_pk_bf16_f32 v44, v54, s0
	v_cvt_pk_bf16_f32 v45, v45, s0
	s_and_saveexec_b64 s[12:13], vcc
	s_cbranch_execz .LBB309_55
; %bb.54:                               ;   in Loop: Header=BB309_50 Depth=1
	v_cmp_gt_i32_e64 s[0:1], s33, v36
	s_nop 1
	v_cndmask_b32_e64 v50, 0, v50, s[0:1]
	v_cmp_gt_i32_e64 s[0:1], s33, v42
	s_nop 1
	v_cndmask_b32_e64 v51, 0, v51, s[0:1]
	v_cmp_gt_i32_e64 s[0:1], s33, v41
	s_nop 1
	v_cndmask_b32_e64 v48, 0, v48, s[0:1]
	v_cmp_gt_i32_e64 s[0:1], s33, v40
	s_nop 1
	v_cndmask_b32_e64 v49, 0, v49, s[0:1]
	v_cmp_gt_i32_e64 s[0:1], s33, v39
	s_nop 1
	v_cndmask_b32_e64 v46, 0, v46, s[0:1]
	v_cmp_gt_i32_e64 s[0:1], s33, v38
	s_nop 1
	v_cndmask_b32_e64 v47, 0, v47, s[0:1]
	v_cmp_gt_i32_e64 s[0:1], s33, v37
	s_nop 1
	v_cndmask_b32_e64 v44, 0, v44, s[0:1]
	v_cmp_gt_i32_e64 s[0:1], s33, v43
	s_nop 1
	v_cndmask_b32_e64 v45, 0, v45, s[0:1]
.LBB309_55:                             ;   in Loop: Header=BB309_50 Depth=1
	s_or_b64 exec, exec, s[12:13]
	global_load_dwordx2 v[52:53], v[18:19], off offset:1024
	s_waitcnt vmcnt(0)
	v_and_b32_e32 v54, 0xff, v52
	v_bfe_u32 v55, v52, 8, 8
	v_bfe_u32 v56, v52, 16, 8
	v_lshrrev_b32_e32 v52, 24, v52
	v_and_b32_e32 v57, 0xff, v53
	v_bfe_u32 v58, v53, 8, 8
	v_bfe_u32 v59, v53, 16, 8
	v_lshrrev_b32_e32 v53, 24, v53
	v_cvt_f32_fp8_e32 v54, v54
	v_cvt_f32_fp8_e32 v55, v55
	v_cvt_f32_fp8_e32 v56, v56
	v_cvt_f32_fp8_e32 v52, v52
	v_cvt_f32_fp8_e32 v57, v57
	v_cvt_f32_fp8_e32 v58, v58
	v_cvt_f32_fp8_e32 v59, v59
	v_cvt_f32_fp8_e32 v53, v53
	v_mul_f32_e32 v54, s22, v54
	v_mul_f32_e32 v55, s22, v55
	v_mul_f32_e32 v56, s22, v56
	v_mul_f32_e32 v52, s22, v52
	v_mul_f32_e32 v57, s22, v57
	v_mul_f32_e32 v58, s22, v58
	v_mul_f32_e32 v59, s22, v59
	v_mul_f32_e32 v53, s22, v53
	v_cvt_pk_bf16_f32 v64, v54, s0
	v_cvt_pk_bf16_f32 v65, v55, s0
	v_cvt_pk_bf16_f32 v62, v56, s0
	v_cvt_pk_bf16_f32 v63, v52, s0
	v_cvt_pk_bf16_f32 v60, v57, s0
	v_cvt_pk_bf16_f32 v61, v58, s0
	v_cvt_pk_bf16_f32 v58, v59, s0
	v_cvt_pk_bf16_f32 v59, v53, s0
	;; [unrolled: 63-line block ×3, first 2 shown]
	s_and_saveexec_b64 s[0:1], vcc
	s_cbranch_execz .LBB309_48
; %bb.58:                               ;   in Loop: Header=BB309_50 Depth=1
	v_cmp_gt_i32_e32 vcc, s33, v36
	s_nop 1
	v_cndmask_b32_e32 v57, 0, v57, vcc
	v_cmp_gt_i32_e32 vcc, s33, v42
	s_nop 1
	v_cndmask_b32_e32 v56, 0, v56, vcc
	;; [unrolled: 3-line block ×8, first 2 shown]
	s_branch .LBB309_48
.LBB309_59:
	s_or_b64 exec, exec, s[6:7]
.LBB309_60:
	s_or_b64 exec, exec, s[2:3]
	ds_bpermute_b32 v2, v22, v10
	ds_bpermute_b32 v3, v22, v11
	;; [unrolled: 1-line block ×4, first 2 shown]
	v_and_b32_e32 v1, 0x3c3, v0
	v_cmp_ne_u32_e32 vcc, 64, v1
	s_waitcnt lgkmcnt(2)
	v_pk_add_f32 v[2:3], v[10:11], v[2:3]
	ds_bpermute_b32 v8, v23, v2
	ds_bpermute_b32 v9, v23, v3
	s_waitcnt lgkmcnt(2)
	v_pk_add_f32 v[4:5], v[12:13], v[4:5]
	ds_bpermute_b32 v6, v23, v4
	ds_bpermute_b32 v7, v23, v5
	s_waitcnt lgkmcnt(0)
	v_pk_add_f32 v[2:3], v[2:3], v[8:9]
	s_barrier
	s_and_saveexec_b64 s[0:1], vcc
	s_xor_b64 s[0:1], exec, s[0:1]
; %bb.61:
                                        ; implicit-def: $vgpr21
; %bb.62:
	s_or_saveexec_b64 s[0:1], s[0:1]
	v_pk_add_f32 v[4:5], v[4:5], v[6:7]
	s_xor_b64 exec, exec, s[0:1]
	s_cbranch_execz .LBB309_64
; %bb.63:
	v_add_u32_e32 v6, 0x90, v21
	ds_write2_b32 v6, v2, v3 offset1:16
	ds_write2_b32 v6, v4, v5 offset0:32 offset1:48
.LBB309_64:
	s_or_b64 exec, exec, s[0:1]
	v_cmp_gt_u32_e32 vcc, 64, v0
	v_lshrrev_b32_e32 v0, 2, v0
	s_waitcnt lgkmcnt(0)
	s_barrier
	s_and_saveexec_b64 s[0:1], vcc
	s_cbranch_execz .LBB309_71
; %bb.65:
	v_mov_b32_e32 v6, 0x90
	v_cmp_eq_u32_e32 vcc, 0, v24
	v_lshl_add_u32 v6, v0, 2, v6
	s_and_saveexec_b64 s[2:3], vcc
	s_cbranch_execnz .LBB309_74
; %bb.66:
	s_or_b64 exec, exec, s[2:3]
	s_and_saveexec_b64 s[2:3], vcc
	s_cbranch_execnz .LBB309_75
.LBB309_67:
	s_or_b64 exec, exec, s[2:3]
	s_and_saveexec_b64 s[2:3], vcc
	s_cbranch_execnz .LBB309_76
.LBB309_68:
	s_or_b64 exec, exec, s[2:3]
	s_and_saveexec_b64 s[2:3], vcc
	s_cbranch_execz .LBB309_70
.LBB309_69:
	ds_read_b32 v6, v6 offset:192
	s_waitcnt lgkmcnt(0)
	v_add_f32_e32 v5, v5, v6
.LBB309_70:
	s_or_b64 exec, exec, s[2:3]
.LBB309_71:
	s_or_b64 exec, exec, s[0:1]
	v_cmp_eq_u32_e32 vcc, 0, v1
	s_barrier
	s_and_saveexec_b64 s[0:1], vcc
	s_cbranch_execz .LBB309_73
; %bb.72:
	s_mul_i32 s0, s10, s11
	s_mul_i32 s0, s0, s5
	s_lshl_b32 s0, s0, 6
	s_ashr_i32 s1, s0, 31
	s_lshl_b64 s[0:1], s[0:1], 1
	s_add_u32 s2, s26, s0
	s_mul_i32 s0, s11, s24
	s_addc_u32 s3, s27, s1
	s_ashr_i32 s1, s0, 31
	s_lshl_b64 s[0:1], s[0:1], 1
	s_add_u32 s2, s2, s0
	s_addc_u32 s3, s3, s1
	s_lshl_b32 s0, s4, 6
	s_ashr_i32 s1, s0, 31
	s_lshl_b64 s[0:1], s[0:1], 1
	s_add_u32 s0, s2, s0
	s_addc_u32 s1, s3, s1
	v_lshlrev_b32_e32 v0, 1, v0
	v_cvt_pk_bf16_f32 v1, v2, s0
	global_store_short v0, v1, s[0:1]
	v_cvt_pk_bf16_f32 v1, v3, s0
	global_store_short v0, v1, s[0:1] offset:32
	v_cvt_pk_bf16_f32 v1, v4, s0
	global_store_short v0, v1, s[0:1] offset:64
	;; [unrolled: 2-line block ×3, first 2 shown]
.LBB309_73:
	s_endpgm
.LBB309_74:
	ds_read_b32 v7, v6
	s_waitcnt lgkmcnt(0)
	v_add_f32_e32 v2, v2, v7
	s_or_b64 exec, exec, s[2:3]
	s_and_saveexec_b64 s[2:3], vcc
	s_cbranch_execz .LBB309_67
.LBB309_75:
	ds_read_b32 v7, v6 offset:64
	s_waitcnt lgkmcnt(0)
	v_add_f32_e32 v3, v3, v7
	s_or_b64 exec, exec, s[2:3]
	s_and_saveexec_b64 s[2:3], vcc
	s_cbranch_execz .LBB309_68
.LBB309_76:
	ds_read_b32 v7, v6 offset:128
	s_waitcnt lgkmcnt(0)
	v_add_f32_e32 v4, v4, v7
	s_or_b64 exec, exec, s[2:3]
	s_and_saveexec_b64 s[2:3], vcc
	s_cbranch_execnz .LBB309_69
	s_branch .LBB309_70
	.section	.rodata,"a",@progbits
	.p2align	6, 0x0
	.amdhsa_kernel _ZN4vllm25paged_attention_v1_kernelI14__hip_bfloat16hLi64ELi32ELi128ELNS_18Fp8KVCacheDataTypeE1ELb1EEEvPT_PKS3_PKT0_S9_ifPKiSB_iPKfiiiSD_SD_iiiii
		.amdhsa_group_segment_fixed_size 144
		.amdhsa_private_segment_fixed_size 0
		.amdhsa_kernarg_size 384
		.amdhsa_user_sgpr_count 2
		.amdhsa_user_sgpr_dispatch_ptr 0
		.amdhsa_user_sgpr_queue_ptr 0
		.amdhsa_user_sgpr_kernarg_segment_ptr 1
		.amdhsa_user_sgpr_dispatch_id 0
		.amdhsa_user_sgpr_kernarg_preload_length 0
		.amdhsa_user_sgpr_kernarg_preload_offset 0
		.amdhsa_user_sgpr_private_segment_size 0
		.amdhsa_uses_dynamic_stack 0
		.amdhsa_enable_private_segment 0
		.amdhsa_system_sgpr_workgroup_id_x 1
		.amdhsa_system_sgpr_workgroup_id_y 1
		.amdhsa_system_sgpr_workgroup_id_z 1
		.amdhsa_system_sgpr_workgroup_info 0
		.amdhsa_system_vgpr_workitem_id 0
		.amdhsa_next_free_vgpr 84
		.amdhsa_next_free_sgpr 48
		.amdhsa_accum_offset 84
		.amdhsa_reserve_vcc 1
		.amdhsa_float_round_mode_32 0
		.amdhsa_float_round_mode_16_64 0
		.amdhsa_float_denorm_mode_32 3
		.amdhsa_float_denorm_mode_16_64 3
		.amdhsa_dx10_clamp 1
		.amdhsa_ieee_mode 1
		.amdhsa_fp16_overflow 0
		.amdhsa_tg_split 0
		.amdhsa_exception_fp_ieee_invalid_op 0
		.amdhsa_exception_fp_denorm_src 0
		.amdhsa_exception_fp_ieee_div_zero 0
		.amdhsa_exception_fp_ieee_overflow 0
		.amdhsa_exception_fp_ieee_underflow 0
		.amdhsa_exception_fp_ieee_inexact 0
		.amdhsa_exception_int_div_zero 0
	.end_amdhsa_kernel
	.section	.text._ZN4vllm25paged_attention_v1_kernelI14__hip_bfloat16hLi64ELi32ELi128ELNS_18Fp8KVCacheDataTypeE1ELb1EEEvPT_PKS3_PKT0_S9_ifPKiSB_iPKfiiiSD_SD_iiiii,"axG",@progbits,_ZN4vllm25paged_attention_v1_kernelI14__hip_bfloat16hLi64ELi32ELi128ELNS_18Fp8KVCacheDataTypeE1ELb1EEEvPT_PKS3_PKT0_S9_ifPKiSB_iPKfiiiSD_SD_iiiii,comdat
.Lfunc_end309:
	.size	_ZN4vllm25paged_attention_v1_kernelI14__hip_bfloat16hLi64ELi32ELi128ELNS_18Fp8KVCacheDataTypeE1ELb1EEEvPT_PKS3_PKT0_S9_ifPKiSB_iPKfiiiSD_SD_iiiii, .Lfunc_end309-_ZN4vllm25paged_attention_v1_kernelI14__hip_bfloat16hLi64ELi32ELi128ELNS_18Fp8KVCacheDataTypeE1ELb1EEEvPT_PKS3_PKT0_S9_ifPKiSB_iPKfiiiSD_SD_iiiii
                                        ; -- End function
	.set _ZN4vllm25paged_attention_v1_kernelI14__hip_bfloat16hLi64ELi32ELi128ELNS_18Fp8KVCacheDataTypeE1ELb1EEEvPT_PKS3_PKT0_S9_ifPKiSB_iPKfiiiSD_SD_iiiii.num_vgpr, 84
	.set _ZN4vllm25paged_attention_v1_kernelI14__hip_bfloat16hLi64ELi32ELi128ELNS_18Fp8KVCacheDataTypeE1ELb1EEEvPT_PKS3_PKT0_S9_ifPKiSB_iPKfiiiSD_SD_iiiii.num_agpr, 0
	.set _ZN4vllm25paged_attention_v1_kernelI14__hip_bfloat16hLi64ELi32ELi128ELNS_18Fp8KVCacheDataTypeE1ELb1EEEvPT_PKS3_PKT0_S9_ifPKiSB_iPKfiiiSD_SD_iiiii.numbered_sgpr, 48
	.set _ZN4vllm25paged_attention_v1_kernelI14__hip_bfloat16hLi64ELi32ELi128ELNS_18Fp8KVCacheDataTypeE1ELb1EEEvPT_PKS3_PKT0_S9_ifPKiSB_iPKfiiiSD_SD_iiiii.num_named_barrier, 0
	.set _ZN4vllm25paged_attention_v1_kernelI14__hip_bfloat16hLi64ELi32ELi128ELNS_18Fp8KVCacheDataTypeE1ELb1EEEvPT_PKS3_PKT0_S9_ifPKiSB_iPKfiiiSD_SD_iiiii.private_seg_size, 0
	.set _ZN4vllm25paged_attention_v1_kernelI14__hip_bfloat16hLi64ELi32ELi128ELNS_18Fp8KVCacheDataTypeE1ELb1EEEvPT_PKS3_PKT0_S9_ifPKiSB_iPKfiiiSD_SD_iiiii.uses_vcc, 1
	.set _ZN4vllm25paged_attention_v1_kernelI14__hip_bfloat16hLi64ELi32ELi128ELNS_18Fp8KVCacheDataTypeE1ELb1EEEvPT_PKS3_PKT0_S9_ifPKiSB_iPKfiiiSD_SD_iiiii.uses_flat_scratch, 0
	.set _ZN4vllm25paged_attention_v1_kernelI14__hip_bfloat16hLi64ELi32ELi128ELNS_18Fp8KVCacheDataTypeE1ELb1EEEvPT_PKS3_PKT0_S9_ifPKiSB_iPKfiiiSD_SD_iiiii.has_dyn_sized_stack, 0
	.set _ZN4vllm25paged_attention_v1_kernelI14__hip_bfloat16hLi64ELi32ELi128ELNS_18Fp8KVCacheDataTypeE1ELb1EEEvPT_PKS3_PKT0_S9_ifPKiSB_iPKfiiiSD_SD_iiiii.has_recursion, 0
	.set _ZN4vllm25paged_attention_v1_kernelI14__hip_bfloat16hLi64ELi32ELi128ELNS_18Fp8KVCacheDataTypeE1ELb1EEEvPT_PKS3_PKT0_S9_ifPKiSB_iPKfiiiSD_SD_iiiii.has_indirect_call, 0
	.section	.AMDGPU.csdata,"",@progbits
; Kernel info:
; codeLenInByte = 7440
; TotalNumSgprs: 54
; NumVgprs: 84
; NumAgprs: 0
; TotalNumVgprs: 84
; ScratchSize: 0
; MemoryBound: 0
; FloatMode: 240
; IeeeMode: 1
; LDSByteSize: 144 bytes/workgroup (compile time only)
; SGPRBlocks: 6
; VGPRBlocks: 10
; NumSGPRsForWavesPerEU: 54
; NumVGPRsForWavesPerEU: 84
; AccumOffset: 84
; Occupancy: 5
; WaveLimiterHint : 1
; COMPUTE_PGM_RSRC2:SCRATCH_EN: 0
; COMPUTE_PGM_RSRC2:USER_SGPR: 2
; COMPUTE_PGM_RSRC2:TRAP_HANDLER: 0
; COMPUTE_PGM_RSRC2:TGID_X_EN: 1
; COMPUTE_PGM_RSRC2:TGID_Y_EN: 1
; COMPUTE_PGM_RSRC2:TGID_Z_EN: 1
; COMPUTE_PGM_RSRC2:TIDIG_COMP_CNT: 0
; COMPUTE_PGM_RSRC3_GFX90A:ACCUM_OFFSET: 20
; COMPUTE_PGM_RSRC3_GFX90A:TG_SPLIT: 0
	.section	.text._ZN4vllm25paged_attention_v1_kernelI14__hip_bfloat16hLi80ELi32ELi128ELNS_18Fp8KVCacheDataTypeE1ELb1EEEvPT_PKS3_PKT0_S9_ifPKiSB_iPKfiiiSD_SD_iiiii,"axG",@progbits,_ZN4vllm25paged_attention_v1_kernelI14__hip_bfloat16hLi80ELi32ELi128ELNS_18Fp8KVCacheDataTypeE1ELb1EEEvPT_PKS3_PKT0_S9_ifPKiSB_iPKfiiiSD_SD_iiiii,comdat
	.protected	_ZN4vllm25paged_attention_v1_kernelI14__hip_bfloat16hLi80ELi32ELi128ELNS_18Fp8KVCacheDataTypeE1ELb1EEEvPT_PKS3_PKT0_S9_ifPKiSB_iPKfiiiSD_SD_iiiii ; -- Begin function _ZN4vllm25paged_attention_v1_kernelI14__hip_bfloat16hLi80ELi32ELi128ELNS_18Fp8KVCacheDataTypeE1ELb1EEEvPT_PKS3_PKT0_S9_ifPKiSB_iPKfiiiSD_SD_iiiii
	.globl	_ZN4vllm25paged_attention_v1_kernelI14__hip_bfloat16hLi80ELi32ELi128ELNS_18Fp8KVCacheDataTypeE1ELb1EEEvPT_PKS3_PKT0_S9_ifPKiSB_iPKfiiiSD_SD_iiiii
	.p2align	8
	.type	_ZN4vllm25paged_attention_v1_kernelI14__hip_bfloat16hLi80ELi32ELi128ELNS_18Fp8KVCacheDataTypeE1ELb1EEEvPT_PKS3_PKT0_S9_ifPKiSB_iPKfiiiSD_SD_iiiii,@function
_ZN4vllm25paged_attention_v1_kernelI14__hip_bfloat16hLi80ELi32ELi128ELNS_18Fp8KVCacheDataTypeE1ELb1EEEvPT_PKS3_PKT0_S9_ifPKiSB_iPKfiiiSD_SD_iiiii: ; @_ZN4vllm25paged_attention_v1_kernelI14__hip_bfloat16hLi80ELi32ELi128ELNS_18Fp8KVCacheDataTypeE1ELb1EEEvPT_PKS3_PKT0_S9_ifPKiSB_iPKfiiiSD_SD_iiiii
; %bb.0:
	s_load_dword s5, s[0:1], 0x80
	s_load_dwordx2 s[6:7], s[0:1], 0x30
	s_load_dwordx2 s[36:37], s[0:1], 0x20
	s_mov_b32 s10, s3
	s_ashr_i32 s11, s3, 31
	s_lshl_b64 s[8:9], s[10:11], 2
	s_waitcnt lgkmcnt(0)
	s_add_u32 s6, s6, s8
	s_addc_u32 s7, s7, s9
	s_abs_i32 s3, s36
	v_cvt_f32_u32_e32 v1, s3
	s_sub_i32 s11, 0, s3
	s_abs_i32 s9, s5
	s_xor_b32 s8, s5, s36
	v_rcp_iflag_f32_e32 v1, v1
	s_ashr_i32 s8, s8, 31
	s_mov_b32 s44, 0
	v_mul_f32_e32 v1, 0x4f7ffffe, v1
	v_cvt_u32_f32_e32 v1, v1
	s_nop 0
	v_readfirstlane_b32 s12, v1
	s_mul_i32 s11, s11, s12
	s_mul_hi_u32 s11, s12, s11
	s_add_i32 s12, s12, s11
	s_mul_hi_u32 s11, s9, s12
	s_mul_i32 s12, s11, s3
	s_sub_i32 s9, s9, s12
	s_add_i32 s12, s11, 1
	s_sub_i32 s13, s9, s3
	s_cmp_ge_u32 s9, s3
	s_cselect_b32 s11, s12, s11
	s_cselect_b32 s9, s13, s9
	s_add_i32 s12, s11, 1
	s_cmp_ge_u32 s9, s3
	s_cselect_b32 s3, s12, s11
	s_xor_b32 s3, s3, s8
	s_sub_i32 s14, s3, s8
	s_abs_i32 s11, s14
	v_cvt_f32_u32_e32 v1, s11
	s_load_dwordx2 s[8:9], s[0:1], 0x40
	s_sub_i32 s3, 0, s11
	s_abs_i32 s12, s2
	v_rcp_iflag_f32_e32 v1, v1
	s_nop 0
	v_mul_f32_e32 v1, 0x4f7ffffe, v1
	v_cvt_u32_f32_e32 v1, v1
	s_nop 0
	v_readfirstlane_b32 s13, v1
	s_mul_i32 s3, s3, s13
	s_mul_hi_u32 s3, s13, s3
	s_add_i32 s13, s13, s3
	s_waitcnt lgkmcnt(0)
	s_cmp_eq_u64 s[8:9], 0
	s_mul_hi_u32 s13, s12, s13
	s_cbranch_scc1 .LBB310_2
; %bb.1:
	s_ashr_i32 s3, s2, 31
	s_lshl_b64 s[16:17], s[2:3], 2
	s_add_u32 s8, s8, s16
	s_addc_u32 s9, s9, s17
	s_load_dword s44, s[8:9], 0x0
.LBB310_2:
	s_load_dword s33, s[6:7], 0x0
	s_load_dwordx4 s[16:19], s[0:1], 0x48
	s_ashr_i32 s8, s2, 31
	s_ashr_i32 s9, s14, 31
	v_and_b32_e32 v2, 1, v0
	s_movk_i32 s3, 0x50
	s_mul_i32 s24, s2, 0x50
	v_cmp_gt_u32_e32 vcc, 20, v0
	v_lshlrev_b32_e32 v8, 3, v0
	s_and_saveexec_b64 s[6:7], vcc
	s_cbranch_execz .LBB310_4
; %bb.3:
	s_load_dwordx2 s[14:15], s[0:1], 0x8
	s_waitcnt lgkmcnt(0)
	s_mul_i32 s20, s16, s10
	s_ashr_i32 s21, s20, 31
	s_lshl_b64 s[20:21], s[20:21], 1
	v_lshlrev_b32_e32 v1, 2, v0
	s_add_u32 s16, s14, s20
	s_addc_u32 s19, s15, s21
	s_ashr_i32 s25, s24, 31
	s_lshl_b64 s[14:15], s[24:25], 1
	s_add_u32 s14, s16, s14
	s_addc_u32 s15, s19, s15
	global_load_dwordx2 v[4:5], v8, s[14:15]
	v_and_b32_e32 v1, 0xff8, v1
	v_mad_u32_u24 v1, v2, s3, v1
	s_waitcnt vmcnt(0)
	ds_write_b64 v1, v[4:5]
.LBB310_4:
	s_or_b64 exec, exec, s[6:7]
	s_mul_i32 s7, s13, s11
	s_sub_i32 s7, s12, s7
	s_xor_b32 s6, s8, s9
	s_add_i32 s8, s13, 1
	s_sub_i32 s9, s7, s11
	s_load_dwordx4 s[20:23], s[0:1], 0x68
	s_load_dword s3, s[0:1], 0x78
	s_cmp_ge_u32 s7, s11
	s_cselect_b32 s8, s8, s13
	s_cselect_b32 s7, s9, s7
	s_add_i32 s9, s8, 1
	s_cmp_ge_u32 s7, s11
	s_cselect_b32 s7, s9, s8
	s_waitcnt lgkmcnt(0)
	s_abs_i32 s16, s23
	v_cvt_f32_u32_e32 v1, s16
	s_xor_b32 s7, s7, s6
	s_sub_i32 s43, s7, s6
	s_sub_i32 s6, 0, s16
	v_rcp_iflag_f32_e32 v1, v1
	s_add_i32 s11, s33, -1
	s_abs_i32 s8, s11
	v_mul_f32_e32 v1, 0x4f7ffffe, v1
	v_cvt_u32_f32_e32 v1, v1
	s_barrier
	v_readfirstlane_b32 s25, v1
	s_mul_i32 s6, s6, s25
	s_mul_hi_u32 s6, s25, s6
	s_add_i32 s25, s25, s6
	s_cmp_lt_i32 s3, 0
	s_mul_hi_u32 s9, s8, s25
	s_cbranch_scc0 .LBB310_6
; %bb.5:
	s_mul_i32 s6, s20, s36
	s_add_i32 s6, s43, s6
	s_mul_i32 s6, s6, s3
	s_sub_i32 s36, 1, s6
	s_mov_b64 s[6:7], 0
	s_branch .LBB310_7
.LBB310_6:
	s_mov_b64 s[6:7], -1
                                        ; implicit-def: $sgpr36
.LBB310_7:
	s_load_dwordx2 s[28:29], s[0:1], 0x28
	s_ashr_i32 s19, s11, 31
	s_andn2_b64 vcc, exec, s[6:7]
	s_ashr_i32 s23, s23, 31
	s_cbranch_vccnz .LBB310_9
; %bb.8:
	s_mul_i32 s6, s5, s20
	s_add_i32 s2, s6, s2
	s_mul_i32 s2, s2, s3
	s_add_i32 s36, s2, 1
.LBB310_9:
	s_load_dword s2, s[0:1], 0x38
	s_load_dwordx2 s[26:27], s[0:1], 0x0
	s_load_dwordx2 s[34:35], s[0:1], 0x18
	s_load_dword s11, s[0:1], 0x88
	s_load_dwordx4 s[12:15], s[0:1], 0x58
	s_mul_i32 s3, s9, s16
	s_waitcnt lgkmcnt(0)
	s_mul_i32 s30, s2, s10
	s_sub_i32 s3, s8, s3
	s_ashr_i32 s31, s30, 31
	s_xor_b32 s2, s19, s23
	s_add_i32 s6, s9, 1
	s_sub_i32 s7, s3, s16
	s_cmp_ge_u32 s3, s16
	s_cselect_b32 s6, s6, s9
	s_cselect_b32 s3, s7, s3
	s_add_i32 s7, s6, 1
	s_cmp_ge_u32 s3, s16
	s_cselect_b32 s3, s7, s6
	s_xor_b32 s3, s3, s2
	s_sub_i32 s42, s3, s2
	s_add_i32 s2, s33, 31
	s_ashr_i32 s3, s2, 31
	s_lshr_b32 s3, s3, 27
	s_add_i32 s2, s2, s3
	s_ashr_i32 s20, s2, 5
	v_lshrrev_b32_e32 v1, 6, v0
	v_cmp_gt_i32_e64 s[6:7], s20, v1
	v_mov_b32_e32 v13, 0xff7fffff
	s_mul_i32 s43, s43, s18
	v_lshrrev_b32_e32 v9, 4, v0
	v_lshlrev_b32_e32 v22, 5, v1
	v_mbcnt_lo_u32_b32 v10, -1, 0
	s_and_saveexec_b64 s[18:19], s[6:7]
	s_cbranch_execz .LBB310_21
; %bb.10:
	s_load_dwordx2 s[0:1], s[0:1], 0x10
	s_sub_i32 s45, s42, s21
	s_ashr_i32 s2, s43, 31
	v_bfe_u32 v11, v0, 1, 5
	v_mov_b32_e32 v5, 0
	s_waitcnt lgkmcnt(0)
	s_add_u32 s0, s0, s43
	s_addc_u32 s1, s1, s2
	s_abs_i32 s46, s22
	v_cvt_f32_u32_e32 v3, s46
	v_lshlrev_b32_e32 v4, 4, v11
	v_lshl_add_u64 v[6:7], s[0:1], 0, v[4:5]
	s_sub_i32 s0, 0, s46
	v_rcp_iflag_f32_e32 v3, v3
	v_cmp_eq_u32_e32 vcc, 0, v2
	v_mul_u32_u24_e32 v12, 0x50, v2
	v_lshlrev_b32_e32 v4, 2, v2
	v_mul_f32_e32 v3, 0x4f7ffffe, v3
	v_cvt_u32_f32_e32 v3, v3
	v_mbcnt_hi_u32_b32 v19, -1, v10
	s_mov_b32 s47, s17
	v_cmp_neq_f32_e64 s[2:3], s44, 0
	v_mul_lo_u32 v2, s0, v3
	v_mul_hi_u32 v2, v3, v2
	v_add_u32_e32 v14, v3, v2
	v_lshl_add_u64 v[2:3], v[6:7], 0, v[4:5]
	v_subrev_u32_e32 v6, s33, v11
	s_lshl_b64 s[0:1], s[30:31], 2
	v_add_u32_e32 v16, 1, v6
	v_lshlrev_b32_e32 v6, 2, v11
	s_add_u32 s0, s28, s0
	v_lshl_or_b32 v6, v1, 7, v6
	v_and_b32_e32 v4, 60, v9
	s_addc_u32 s1, s29, s1
	v_add_u32_e32 v17, 0xb0, v6
	v_and_b32_e32 v6, 64, v19
	v_lshl_add_u64 v[4:5], s[0:1], 0, v[4:5]
	v_lshlrev_b32_e32 v15, 5, v1
	v_mov_b32_e32 v18, 0xff7fffff
	s_mov_b64 s[38:39], 0
	v_xor_b32_e32 v20, 1, v19
	v_add_u32_e32 v21, 64, v6
	v_mov_b32_e32 v13, 0xff7fffff
	v_mov_b32_e32 v23, v1
	s_branch .LBB310_13
.LBB310_11:                             ;   in Loop: Header=BB310_13 Depth=1
	s_or_b64 exec, exec, s[40:41]
.LBB310_12:                             ;   in Loop: Header=BB310_13 Depth=1
	s_or_b64 exec, exec, s[8:9]
	v_add_u32_e32 v23, 2, v23
	v_cmp_le_i32_e64 s[0:1], s20, v23
	v_lshl_add_u64 v[4:5], v[4:5], 0, 8
	v_add_u32_e32 v15, 64, v15
	s_or_b64 s[38:39], s[0:1], s[38:39]
	v_add_u32_e32 v17, 0x100, v17
	s_andn2_b64 exec, exec, s[38:39]
	s_cbranch_execz .LBB310_20
.LBB310_13:                             ; =>This Inner Loop Header: Depth=1
	v_mul_hi_u32 v6, v15, s25
	s_waitcnt lgkmcnt(0)
	v_mul_lo_u32 v7, v6, s16
	v_sub_u32_e32 v7, v15, v7
	v_add_u32_e32 v24, 1, v6
	v_cmp_le_u32_e64 s[0:1], s16, v7
	s_nop 1
	v_cndmask_b32_e64 v6, v6, v24, s[0:1]
	v_subrev_u32_e32 v24, s16, v7
	v_cndmask_b32_e64 v7, v7, v24, s[0:1]
	v_add_u32_e32 v24, 1, v6
	v_cmp_le_u32_e64 s[0:1], s16, v7
	s_nop 1
	v_cndmask_b32_e64 v6, v6, v24, s[0:1]
	v_xor_b32_e32 v6, s23, v6
	v_subrev_u32_e32 v6, s23, v6
	v_add_u32_e32 v7, s36, v6
	v_sub_u32_e32 v25, 0, v7
	v_ashrrev_i32_e32 v24, 31, v7
	v_max_i32_e32 v7, v7, v25
	v_mul_hi_u32 v25, v7, v14
	v_mul_lo_u32 v25, v25, s46
	v_sub_u32_e32 v7, v7, v25
	v_subrev_u32_e32 v25, s46, v7
	v_cmp_le_u32_e64 s[0:1], s46, v7
	v_cmp_ge_i32_e64 s[8:9], s45, v6
	s_nop 0
	v_cndmask_b32_e64 v7, v7, v25, s[0:1]
	v_subrev_u32_e32 v25, s46, v7
	v_cmp_le_u32_e64 s[0:1], s46, v7
	s_nop 1
	v_cndmask_b32_e64 v7, v7, v25, s[0:1]
	v_xor_b32_e32 v7, v7, v24
	v_sub_u32_e32 v7, v7, v24
	v_cmp_ne_u32_e64 s[0:1], 0, v7
	s_and_b64 s[0:1], s[0:1], s[8:9]
	s_and_saveexec_b64 s[8:9], s[0:1]
	s_xor_b64 s[0:1], exec, s[8:9]
	s_cbranch_execz .LBB310_17
; %bb.14:                               ;   in Loop: Header=BB310_13 Depth=1
	s_and_saveexec_b64 s[8:9], vcc
; %bb.15:                               ;   in Loop: Header=BB310_13 Depth=1
	ds_write_b32 v17, v18
; %bb.16:                               ;   in Loop: Header=BB310_13 Depth=1
	s_or_b64 exec, exec, s[8:9]
.LBB310_17:                             ;   in Loop: Header=BB310_13 Depth=1
	s_andn2_saveexec_b64 s[8:9], s[0:1]
	s_cbranch_execz .LBB310_12
; %bb.18:                               ;   in Loop: Header=BB310_13 Depth=1
	global_load_dword v6, v[4:5], off
	s_waitcnt vmcnt(0)
	v_mad_i64_i32 v[6:7], s[0:1], v6, s47, v[2:3]
	global_load_dword v40, v[6:7], off offset:8
	global_load_dword v38, v[6:7], off offset:512
	;; [unrolled: 1-line block ×7, first 2 shown]
	global_load_dword v83, v[6:7], off
	ds_read_b128 v[62:65], v12
	ds_read_b128 v[66:69], v12 offset:16
	ds_read_b128 v[70:73], v12 offset:32
	;; [unrolled: 1-line block ×4, first 2 shown]
	s_load_dword s40, s[12:13], 0x0
	global_load_dword v57, v[6:7], off offset:2048
	s_nop 0
	global_load_dword v6, v[6:7], off offset:2056
	s_waitcnt lgkmcnt(0)
	v_lshlrev_b32_e32 v52, 16, v69
	v_and_b32_e32 v53, 0xffff0000, v69
	v_lshlrev_b32_e32 v55, 16, v68
	v_lshlrev_b32_e32 v48, 16, v70
	;; [unrolled: 1-line block ×3, first 2 shown]
	v_and_b32_e32 v58, 0xffff0000, v68
	v_and_b32_e32 v50, 0xffff0000, v70
	;; [unrolled: 1-line block ×3, first 2 shown]
	v_lshlrev_b32_e32 v41, 16, v72
	v_lshlrev_b32_e32 v35, 16, v74
	v_and_b32_e32 v47, 0xffff0000, v72
	v_and_b32_e32 v45, 0xffff0000, v74
	v_lshlrev_b32_e32 v44, 16, v71
	v_lshlrev_b32_e32 v33, 16, v75
	v_lshlrev_b32_e32 v29, 16, v77
	v_and_b32_e32 v49, 0xffff0000, v71
	v_and_b32_e32 v43, 0xffff0000, v75
	;; [unrolled: 1-line block ×3, first 2 shown]
	v_lshlrev_b32_e32 v31, 16, v76
	v_lshlrev_b32_e32 v27, 16, v78
	;; [unrolled: 1-line block ×3, first 2 shown]
	v_and_b32_e32 v39, 0xffff0000, v76
	v_and_b32_e32 v34, 0xffff0000, v78
	;; [unrolled: 1-line block ×3, first 2 shown]
	v_cmp_lt_i32_e64 s[0:1], v20, v21
	v_lshlrev_b32_e32 v26, 16, v79
	v_lshlrev_b32_e32 v24, 16, v81
	v_and_b32_e32 v32, 0xffff0000, v79
	v_and_b32_e32 v28, 0xffff0000, v81
	v_lshlrev_b32_e32 v85, 16, v64
	v_and_b32_e32 v64, 0xffff0000, v64
	v_lshlrev_b32_e32 v84, 16, v62
	v_lshlrev_b32_e32 v86, 16, v65
	v_and_b32_e32 v62, 0xffff0000, v62
	v_and_b32_e32 v65, 0xffff0000, v65
	v_lshlrev_b32_e32 v59, 16, v63
	v_lshlrev_b32_e32 v87, 16, v66
	v_and_b32_e32 v63, 0xffff0000, v63
	v_and_b32_e32 v66, 0xffff0000, v66
	v_lshlrev_b32_e32 v60, 16, v67
	v_and_b32_e32 v67, 0xffff0000, v67
	v_cndmask_b32_e64 v42, v19, v20, s[0:1]
	v_lshlrev_b32_e32 v42, 2, v42
	s_waitcnt vmcnt(9)
	v_and_b32_e32 v7, 0xff, v40
	v_bfe_u32 v69, v40, 8, 8
	v_bfe_u32 v73, v40, 16, 8
	v_lshrrev_b32_e32 v40, 24, v40
	v_cvt_f32_fp8_e32 v7, v7
	v_cvt_f32_fp8_e32 v69, v69
	s_waitcnt vmcnt(8)
	v_and_b32_e32 v74, 0xff, v38
	s_waitcnt vmcnt(2)
	v_and_b32_e32 v68, 0xff, v83
	v_bfe_u32 v70, v83, 8, 8
	v_lshrrev_b32_e32 v72, 24, v83
	v_cvt_f32_fp8_e32 v68, v68
	v_cvt_f32_fp8_e32 v70, v70
	;; [unrolled: 1-line block ×3, first 2 shown]
	v_bfe_u32 v71, v83, 16, 8
	v_bfe_u32 v75, v38, 8, 8
	v_and_b32_e32 v77, 0xff, v61
	v_cvt_f32_fp8_e32 v73, v73
	v_cvt_f32_fp8_e32 v72, v72
	;; [unrolled: 1-line block ×3, first 2 shown]
	v_bfe_u32 v76, v38, 16, 8
	v_lshrrev_b32_e32 v38, 24, v38
	v_bfe_u32 v78, v61, 8, 8
	v_and_b32_e32 v80, 0xff, v82
	v_cvt_f32_fp8_e32 v71, v71
	v_cvt_f32_fp8_e32 v75, v75
	;; [unrolled: 1-line block ×3, first 2 shown]
	v_bfe_u32 v79, v61, 16, 8
	v_bfe_u32 v81, v82, 8, 8
	v_mul_f32_e32 v7, s40, v7
	v_cvt_f32_fp8_e32 v76, v76
	v_cvt_f32_fp8_e32 v38, v38
	v_cvt_f32_fp8_e32 v78, v78
	v_cvt_f32_fp8_e32 v80, v80
	v_mul_f32_e32 v69, s40, v69
	v_bfe_u32 v83, v82, 16, 8
	v_cvt_pk_bf16_f32 v7, v7, s0
	v_cvt_f32_fp8_e32 v79, v79
	v_cvt_f32_fp8_e32 v81, v81
	v_mul_f32_e32 v68, s40, v68
	v_mul_f32_e32 v70, s40, v70
	;; [unrolled: 1-line block ×3, first 2 shown]
	v_cvt_pk_bf16_f32 v69, v69, s0
	v_lshrrev_b32_e32 v61, 24, v61
	v_and_b32_e32 v88, 0xff, v56
	v_lshlrev_b32_e32 v7, 16, v7
	v_cvt_f32_fp8_e32 v83, v83
	v_mul_f32_e32 v73, s40, v73
	v_mul_f32_e32 v72, s40, v72
	;; [unrolled: 1-line block ×3, first 2 shown]
	v_cvt_pk_bf16_f32 v68, v68, s0
	v_cvt_pk_bf16_f32 v70, v70, s0
	v_cvt_pk_bf16_f32 v40, v40, s0
	v_lshlrev_b32_e32 v69, 16, v69
	v_mul_f32_e32 v7, v85, v7
	v_bfe_u32 v85, v56, 16, 8
	v_cvt_f32_fp8_e32 v61, v61
	v_cvt_f32_fp8_e32 v88, v88
	v_mul_f32_e32 v71, s40, v71
	v_mul_f32_e32 v75, s40, v75
	;; [unrolled: 1-line block ×3, first 2 shown]
	v_cvt_pk_bf16_f32 v73, v73, s0
	v_cvt_pk_bf16_f32 v72, v72, s0
	;; [unrolled: 1-line block ×3, first 2 shown]
	v_lshlrev_b32_e32 v68, 16, v68
	v_lshlrev_b32_e32 v70, 16, v70
	;; [unrolled: 1-line block ×3, first 2 shown]
	v_mul_f32_e32 v64, v64, v69
	v_cvt_f32_fp8_e32 v85, v85
	v_mul_f32_e32 v76, s40, v76
	v_mul_f32_e32 v38, s40, v38
	v_mul_f32_e32 v78, s40, v78
	v_mul_f32_e32 v80, s40, v80
	v_cvt_pk_bf16_f32 v71, v71, s0
	v_cvt_pk_bf16_f32 v75, v75, s0
	;; [unrolled: 1-line block ×3, first 2 shown]
	v_lshlrev_b32_e32 v73, 16, v73
	v_lshlrev_b32_e32 v72, 16, v72
	;; [unrolled: 1-line block ×3, first 2 shown]
	v_mul_f32_e32 v40, v65, v40
	v_fmac_f32_e32 v7, v84, v68
	v_fmac_f32_e32 v64, v62, v70
	v_and_b32_e32 v62, 0xff, v54
	v_lshrrev_b32_e32 v82, 24, v82
	v_mul_f32_e32 v79, s40, v79
	v_mul_f32_e32 v81, s40, v81
	v_cvt_pk_bf16_f32 v76, v76, s0
	v_cvt_pk_bf16_f32 v38, v38, s0
	;; [unrolled: 1-line block ×4, first 2 shown]
	v_lshlrev_b32_e32 v71, 16, v71
	v_lshlrev_b32_e32 v75, 16, v75
	v_mul_f32_e32 v69, v86, v73
	v_fmac_f32_e32 v40, v63, v72
	v_fmac_f32_e32 v7, v87, v74
	v_cvt_f32_fp8_e32 v62, v62
	v_bfe_u32 v63, v54, 16, 8
	v_lshlrev_b32_e32 v65, 16, v77
	v_bfe_u32 v89, v56, 8, 8
	v_cvt_f32_fp8_e32 v82, v82
	v_mul_f32_e32 v83, s40, v83
	v_cvt_pk_bf16_f32 v79, v79, s0
	v_cvt_pk_bf16_f32 v81, v81, s0
	v_lshlrev_b32_e32 v76, 16, v76
	v_fmac_f32_e32 v69, v59, v71
	v_fmac_f32_e32 v64, v66, v75
	v_lshlrev_b32_e32 v38, 16, v38
	v_cvt_f32_fp8_e32 v63, v63
	v_fmac_f32_e32 v7, v55, v65
	v_and_b32_e32 v55, 0xff, v51
	v_lshlrev_b32_e32 v66, 16, v78
	v_lshlrev_b32_e32 v68, 16, v80
	v_cvt_f32_fp8_e32 v89, v89
	v_mul_f32_e32 v61, s40, v61
	v_mul_f32_e32 v88, s40, v88
	v_cvt_pk_bf16_f32 v83, v83, s0
	v_fmac_f32_e32 v69, v60, v76
	v_lshrrev_b32_e32 v56, 24, v56
	v_fmac_f32_e32 v40, v67, v38
	v_bfe_u32 v38, v54, 8, 8
	v_cvt_f32_fp8_e32 v55, v55
	v_fmac_f32_e32 v64, v58, v66
	v_bfe_u32 v58, v51, 16, 8
	v_lshlrev_b32_e32 v67, 16, v79
	v_fmac_f32_e32 v7, v48, v68
	v_lshlrev_b32_e32 v68, 16, v81
	v_cvt_pk_bf16_f32 v61, v61, s0
	v_cvt_pk_bf16_f32 v88, v88, s0
	v_cvt_f32_fp8_e32 v56, v56
	v_mul_f32_e32 v60, s40, v85
	v_cvt_f32_fp8_e32 v38, v38
	v_lshrrev_b32_e32 v54, 24, v54
	v_bfe_u32 v65, v51, 8, 8
	v_cvt_f32_fp8_e32 v58, v58
	s_waitcnt vmcnt(1)
	v_and_b32_e32 v66, 0xff, v57
	v_fmac_f32_e32 v69, v52, v67
	v_fmac_f32_e32 v64, v50, v68
	v_lshlrev_b32_e32 v50, 16, v83
	v_cvt_pk_bf16_f32 v60, v60, s0
	v_mul_f32_e32 v62, s40, v62
	v_cvt_f32_fp8_e32 v54, v54
	v_cvt_f32_fp8_e32 v65, v65
	v_lshrrev_b32_e32 v51, 24, v51
	v_cvt_f32_fp8_e32 v66, v66
	v_bfe_u32 v52, v57, 8, 8
	v_bfe_u32 v67, v57, 16, 8
	v_lshlrev_b32_e32 v61, 16, v61
	v_fmac_f32_e32 v69, v44, v50
	v_lshlrev_b32_e32 v44, 16, v88
	v_mul_f32_e32 v82, s40, v82
	v_cvt_pk_bf16_f32 v62, v62, s0
	v_mul_f32_e32 v63, s40, v63
	v_cvt_f32_fp8_e32 v51, v51
	v_cvt_f32_fp8_e32 v52, v52
	;; [unrolled: 1-line block ×3, first 2 shown]
	v_lshrrev_b32_e32 v57, 24, v57
	v_fmac_f32_e32 v40, v53, v61
	s_waitcnt vmcnt(0)
	v_and_b32_e32 v53, 0xff, v6
	v_bfe_u32 v61, v6, 8, 8
	v_fmac_f32_e32 v7, v41, v44
	v_lshlrev_b32_e32 v41, 16, v60
	v_mul_f32_e32 v89, s40, v89
	v_cvt_pk_bf16_f32 v82, v82, s0
	v_cvt_pk_bf16_f32 v63, v63, s0
	v_mul_f32_e32 v55, s40, v55
	v_cvt_f32_fp8_e32 v57, v57
	v_cvt_f32_fp8_e32 v53, v53
	;; [unrolled: 1-line block ×3, first 2 shown]
	v_bfe_u32 v48, v6, 16, 8
	v_lshrrev_b32_e32 v6, 24, v6
	v_fmac_f32_e32 v69, v37, v41
	v_lshlrev_b32_e32 v37, 16, v62
	v_cvt_pk_bf16_f32 v59, v89, s0
	v_mul_f32_e32 v56, s40, v56
	v_mul_f32_e32 v38, s40, v38
	v_cvt_pk_bf16_f32 v55, v55, s0
	v_mul_f32_e32 v58, s40, v58
	v_cvt_f32_fp8_e32 v48, v48
	v_cvt_f32_fp8_e32 v6, v6
	v_lshlrev_b32_e32 v68, 16, v82
	v_fmac_f32_e32 v7, v35, v37
	v_lshlrev_b32_e32 v35, 16, v63
	v_cvt_pk_bf16_f32 v56, v56, s0
	v_cvt_pk_bf16_f32 v38, v38, s0
	v_mul_f32_e32 v54, s40, v54
	v_mul_f32_e32 v65, s40, v65
	v_cvt_pk_bf16_f32 v58, v58, s0
	v_mul_f32_e32 v66, s40, v66
	v_fmac_f32_e32 v40, v49, v68
	v_lshlrev_b32_e32 v49, 16, v59
	v_fmac_f32_e32 v69, v33, v35
	v_lshlrev_b32_e32 v33, 16, v55
	v_cvt_pk_bf16_f32 v54, v54, s0
	v_cvt_pk_bf16_f32 v65, v65, s0
	v_mul_f32_e32 v51, s40, v51
	v_cvt_pk_bf16_f32 v66, v66, s0
	v_mul_f32_e32 v52, s40, v52
	v_mul_f32_e32 v67, s40, v67
	v_fmac_f32_e32 v64, v47, v49
	v_lshlrev_b32_e32 v44, 16, v56
	v_lshlrev_b32_e32 v38, 16, v38
	v_fmac_f32_e32 v7, v31, v33
	v_lshlrev_b32_e32 v31, 16, v58
	v_cvt_pk_bf16_f32 v51, v51, s0
	v_cvt_pk_bf16_f32 v52, v52, s0
	;; [unrolled: 1-line block ×3, first 2 shown]
	v_mul_f32_e32 v57, s40, v57
	v_mul_f32_e32 v53, s40, v53
	;; [unrolled: 1-line block ×3, first 2 shown]
	v_fmac_f32_e32 v40, v46, v44
	v_fmac_f32_e32 v64, v45, v38
	v_lshlrev_b32_e32 v37, 16, v54
	v_lshlrev_b32_e32 v35, 16, v65
	v_fmac_f32_e32 v69, v29, v31
	v_lshlrev_b32_e32 v29, 16, v66
	v_cvt_pk_bf16_f32 v57, v57, s0
	v_cvt_pk_bf16_f32 v53, v53, s0
	v_cvt_pk_bf16_f32 v61, v61, s0
	v_mul_f32_e32 v48, s40, v48
	v_mul_f32_e32 v6, s40, v6
	v_fmac_f32_e32 v40, v43, v37
	v_fmac_f32_e32 v64, v39, v35
	v_lshlrev_b32_e32 v33, 16, v51
	v_lshlrev_b32_e32 v31, 16, v52
	v_fmac_f32_e32 v7, v27, v29
	v_lshlrev_b32_e32 v27, 16, v67
	v_cvt_pk_bf16_f32 v48, v48, s0
	v_cvt_pk_bf16_f32 v6, v6, s0
	v_fmac_f32_e32 v40, v36, v33
	v_fmac_f32_e32 v64, v34, v31
	v_lshlrev_b32_e32 v29, 16, v57
	v_fmac_f32_e32 v69, v26, v27
	v_lshlrev_b32_e32 v26, 16, v53
	v_lshlrev_b32_e32 v27, 16, v61
	v_fmac_f32_e32 v40, v32, v29
	v_fmac_f32_e32 v7, v25, v26
	;; [unrolled: 1-line block ×3, first 2 shown]
	v_lshlrev_b32_e32 v25, 16, v48
	v_lshlrev_b32_e32 v6, 16, v6
	v_fmac_f32_e32 v69, v24, v25
	v_fmac_f32_e32 v40, v28, v6
	v_add_f32_e32 v6, v7, v64
	v_add_f32_e32 v6, v6, v69
	;; [unrolled: 1-line block ×3, first 2 shown]
	ds_bpermute_b32 v7, v42, v6
	s_and_saveexec_b64 s[40:41], vcc
	s_cbranch_execz .LBB310_11
; %bb.19:                               ;   in Loop: Header=BB310_13 Depth=1
	v_add_u32_e32 v24, v16, v15
	v_cvt_f32_i32_e32 v24, v24
	s_waitcnt lgkmcnt(0)
	v_add_f32_e32 v6, v6, v7
	v_add_u32_e32 v25, v11, v15
	v_cmp_gt_i32_e64 s[0:1], s33, v25
	v_mul_f32_e32 v7, s44, v24
	v_cndmask_b32_e64 v7, 0, v7, s[2:3]
	v_fmac_f32_e32 v7, s37, v6
	v_cndmask_b32_e64 v6, 0, v7, s[0:1]
	ds_write_b32 v17, v6
	v_max_f32_e32 v6, v13, v13
	v_max_f32_e32 v6, v6, v7
	v_cndmask_b32_e64 v13, v13, v6, s[0:1]
	s_branch .LBB310_11
.LBB310_20:
	s_or_b64 exec, exec, s[38:39]
.LBB310_21:
	s_or_b64 exec, exec, s[18:19]
	v_mbcnt_hi_u32_b32 v2, -1, v10
	v_and_b32_e32 v11, 64, v2
	v_add_u32_e32 v12, 64, v11
	v_xor_b32_e32 v3, 32, v2
	v_cmp_lt_i32_e32 vcc, v3, v12
	v_xor_b32_e32 v6, 16, v2
	v_max_f32_e32 v5, v13, v13
	v_cndmask_b32_e32 v3, v2, v3, vcc
	v_lshlrev_b32_e32 v3, 2, v3
	ds_bpermute_b32 v4, v3, v13
	v_cmp_lt_i32_e32 vcc, v6, v12
	s_waitcnt lgkmcnt(1)
	v_xor_b32_e32 v7, 8, v2
	v_xor_b32_e32 v10, 4, v2
	;; [unrolled: 1-line block ×3, first 2 shown]
	s_waitcnt lgkmcnt(0)
	v_max_f32_e32 v4, v4, v4
	v_max_f32_e32 v5, v5, v4
	v_cndmask_b32_e32 v4, v2, v6, vcc
	v_lshlrev_b32_e32 v4, 2, v4
	ds_bpermute_b32 v6, v4, v5
	v_cmp_lt_i32_e32 vcc, v7, v12
	v_and_b32_e32 v23, 63, v0
	s_waitcnt lgkmcnt(0)
	v_max_f32_e32 v6, v6, v6
	v_max_f32_e32 v6, v5, v6
	v_cndmask_b32_e32 v5, v2, v7, vcc
	v_lshlrev_b32_e32 v5, 2, v5
	ds_bpermute_b32 v7, v5, v6
	v_cmp_lt_i32_e32 vcc, v10, v12
	s_waitcnt lgkmcnt(0)
	v_max_f32_e32 v7, v7, v7
	v_max_f32_e32 v7, v6, v7
	v_cndmask_b32_e32 v6, v2, v10, vcc
	v_lshlrev_b32_e32 v6, 2, v6
	ds_bpermute_b32 v10, v6, v7
	v_cmp_lt_i32_e32 vcc, v13, v12
	s_waitcnt lgkmcnt(0)
	v_max_f32_e32 v10, v10, v10
	v_max_f32_e32 v10, v7, v10
	v_cndmask_b32_e32 v7, v2, v13, vcc
	v_lshlrev_b32_e32 v24, 2, v7
	ds_bpermute_b32 v13, v24, v10
	v_cmp_eq_u32_e32 vcc, 0, v23
	v_lshlrev_b32_e32 v7, 2, v1
	s_and_saveexec_b64 s[0:1], vcc
	s_cbranch_execz .LBB310_23
; %bb.22:
	s_waitcnt lgkmcnt(0)
	v_max_f32_e32 v13, v13, v13
	v_max_f32_e32 v10, v10, v10
	;; [unrolled: 1-line block ×3, first 2 shown]
	ds_write_b32 v7, v10 offset:160
.LBB310_23:
	s_or_b64 exec, exec, s[0:1]
	v_cmp_gt_u32_e64 s[0:1], 2, v23
	s_waitcnt lgkmcnt(0)
	v_mov_b32_e32 v13, 0xff7fffff
	v_lshlrev_b32_e32 v10, 2, v23
	s_barrier
	s_and_saveexec_b64 s[2:3], s[0:1]
; %bb.24:
	ds_read_b32 v13, v10 offset:160
; %bb.25:
	s_or_b64 exec, exec, s[2:3]
	v_xor_b32_e32 v14, 1, v2
	v_cmp_lt_i32_e64 s[2:3], v14, v12
	v_lshlrev_b32_e32 v11, 2, v11
	s_nop 0
	v_cndmask_b32_e64 v12, v2, v14, s[2:3]
	v_lshlrev_b32_e32 v25, 2, v12
	s_waitcnt lgkmcnt(0)
	ds_bpermute_b32 v12, v25, v13
	v_max_f32_e32 v13, v13, v13
	s_lshl_b32 s2, s20, 5
	s_min_i32 s37, s2, s33
	v_cmp_gt_i32_e64 s[2:3], s37, v0
	s_waitcnt lgkmcnt(0)
	v_max_f32_e32 v12, v12, v12
	v_max_f32_e32 v12, v13, v12
	ds_bpermute_b32 v12, v11, v12
	v_mov_b32_e32 v11, 0
	s_and_saveexec_b64 s[12:13], s[2:3]
	s_cbranch_execz .LBB310_29
; %bb.26:
	v_mov_b32_e32 v11, 0xb0
	v_lshl_add_u32 v13, v0, 2, v11
	v_mov_b32_e32 v11, 0
	s_mov_b64 s[18:19], 0
	v_mov_b32_e32 v14, v0
.LBB310_27:                             ; =>This Inner Loop Header: Depth=1
	ds_read_b32 v15, v13
	v_add_u32_e32 v14, 0x80, v14
	v_cmp_le_i32_e64 s[8:9], s37, v14
	s_or_b64 s[18:19], s[8:9], s[18:19]
	s_waitcnt lgkmcnt(0)
	v_sub_f32_e32 v15, v15, v12
	v_mul_f32_e32 v15, 0x3fb8aa3b, v15
	v_exp_f32_e32 v15, v15
	ds_write_b32 v13, v15
	v_add_f32_e32 v11, v11, v15
	v_add_u32_e32 v13, 0x200, v13
	s_andn2_b64 exec, exec, s[18:19]
	s_cbranch_execnz .LBB310_27
; %bb.28:
	s_or_b64 exec, exec, s[18:19]
.LBB310_29:
	s_or_b64 exec, exec, s[12:13]
	ds_bpermute_b32 v3, v3, v11
	s_waitcnt lgkmcnt(0)
	v_add_f32_e32 v3, v11, v3
	ds_bpermute_b32 v4, v4, v3
	s_waitcnt lgkmcnt(0)
	v_add_f32_e32 v3, v3, v4
	;; [unrolled: 3-line block ×6, first 2 shown]
	s_and_saveexec_b64 s[8:9], vcc
; %bb.30:
	ds_write_b32 v7, v3 offset:168
; %bb.31:
	s_or_b64 exec, exec, s[8:9]
	s_waitcnt lgkmcnt(0)
	s_barrier
	s_and_saveexec_b64 s[8:9], s[0:1]
; %bb.32:
	ds_read_b32 v3, v10 offset:168
; %bb.33:
	s_or_b64 exec, exec, s[8:9]
	s_waitcnt lgkmcnt(0)
	ds_bpermute_b32 v4, v25, v3
	v_lshlrev_b32_e32 v2, 2, v2
	v_and_b32_e32 v2, 0x100, v2
	s_waitcnt lgkmcnt(0)
	v_add_f32_e32 v3, v3, v4
	ds_bpermute_b32 v2, v2, v3
	s_and_saveexec_b64 s[0:1], s[2:3]
	s_cbranch_execz .LBB310_46
; %bb.34:
	s_waitcnt lgkmcnt(0)
	v_add_f32_e32 v2, 0x358637bd, v2
	v_div_scale_f32 v3, s[2:3], v2, v2, 1.0
	v_rcp_f32_e32 v4, v3
	v_div_scale_f32 v5, vcc, 1.0, v2, 1.0
	s_movk_i32 s2, 0x7f
	v_fma_f32 v6, -v3, v4, 1.0
	v_fmac_f32_e32 v4, v6, v4
	v_mul_f32_e32 v6, v5, v4
	v_fma_f32 v7, -v3, v6, v5
	v_fmac_f32_e32 v6, v7, v4
	v_fma_f32 v3, -v3, v6, v5
	v_div_fmas_f32 v3, v3, v4, v6
	v_xad_u32 v4, v0, -1, s37
	v_div_fixup_f32 v2, v3, v2, 1.0
	v_cmp_lt_u32_e32 vcc, s2, v4
	s_mov_b64 s[8:9], -1
	v_mov_b32_e32 v3, v0
	s_and_saveexec_b64 s[2:3], vcc
	s_cbranch_execz .LBB310_43
; %bb.35:
	v_lshrrev_b32_e32 v4, 7, v4
	v_add_u32_e32 v6, -1, v4
	v_lshrrev_b32_e32 v5, 1, v6
	v_mov_b32_e32 v3, v2
	v_add_u32_e32 v5, 1, v5
	v_cmp_lt_u32_e32 vcc, 13, v6
	v_mov_b32_e32 v10, 0
	s_and_saveexec_b64 s[8:9], vcc
	s_cbranch_execz .LBB310_39
; %bb.36:
	v_mov_b32_e32 v7, 0xb0
	v_and_b32_e32 v6, -8, v5
	v_lshl_add_u32 v7, v0, 2, v7
	s_mov_b32 s18, 0
	s_mov_b64 s[12:13], 0
.LBB310_37:                             ; =>This Inner Loop Header: Depth=1
	ds_read2st64_b32 v[10:11], v7 offset1:2
	ds_read2st64_b32 v[12:13], v7 offset0:4 offset1:6
	ds_read2st64_b32 v[14:15], v7 offset0:8 offset1:10
	;; [unrolled: 1-line block ×3, first 2 shown]
	v_add_u32_e32 v6, -8, v6
	s_waitcnt lgkmcnt(3)
	v_pk_mul_f32 v[10:11], v[2:3], v[10:11]
	s_waitcnt lgkmcnt(2)
	v_pk_mul_f32 v[12:13], v[2:3], v[12:13]
	ds_write2st64_b32 v7, v10, v11 offset1:2
	ds_write2st64_b32 v7, v12, v13 offset0:4 offset1:6
	ds_read2st64_b32 v[12:13], v7 offset0:16 offset1:18
	s_waitcnt lgkmcnt(4)
	v_pk_mul_f32 v[10:11], v[2:3], v[14:15]
	ds_write2st64_b32 v7, v10, v11 offset0:8 offset1:10
	s_waitcnt lgkmcnt(4)
	v_pk_mul_f32 v[10:11], v[2:3], v[16:17]
	ds_write2st64_b32 v7, v10, v11 offset0:12 offset1:14
	ds_read2st64_b32 v[10:11], v7 offset0:20 offset1:22
	s_waitcnt lgkmcnt(3)
	v_pk_mul_f32 v[12:13], v[2:3], v[12:13]
	ds_read2st64_b32 v[14:15], v7 offset0:24 offset1:26
	ds_write2st64_b32 v7, v12, v13 offset0:16 offset1:18
	ds_read2st64_b32 v[12:13], v7 offset0:28 offset1:30
	s_waitcnt lgkmcnt(3)
	v_pk_mul_f32 v[10:11], v[2:3], v[10:11]
	ds_write2st64_b32 v7, v10, v11 offset0:20 offset1:22
	s_waitcnt lgkmcnt(3)
	v_pk_mul_f32 v[10:11], v[2:3], v[14:15]
	ds_write2st64_b32 v7, v10, v11 offset0:24 offset1:26
	s_waitcnt lgkmcnt(2)
	v_pk_mul_f32 v[10:11], v[2:3], v[12:13]
	s_add_i32 s18, s18, 16
	v_cmp_eq_u32_e32 vcc, 0, v6
	ds_write2st64_b32 v7, v10, v11 offset0:28 offset1:30
	v_add_u32_e32 v7, 0x2000, v7
	s_or_b64 s[12:13], vcc, s[12:13]
	v_mov_b32_e32 v10, s18
	s_andn2_b64 exec, exec, s[12:13]
	s_cbranch_execnz .LBB310_37
; %bb.38:
	s_or_b64 exec, exec, s[12:13]
.LBB310_39:
	s_or_b64 exec, exec, s[8:9]
	v_and_b32_e32 v5, 7, v5
	v_cmp_ne_u32_e32 vcc, 0, v5
	s_and_saveexec_b64 s[8:9], vcc
	s_cbranch_execz .LBB310_42
; %bb.40:
	v_lshlrev_b32_e32 v6, 9, v10
	v_lshlrev_b32_e32 v7, 2, v0
	s_movk_i32 s12, 0xb0
	v_add3_u32 v6, v6, v7, s12
	s_mov_b64 s[12:13], 0
.LBB310_41:                             ; =>This Inner Loop Header: Depth=1
	ds_read2st64_b32 v[10:11], v6 offset1:2
	v_add_u32_e32 v5, -1, v5
	v_cmp_eq_u32_e32 vcc, 0, v5
	s_or_b64 s[12:13], vcc, s[12:13]
	s_waitcnt lgkmcnt(0)
	v_pk_mul_f32 v[10:11], v[2:3], v[10:11]
	ds_write2st64_b32 v6, v10, v11 offset1:2
	v_add_u32_e32 v6, 0x400, v6
	s_andn2_b64 exec, exec, s[12:13]
	s_cbranch_execnz .LBB310_41
.LBB310_42:
	s_or_b64 exec, exec, s[8:9]
	v_add_u32_e32 v4, 1, v4
	v_and_b32_e32 v5, 0x3fffffe, v4
	v_cmp_ne_u32_e32 vcc, v4, v5
	v_lshl_add_u32 v3, v5, 7, v0
	s_orn2_b64 s[8:9], vcc, exec
.LBB310_43:
	s_or_b64 exec, exec, s[2:3]
	s_and_b64 exec, exec, s[8:9]
	s_cbranch_execz .LBB310_46
; %bb.44:
	v_mov_b32_e32 v4, 0xb0
	v_lshl_add_u32 v4, v3, 2, v4
	s_mov_b64 s[2:3], 0
.LBB310_45:                             ; =>This Inner Loop Header: Depth=1
	ds_read_b32 v5, v4
	v_add_u32_e32 v3, 0x80, v3
	v_cmp_le_i32_e32 vcc, s37, v3
	s_or_b64 s[2:3], vcc, s[2:3]
	s_waitcnt lgkmcnt(0)
	v_mul_f32_e32 v5, v2, v5
	ds_write_b32 v4, v5
	v_add_u32_e32 v4, 0x200, v4
	s_andn2_b64 exec, exec, s[2:3]
	s_cbranch_execnz .LBB310_45
.LBB310_46:
	s_or_b64 exec, exec, s[0:1]
	v_mov_b32_e32 v13, 0
	v_and_b32_e32 v26, 3, v0
	v_mov_b32_e32 v12, 0
	v_mov_b32_e32 v15, 0
	;; [unrolled: 1-line block ×4, first 2 shown]
	s_waitcnt lgkmcnt(0)
	s_barrier
	s_and_saveexec_b64 s[2:3], s[6:7]
	s_cbranch_execz .LBB310_62
; %bb.47:
	s_sub_i32 s18, s42, s21
	s_ashr_i32 s1, s43, 31
	s_add_u32 s0, s34, s43
	s_addc_u32 s1, s35, s1
	s_abs_i32 s19, s22
	v_cvt_f32_u32_e32 v2, s19
	v_and_b32_e32 v10, 0x1f8, v8
	v_mov_b32_e32 v11, 0
	v_lshl_add_u64 v[16:17], s[0:1], 0, v[10:11]
	v_rcp_iflag_f32_e32 v2, v2
	s_sub_i32 s0, 0, s19
	s_add_i32 s21, s20, -1
	v_and_b32_e32 v10, 60, v9
	v_mul_f32_e32 v2, 0x4f7ffffe, v2
	v_cvt_u32_f32_e32 v2, v2
	v_and_b32_e32 v27, 24, v8
	s_mov_b64 s[6:7], 0
	v_mov_b32_e32 v14, v11
	v_mul_lo_u32 v3, s0, v2
	v_mul_hi_u32 v3, v2, v3
	s_lshl_b64 s[0:1], s[30:31], 2
	v_add_u32_e32 v28, v2, v3
	s_add_u32 s0, s28, s0
	v_lshlrev_b32_e32 v2, 5, v26
	s_addc_u32 s1, s29, s1
	v_lshl_or_b32 v2, v1, 7, v2
	v_lshl_add_u64 v[18:19], s[0:1], 0, v[10:11]
	v_add_u32_e32 v10, 0xb0, v2
	v_mov_b32_e32 v15, v11
	v_mov_b32_e32 v12, v11
	;; [unrolled: 1-line block ×3, first 2 shown]
	s_branch .LBB310_50
.LBB310_48:                             ;   in Loop: Header=BB310_50 Depth=1
	s_or_b64 exec, exec, s[0:1]
	v_cvt_pk_bf16_f32 v6, v6, s0
	v_cvt_pk_bf16_f32 v7, v7, s0
	;; [unrolled: 1-line block ×4, first 2 shown]
	v_lshlrev_b32_e32 v7, 16, v7
	v_lshlrev_b32_e32 v37, 16, v74
	;; [unrolled: 1-line block ×4, first 2 shown]
	v_mul_f32_e32 v37, v7, v37
	v_mul_f32_e32 v39, v6, v39
	v_lshlrev_b32_e32 v9, 16, v9
	v_lshlrev_b32_e32 v42, 16, v72
	;; [unrolled: 1-line block ×4, first 2 shown]
	v_cvt_pk_bf16_f32 v2, v2, s0
	v_cvt_pk_bf16_f32 v3, v3, s0
	;; [unrolled: 1-line block ×4, first 2 shown]
	v_mul_f32_e32 v42, v9, v42
	v_mul_f32_e32 v43, v8, v43
	v_cvt_pk_bf16_f32 v42, v42, s0
	v_cvt_pk_bf16_f32 v43, v43, s0
	v_lshlrev_b32_e32 v3, 16, v3
	v_lshlrev_b32_e32 v44, 16, v70
	v_lshlrev_b32_e32 v2, 16, v2
	v_lshlrev_b32_e32 v45, 16, v69
	v_lshlrev_b32_e32 v39, 16, v39
	v_lshlrev_b32_e32 v37, 16, v37
	v_cvt_pk_bf16_f32 v4, v4, s0
	v_cvt_pk_bf16_f32 v5, v5, s0
	v_mul_f32_e32 v44, v3, v44
	v_mul_f32_e32 v45, v2, v45
	v_add_f32_e32 v37, v39, v37
	v_lshlrev_b32_e32 v39, 16, v43
	v_lshlrev_b32_e32 v42, 16, v42
	v_cvt_pk_bf16_f32 v44, v44, s0
	v_cvt_pk_bf16_f32 v45, v45, s0
	v_lshlrev_b32_e32 v5, 16, v5
	v_lshlrev_b32_e32 v48, 16, v68
	;; [unrolled: 1-line block ×4, first 2 shown]
	v_add_f32_e32 v39, v39, v42
	v_mul_f32_e32 v48, v5, v48
	v_mul_f32_e32 v52, v4, v52
	v_add_f32_e32 v37, v39, v37
	v_lshlrev_b32_e32 v39, 16, v45
	v_lshlrev_b32_e32 v42, 16, v44
	v_cvt_pk_bf16_f32 v48, v48, s0
	v_cvt_pk_bf16_f32 v52, v52, s0
	v_add_f32_e32 v39, v39, v42
	v_add_f32_e32 v37, v39, v37
	v_lshlrev_b32_e32 v39, 16, v52
	v_lshlrev_b32_e32 v42, 16, v48
	v_add_f32_e32 v39, v39, v42
	v_add_f32_e32 v37, v39, v37
	;; [unrolled: 1-line block ×3, first 2 shown]
	v_lshlrev_b32_e32 v37, 16, v60
	v_lshlrev_b32_e32 v39, 16, v59
	v_mul_f32_e32 v37, v7, v37
	v_mul_f32_e32 v39, v6, v39
	v_lshlrev_b32_e32 v42, 16, v58
	v_lshlrev_b32_e32 v43, 16, v57
	v_cvt_pk_bf16_f32 v37, v37, s0
	v_cvt_pk_bf16_f32 v39, v39, s0
	v_mul_f32_e32 v42, v9, v42
	v_mul_f32_e32 v43, v8, v43
	v_cvt_pk_bf16_f32 v42, v42, s0
	v_cvt_pk_bf16_f32 v43, v43, s0
	v_lshlrev_b32_e32 v44, 16, v56
	v_lshlrev_b32_e32 v45, 16, v55
	;; [unrolled: 1-line block ×8, first 2 shown]
	v_mul_f32_e32 v44, v3, v44
	v_mul_f32_e32 v45, v2, v45
	v_add_f32_e32 v37, v39, v37
	v_lshlrev_b32_e32 v39, 16, v43
	v_lshlrev_b32_e32 v42, 16, v42
	v_mul_f32_e32 v36, v7, v36
	v_mul_f32_e32 v35, v6, v35
	;; [unrolled: 1-line block ×4, first 2 shown]
	v_lshlrev_b32_e32 v32, 16, v32
	v_lshlrev_b32_e32 v31, 16, v31
	v_cvt_pk_bf16_f32 v44, v44, s0
	v_cvt_pk_bf16_f32 v45, v45, s0
	v_lshlrev_b32_e32 v48, 16, v54
	v_lshlrev_b32_e32 v52, 16, v53
	v_add_f32_e32 v39, v39, v42
	v_cvt_pk_bf16_f32 v36, v36, s0
	v_cvt_pk_bf16_f32 v35, v35, s0
	;; [unrolled: 1-line block ×4, first 2 shown]
	v_mul_f32_e32 v32, v3, v32
	v_mul_f32_e32 v31, v2, v31
	v_lshlrev_b32_e32 v30, 16, v30
	v_lshlrev_b32_e32 v29, 16, v29
	v_mul_f32_e32 v48, v5, v48
	v_mul_f32_e32 v52, v4, v52
	v_add_f32_e32 v37, v39, v37
	v_lshlrev_b32_e32 v39, 16, v45
	v_lshlrev_b32_e32 v42, 16, v44
	v_cvt_pk_bf16_f32 v32, v32, s0
	v_cvt_pk_bf16_f32 v31, v31, s0
	v_mul_f32_e32 v30, v5, v30
	v_mul_f32_e32 v29, v4, v29
	v_lshlrev_b32_e32 v35, 16, v35
	v_lshlrev_b32_e32 v36, 16, v36
	;; [unrolled: 1-line block ×4, first 2 shown]
	v_cvt_pk_bf16_f32 v48, v48, s0
	v_cvt_pk_bf16_f32 v52, v52, s0
	v_add_f32_e32 v39, v39, v42
	v_cvt_pk_bf16_f32 v30, v30, s0
	v_cvt_pk_bf16_f32 v29, v29, s0
	v_add_f32_e32 v35, v35, v36
	v_add_f32_e32 v33, v33, v34
	v_lshlrev_b32_e32 v31, 16, v31
	v_lshlrev_b32_e32 v32, 16, v32
	v_add_f32_e32 v37, v39, v37
	v_lshlrev_b32_e32 v39, 16, v52
	v_lshlrev_b32_e32 v42, 16, v48
	v_add_f32_e32 v33, v33, v35
	v_add_f32_e32 v31, v31, v32
	v_lshlrev_b32_e32 v29, 16, v29
	v_lshlrev_b32_e32 v30, 16, v30
	v_add_f32_e32 v39, v39, v42
	v_add_f32_e32 v31, v31, v33
	;; [unrolled: 1-line block ×6, first 2 shown]
	v_lshlrev_b32_e32 v37, 16, v51
	v_add_f32_e32 v14, v14, v29
	v_lshlrev_b32_e32 v29, 16, v66
	v_mul_f32_e32 v37, v7, v37
	v_lshlrev_b32_e32 v39, 16, v50
	v_mul_f32_e32 v7, v7, v29
	;; [unrolled: 2-line block ×3, first 2 shown]
	v_lshlrev_b32_e32 v42, 16, v49
	v_lshlrev_b32_e32 v43, 16, v47
	v_mul_f32_e32 v6, v6, v29
	v_lshlrev_b32_e32 v29, 16, v64
	v_cvt_pk_bf16_f32 v37, v37, s0
	v_cvt_pk_bf16_f32 v39, v39, s0
	v_mul_f32_e32 v42, v9, v42
	v_mul_f32_e32 v43, v8, v43
	;; [unrolled: 1-line block ×3, first 2 shown]
	v_lshlrev_b32_e32 v29, 16, v63
	v_cvt_pk_bf16_f32 v42, v42, s0
	v_cvt_pk_bf16_f32 v43, v43, s0
	v_lshlrev_b32_e32 v44, 16, v46
	v_lshlrev_b32_e32 v41, 16, v41
	;; [unrolled: 1-line block ×4, first 2 shown]
	v_mul_f32_e32 v8, v8, v29
	v_lshlrev_b32_e32 v29, 16, v62
	v_mul_f32_e32 v44, v3, v44
	v_mul_f32_e32 v41, v2, v41
	v_add_f32_e32 v37, v39, v37
	v_lshlrev_b32_e32 v39, 16, v43
	v_lshlrev_b32_e32 v42, 16, v42
	v_mul_f32_e32 v3, v3, v29
	v_lshlrev_b32_e32 v29, 16, v61
	v_cvt_pk_bf16_f32 v44, v44, s0
	v_cvt_pk_bf16_f32 v41, v41, s0
	v_lshlrev_b32_e32 v40, 16, v40
	v_lshlrev_b32_e32 v38, 16, v38
	v_add_f32_e32 v39, v39, v42
	v_cvt_pk_bf16_f32 v7, v7, s0
	v_cvt_pk_bf16_f32 v6, v6, s0
	;; [unrolled: 1-line block ×4, first 2 shown]
	v_mul_f32_e32 v2, v2, v29
	v_lshlrev_b32_e32 v21, 16, v21
	v_lshlrev_b32_e32 v20, 16, v20
	v_mul_f32_e32 v40, v5, v40
	v_mul_f32_e32 v38, v4, v38
	v_add_f32_e32 v37, v39, v37
	v_lshlrev_b32_e32 v39, 16, v41
	v_lshlrev_b32_e32 v41, 16, v44
	v_cvt_pk_bf16_f32 v3, v3, s0
	v_cvt_pk_bf16_f32 v2, v2, s0
	v_mul_f32_e32 v5, v5, v21
	v_mul_f32_e32 v4, v4, v20
	v_lshlrev_b32_e32 v6, 16, v6
	v_lshlrev_b32_e32 v7, 16, v7
	;; [unrolled: 1-line block ×4, first 2 shown]
	v_cvt_pk_bf16_f32 v40, v40, s0
	v_cvt_pk_bf16_f32 v38, v38, s0
	v_add_f32_e32 v39, v39, v41
	v_cvt_pk_bf16_f32 v5, v5, s0
	v_cvt_pk_bf16_f32 v4, v4, s0
	v_lshlrev_b32_e32 v2, 16, v2
	v_lshlrev_b32_e32 v3, 16, v3
	v_add_f32_e32 v6, v7, v6
	v_add_f32_e32 v7, v9, v8
	;; [unrolled: 1-line block ×3, first 2 shown]
	v_lshlrev_b32_e32 v38, 16, v38
	v_lshlrev_b32_e32 v39, 16, v40
	;; [unrolled: 1-line block ×4, first 2 shown]
	v_add_f32_e32 v6, v7, v6
	v_add_f32_e32 v2, v3, v2
	;; [unrolled: 1-line block ×9, first 2 shown]
.LBB310_49:                             ;   in Loop: Header=BB310_50 Depth=1
	s_or_b64 exec, exec, s[8:9]
	v_add_u32_e32 v1, 2, v1
	v_cmp_le_i32_e32 vcc, s20, v1
	v_lshl_add_u64 v[18:19], v[18:19], 0, 8
	v_add_u32_e32 v22, 64, v22
	s_or_b64 s[6:7], vcc, s[6:7]
	v_add_u32_e32 v10, 0x100, v10
	s_andn2_b64 exec, exec, s[6:7]
	s_cbranch_execz .LBB310_61
.LBB310_50:                             ; =>This Inner Loop Header: Depth=1
	v_mul_hi_u32 v2, v22, s25
	v_mul_lo_u32 v3, v2, s16
	v_sub_u32_e32 v3, v22, v3
	v_add_u32_e32 v4, 1, v2
	v_cmp_le_u32_e32 vcc, s16, v3
	s_nop 1
	v_cndmask_b32_e32 v2, v2, v4, vcc
	v_subrev_u32_e32 v4, s16, v3
	v_cndmask_b32_e32 v3, v3, v4, vcc
	v_add_u32_e32 v4, 1, v2
	v_cmp_le_u32_e32 vcc, s16, v3
	s_nop 1
	v_cndmask_b32_e32 v2, v2, v4, vcc
	v_xor_b32_e32 v2, s23, v2
	v_subrev_u32_e32 v2, s23, v2
	v_add_u32_e32 v3, s36, v2
	v_sub_u32_e32 v5, 0, v3
	v_ashrrev_i32_e32 v4, 31, v3
	v_max_i32_e32 v3, v3, v5
	v_mul_hi_u32 v5, v3, v28
	v_mul_lo_u32 v5, v5, s19
	v_sub_u32_e32 v3, v3, v5
	v_subrev_u32_e32 v5, s19, v3
	v_cmp_le_u32_e32 vcc, s19, v3
	v_cmp_lt_i32_e64 s[0:1], s18, v2
	s_nop 0
	v_cndmask_b32_e32 v3, v3, v5, vcc
	v_subrev_u32_e32 v5, s19, v3
	v_cmp_le_u32_e32 vcc, s19, v3
	s_nop 1
	v_cndmask_b32_e32 v3, v3, v5, vcc
	v_xor_b32_e32 v3, v3, v4
	v_sub_u32_e32 v3, v3, v4
	v_cmp_eq_u32_e32 vcc, 0, v3
	s_or_b64 s[0:1], vcc, s[0:1]
	s_and_saveexec_b64 s[8:9], s[0:1]
	s_cbranch_execz .LBB310_49
; %bb.51:                               ;   in Loop: Header=BB310_50 Depth=1
	global_load_dword v2, v[18:19], off
	v_add_u32_e32 v37, v27, v22
	v_cmp_eq_u32_e32 vcc, s21, v1
	v_add_u32_e32 v48, 1, v37
	v_add_u32_e32 v45, 2, v37
	;; [unrolled: 1-line block ×7, first 2 shown]
	s_waitcnt vmcnt(0)
	v_mad_i64_i32 v[20:21], s[0:1], v2, s17, v[16:17]
	global_load_dwordx2 v[30:31], v[20:21], off
	ds_read2_b64 v[6:9], v10 offset1:1
	ds_read2_b64 v[2:5], v10 offset0:2 offset1:3
	s_load_dword s22, s[14:15], 0x0
	s_waitcnt vmcnt(0)
	v_and_b32_e32 v29, 0xff, v30
	v_bfe_u32 v32, v30, 8, 8
	v_bfe_u32 v33, v30, 16, 8
	v_lshrrev_b32_e32 v30, 24, v30
	v_and_b32_e32 v34, 0xff, v31
	v_bfe_u32 v35, v31, 8, 8
	v_bfe_u32 v36, v31, 16, 8
	v_lshrrev_b32_e32 v31, 24, v31
	v_cvt_f32_fp8_e32 v29, v29
	v_cvt_f32_fp8_e32 v32, v32
	;; [unrolled: 1-line block ×8, first 2 shown]
	s_waitcnt lgkmcnt(0)
	v_mul_f32_e32 v29, s22, v29
	v_mul_f32_e32 v32, s22, v32
	v_mul_f32_e32 v33, s22, v33
	v_mul_f32_e32 v30, s22, v30
	v_mul_f32_e32 v38, s22, v34
	v_mul_f32_e32 v40, s22, v35
	v_mul_f32_e32 v41, s22, v36
	v_mul_f32_e32 v46, s22, v31
	v_cvt_pk_bf16_f32 v35, v29, s0
	v_cvt_pk_bf16_f32 v36, v32, s0
	v_cvt_pk_bf16_f32 v33, v33, s0
	v_cvt_pk_bf16_f32 v34, v30, s0
	v_cvt_pk_bf16_f32 v31, v38, s0
	v_cvt_pk_bf16_f32 v32, v40, s0
	v_cvt_pk_bf16_f32 v29, v41, s0
	v_cvt_pk_bf16_f32 v30, v46, s0
	s_and_saveexec_b64 s[12:13], vcc
	s_cbranch_execz .LBB310_53
; %bb.52:                               ;   in Loop: Header=BB310_50 Depth=1
	v_cmp_gt_i32_e64 s[0:1], s33, v37
	s_nop 1
	v_cndmask_b32_e64 v35, 0, v35, s[0:1]
	v_cmp_gt_i32_e64 s[0:1], s33, v48
	s_nop 1
	v_cndmask_b32_e64 v36, 0, v36, s[0:1]
	v_cmp_gt_i32_e64 s[0:1], s33, v45
	s_nop 1
	v_cndmask_b32_e64 v33, 0, v33, s[0:1]
	v_cmp_gt_i32_e64 s[0:1], s33, v44
	s_nop 1
	v_cndmask_b32_e64 v34, 0, v34, s[0:1]
	v_cmp_gt_i32_e64 s[0:1], s33, v43
	s_nop 1
	v_cndmask_b32_e64 v31, 0, v31, s[0:1]
	v_cmp_gt_i32_e64 s[0:1], s33, v42
	s_nop 1
	v_cndmask_b32_e64 v32, 0, v32, s[0:1]
	v_cmp_gt_i32_e64 s[0:1], s33, v39
	s_nop 1
	v_cndmask_b32_e64 v29, 0, v29, s[0:1]
	v_cmp_gt_i32_e64 s[0:1], s33, v52
	s_nop 1
	v_cndmask_b32_e64 v30, 0, v30, s[0:1]
.LBB310_53:                             ;   in Loop: Header=BB310_50 Depth=1
	s_or_b64 exec, exec, s[12:13]
	global_load_dwordx2 v[40:41], v[20:21], off offset:512
	s_waitcnt vmcnt(0)
	v_and_b32_e32 v38, 0xff, v40
	v_bfe_u32 v46, v40, 8, 8
	v_bfe_u32 v47, v40, 16, 8
	v_lshrrev_b32_e32 v40, 24, v40
	v_and_b32_e32 v49, 0xff, v41
	v_bfe_u32 v50, v41, 8, 8
	v_bfe_u32 v51, v41, 16, 8
	v_lshrrev_b32_e32 v41, 24, v41
	v_cvt_f32_fp8_e32 v38, v38
	v_cvt_f32_fp8_e32 v46, v46
	v_cvt_f32_fp8_e32 v47, v47
	v_cvt_f32_fp8_e32 v40, v40
	v_cvt_f32_fp8_e32 v49, v49
	v_cvt_f32_fp8_e32 v50, v50
	v_cvt_f32_fp8_e32 v51, v51
	v_cvt_f32_fp8_e32 v41, v41
	v_mul_f32_e32 v38, s22, v38
	v_mul_f32_e32 v46, s22, v46
	v_mul_f32_e32 v47, s22, v47
	v_mul_f32_e32 v40, s22, v40
	v_mul_f32_e32 v53, s22, v49
	v_mul_f32_e32 v54, s22, v50
	v_mul_f32_e32 v55, s22, v51
	v_mul_f32_e32 v56, s22, v41
	v_cvt_pk_bf16_f32 v50, v38, s0
	v_cvt_pk_bf16_f32 v51, v46, s0
	v_cvt_pk_bf16_f32 v47, v47, s0
	v_cvt_pk_bf16_f32 v49, v40, s0
	v_cvt_pk_bf16_f32 v41, v53, s0
	v_cvt_pk_bf16_f32 v46, v54, s0
	v_cvt_pk_bf16_f32 v38, v55, s0
	v_cvt_pk_bf16_f32 v40, v56, s0
	s_and_saveexec_b64 s[12:13], vcc
	s_cbranch_execz .LBB310_55
; %bb.54:                               ;   in Loop: Header=BB310_50 Depth=1
	v_cmp_gt_i32_e64 s[0:1], s33, v37
	s_nop 1
	v_cndmask_b32_e64 v50, 0, v50, s[0:1]
	v_cmp_gt_i32_e64 s[0:1], s33, v48
	s_nop 1
	v_cndmask_b32_e64 v51, 0, v51, s[0:1]
	v_cmp_gt_i32_e64 s[0:1], s33, v45
	s_nop 1
	v_cndmask_b32_e64 v47, 0, v47, s[0:1]
	v_cmp_gt_i32_e64 s[0:1], s33, v44
	s_nop 1
	v_cndmask_b32_e64 v49, 0, v49, s[0:1]
	v_cmp_gt_i32_e64 s[0:1], s33, v43
	s_nop 1
	v_cndmask_b32_e64 v41, 0, v41, s[0:1]
	v_cmp_gt_i32_e64 s[0:1], s33, v42
	s_nop 1
	v_cndmask_b32_e64 v46, 0, v46, s[0:1]
	v_cmp_gt_i32_e64 s[0:1], s33, v39
	s_nop 1
	v_cndmask_b32_e64 v38, 0, v38, s[0:1]
	v_cmp_gt_i32_e64 s[0:1], s33, v52
	s_nop 1
	v_cndmask_b32_e64 v40, 0, v40, s[0:1]
.LBB310_55:                             ;   in Loop: Header=BB310_50 Depth=1
	s_or_b64 exec, exec, s[12:13]
	global_load_dwordx2 v[54:55], v[20:21], off offset:1024
	s_waitcnt vmcnt(0)
	v_and_b32_e32 v53, 0xff, v54
	v_bfe_u32 v56, v54, 8, 8
	v_bfe_u32 v57, v54, 16, 8
	v_lshrrev_b32_e32 v54, 24, v54
	v_and_b32_e32 v58, 0xff, v55
	v_bfe_u32 v59, v55, 8, 8
	v_bfe_u32 v60, v55, 16, 8
	v_lshrrev_b32_e32 v55, 24, v55
	v_cvt_f32_fp8_e32 v53, v53
	v_cvt_f32_fp8_e32 v56, v56
	v_cvt_f32_fp8_e32 v57, v57
	v_cvt_f32_fp8_e32 v54, v54
	v_cvt_f32_fp8_e32 v58, v58
	v_cvt_f32_fp8_e32 v59, v59
	v_cvt_f32_fp8_e32 v60, v60
	v_cvt_f32_fp8_e32 v55, v55
	;; [unrolled: 63-line block ×4, first 2 shown]
	v_mul_f32_e32 v61, s22, v61
	v_mul_f32_e32 v62, s22, v62
	;; [unrolled: 1-line block ×8, first 2 shown]
	v_cvt_pk_bf16_f32 v65, v61, s0
	v_cvt_pk_bf16_f32 v66, v62, s0
	v_cvt_pk_bf16_f32 v63, v63, s0
	v_cvt_pk_bf16_f32 v64, v20, s0
	v_cvt_pk_bf16_f32 v61, v75, s0
	v_cvt_pk_bf16_f32 v62, v76, s0
	v_cvt_pk_bf16_f32 v20, v77, s0
	v_cvt_pk_bf16_f32 v21, v21, s0
	s_and_saveexec_b64 s[0:1], vcc
	s_cbranch_execz .LBB310_48
; %bb.60:                               ;   in Loop: Header=BB310_50 Depth=1
	v_cmp_gt_i32_e32 vcc, s33, v37
	s_nop 1
	v_cndmask_b32_e32 v65, 0, v65, vcc
	v_cmp_gt_i32_e32 vcc, s33, v48
	s_nop 1
	v_cndmask_b32_e32 v66, 0, v66, vcc
	;; [unrolled: 3-line block ×8, first 2 shown]
	s_branch .LBB310_48
.LBB310_61:
	s_or_b64 exec, exec, s[6:7]
.LBB310_62:
	s_or_b64 exec, exec, s[2:3]
	ds_bpermute_b32 v2, v24, v14
	ds_bpermute_b32 v3, v24, v15
	;; [unrolled: 1-line block ×5, first 2 shown]
	s_waitcnt lgkmcnt(0)
	v_pk_add_f32 v[2:3], v[14:15], v[2:3]
	ds_bpermute_b32 v6, v25, v2
	ds_bpermute_b32 v7, v25, v3
	v_pk_add_f32 v[8:9], v[12:13], v[4:5]
	ds_bpermute_b32 v12, v25, v8
	ds_bpermute_b32 v13, v25, v9
	s_barrier
	s_waitcnt lgkmcnt(2)
	v_pk_add_f32 v[4:5], v[2:3], v[6:7]
	v_add_f32_e32 v6, v11, v1
	ds_bpermute_b32 v7, v25, v6
	v_and_b32_e32 v1, 0x3c3, v0
	s_waitcnt lgkmcnt(1)
	v_pk_add_f32 v[2:3], v[8:9], v[12:13]
	v_cmp_ne_u32_e32 vcc, 64, v1
	s_waitcnt lgkmcnt(0)
	s_and_saveexec_b64 s[0:1], vcc
	s_xor_b64 s[0:1], exec, s[0:1]
; %bb.63:
                                        ; implicit-def: $vgpr23
; %bb.64:
	s_or_saveexec_b64 s[0:1], s[0:1]
	v_add_f32_e32 v6, v6, v7
	s_xor_b64 exec, exec, s[0:1]
	s_cbranch_execz .LBB310_66
; %bb.65:
	v_add_u32_e32 v7, 0xb0, v23
	ds_write2_b32 v7, v4, v5 offset1:16
	ds_write2_b32 v7, v2, v3 offset0:32 offset1:48
	ds_write_b32 v7, v6 offset:256
.LBB310_66:
	s_or_b64 exec, exec, s[0:1]
	v_cmp_gt_u32_e32 vcc, 64, v0
	v_lshrrev_b32_e32 v0, 2, v0
	s_waitcnt lgkmcnt(0)
	s_barrier
	s_and_saveexec_b64 s[0:1], vcc
	s_cbranch_execz .LBB310_74
; %bb.67:
	v_mov_b32_e32 v7, 0xb0
	v_cmp_eq_u32_e32 vcc, 0, v26
	v_lshl_add_u32 v7, v0, 2, v7
	s_and_saveexec_b64 s[2:3], vcc
	s_cbranch_execnz .LBB310_77
; %bb.68:
	s_or_b64 exec, exec, s[2:3]
	s_and_saveexec_b64 s[2:3], vcc
	s_cbranch_execnz .LBB310_78
.LBB310_69:
	s_or_b64 exec, exec, s[2:3]
	s_and_saveexec_b64 s[2:3], vcc
	s_cbranch_execnz .LBB310_79
.LBB310_70:
	s_or_b64 exec, exec, s[2:3]
	s_and_saveexec_b64 s[2:3], vcc
	s_cbranch_execnz .LBB310_80
.LBB310_71:
	s_or_b64 exec, exec, s[2:3]
	s_and_saveexec_b64 s[2:3], vcc
	s_cbranch_execz .LBB310_73
.LBB310_72:
	ds_read_b32 v7, v7 offset:256
	s_waitcnt lgkmcnt(0)
	v_add_f32_e32 v6, v6, v7
.LBB310_73:
	s_or_b64 exec, exec, s[2:3]
.LBB310_74:
	s_or_b64 exec, exec, s[0:1]
	v_cmp_eq_u32_e32 vcc, 0, v1
	s_barrier
	s_and_saveexec_b64 s[0:1], vcc
	s_cbranch_execz .LBB310_76
; %bb.75:
	s_mul_i32 s0, s10, s11
	s_mul_i32 s0, s0, s5
	s_mulk_i32 s0, 0x50
	s_ashr_i32 s1, s0, 31
	s_lshl_b64 s[0:1], s[0:1], 1
	s_add_u32 s2, s26, s0
	s_mul_i32 s0, s11, s24
	s_addc_u32 s3, s27, s1
	s_ashr_i32 s1, s0, 31
	s_lshl_b64 s[0:1], s[0:1], 1
	s_add_u32 s2, s2, s0
	s_mul_i32 s0, s4, 0x50
	s_addc_u32 s3, s3, s1
	s_ashr_i32 s1, s0, 31
	s_lshl_b64 s[0:1], s[0:1], 1
	s_add_u32 s0, s2, s0
	s_addc_u32 s1, s3, s1
	v_lshlrev_b32_e32 v0, 1, v0
	v_cvt_pk_bf16_f32 v1, v4, s0
	global_store_short v0, v1, s[0:1]
	v_cvt_pk_bf16_f32 v1, v5, s0
	global_store_short v0, v1, s[0:1] offset:32
	v_cvt_pk_bf16_f32 v1, v2, s0
	global_store_short v0, v1, s[0:1] offset:64
	;; [unrolled: 2-line block ×4, first 2 shown]
.LBB310_76:
	s_endpgm
.LBB310_77:
	ds_read_b32 v8, v7
	s_waitcnt lgkmcnt(0)
	v_add_f32_e32 v4, v4, v8
	s_or_b64 exec, exec, s[2:3]
	s_and_saveexec_b64 s[2:3], vcc
	s_cbranch_execz .LBB310_69
.LBB310_78:
	ds_read_b32 v8, v7 offset:64
	s_waitcnt lgkmcnt(0)
	v_add_f32_e32 v5, v5, v8
	s_or_b64 exec, exec, s[2:3]
	s_and_saveexec_b64 s[2:3], vcc
	s_cbranch_execz .LBB310_70
.LBB310_79:
	ds_read_b32 v8, v7 offset:128
	s_waitcnt lgkmcnt(0)
	v_add_f32_e32 v2, v2, v8
	s_or_b64 exec, exec, s[2:3]
	s_and_saveexec_b64 s[2:3], vcc
	s_cbranch_execz .LBB310_71
.LBB310_80:
	ds_read_b32 v8, v7 offset:192
	s_waitcnt lgkmcnt(0)
	v_add_f32_e32 v3, v3, v8
	s_or_b64 exec, exec, s[2:3]
	s_and_saveexec_b64 s[2:3], vcc
	s_cbranch_execnz .LBB310_72
	s_branch .LBB310_73
	.section	.rodata,"a",@progbits
	.p2align	6, 0x0
	.amdhsa_kernel _ZN4vllm25paged_attention_v1_kernelI14__hip_bfloat16hLi80ELi32ELi128ELNS_18Fp8KVCacheDataTypeE1ELb1EEEvPT_PKS3_PKT0_S9_ifPKiSB_iPKfiiiSD_SD_iiiii
		.amdhsa_group_segment_fixed_size 176
		.amdhsa_private_segment_fixed_size 0
		.amdhsa_kernarg_size 384
		.amdhsa_user_sgpr_count 2
		.amdhsa_user_sgpr_dispatch_ptr 0
		.amdhsa_user_sgpr_queue_ptr 0
		.amdhsa_user_sgpr_kernarg_segment_ptr 1
		.amdhsa_user_sgpr_dispatch_id 0
		.amdhsa_user_sgpr_kernarg_preload_length 0
		.amdhsa_user_sgpr_kernarg_preload_offset 0
		.amdhsa_user_sgpr_private_segment_size 0
		.amdhsa_uses_dynamic_stack 0
		.amdhsa_enable_private_segment 0
		.amdhsa_system_sgpr_workgroup_id_x 1
		.amdhsa_system_sgpr_workgroup_id_y 1
		.amdhsa_system_sgpr_workgroup_id_z 1
		.amdhsa_system_sgpr_workgroup_info 0
		.amdhsa_system_vgpr_workitem_id 0
		.amdhsa_next_free_vgpr 90
		.amdhsa_next_free_sgpr 48
		.amdhsa_accum_offset 92
		.amdhsa_reserve_vcc 1
		.amdhsa_float_round_mode_32 0
		.amdhsa_float_round_mode_16_64 0
		.amdhsa_float_denorm_mode_32 3
		.amdhsa_float_denorm_mode_16_64 3
		.amdhsa_dx10_clamp 1
		.amdhsa_ieee_mode 1
		.amdhsa_fp16_overflow 0
		.amdhsa_tg_split 0
		.amdhsa_exception_fp_ieee_invalid_op 0
		.amdhsa_exception_fp_denorm_src 0
		.amdhsa_exception_fp_ieee_div_zero 0
		.amdhsa_exception_fp_ieee_overflow 0
		.amdhsa_exception_fp_ieee_underflow 0
		.amdhsa_exception_fp_ieee_inexact 0
		.amdhsa_exception_int_div_zero 0
	.end_amdhsa_kernel
	.section	.text._ZN4vllm25paged_attention_v1_kernelI14__hip_bfloat16hLi80ELi32ELi128ELNS_18Fp8KVCacheDataTypeE1ELb1EEEvPT_PKS3_PKT0_S9_ifPKiSB_iPKfiiiSD_SD_iiiii,"axG",@progbits,_ZN4vllm25paged_attention_v1_kernelI14__hip_bfloat16hLi80ELi32ELi128ELNS_18Fp8KVCacheDataTypeE1ELb1EEEvPT_PKS3_PKT0_S9_ifPKiSB_iPKfiiiSD_SD_iiiii,comdat
.Lfunc_end310:
	.size	_ZN4vllm25paged_attention_v1_kernelI14__hip_bfloat16hLi80ELi32ELi128ELNS_18Fp8KVCacheDataTypeE1ELb1EEEvPT_PKS3_PKT0_S9_ifPKiSB_iPKfiiiSD_SD_iiiii, .Lfunc_end310-_ZN4vllm25paged_attention_v1_kernelI14__hip_bfloat16hLi80ELi32ELi128ELNS_18Fp8KVCacheDataTypeE1ELb1EEEvPT_PKS3_PKT0_S9_ifPKiSB_iPKfiiiSD_SD_iiiii
                                        ; -- End function
	.set _ZN4vllm25paged_attention_v1_kernelI14__hip_bfloat16hLi80ELi32ELi128ELNS_18Fp8KVCacheDataTypeE1ELb1EEEvPT_PKS3_PKT0_S9_ifPKiSB_iPKfiiiSD_SD_iiiii.num_vgpr, 90
	.set _ZN4vllm25paged_attention_v1_kernelI14__hip_bfloat16hLi80ELi32ELi128ELNS_18Fp8KVCacheDataTypeE1ELb1EEEvPT_PKS3_PKT0_S9_ifPKiSB_iPKfiiiSD_SD_iiiii.num_agpr, 0
	.set _ZN4vllm25paged_attention_v1_kernelI14__hip_bfloat16hLi80ELi32ELi128ELNS_18Fp8KVCacheDataTypeE1ELb1EEEvPT_PKS3_PKT0_S9_ifPKiSB_iPKfiiiSD_SD_iiiii.numbered_sgpr, 48
	.set _ZN4vllm25paged_attention_v1_kernelI14__hip_bfloat16hLi80ELi32ELi128ELNS_18Fp8KVCacheDataTypeE1ELb1EEEvPT_PKS3_PKT0_S9_ifPKiSB_iPKfiiiSD_SD_iiiii.num_named_barrier, 0
	.set _ZN4vllm25paged_attention_v1_kernelI14__hip_bfloat16hLi80ELi32ELi128ELNS_18Fp8KVCacheDataTypeE1ELb1EEEvPT_PKS3_PKT0_S9_ifPKiSB_iPKfiiiSD_SD_iiiii.private_seg_size, 0
	.set _ZN4vllm25paged_attention_v1_kernelI14__hip_bfloat16hLi80ELi32ELi128ELNS_18Fp8KVCacheDataTypeE1ELb1EEEvPT_PKS3_PKT0_S9_ifPKiSB_iPKfiiiSD_SD_iiiii.uses_vcc, 1
	.set _ZN4vllm25paged_attention_v1_kernelI14__hip_bfloat16hLi80ELi32ELi128ELNS_18Fp8KVCacheDataTypeE1ELb1EEEvPT_PKS3_PKT0_S9_ifPKiSB_iPKfiiiSD_SD_iiiii.uses_flat_scratch, 0
	.set _ZN4vllm25paged_attention_v1_kernelI14__hip_bfloat16hLi80ELi32ELi128ELNS_18Fp8KVCacheDataTypeE1ELb1EEEvPT_PKS3_PKT0_S9_ifPKiSB_iPKfiiiSD_SD_iiiii.has_dyn_sized_stack, 0
	.set _ZN4vllm25paged_attention_v1_kernelI14__hip_bfloat16hLi80ELi32ELi128ELNS_18Fp8KVCacheDataTypeE1ELb1EEEvPT_PKS3_PKT0_S9_ifPKiSB_iPKfiiiSD_SD_iiiii.has_recursion, 0
	.set _ZN4vllm25paged_attention_v1_kernelI14__hip_bfloat16hLi80ELi32ELi128ELNS_18Fp8KVCacheDataTypeE1ELb1EEEvPT_PKS3_PKT0_S9_ifPKiSB_iPKfiiiSD_SD_iiiii.has_indirect_call, 0
	.section	.AMDGPU.csdata,"",@progbits
; Kernel info:
; codeLenInByte = 8428
; TotalNumSgprs: 54
; NumVgprs: 90
; NumAgprs: 0
; TotalNumVgprs: 90
; ScratchSize: 0
; MemoryBound: 0
; FloatMode: 240
; IeeeMode: 1
; LDSByteSize: 176 bytes/workgroup (compile time only)
; SGPRBlocks: 6
; VGPRBlocks: 11
; NumSGPRsForWavesPerEU: 54
; NumVGPRsForWavesPerEU: 90
; AccumOffset: 92
; Occupancy: 5
; WaveLimiterHint : 1
; COMPUTE_PGM_RSRC2:SCRATCH_EN: 0
; COMPUTE_PGM_RSRC2:USER_SGPR: 2
; COMPUTE_PGM_RSRC2:TRAP_HANDLER: 0
; COMPUTE_PGM_RSRC2:TGID_X_EN: 1
; COMPUTE_PGM_RSRC2:TGID_Y_EN: 1
; COMPUTE_PGM_RSRC2:TGID_Z_EN: 1
; COMPUTE_PGM_RSRC2:TIDIG_COMP_CNT: 0
; COMPUTE_PGM_RSRC3_GFX90A:ACCUM_OFFSET: 22
; COMPUTE_PGM_RSRC3_GFX90A:TG_SPLIT: 0
	.section	.text._ZN4vllm25paged_attention_v1_kernelI14__hip_bfloat16hLi96ELi32ELi128ELNS_18Fp8KVCacheDataTypeE1ELb1EEEvPT_PKS3_PKT0_S9_ifPKiSB_iPKfiiiSD_SD_iiiii,"axG",@progbits,_ZN4vllm25paged_attention_v1_kernelI14__hip_bfloat16hLi96ELi32ELi128ELNS_18Fp8KVCacheDataTypeE1ELb1EEEvPT_PKS3_PKT0_S9_ifPKiSB_iPKfiiiSD_SD_iiiii,comdat
	.protected	_ZN4vllm25paged_attention_v1_kernelI14__hip_bfloat16hLi96ELi32ELi128ELNS_18Fp8KVCacheDataTypeE1ELb1EEEvPT_PKS3_PKT0_S9_ifPKiSB_iPKfiiiSD_SD_iiiii ; -- Begin function _ZN4vllm25paged_attention_v1_kernelI14__hip_bfloat16hLi96ELi32ELi128ELNS_18Fp8KVCacheDataTypeE1ELb1EEEvPT_PKS3_PKT0_S9_ifPKiSB_iPKfiiiSD_SD_iiiii
	.globl	_ZN4vllm25paged_attention_v1_kernelI14__hip_bfloat16hLi96ELi32ELi128ELNS_18Fp8KVCacheDataTypeE1ELb1EEEvPT_PKS3_PKT0_S9_ifPKiSB_iPKfiiiSD_SD_iiiii
	.p2align	8
	.type	_ZN4vllm25paged_attention_v1_kernelI14__hip_bfloat16hLi96ELi32ELi128ELNS_18Fp8KVCacheDataTypeE1ELb1EEEvPT_PKS3_PKT0_S9_ifPKiSB_iPKfiiiSD_SD_iiiii,@function
_ZN4vllm25paged_attention_v1_kernelI14__hip_bfloat16hLi96ELi32ELi128ELNS_18Fp8KVCacheDataTypeE1ELb1EEEvPT_PKS3_PKT0_S9_ifPKiSB_iPKfiiiSD_SD_iiiii: ; @_ZN4vllm25paged_attention_v1_kernelI14__hip_bfloat16hLi96ELi32ELi128ELNS_18Fp8KVCacheDataTypeE1ELb1EEEvPT_PKS3_PKT0_S9_ifPKiSB_iPKfiiiSD_SD_iiiii
; %bb.0:
	s_load_dword s5, s[0:1], 0x80
	s_load_dwordx2 s[6:7], s[0:1], 0x30
	s_load_dwordx2 s[36:37], s[0:1], 0x20
	s_mov_b32 s10, s3
	s_ashr_i32 s11, s3, 31
	s_lshl_b64 s[8:9], s[10:11], 2
	s_waitcnt lgkmcnt(0)
	s_add_u32 s6, s6, s8
	s_addc_u32 s7, s7, s9
	s_abs_i32 s3, s36
	v_cvt_f32_u32_e32 v1, s3
	s_sub_i32 s11, 0, s3
	s_abs_i32 s9, s5
	s_xor_b32 s8, s5, s36
	v_rcp_iflag_f32_e32 v1, v1
	s_ashr_i32 s8, s8, 31
	s_mov_b32 s44, 0
	v_mul_f32_e32 v1, 0x4f7ffffe, v1
	v_cvt_u32_f32_e32 v1, v1
	s_nop 0
	v_readfirstlane_b32 s12, v1
	s_mul_i32 s11, s11, s12
	s_mul_hi_u32 s11, s12, s11
	s_add_i32 s12, s12, s11
	s_mul_hi_u32 s11, s9, s12
	s_mul_i32 s12, s11, s3
	s_sub_i32 s9, s9, s12
	s_add_i32 s12, s11, 1
	s_sub_i32 s13, s9, s3
	s_cmp_ge_u32 s9, s3
	s_cselect_b32 s11, s12, s11
	s_cselect_b32 s9, s13, s9
	s_add_i32 s12, s11, 1
	s_cmp_ge_u32 s9, s3
	s_cselect_b32 s3, s12, s11
	s_xor_b32 s3, s3, s8
	s_sub_i32 s14, s3, s8
	s_abs_i32 s11, s14
	v_cvt_f32_u32_e32 v1, s11
	s_load_dwordx2 s[8:9], s[0:1], 0x40
	s_sub_i32 s3, 0, s11
	s_abs_i32 s12, s2
	v_rcp_iflag_f32_e32 v1, v1
	s_nop 0
	v_mul_f32_e32 v1, 0x4f7ffffe, v1
	v_cvt_u32_f32_e32 v1, v1
	s_nop 0
	v_readfirstlane_b32 s13, v1
	s_mul_i32 s3, s3, s13
	s_mul_hi_u32 s3, s13, s3
	s_add_i32 s13, s13, s3
	s_waitcnt lgkmcnt(0)
	s_cmp_eq_u64 s[8:9], 0
	s_mul_hi_u32 s13, s12, s13
	s_cbranch_scc1 .LBB311_2
; %bb.1:
	s_ashr_i32 s3, s2, 31
	s_lshl_b64 s[16:17], s[2:3], 2
	s_add_u32 s8, s8, s16
	s_addc_u32 s9, s9, s17
	s_load_dword s44, s[8:9], 0x0
.LBB311_2:
	s_load_dword s33, s[6:7], 0x0
	s_load_dwordx4 s[16:19], s[0:1], 0x48
	s_ashr_i32 s8, s2, 31
	s_ashr_i32 s9, s14, 31
	v_and_b32_e32 v2, 1, v0
	s_movk_i32 s3, 0x60
	s_mul_i32 s24, s2, 0x60
	v_cmp_gt_u32_e32 vcc, 24, v0
	v_lshlrev_b32_e32 v8, 3, v0
	s_and_saveexec_b64 s[6:7], vcc
	s_cbranch_execz .LBB311_4
; %bb.3:
	s_load_dwordx2 s[14:15], s[0:1], 0x8
	s_waitcnt lgkmcnt(0)
	s_mul_i32 s20, s16, s10
	s_ashr_i32 s21, s20, 31
	s_lshl_b64 s[20:21], s[20:21], 1
	v_lshlrev_b32_e32 v1, 2, v0
	s_add_u32 s16, s14, s20
	s_addc_u32 s19, s15, s21
	s_ashr_i32 s25, s24, 31
	s_lshl_b64 s[14:15], s[24:25], 1
	s_add_u32 s14, s16, s14
	s_addc_u32 s15, s19, s15
	global_load_dwordx2 v[4:5], v8, s[14:15]
	v_and_b32_e32 v1, 0xff8, v1
	v_mad_u32_u24 v1, v2, s3, v1
	s_waitcnt vmcnt(0)
	ds_write_b64 v1, v[4:5]
.LBB311_4:
	s_or_b64 exec, exec, s[6:7]
	s_mul_i32 s7, s13, s11
	s_sub_i32 s7, s12, s7
	s_xor_b32 s6, s8, s9
	s_add_i32 s8, s13, 1
	s_sub_i32 s9, s7, s11
	s_load_dwordx4 s[20:23], s[0:1], 0x68
	s_load_dword s3, s[0:1], 0x78
	s_cmp_ge_u32 s7, s11
	s_cselect_b32 s8, s8, s13
	s_cselect_b32 s7, s9, s7
	s_add_i32 s9, s8, 1
	s_cmp_ge_u32 s7, s11
	s_cselect_b32 s7, s9, s8
	s_waitcnt lgkmcnt(0)
	s_abs_i32 s16, s23
	v_cvt_f32_u32_e32 v1, s16
	s_xor_b32 s7, s7, s6
	s_sub_i32 s43, s7, s6
	s_sub_i32 s6, 0, s16
	v_rcp_iflag_f32_e32 v1, v1
	s_add_i32 s11, s33, -1
	s_abs_i32 s8, s11
	v_mul_f32_e32 v1, 0x4f7ffffe, v1
	v_cvt_u32_f32_e32 v1, v1
	s_barrier
	v_readfirstlane_b32 s25, v1
	s_mul_i32 s6, s6, s25
	s_mul_hi_u32 s6, s25, s6
	s_add_i32 s25, s25, s6
	s_cmp_lt_i32 s3, 0
	s_mul_hi_u32 s9, s8, s25
	s_cbranch_scc0 .LBB311_6
; %bb.5:
	s_mul_i32 s6, s20, s36
	s_add_i32 s6, s43, s6
	s_mul_i32 s6, s6, s3
	s_sub_i32 s36, 1, s6
	s_mov_b64 s[6:7], 0
	s_branch .LBB311_7
.LBB311_6:
	s_mov_b64 s[6:7], -1
                                        ; implicit-def: $sgpr36
.LBB311_7:
	s_load_dwordx2 s[28:29], s[0:1], 0x28
	s_ashr_i32 s19, s11, 31
	s_andn2_b64 vcc, exec, s[6:7]
	s_ashr_i32 s23, s23, 31
	s_cbranch_vccnz .LBB311_9
; %bb.8:
	s_mul_i32 s6, s5, s20
	s_add_i32 s2, s6, s2
	s_mul_i32 s2, s2, s3
	s_add_i32 s36, s2, 1
.LBB311_9:
	s_load_dword s2, s[0:1], 0x38
	s_load_dwordx2 s[26:27], s[0:1], 0x0
	s_load_dwordx2 s[34:35], s[0:1], 0x18
	s_load_dword s11, s[0:1], 0x88
	s_load_dwordx4 s[12:15], s[0:1], 0x58
	s_mul_i32 s3, s9, s16
	s_waitcnt lgkmcnt(0)
	s_mul_i32 s30, s2, s10
	s_sub_i32 s3, s8, s3
	s_ashr_i32 s31, s30, 31
	s_xor_b32 s2, s19, s23
	s_add_i32 s6, s9, 1
	s_sub_i32 s7, s3, s16
	s_cmp_ge_u32 s3, s16
	s_cselect_b32 s6, s6, s9
	s_cselect_b32 s3, s7, s3
	s_add_i32 s7, s6, 1
	s_cmp_ge_u32 s3, s16
	s_cselect_b32 s3, s7, s6
	s_xor_b32 s3, s3, s2
	s_sub_i32 s42, s3, s2
	s_add_i32 s2, s33, 31
	s_ashr_i32 s3, s2, 31
	s_lshr_b32 s3, s3, 27
	s_add_i32 s2, s2, s3
	s_ashr_i32 s20, s2, 5
	v_lshrrev_b32_e32 v1, 6, v0
	v_cmp_gt_i32_e64 s[6:7], s20, v1
	v_mov_b32_e32 v13, 0xff7fffff
	s_mul_i32 s43, s43, s18
	v_lshrrev_b32_e32 v9, 4, v0
	v_lshlrev_b32_e32 v22, 5, v1
	v_mbcnt_lo_u32_b32 v10, -1, 0
	s_and_saveexec_b64 s[18:19], s[6:7]
	s_cbranch_execz .LBB311_21
; %bb.10:
	s_load_dwordx2 s[0:1], s[0:1], 0x10
	s_sub_i32 s45, s42, s21
	s_ashr_i32 s2, s43, 31
	v_bfe_u32 v11, v0, 1, 5
	v_mov_b32_e32 v5, 0
	s_waitcnt lgkmcnt(0)
	s_add_u32 s0, s0, s43
	s_addc_u32 s1, s1, s2
	s_abs_i32 s46, s22
	v_cvt_f32_u32_e32 v3, s46
	v_lshlrev_b32_e32 v4, 4, v11
	v_lshl_add_u64 v[6:7], s[0:1], 0, v[4:5]
	s_sub_i32 s0, 0, s46
	v_rcp_iflag_f32_e32 v3, v3
	v_cmp_eq_u32_e32 vcc, 0, v2
	v_mul_u32_u24_e32 v12, 0x60, v2
	v_lshlrev_b32_e32 v4, 2, v2
	v_mul_f32_e32 v3, 0x4f7ffffe, v3
	v_cvt_u32_f32_e32 v3, v3
	v_mbcnt_hi_u32_b32 v19, -1, v10
	s_mov_b32 s47, s17
	v_cmp_neq_f32_e64 s[2:3], s44, 0
	v_mul_lo_u32 v2, s0, v3
	v_mul_hi_u32 v2, v3, v2
	v_add_u32_e32 v14, v3, v2
	v_lshl_add_u64 v[2:3], v[6:7], 0, v[4:5]
	v_subrev_u32_e32 v6, s33, v11
	s_lshl_b64 s[0:1], s[30:31], 2
	v_add_u32_e32 v16, 1, v6
	v_lshlrev_b32_e32 v6, 2, v11
	s_add_u32 s0, s28, s0
	v_lshl_or_b32 v6, v1, 7, v6
	v_and_b32_e32 v4, 60, v9
	s_addc_u32 s1, s29, s1
	v_add_u32_e32 v17, 0xd0, v6
	v_and_b32_e32 v6, 64, v19
	v_lshl_add_u64 v[4:5], s[0:1], 0, v[4:5]
	v_lshlrev_b32_e32 v15, 5, v1
	v_mov_b32_e32 v18, 0xff7fffff
	s_mov_b64 s[38:39], 0
	v_xor_b32_e32 v20, 1, v19
	v_add_u32_e32 v21, 64, v6
	v_mov_b32_e32 v13, 0xff7fffff
	v_mov_b32_e32 v23, v1
	s_branch .LBB311_13
.LBB311_11:                             ;   in Loop: Header=BB311_13 Depth=1
	s_or_b64 exec, exec, s[40:41]
.LBB311_12:                             ;   in Loop: Header=BB311_13 Depth=1
	s_or_b64 exec, exec, s[8:9]
	v_add_u32_e32 v23, 2, v23
	v_cmp_le_i32_e64 s[0:1], s20, v23
	v_lshl_add_u64 v[4:5], v[4:5], 0, 8
	v_add_u32_e32 v15, 64, v15
	s_or_b64 s[38:39], s[0:1], s[38:39]
	v_add_u32_e32 v17, 0x100, v17
	s_andn2_b64 exec, exec, s[38:39]
	s_cbranch_execz .LBB311_20
.LBB311_13:                             ; =>This Inner Loop Header: Depth=1
	v_mul_hi_u32 v6, v15, s25
	s_waitcnt lgkmcnt(0)
	v_mul_lo_u32 v7, v6, s16
	v_sub_u32_e32 v7, v15, v7
	v_add_u32_e32 v24, 1, v6
	v_cmp_le_u32_e64 s[0:1], s16, v7
	s_nop 1
	v_cndmask_b32_e64 v6, v6, v24, s[0:1]
	v_subrev_u32_e32 v24, s16, v7
	v_cndmask_b32_e64 v7, v7, v24, s[0:1]
	v_add_u32_e32 v24, 1, v6
	v_cmp_le_u32_e64 s[0:1], s16, v7
	s_nop 1
	v_cndmask_b32_e64 v6, v6, v24, s[0:1]
	v_xor_b32_e32 v6, s23, v6
	v_subrev_u32_e32 v6, s23, v6
	v_add_u32_e32 v7, s36, v6
	v_sub_u32_e32 v25, 0, v7
	v_ashrrev_i32_e32 v24, 31, v7
	v_max_i32_e32 v7, v7, v25
	v_mul_hi_u32 v25, v7, v14
	v_mul_lo_u32 v25, v25, s46
	v_sub_u32_e32 v7, v7, v25
	v_subrev_u32_e32 v25, s46, v7
	v_cmp_le_u32_e64 s[0:1], s46, v7
	v_cmp_ge_i32_e64 s[8:9], s45, v6
	s_nop 0
	v_cndmask_b32_e64 v7, v7, v25, s[0:1]
	v_subrev_u32_e32 v25, s46, v7
	v_cmp_le_u32_e64 s[0:1], s46, v7
	s_nop 1
	v_cndmask_b32_e64 v7, v7, v25, s[0:1]
	v_xor_b32_e32 v7, v7, v24
	v_sub_u32_e32 v7, v7, v24
	v_cmp_ne_u32_e64 s[0:1], 0, v7
	s_and_b64 s[0:1], s[0:1], s[8:9]
	s_and_saveexec_b64 s[8:9], s[0:1]
	s_xor_b64 s[0:1], exec, s[8:9]
	s_cbranch_execz .LBB311_17
; %bb.14:                               ;   in Loop: Header=BB311_13 Depth=1
	s_and_saveexec_b64 s[8:9], vcc
; %bb.15:                               ;   in Loop: Header=BB311_13 Depth=1
	ds_write_b32 v17, v18
; %bb.16:                               ;   in Loop: Header=BB311_13 Depth=1
	s_or_b64 exec, exec, s[8:9]
.LBB311_17:                             ;   in Loop: Header=BB311_13 Depth=1
	s_andn2_saveexec_b64 s[8:9], s[0:1]
	s_cbranch_execz .LBB311_12
; %bb.18:                               ;   in Loop: Header=BB311_13 Depth=1
	global_load_dword v6, v[4:5], off
	s_waitcnt vmcnt(0)
	v_mad_i64_i32 v[6:7], s[0:1], v6, s47, v[2:3]
	global_load_dword v82, v[6:7], off offset:8
	global_load_dword v83, v[6:7], off offset:512
	;; [unrolled: 1-line block ×7, first 2 shown]
	global_load_dword v86, v[6:7], off
	ds_read_b128 v[58:61], v12
	ds_read_b128 v[62:65], v12 offset:16
	ds_read_b128 v[66:69], v12 offset:32
	;; [unrolled: 1-line block ×5, first 2 shown]
	s_load_dword s40, s[12:13], 0x0
	s_waitcnt lgkmcnt(0)
	v_lshlrev_b32_e32 v51, 16, v68
	v_lshlrev_b32_e32 v45, 16, v70
	v_and_b32_e32 v48, 0xffff0000, v70
	v_lshlrev_b32_e32 v41, 16, v71
	v_lshlrev_b32_e32 v34, 16, v74
	v_and_b32_e32 v47, 0xffff0000, v71
	v_and_b32_e32 v43, 0xffff0000, v74
	v_lshlrev_b32_e32 v32, 16, v75
	v_lshlrev_b32_e32 v28, 16, v77
	v_and_b32_e32 v53, 0xffff0000, v68
	v_and_b32_e32 v42, 0xffff0000, v75
	;; [unrolled: 1-line block ×3, first 2 shown]
	v_lshlrev_b32_e32 v49, 16, v69
	v_lshlrev_b32_e32 v26, 16, v79
	v_and_b32_e32 v50, 0xffff0000, v69
	v_and_b32_e32 v33, 0xffff0000, v79
	v_lshlrev_b32_e32 v55, 16, v67
	v_lshlrev_b32_e32 v30, 16, v76
	;; [unrolled: 1-line block ×3, first 2 shown]
	v_and_b32_e32 v56, 0xffff0000, v67
	v_and_b32_e32 v40, 0xffff0000, v76
	;; [unrolled: 1-line block ×3, first 2 shown]
	global_load_dword v67, v[6:7], off offset:2048
	v_cmp_lt_i32_e64 s[0:1], v20, v21
	v_lshlrev_b32_e32 v89, 16, v60
	v_and_b32_e32 v60, 0xffff0000, v60
	v_lshlrev_b32_e32 v87, 16, v58
	v_lshlrev_b32_e32 v90, 16, v61
	v_and_b32_e32 v58, 0xffff0000, v58
	v_and_b32_e32 v61, 0xffff0000, v61
	v_lshlrev_b32_e32 v88, 16, v59
	v_lshlrev_b32_e32 v91, 16, v62
	v_and_b32_e32 v59, 0xffff0000, v59
	v_and_b32_e32 v62, 0xffff0000, v62
	v_lshlrev_b32_e32 v92, 16, v63
	v_and_b32_e32 v63, 0xffff0000, v63
	v_lshlrev_b32_e32 v94, 16, v65
	;; [unrolled: 2-line block ×4, first 2 shown]
	v_lshlrev_b32_e32 v24, 16, v81
	v_and_b32_e32 v44, 0xffff0000, v73
	v_and_b32_e32 v29, 0xffff0000, v81
	v_lshlrev_b32_e32 v93, 16, v64
	v_lshlrev_b32_e32 v25, 16, v80
	v_and_b32_e32 v64, 0xffff0000, v64
	v_and_b32_e32 v31, 0xffff0000, v80
	v_lshlrev_b32_e32 v95, 16, v66
	v_and_b32_e32 v66, 0xffff0000, v66
	v_cndmask_b32_e64 v38, v19, v20, s[0:1]
	v_lshlrev_b32_e32 v38, 2, v38
	s_waitcnt vmcnt(8)
	v_bfe_u32 v70, v82, 8, 8
	v_lshrrev_b32_e32 v74, 24, v82
	v_cvt_f32_fp8_e32 v70, v70
	v_and_b32_e32 v68, 0xff, v82
	s_waitcnt vmcnt(7)
	v_bfe_u32 v77, v83, 8, 8
	v_cvt_f32_fp8_e32 v74, v74
	v_lshrrev_b32_e32 v79, 24, v83
	s_waitcnt vmcnt(1)
	v_bfe_u32 v71, v86, 8, 8
	v_lshrrev_b32_e32 v75, 24, v86
	v_cvt_f32_fp8_e32 v71, v71
	v_and_b32_e32 v69, 0xff, v86
	v_cvt_f32_fp8_e32 v68, v68
	v_cvt_f32_fp8_e32 v75, v75
	;; [unrolled: 1-line block ×3, first 2 shown]
	v_and_b32_e32 v76, 0xff, v83
	v_bfe_u32 v78, v83, 16, 8
	v_lshrrev_b32_e32 v83, 24, v84
	v_cvt_f32_fp8_e32 v69, v69
	v_cvt_f32_fp8_e32 v79, v79
	;; [unrolled: 1-line block ×3, first 2 shown]
	v_mul_f32_e32 v70, s40, v70
	v_mul_f32_e32 v71, s40, v71
	;; [unrolled: 1-line block ×3, first 2 shown]
	v_cvt_pk_bf16_f32 v70, v70, s0
	v_mul_f32_e32 v68, s40, v68
	v_mul_f32_e32 v75, s40, v75
	;; [unrolled: 1-line block ×3, first 2 shown]
	v_cvt_pk_bf16_f32 v71, v71, s0
	v_cvt_pk_bf16_f32 v74, v74, s0
	v_lshlrev_b32_e32 v70, 16, v70
	v_mul_f32_e32 v69, s40, v69
	v_mul_f32_e32 v79, s40, v79
	v_cvt_pk_bf16_f32 v68, v68, s0
	v_cvt_pk_bf16_f32 v75, v75, s0
	;; [unrolled: 1-line block ×3, first 2 shown]
	v_lshlrev_b32_e32 v71, 16, v71
	v_lshlrev_b32_e32 v74, 16, v74
	v_mul_f32_e32 v60, v60, v70
	v_mul_f32_e32 v83, s40, v83
	v_cvt_pk_bf16_f32 v69, v69, s0
	v_cvt_pk_bf16_f32 v79, v79, s0
	v_lshlrev_b32_e32 v68, 16, v68
	v_lshlrev_b32_e32 v75, 16, v75
	;; [unrolled: 1-line block ×3, first 2 shown]
	v_mul_f32_e32 v61, v61, v74
	v_fmac_f32_e32 v60, v58, v71
	v_cvt_pk_bf16_f32 v83, v83, s0
	v_lshlrev_b32_e32 v69, 16, v69
	v_lshlrev_b32_e32 v79, 16, v79
	v_mul_f32_e32 v68, v89, v68
	v_fmac_f32_e32 v61, v59, v75
	v_fmac_f32_e32 v60, v62, v77
	global_load_dword v62, v[6:7], off offset:2056
	v_fmac_f32_e32 v68, v87, v69
	v_fmac_f32_e32 v61, v63, v79
	v_lshlrev_b32_e32 v69, 16, v83
	v_fmac_f32_e32 v61, v65, v69
	global_load_dword v69, v[6:7], off offset:2560
	v_bfe_u32 v72, v82, 16, 8
	global_load_dword v6, v[6:7], off offset:2568
	v_bfe_u32 v73, v86, 16, 8
	v_bfe_u32 v81, v84, 8, 8
	v_cvt_f32_fp8_e32 v72, v72
	v_bfe_u32 v86, v85, 8, 8
	v_cvt_f32_fp8_e32 v73, v73
	v_cvt_f32_fp8_e32 v81, v81
	;; [unrolled: 1-line block ×3, first 2 shown]
	v_mul_f32_e32 v72, s40, v72
	v_bfe_u32 v82, v84, 16, 8
	v_cvt_f32_fp8_e32 v78, v78
	v_mul_f32_e32 v73, s40, v73
	v_mul_f32_e32 v81, s40, v81
	v_cvt_pk_bf16_f32 v72, v72, s0
	v_cvt_f32_fp8_e32 v82, v82
	v_mul_f32_e32 v86, s40, v86
	v_cvt_pk_bf16_f32 v73, v73, s0
	v_cvt_pk_bf16_f32 v81, v81, s0
	v_lshlrev_b32_e32 v72, 16, v72
	v_and_b32_e32 v80, 0xff, v84
	v_bfe_u32 v96, v85, 16, 8
	v_cvt_f32_fp8_e32 v76, v76
	v_cvt_pk_bf16_f32 v86, v86, s0
	v_lshlrev_b32_e32 v73, 16, v73
	v_lshlrev_b32_e32 v81, 16, v81
	v_mul_f32_e32 v70, v90, v72
	v_and_b32_e32 v84, 0xff, v85
	v_cvt_f32_fp8_e32 v80, v80
	v_cvt_f32_fp8_e32 v96, v96
	v_fmac_f32_e32 v70, v88, v73
	v_fmac_f32_e32 v60, v64, v81
	v_lshlrev_b32_e32 v73, 16, v86
	v_cvt_f32_fp8_e32 v84, v84
	v_mul_f32_e32 v78, s40, v78
	v_fmac_f32_e32 v60, v66, v73
	v_bfe_u32 v73, v52, 8, 8
	v_mul_f32_e32 v82, s40, v82
	v_cvt_pk_bf16_f32 v78, v78, s0
	v_cvt_f32_fp8_e32 v73, v73
	v_mul_f32_e32 v76, s40, v76
	v_cvt_pk_bf16_f32 v82, v82, s0
	v_lshlrev_b32_e32 v78, 16, v78
	v_lshrrev_b32_e32 v85, 24, v85
	v_mul_f32_e32 v80, s40, v80
	v_cvt_pk_bf16_f32 v76, v76, s0
	v_fmac_f32_e32 v70, v92, v78
	v_mul_f32_e32 v58, s40, v96
	v_lshlrev_b32_e32 v63, 16, v82
	v_cvt_f32_fp8_e32 v85, v85
	v_mul_f32_e32 v84, s40, v84
	v_cvt_pk_bf16_f32 v80, v80, s0
	v_lshlrev_b32_e32 v76, 16, v76
	v_cvt_pk_bf16_f32 v58, v58, s0
	v_fmac_f32_e32 v70, v94, v63
	v_and_b32_e32 v63, 0xff, v57
	v_cvt_pk_bf16_f32 v84, v84, s0
	v_lshlrev_b32_e32 v80, 16, v80
	v_fmac_f32_e32 v68, v91, v76
	v_cvt_f32_fp8_e32 v63, v63
	v_bfe_u32 v64, v57, 8, 8
	v_mul_f32_e32 v73, s40, v73
	v_lshlrev_b32_e32 v58, 16, v58
	v_fmac_f32_e32 v68, v93, v80
	v_cvt_f32_fp8_e32 v64, v64
	v_bfe_u32 v65, v57, 16, 8
	v_lshlrev_b32_e32 v71, 16, v84
	v_fmac_f32_e32 v70, v55, v58
	v_cvt_pk_bf16_f32 v58, v73, s0
	s_waitcnt vmcnt(3)
	v_and_b32_e32 v73, 0xff, v67
	v_cvt_f32_fp8_e32 v65, v65
	v_fmac_f32_e32 v68, v95, v71
	v_and_b32_e32 v71, 0xff, v54
	v_bfe_u32 v7, v54, 16, 8
	v_cvt_f32_fp8_e32 v73, v73
	v_mul_f32_e32 v59, s40, v85
	v_lshrrev_b32_e32 v57, 24, v57
	v_cvt_f32_fp8_e32 v71, v71
	v_cvt_f32_fp8_e32 v7, v7
	v_and_b32_e32 v66, 0xff, v52
	v_cvt_pk_bf16_f32 v59, v59, s0
	v_mul_f32_e32 v63, s40, v63
	v_cvt_f32_fp8_e32 v57, v57
	v_cvt_f32_fp8_e32 v66, v66
	v_bfe_u32 v55, v52, 16, 8
	v_cvt_pk_bf16_f32 v63, v63, s0
	v_mul_f32_e32 v64, s40, v64
	v_cvt_f32_fp8_e32 v55, v55
	v_lshlrev_b32_e32 v59, 16, v59
	v_cvt_pk_bf16_f32 v64, v64, s0
	v_mul_f32_e32 v65, s40, v65
	v_bfe_u32 v72, v54, 8, 8
	v_fmac_f32_e32 v61, v56, v59
	v_mul_f32_e32 v59, s40, v73
	v_bfe_u32 v73, v67, 16, 8
	v_lshlrev_b32_e32 v63, 16, v63
	v_cvt_pk_bf16_f32 v65, v65, s0
	v_cvt_f32_fp8_e32 v72, v72
	v_mul_f32_e32 v71, s40, v71
	v_lshrrev_b32_e32 v54, 24, v54
	v_mul_f32_e32 v7, s40, v7
	v_cvt_f32_fp8_e32 v73, v73
	v_fmac_f32_e32 v68, v51, v63
	s_waitcnt vmcnt(2)
	v_and_b32_e32 v51, 0xff, v62
	v_lshlrev_b32_e32 v64, 16, v64
	v_mul_f32_e32 v57, s40, v57
	v_cvt_pk_bf16_f32 v71, v71, s0
	v_cvt_f32_fp8_e32 v54, v54
	v_cvt_pk_bf16_f32 v7, v7, s0
	v_mul_f32_e32 v66, s40, v66
	v_lshrrev_b32_e32 v52, 24, v52
	v_bfe_u32 v56, v67, 8, 8
	v_cvt_f32_fp8_e32 v51, v51
	v_fmac_f32_e32 v60, v53, v64
	v_bfe_u32 v53, v62, 16, 8
	v_lshlrev_b32_e32 v65, 16, v65
	v_cvt_pk_bf16_f32 v57, v57, s0
	v_cvt_pk_bf16_f32 v66, v66, s0
	v_cvt_f32_fp8_e32 v52, v52
	v_mul_f32_e32 v55, s40, v55
	v_cvt_f32_fp8_e32 v56, v56
	v_lshrrev_b32_e32 v67, 24, v67
	v_bfe_u32 v63, v62, 8, 8
	v_cvt_f32_fp8_e32 v53, v53
	s_waitcnt vmcnt(1)
	v_and_b32_e32 v64, 0xff, v69
	v_fmac_f32_e32 v70, v49, v65
	v_lshlrev_b32_e32 v71, 16, v71
	v_lshlrev_b32_e32 v7, 16, v7
	v_cvt_pk_bf16_f32 v55, v55, s0
	v_cvt_f32_fp8_e32 v67, v67
	v_cvt_f32_fp8_e32 v63, v63
	v_lshrrev_b32_e32 v62, 24, v62
	v_cvt_f32_fp8_e32 v64, v64
	v_bfe_u32 v49, v69, 8, 8
	v_bfe_u32 v65, v69, 16, 8
	v_lshlrev_b32_e32 v57, 16, v57
	v_fmac_f32_e32 v68, v45, v71
	v_fmac_f32_e32 v70, v41, v7
	v_lshlrev_b32_e32 v7, 16, v66
	v_mul_f32_e32 v72, s40, v72
	v_cvt_pk_bf16_f32 v59, v59, s0
	v_mul_f32_e32 v73, s40, v73
	v_cvt_f32_fp8_e32 v62, v62
	v_cvt_f32_fp8_e32 v49, v49
	;; [unrolled: 1-line block ×3, first 2 shown]
	v_lshrrev_b32_e32 v69, 24, v69
	v_fmac_f32_e32 v61, v50, v57
	s_waitcnt vmcnt(0)
	v_and_b32_e32 v50, 0xff, v6
	v_bfe_u32 v57, v6, 8, 8
	v_fmac_f32_e32 v68, v39, v7
	v_lshlrev_b32_e32 v7, 16, v55
	v_cvt_pk_bf16_f32 v72, v72, s0
	v_mul_f32_e32 v54, s40, v54
	v_cvt_pk_bf16_f32 v73, v73, s0
	v_mul_f32_e32 v51, s40, v51
	v_cvt_f32_fp8_e32 v69, v69
	v_cvt_f32_fp8_e32 v50, v50
	v_cvt_f32_fp8_e32 v57, v57
	v_bfe_u32 v45, v6, 16, 8
	v_lshrrev_b32_e32 v6, 24, v6
	v_fmac_f32_e32 v70, v36, v7
	v_lshlrev_b32_e32 v7, 16, v59
	v_cvt_pk_bf16_f32 v54, v54, s0
	v_mul_f32_e32 v52, s40, v52
	v_mul_f32_e32 v56, s40, v56
	v_cvt_pk_bf16_f32 v51, v51, s0
	v_mul_f32_e32 v53, s40, v53
	v_cvt_f32_fp8_e32 v45, v45
	v_cvt_f32_fp8_e32 v6, v6
	v_lshlrev_b32_e32 v71, 16, v72
	v_fmac_f32_e32 v68, v34, v7
	v_lshlrev_b32_e32 v7, 16, v73
	v_cvt_pk_bf16_f32 v52, v52, s0
	v_cvt_pk_bf16_f32 v56, v56, s0
	v_mul_f32_e32 v67, s40, v67
	v_mul_f32_e32 v63, s40, v63
	v_cvt_pk_bf16_f32 v53, v53, s0
	v_mul_f32_e32 v64, s40, v64
	v_fmac_f32_e32 v60, v48, v71
	v_lshlrev_b32_e32 v48, 16, v54
	v_lshlrev_b32_e32 v41, 16, v58
	v_fmac_f32_e32 v70, v32, v7
	v_lshlrev_b32_e32 v7, 16, v51
	v_cvt_pk_bf16_f32 v67, v67, s0
	v_cvt_pk_bf16_f32 v63, v63, s0
	v_mul_f32_e32 v62, s40, v62
	v_cvt_pk_bf16_f32 v64, v64, s0
	v_mul_f32_e32 v49, s40, v49
	v_mul_f32_e32 v65, s40, v65
	v_fmac_f32_e32 v61, v47, v48
	v_fmac_f32_e32 v60, v46, v41
	v_lshlrev_b32_e32 v39, 16, v52
	v_lshlrev_b32_e32 v36, 16, v56
	v_fmac_f32_e32 v68, v30, v7
	v_lshlrev_b32_e32 v7, 16, v53
	v_cvt_pk_bf16_f32 v62, v62, s0
	v_cvt_pk_bf16_f32 v49, v49, s0
	;; [unrolled: 1-line block ×3, first 2 shown]
	v_mul_f32_e32 v69, s40, v69
	v_mul_f32_e32 v50, s40, v50
	;; [unrolled: 1-line block ×3, first 2 shown]
	v_fmac_f32_e32 v61, v44, v39
	v_fmac_f32_e32 v60, v43, v36
	v_lshlrev_b32_e32 v34, 16, v67
	v_lshlrev_b32_e32 v32, 16, v63
	v_fmac_f32_e32 v70, v28, v7
	v_lshlrev_b32_e32 v7, 16, v64
	v_cvt_pk_bf16_f32 v69, v69, s0
	v_cvt_pk_bf16_f32 v50, v50, s0
	;; [unrolled: 1-line block ×3, first 2 shown]
	v_mul_f32_e32 v45, s40, v45
	v_mul_f32_e32 v6, s40, v6
	v_fmac_f32_e32 v61, v42, v34
	v_fmac_f32_e32 v60, v40, v32
	v_lshlrev_b32_e32 v30, 16, v62
	v_lshlrev_b32_e32 v28, 16, v49
	v_fmac_f32_e32 v68, v27, v7
	v_lshlrev_b32_e32 v7, 16, v65
	v_cvt_pk_bf16_f32 v45, v45, s0
	v_cvt_pk_bf16_f32 v6, v6, s0
	v_fmac_f32_e32 v61, v37, v30
	v_fmac_f32_e32 v60, v35, v28
	v_lshlrev_b32_e32 v27, 16, v69
	v_fmac_f32_e32 v70, v26, v7
	v_lshlrev_b32_e32 v7, 16, v50
	v_lshlrev_b32_e32 v26, 16, v57
	v_fmac_f32_e32 v61, v33, v27
	v_fmac_f32_e32 v68, v25, v7
	;; [unrolled: 1-line block ×3, first 2 shown]
	v_lshlrev_b32_e32 v7, 16, v45
	v_lshlrev_b32_e32 v6, 16, v6
	v_fmac_f32_e32 v70, v24, v7
	v_fmac_f32_e32 v61, v29, v6
	v_add_f32_e32 v6, v68, v60
	v_add_f32_e32 v6, v6, v70
	;; [unrolled: 1-line block ×3, first 2 shown]
	ds_bpermute_b32 v7, v38, v6
	s_and_saveexec_b64 s[40:41], vcc
	s_cbranch_execz .LBB311_11
; %bb.19:                               ;   in Loop: Header=BB311_13 Depth=1
	v_add_u32_e32 v24, v16, v15
	v_cvt_f32_i32_e32 v24, v24
	s_waitcnt lgkmcnt(0)
	v_add_f32_e32 v6, v6, v7
	v_add_u32_e32 v25, v11, v15
	v_cmp_gt_i32_e64 s[0:1], s33, v25
	v_mul_f32_e32 v7, s44, v24
	v_cndmask_b32_e64 v7, 0, v7, s[2:3]
	v_fmac_f32_e32 v7, s37, v6
	v_cndmask_b32_e64 v6, 0, v7, s[0:1]
	ds_write_b32 v17, v6
	v_max_f32_e32 v6, v13, v13
	v_max_f32_e32 v6, v6, v7
	v_cndmask_b32_e64 v13, v13, v6, s[0:1]
	s_branch .LBB311_11
.LBB311_20:
	s_or_b64 exec, exec, s[38:39]
.LBB311_21:
	s_or_b64 exec, exec, s[18:19]
	v_mbcnt_hi_u32_b32 v2, -1, v10
	v_and_b32_e32 v11, 64, v2
	v_add_u32_e32 v12, 64, v11
	v_xor_b32_e32 v3, 32, v2
	v_cmp_lt_i32_e32 vcc, v3, v12
	v_xor_b32_e32 v6, 16, v2
	v_max_f32_e32 v5, v13, v13
	v_cndmask_b32_e32 v3, v2, v3, vcc
	v_lshlrev_b32_e32 v3, 2, v3
	ds_bpermute_b32 v4, v3, v13
	v_cmp_lt_i32_e32 vcc, v6, v12
	s_waitcnt lgkmcnt(1)
	v_xor_b32_e32 v7, 8, v2
	v_xor_b32_e32 v10, 4, v2
	;; [unrolled: 1-line block ×3, first 2 shown]
	s_waitcnt lgkmcnt(0)
	v_max_f32_e32 v4, v4, v4
	v_max_f32_e32 v5, v5, v4
	v_cndmask_b32_e32 v4, v2, v6, vcc
	v_lshlrev_b32_e32 v4, 2, v4
	ds_bpermute_b32 v6, v4, v5
	v_cmp_lt_i32_e32 vcc, v7, v12
	v_and_b32_e32 v23, 63, v0
	s_waitcnt lgkmcnt(0)
	v_max_f32_e32 v6, v6, v6
	v_max_f32_e32 v6, v5, v6
	v_cndmask_b32_e32 v5, v2, v7, vcc
	v_lshlrev_b32_e32 v5, 2, v5
	ds_bpermute_b32 v7, v5, v6
	v_cmp_lt_i32_e32 vcc, v10, v12
	s_waitcnt lgkmcnt(0)
	v_max_f32_e32 v7, v7, v7
	v_max_f32_e32 v7, v6, v7
	v_cndmask_b32_e32 v6, v2, v10, vcc
	v_lshlrev_b32_e32 v6, 2, v6
	ds_bpermute_b32 v10, v6, v7
	v_cmp_lt_i32_e32 vcc, v13, v12
	s_waitcnt lgkmcnt(0)
	v_max_f32_e32 v10, v10, v10
	v_max_f32_e32 v10, v7, v10
	v_cndmask_b32_e32 v7, v2, v13, vcc
	v_lshlrev_b32_e32 v24, 2, v7
	ds_bpermute_b32 v13, v24, v10
	v_cmp_eq_u32_e32 vcc, 0, v23
	v_lshlrev_b32_e32 v7, 2, v1
	s_and_saveexec_b64 s[0:1], vcc
	s_cbranch_execz .LBB311_23
; %bb.22:
	s_waitcnt lgkmcnt(0)
	v_max_f32_e32 v13, v13, v13
	v_max_f32_e32 v10, v10, v10
	;; [unrolled: 1-line block ×3, first 2 shown]
	ds_write_b32 v7, v10 offset:192
.LBB311_23:
	s_or_b64 exec, exec, s[0:1]
	v_cmp_gt_u32_e64 s[0:1], 2, v23
	s_waitcnt lgkmcnt(0)
	v_mov_b32_e32 v13, 0xff7fffff
	v_lshlrev_b32_e32 v10, 2, v23
	s_barrier
	s_and_saveexec_b64 s[2:3], s[0:1]
; %bb.24:
	ds_read_b32 v13, v10 offset:192
; %bb.25:
	s_or_b64 exec, exec, s[2:3]
	v_xor_b32_e32 v14, 1, v2
	v_cmp_lt_i32_e64 s[2:3], v14, v12
	v_lshlrev_b32_e32 v11, 2, v11
	s_nop 0
	v_cndmask_b32_e64 v12, v2, v14, s[2:3]
	v_lshlrev_b32_e32 v25, 2, v12
	s_waitcnt lgkmcnt(0)
	ds_bpermute_b32 v12, v25, v13
	v_max_f32_e32 v13, v13, v13
	s_lshl_b32 s2, s20, 5
	s_min_i32 s37, s2, s33
	v_cmp_gt_i32_e64 s[2:3], s37, v0
	s_waitcnt lgkmcnt(0)
	v_max_f32_e32 v12, v12, v12
	v_max_f32_e32 v12, v13, v12
	ds_bpermute_b32 v12, v11, v12
	v_mov_b32_e32 v11, 0
	s_and_saveexec_b64 s[12:13], s[2:3]
	s_cbranch_execz .LBB311_29
; %bb.26:
	v_mov_b32_e32 v11, 0xd0
	v_lshl_add_u32 v13, v0, 2, v11
	v_mov_b32_e32 v11, 0
	s_mov_b64 s[18:19], 0
	v_mov_b32_e32 v14, v0
.LBB311_27:                             ; =>This Inner Loop Header: Depth=1
	ds_read_b32 v15, v13
	v_add_u32_e32 v14, 0x80, v14
	v_cmp_le_i32_e64 s[8:9], s37, v14
	s_or_b64 s[18:19], s[8:9], s[18:19]
	s_waitcnt lgkmcnt(0)
	v_sub_f32_e32 v15, v15, v12
	v_mul_f32_e32 v15, 0x3fb8aa3b, v15
	v_exp_f32_e32 v15, v15
	ds_write_b32 v13, v15
	v_add_f32_e32 v11, v11, v15
	v_add_u32_e32 v13, 0x200, v13
	s_andn2_b64 exec, exec, s[18:19]
	s_cbranch_execnz .LBB311_27
; %bb.28:
	s_or_b64 exec, exec, s[18:19]
.LBB311_29:
	s_or_b64 exec, exec, s[12:13]
	ds_bpermute_b32 v3, v3, v11
	s_waitcnt lgkmcnt(0)
	v_add_f32_e32 v3, v11, v3
	ds_bpermute_b32 v4, v4, v3
	s_waitcnt lgkmcnt(0)
	v_add_f32_e32 v3, v3, v4
	;; [unrolled: 3-line block ×6, first 2 shown]
	s_and_saveexec_b64 s[8:9], vcc
; %bb.30:
	ds_write_b32 v7, v3 offset:200
; %bb.31:
	s_or_b64 exec, exec, s[8:9]
	s_waitcnt lgkmcnt(0)
	s_barrier
	s_and_saveexec_b64 s[8:9], s[0:1]
; %bb.32:
	ds_read_b32 v3, v10 offset:200
; %bb.33:
	s_or_b64 exec, exec, s[8:9]
	s_waitcnt lgkmcnt(0)
	ds_bpermute_b32 v4, v25, v3
	v_lshlrev_b32_e32 v2, 2, v2
	v_and_b32_e32 v2, 0x100, v2
	s_waitcnt lgkmcnt(0)
	v_add_f32_e32 v3, v3, v4
	ds_bpermute_b32 v2, v2, v3
	s_and_saveexec_b64 s[0:1], s[2:3]
	s_cbranch_execz .LBB311_46
; %bb.34:
	s_waitcnt lgkmcnt(0)
	v_add_f32_e32 v2, 0x358637bd, v2
	v_div_scale_f32 v3, s[2:3], v2, v2, 1.0
	v_rcp_f32_e32 v4, v3
	v_div_scale_f32 v5, vcc, 1.0, v2, 1.0
	s_movk_i32 s2, 0x7f
	v_fma_f32 v6, -v3, v4, 1.0
	v_fmac_f32_e32 v4, v6, v4
	v_mul_f32_e32 v6, v5, v4
	v_fma_f32 v7, -v3, v6, v5
	v_fmac_f32_e32 v6, v7, v4
	v_fma_f32 v3, -v3, v6, v5
	v_div_fmas_f32 v3, v3, v4, v6
	v_xad_u32 v4, v0, -1, s37
	v_div_fixup_f32 v2, v3, v2, 1.0
	v_cmp_lt_u32_e32 vcc, s2, v4
	s_mov_b64 s[8:9], -1
	v_mov_b32_e32 v3, v0
	s_and_saveexec_b64 s[2:3], vcc
	s_cbranch_execz .LBB311_43
; %bb.35:
	v_lshrrev_b32_e32 v4, 7, v4
	v_add_u32_e32 v6, -1, v4
	v_lshrrev_b32_e32 v5, 1, v6
	v_mov_b32_e32 v3, v2
	v_add_u32_e32 v5, 1, v5
	v_cmp_lt_u32_e32 vcc, 13, v6
	v_mov_b32_e32 v10, 0
	s_and_saveexec_b64 s[8:9], vcc
	s_cbranch_execz .LBB311_39
; %bb.36:
	v_mov_b32_e32 v7, 0xd0
	v_and_b32_e32 v6, -8, v5
	v_lshl_add_u32 v7, v0, 2, v7
	s_mov_b32 s18, 0
	s_mov_b64 s[12:13], 0
.LBB311_37:                             ; =>This Inner Loop Header: Depth=1
	ds_read2st64_b32 v[10:11], v7 offset1:2
	ds_read2st64_b32 v[12:13], v7 offset0:4 offset1:6
	ds_read2st64_b32 v[14:15], v7 offset0:8 offset1:10
	;; [unrolled: 1-line block ×3, first 2 shown]
	v_add_u32_e32 v6, -8, v6
	s_waitcnt lgkmcnt(3)
	v_pk_mul_f32 v[10:11], v[2:3], v[10:11]
	s_waitcnt lgkmcnt(2)
	v_pk_mul_f32 v[12:13], v[2:3], v[12:13]
	ds_write2st64_b32 v7, v10, v11 offset1:2
	ds_write2st64_b32 v7, v12, v13 offset0:4 offset1:6
	ds_read2st64_b32 v[12:13], v7 offset0:16 offset1:18
	s_waitcnt lgkmcnt(4)
	v_pk_mul_f32 v[10:11], v[2:3], v[14:15]
	ds_write2st64_b32 v7, v10, v11 offset0:8 offset1:10
	s_waitcnt lgkmcnt(4)
	v_pk_mul_f32 v[10:11], v[2:3], v[16:17]
	ds_write2st64_b32 v7, v10, v11 offset0:12 offset1:14
	ds_read2st64_b32 v[10:11], v7 offset0:20 offset1:22
	s_waitcnt lgkmcnt(3)
	v_pk_mul_f32 v[12:13], v[2:3], v[12:13]
	ds_read2st64_b32 v[14:15], v7 offset0:24 offset1:26
	ds_write2st64_b32 v7, v12, v13 offset0:16 offset1:18
	ds_read2st64_b32 v[12:13], v7 offset0:28 offset1:30
	s_waitcnt lgkmcnt(3)
	v_pk_mul_f32 v[10:11], v[2:3], v[10:11]
	ds_write2st64_b32 v7, v10, v11 offset0:20 offset1:22
	s_waitcnt lgkmcnt(3)
	v_pk_mul_f32 v[10:11], v[2:3], v[14:15]
	ds_write2st64_b32 v7, v10, v11 offset0:24 offset1:26
	s_waitcnt lgkmcnt(2)
	v_pk_mul_f32 v[10:11], v[2:3], v[12:13]
	s_add_i32 s18, s18, 16
	v_cmp_eq_u32_e32 vcc, 0, v6
	ds_write2st64_b32 v7, v10, v11 offset0:28 offset1:30
	v_add_u32_e32 v7, 0x2000, v7
	s_or_b64 s[12:13], vcc, s[12:13]
	v_mov_b32_e32 v10, s18
	s_andn2_b64 exec, exec, s[12:13]
	s_cbranch_execnz .LBB311_37
; %bb.38:
	s_or_b64 exec, exec, s[12:13]
.LBB311_39:
	s_or_b64 exec, exec, s[8:9]
	v_and_b32_e32 v5, 7, v5
	v_cmp_ne_u32_e32 vcc, 0, v5
	s_and_saveexec_b64 s[8:9], vcc
	s_cbranch_execz .LBB311_42
; %bb.40:
	v_lshlrev_b32_e32 v6, 9, v10
	v_lshlrev_b32_e32 v7, 2, v0
	s_movk_i32 s12, 0xd0
	v_add3_u32 v6, v6, v7, s12
	s_mov_b64 s[12:13], 0
.LBB311_41:                             ; =>This Inner Loop Header: Depth=1
	ds_read2st64_b32 v[10:11], v6 offset1:2
	v_add_u32_e32 v5, -1, v5
	v_cmp_eq_u32_e32 vcc, 0, v5
	s_or_b64 s[12:13], vcc, s[12:13]
	s_waitcnt lgkmcnt(0)
	v_pk_mul_f32 v[10:11], v[2:3], v[10:11]
	ds_write2st64_b32 v6, v10, v11 offset1:2
	v_add_u32_e32 v6, 0x400, v6
	s_andn2_b64 exec, exec, s[12:13]
	s_cbranch_execnz .LBB311_41
.LBB311_42:
	s_or_b64 exec, exec, s[8:9]
	v_add_u32_e32 v4, 1, v4
	v_and_b32_e32 v5, 0x3fffffe, v4
	v_cmp_ne_u32_e32 vcc, v4, v5
	v_lshl_add_u32 v3, v5, 7, v0
	s_orn2_b64 s[8:9], vcc, exec
.LBB311_43:
	s_or_b64 exec, exec, s[2:3]
	s_and_b64 exec, exec, s[8:9]
	s_cbranch_execz .LBB311_46
; %bb.44:
	v_mov_b32_e32 v4, 0xd0
	v_lshl_add_u32 v4, v3, 2, v4
	s_mov_b64 s[2:3], 0
.LBB311_45:                             ; =>This Inner Loop Header: Depth=1
	ds_read_b32 v5, v4
	v_add_u32_e32 v3, 0x80, v3
	v_cmp_le_i32_e32 vcc, s37, v3
	s_or_b64 s[2:3], vcc, s[2:3]
	s_waitcnt lgkmcnt(0)
	v_mul_f32_e32 v5, v2, v5
	ds_write_b32 v4, v5
	v_add_u32_e32 v4, 0x200, v4
	s_andn2_b64 exec, exec, s[2:3]
	s_cbranch_execnz .LBB311_45
.LBB311_46:
	s_or_b64 exec, exec, s[0:1]
	v_mov_b32_e32 v13, 0
	v_and_b32_e32 v26, 3, v0
	v_mov_b32_e32 v12, 0
	v_mov_b32_e32 v15, 0
	;; [unrolled: 1-line block ×5, first 2 shown]
	s_waitcnt lgkmcnt(0)
	s_barrier
	s_and_saveexec_b64 s[2:3], s[6:7]
	s_cbranch_execz .LBB311_64
; %bb.47:
	s_sub_i32 s18, s42, s21
	s_ashr_i32 s1, s43, 31
	s_add_u32 s0, s34, s43
	s_addc_u32 s1, s35, s1
	s_abs_i32 s19, s22
	v_cvt_f32_u32_e32 v2, s19
	v_and_b32_e32 v10, 0x1f8, v8
	v_mov_b32_e32 v11, 0
	v_lshl_add_u64 v[16:17], s[0:1], 0, v[10:11]
	v_rcp_iflag_f32_e32 v2, v2
	s_sub_i32 s0, 0, s19
	s_add_i32 s21, s20, -1
	v_and_b32_e32 v10, 60, v9
	v_mul_f32_e32 v2, 0x4f7ffffe, v2
	v_cvt_u32_f32_e32 v2, v2
	v_and_b32_e32 v27, 24, v8
	s_mov_b64 s[6:7], 0
	v_mov_b32_e32 v14, v11
	v_mul_lo_u32 v3, s0, v2
	v_mul_hi_u32 v3, v2, v3
	s_lshl_b64 s[0:1], s[30:31], 2
	v_add_u32_e32 v28, v2, v3
	s_add_u32 s0, s28, s0
	v_lshlrev_b32_e32 v2, 5, v26
	s_addc_u32 s1, s29, s1
	v_lshl_or_b32 v2, v1, 7, v2
	v_lshl_add_u64 v[18:19], s[0:1], 0, v[10:11]
	v_add_u32_e32 v29, 0xd0, v2
	v_mov_b32_e32 v10, v11
	v_mov_b32_e32 v15, v11
	;; [unrolled: 1-line block ×4, first 2 shown]
	s_branch .LBB311_50
.LBB311_48:                             ;   in Loop: Header=BB311_50 Depth=1
	s_or_b64 exec, exec, s[0:1]
	v_cvt_pk_bf16_f32 v6, v6, s0
	v_cvt_pk_bf16_f32 v7, v7, s0
	;; [unrolled: 1-line block ×4, first 2 shown]
	v_lshlrev_b32_e32 v7, 16, v7
	v_lshlrev_b32_e32 v45, 16, v83
	;; [unrolled: 1-line block ×4, first 2 shown]
	v_mul_f32_e32 v45, v7, v45
	v_mul_f32_e32 v47, v6, v47
	v_lshlrev_b32_e32 v9, 16, v9
	v_lshlrev_b32_e32 v48, 16, v81
	;; [unrolled: 1-line block ×4, first 2 shown]
	v_cvt_pk_bf16_f32 v2, v2, s0
	v_cvt_pk_bf16_f32 v3, v3, s0
	;; [unrolled: 1-line block ×4, first 2 shown]
	v_mul_f32_e32 v48, v9, v48
	v_mul_f32_e32 v49, v8, v49
	v_cvt_pk_bf16_f32 v48, v48, s0
	v_cvt_pk_bf16_f32 v49, v49, s0
	v_lshlrev_b32_e32 v3, 16, v3
	v_lshlrev_b32_e32 v50, 16, v79
	v_lshlrev_b32_e32 v2, 16, v2
	v_lshlrev_b32_e32 v51, 16, v78
	v_lshlrev_b32_e32 v47, 16, v47
	v_lshlrev_b32_e32 v45, 16, v45
	v_cvt_pk_bf16_f32 v4, v4, s0
	v_cvt_pk_bf16_f32 v5, v5, s0
	v_mul_f32_e32 v50, v3, v50
	v_mul_f32_e32 v51, v2, v51
	v_add_f32_e32 v45, v47, v45
	v_lshlrev_b32_e32 v47, 16, v49
	v_lshlrev_b32_e32 v48, 16, v48
	v_cvt_pk_bf16_f32 v50, v50, s0
	v_cvt_pk_bf16_f32 v51, v51, s0
	v_lshlrev_b32_e32 v5, 16, v5
	v_lshlrev_b32_e32 v52, 16, v77
	;; [unrolled: 1-line block ×4, first 2 shown]
	v_add_f32_e32 v47, v47, v48
	v_mul_f32_e32 v52, v5, v52
	v_mul_f32_e32 v53, v4, v53
	v_add_f32_e32 v45, v47, v45
	v_lshlrev_b32_e32 v47, 16, v51
	v_lshlrev_b32_e32 v48, 16, v50
	v_cvt_pk_bf16_f32 v52, v52, s0
	v_cvt_pk_bf16_f32 v53, v53, s0
	v_add_f32_e32 v47, v47, v48
	v_add_f32_e32 v45, v47, v45
	v_lshlrev_b32_e32 v47, 16, v53
	v_lshlrev_b32_e32 v48, 16, v52
	v_add_f32_e32 v47, v47, v48
	v_add_f32_e32 v45, v47, v45
	;; [unrolled: 1-line block ×3, first 2 shown]
	v_lshlrev_b32_e32 v45, 16, v69
	v_lshlrev_b32_e32 v47, 16, v68
	v_mul_f32_e32 v45, v7, v45
	v_mul_f32_e32 v47, v6, v47
	v_lshlrev_b32_e32 v48, 16, v67
	v_lshlrev_b32_e32 v49, 16, v66
	v_cvt_pk_bf16_f32 v45, v45, s0
	v_cvt_pk_bf16_f32 v47, v47, s0
	v_mul_f32_e32 v48, v9, v48
	v_mul_f32_e32 v49, v8, v49
	v_cvt_pk_bf16_f32 v48, v48, s0
	v_cvt_pk_bf16_f32 v49, v49, s0
	v_lshlrev_b32_e32 v50, 16, v65
	v_lshlrev_b32_e32 v51, 16, v64
	;; [unrolled: 1-line block ×4, first 2 shown]
	v_mul_f32_e32 v50, v3, v50
	v_mul_f32_e32 v51, v2, v51
	v_add_f32_e32 v45, v47, v45
	v_lshlrev_b32_e32 v47, 16, v49
	v_lshlrev_b32_e32 v48, 16, v48
	v_cvt_pk_bf16_f32 v50, v50, s0
	v_cvt_pk_bf16_f32 v51, v51, s0
	v_lshlrev_b32_e32 v52, 16, v63
	v_lshlrev_b32_e32 v53, 16, v62
	v_add_f32_e32 v47, v47, v48
	v_mul_f32_e32 v52, v5, v52
	v_mul_f32_e32 v53, v4, v53
	v_add_f32_e32 v45, v47, v45
	v_lshlrev_b32_e32 v47, 16, v51
	v_lshlrev_b32_e32 v48, 16, v50
	v_cvt_pk_bf16_f32 v52, v52, s0
	v_cvt_pk_bf16_f32 v53, v53, s0
	v_add_f32_e32 v47, v47, v48
	v_add_f32_e32 v45, v47, v45
	v_lshlrev_b32_e32 v47, 16, v53
	v_lshlrev_b32_e32 v48, 16, v52
	v_add_f32_e32 v47, v47, v48
	v_add_f32_e32 v45, v47, v45
	;; [unrolled: 1-line block ×3, first 2 shown]
	v_lshlrev_b32_e32 v45, 16, v61
	v_lshlrev_b32_e32 v47, 16, v60
	v_mul_f32_e32 v45, v7, v45
	v_mul_f32_e32 v47, v6, v47
	v_lshlrev_b32_e32 v48, 16, v59
	v_lshlrev_b32_e32 v49, 16, v58
	v_cvt_pk_bf16_f32 v45, v45, s0
	v_cvt_pk_bf16_f32 v47, v47, s0
	v_mul_f32_e32 v48, v9, v48
	v_mul_f32_e32 v49, v8, v49
	v_lshlrev_b32_e32 v37, 16, v37
	v_lshlrev_b32_e32 v36, 16, v36
	;; [unrolled: 1-line block ×4, first 2 shown]
	v_cvt_pk_bf16_f32 v48, v48, s0
	v_cvt_pk_bf16_f32 v49, v49, s0
	v_lshlrev_b32_e32 v50, 16, v57
	v_lshlrev_b32_e32 v51, 16, v56
	;; [unrolled: 1-line block ×4, first 2 shown]
	v_mul_f32_e32 v37, v7, v37
	v_mul_f32_e32 v36, v6, v36
	;; [unrolled: 1-line block ×4, first 2 shown]
	v_lshlrev_b32_e32 v33, 16, v33
	v_lshlrev_b32_e32 v32, 16, v32
	v_mul_f32_e32 v50, v3, v50
	v_mul_f32_e32 v51, v2, v51
	v_add_f32_e32 v45, v47, v45
	v_lshlrev_b32_e32 v47, 16, v49
	v_lshlrev_b32_e32 v48, 16, v48
	v_cvt_pk_bf16_f32 v37, v37, s0
	v_cvt_pk_bf16_f32 v36, v36, s0
	;; [unrolled: 1-line block ×4, first 2 shown]
	v_mul_f32_e32 v33, v3, v33
	v_mul_f32_e32 v32, v2, v32
	v_lshlrev_b32_e32 v31, 16, v31
	v_lshlrev_b32_e32 v30, 16, v30
	v_cvt_pk_bf16_f32 v50, v50, s0
	v_cvt_pk_bf16_f32 v51, v51, s0
	v_lshlrev_b32_e32 v52, 16, v55
	v_lshlrev_b32_e32 v53, 16, v54
	v_add_f32_e32 v47, v47, v48
	v_cvt_pk_bf16_f32 v33, v33, s0
	v_cvt_pk_bf16_f32 v32, v32, s0
	v_mul_f32_e32 v31, v5, v31
	v_mul_f32_e32 v30, v4, v30
	v_lshlrev_b32_e32 v36, 16, v36
	v_lshlrev_b32_e32 v37, 16, v37
	;; [unrolled: 1-line block ×4, first 2 shown]
	v_mul_f32_e32 v52, v5, v52
	v_mul_f32_e32 v53, v4, v53
	v_add_f32_e32 v45, v47, v45
	v_lshlrev_b32_e32 v47, 16, v51
	v_lshlrev_b32_e32 v48, 16, v50
	v_cvt_pk_bf16_f32 v31, v31, s0
	v_cvt_pk_bf16_f32 v30, v30, s0
	v_add_f32_e32 v36, v36, v37
	v_add_f32_e32 v34, v34, v35
	v_lshlrev_b32_e32 v32, 16, v32
	v_lshlrev_b32_e32 v33, 16, v33
	v_cvt_pk_bf16_f32 v52, v52, s0
	v_cvt_pk_bf16_f32 v53, v53, s0
	v_add_f32_e32 v47, v47, v48
	v_add_f32_e32 v34, v34, v36
	v_add_f32_e32 v32, v32, v33
	v_lshlrev_b32_e32 v30, 16, v30
	v_lshlrev_b32_e32 v31, 16, v31
	v_add_f32_e32 v45, v47, v45
	v_lshlrev_b32_e32 v47, 16, v53
	v_lshlrev_b32_e32 v48, 16, v52
	v_add_f32_e32 v32, v32, v34
	v_add_f32_e32 v30, v30, v31
	;; [unrolled: 1-line block ×5, first 2 shown]
	v_lshlrev_b32_e32 v44, 16, v44
	v_add_f32_e32 v10, v10, v30
	v_lshlrev_b32_e32 v30, 16, v75
	v_add_f32_e32 v14, v14, v45
	v_lshlrev_b32_e32 v45, 16, v46
	v_mul_f32_e32 v44, v6, v44
	v_mul_f32_e32 v6, v6, v30
	v_lshlrev_b32_e32 v30, 16, v74
	v_mul_f32_e32 v45, v7, v45
	v_lshlrev_b32_e32 v42, 16, v42
	;; [unrolled: 2-line block ×3, first 2 shown]
	v_lshlrev_b32_e32 v43, 16, v43
	v_mul_f32_e32 v42, v8, v42
	v_mul_f32_e32 v8, v8, v30
	v_lshlrev_b32_e32 v30, 16, v72
	v_mul_f32_e32 v43, v9, v43
	v_lshlrev_b32_e32 v40, 16, v40
	v_mul_f32_e32 v9, v9, v30
	v_lshlrev_b32_e32 v30, 16, v71
	v_mul_f32_e32 v40, v2, v40
	v_mul_f32_e32 v2, v2, v30
	v_cvt_pk_bf16_f32 v30, v2, s0
	v_lshlrev_b32_e32 v2, 16, v70
	v_mul_f32_e32 v2, v3, v2
	v_cvt_pk_bf16_f32 v31, v2, s0
	v_lshlrev_b32_e32 v2, 16, v21
	v_mul_f32_e32 v2, v4, v2
	v_lshlrev_b32_e32 v41, 16, v41
	v_cvt_pk_bf16_f32 v21, v2, s0
	v_lshlrev_b32_e32 v2, 16, v20
	v_cvt_pk_bf16_f32 v45, v45, s0
	v_cvt_pk_bf16_f32 v44, v44, s0
	;; [unrolled: 1-line block ×4, first 2 shown]
	v_mul_f32_e32 v41, v3, v41
	v_lshlrev_b32_e32 v39, 16, v39
	v_lshlrev_b32_e32 v38, 16, v38
	v_cvt_pk_bf16_f32 v6, v6, s0
	v_cvt_pk_bf16_f32 v7, v7, s0
	;; [unrolled: 1-line block ×4, first 2 shown]
	v_mul_f32_e32 v2, v5, v2
	v_cvt_pk_bf16_f32 v41, v41, s0
	v_cvt_pk_bf16_f32 v40, v40, s0
	v_mul_f32_e32 v39, v5, v39
	v_mul_f32_e32 v38, v4, v38
	v_lshlrev_b32_e32 v44, 16, v44
	v_lshlrev_b32_e32 v45, 16, v45
	;; [unrolled: 1-line block ×4, first 2 shown]
	v_cvt_pk_bf16_f32 v20, v2, s0
	v_lshlrev_b32_e32 v3, 16, v7
	v_lshlrev_b32_e32 v5, 16, v6
	;; [unrolled: 1-line block ×4, first 2 shown]
	v_cvt_pk_bf16_f32 v39, v39, s0
	v_cvt_pk_bf16_f32 v38, v38, s0
	v_add_f32_e32 v44, v44, v45
	v_add_f32_e32 v42, v42, v43
	v_lshlrev_b32_e32 v40, 16, v40
	v_lshlrev_b32_e32 v41, 16, v41
	v_pk_add_f32 v[2:3], v[4:5], v[2:3]
	v_lshlrev_b32_e32 v5, 16, v31
	v_lshlrev_b32_e32 v7, 16, v30
	;; [unrolled: 1-line block ×4, first 2 shown]
	v_add_f32_e32 v42, v42, v44
	v_add_f32_e32 v40, v40, v41
	v_lshlrev_b32_e32 v38, 16, v38
	v_lshlrev_b32_e32 v39, 16, v39
	v_pk_add_f32 v[4:5], v[6:7], v[4:5]
	v_add_f32_e32 v2, v2, v3
	v_add_f32_e32 v40, v40, v42
	;; [unrolled: 1-line block ×8, first 2 shown]
.LBB311_49:                             ;   in Loop: Header=BB311_50 Depth=1
	s_or_b64 exec, exec, s[8:9]
	v_add_u32_e32 v1, 2, v1
	v_cmp_le_i32_e32 vcc, s20, v1
	v_lshl_add_u64 v[18:19], v[18:19], 0, 8
	v_add_u32_e32 v22, 64, v22
	s_or_b64 s[6:7], vcc, s[6:7]
	v_add_u32_e32 v29, 0x100, v29
	s_andn2_b64 exec, exec, s[6:7]
	s_cbranch_execz .LBB311_63
.LBB311_50:                             ; =>This Inner Loop Header: Depth=1
	v_mul_hi_u32 v2, v22, s25
	v_mul_lo_u32 v3, v2, s16
	v_sub_u32_e32 v3, v22, v3
	v_add_u32_e32 v4, 1, v2
	v_cmp_le_u32_e32 vcc, s16, v3
	s_nop 1
	v_cndmask_b32_e32 v2, v2, v4, vcc
	v_subrev_u32_e32 v4, s16, v3
	v_cndmask_b32_e32 v3, v3, v4, vcc
	v_add_u32_e32 v4, 1, v2
	v_cmp_le_u32_e32 vcc, s16, v3
	s_nop 1
	v_cndmask_b32_e32 v2, v2, v4, vcc
	v_xor_b32_e32 v2, s23, v2
	v_subrev_u32_e32 v2, s23, v2
	v_add_u32_e32 v3, s36, v2
	v_sub_u32_e32 v5, 0, v3
	v_ashrrev_i32_e32 v4, 31, v3
	v_max_i32_e32 v3, v3, v5
	v_mul_hi_u32 v5, v3, v28
	v_mul_lo_u32 v5, v5, s19
	v_sub_u32_e32 v3, v3, v5
	v_subrev_u32_e32 v5, s19, v3
	v_cmp_le_u32_e32 vcc, s19, v3
	v_cmp_lt_i32_e64 s[0:1], s18, v2
	s_nop 0
	v_cndmask_b32_e32 v3, v3, v5, vcc
	v_subrev_u32_e32 v5, s19, v3
	v_cmp_le_u32_e32 vcc, s19, v3
	s_nop 1
	v_cndmask_b32_e32 v3, v3, v5, vcc
	v_xor_b32_e32 v3, v3, v4
	v_sub_u32_e32 v3, v3, v4
	v_cmp_eq_u32_e32 vcc, 0, v3
	s_or_b64 s[0:1], vcc, s[0:1]
	s_and_saveexec_b64 s[8:9], s[0:1]
	s_cbranch_execz .LBB311_49
; %bb.51:                               ;   in Loop: Header=BB311_50 Depth=1
	global_load_dword v2, v[18:19], off
	v_add_u32_e32 v45, v27, v22
	v_cmp_eq_u32_e32 vcc, s21, v1
	v_add_u32_e32 v52, 1, v45
	v_add_u32_e32 v51, 2, v45
	;; [unrolled: 1-line block ×7, first 2 shown]
	s_waitcnt vmcnt(0)
	v_mad_i64_i32 v[20:21], s[0:1], v2, s17, v[16:17]
	global_load_dwordx2 v[30:31], v[20:21], off
	ds_read2_b64 v[6:9], v29 offset1:1
	ds_read2_b64 v[2:5], v29 offset0:2 offset1:3
	s_load_dword s22, s[14:15], 0x0
	s_waitcnt vmcnt(0)
	v_and_b32_e32 v32, 0xff, v30
	v_bfe_u32 v33, v30, 8, 8
	v_bfe_u32 v34, v30, 16, 8
	v_lshrrev_b32_e32 v30, 24, v30
	v_and_b32_e32 v35, 0xff, v31
	v_bfe_u32 v36, v31, 8, 8
	v_bfe_u32 v37, v31, 16, 8
	v_lshrrev_b32_e32 v31, 24, v31
	v_cvt_f32_fp8_e32 v32, v32
	v_cvt_f32_fp8_e32 v33, v33
	;; [unrolled: 1-line block ×8, first 2 shown]
	s_waitcnt lgkmcnt(0)
	v_mul_f32_e32 v32, s22, v32
	v_mul_f32_e32 v33, s22, v33
	v_mul_f32_e32 v34, s22, v34
	v_mul_f32_e32 v30, s22, v30
	v_mul_f32_e32 v38, s22, v35
	v_mul_f32_e32 v39, s22, v36
	v_mul_f32_e32 v40, s22, v37
	v_mul_f32_e32 v31, s22, v31
	v_cvt_pk_bf16_f32 v36, v32, s0
	v_cvt_pk_bf16_f32 v37, v33, s0
	v_cvt_pk_bf16_f32 v34, v34, s0
	v_cvt_pk_bf16_f32 v35, v30, s0
	v_cvt_pk_bf16_f32 v32, v38, s0
	v_cvt_pk_bf16_f32 v33, v39, s0
	v_cvt_pk_bf16_f32 v30, v40, s0
	v_cvt_pk_bf16_f32 v31, v31, s0
	s_and_saveexec_b64 s[12:13], vcc
	s_cbranch_execz .LBB311_53
; %bb.52:                               ;   in Loop: Header=BB311_50 Depth=1
	v_cmp_gt_i32_e64 s[0:1], s33, v45
	s_nop 1
	v_cndmask_b32_e64 v36, 0, v36, s[0:1]
	v_cmp_gt_i32_e64 s[0:1], s33, v52
	s_nop 1
	v_cndmask_b32_e64 v37, 0, v37, s[0:1]
	v_cmp_gt_i32_e64 s[0:1], s33, v51
	s_nop 1
	v_cndmask_b32_e64 v34, 0, v34, s[0:1]
	v_cmp_gt_i32_e64 s[0:1], s33, v50
	s_nop 1
	v_cndmask_b32_e64 v35, 0, v35, s[0:1]
	v_cmp_gt_i32_e64 s[0:1], s33, v49
	s_nop 1
	v_cndmask_b32_e64 v32, 0, v32, s[0:1]
	v_cmp_gt_i32_e64 s[0:1], s33, v48
	s_nop 1
	v_cndmask_b32_e64 v33, 0, v33, s[0:1]
	v_cmp_gt_i32_e64 s[0:1], s33, v47
	s_nop 1
	v_cndmask_b32_e64 v30, 0, v30, s[0:1]
	v_cmp_gt_i32_e64 s[0:1], s33, v53
	s_nop 1
	v_cndmask_b32_e64 v31, 0, v31, s[0:1]
.LBB311_53:                             ;   in Loop: Header=BB311_50 Depth=1
	s_or_b64 exec, exec, s[12:13]
	global_load_dwordx2 v[38:39], v[20:21], off offset:512
	s_waitcnt vmcnt(0)
	v_and_b32_e32 v40, 0xff, v38
	v_bfe_u32 v41, v38, 8, 8
	v_bfe_u32 v42, v38, 16, 8
	v_lshrrev_b32_e32 v38, 24, v38
	v_and_b32_e32 v43, 0xff, v39
	v_bfe_u32 v44, v39, 8, 8
	v_bfe_u32 v46, v39, 16, 8
	v_lshrrev_b32_e32 v39, 24, v39
	v_cvt_f32_fp8_e32 v40, v40
	v_cvt_f32_fp8_e32 v41, v41
	v_cvt_f32_fp8_e32 v42, v42
	v_cvt_f32_fp8_e32 v38, v38
	v_cvt_f32_fp8_e32 v43, v43
	v_cvt_f32_fp8_e32 v44, v44
	v_cvt_f32_fp8_e32 v46, v46
	v_cvt_f32_fp8_e32 v39, v39
	v_mul_f32_e32 v40, s22, v40
	v_mul_f32_e32 v41, s22, v41
	v_mul_f32_e32 v42, s22, v42
	v_mul_f32_e32 v38, s22, v38
	v_mul_f32_e32 v54, s22, v43
	v_mul_f32_e32 v55, s22, v44
	v_mul_f32_e32 v56, s22, v46
	v_mul_f32_e32 v39, s22, v39
	v_cvt_pk_bf16_f32 v44, v40, s0
	v_cvt_pk_bf16_f32 v46, v41, s0
	v_cvt_pk_bf16_f32 v42, v42, s0
	v_cvt_pk_bf16_f32 v43, v38, s0
	v_cvt_pk_bf16_f32 v40, v54, s0
	v_cvt_pk_bf16_f32 v41, v55, s0
	v_cvt_pk_bf16_f32 v38, v56, s0
	v_cvt_pk_bf16_f32 v39, v39, s0
	s_and_saveexec_b64 s[12:13], vcc
	s_cbranch_execz .LBB311_55
; %bb.54:                               ;   in Loop: Header=BB311_50 Depth=1
	v_cmp_gt_i32_e64 s[0:1], s33, v45
	s_nop 1
	v_cndmask_b32_e64 v44, 0, v44, s[0:1]
	v_cmp_gt_i32_e64 s[0:1], s33, v52
	s_nop 1
	v_cndmask_b32_e64 v46, 0, v46, s[0:1]
	v_cmp_gt_i32_e64 s[0:1], s33, v51
	s_nop 1
	v_cndmask_b32_e64 v42, 0, v42, s[0:1]
	v_cmp_gt_i32_e64 s[0:1], s33, v50
	s_nop 1
	v_cndmask_b32_e64 v43, 0, v43, s[0:1]
	v_cmp_gt_i32_e64 s[0:1], s33, v49
	s_nop 1
	v_cndmask_b32_e64 v40, 0, v40, s[0:1]
	v_cmp_gt_i32_e64 s[0:1], s33, v48
	s_nop 1
	v_cndmask_b32_e64 v41, 0, v41, s[0:1]
	v_cmp_gt_i32_e64 s[0:1], s33, v47
	s_nop 1
	v_cndmask_b32_e64 v38, 0, v38, s[0:1]
	v_cmp_gt_i32_e64 s[0:1], s33, v53
	s_nop 1
	v_cndmask_b32_e64 v39, 0, v39, s[0:1]
.LBB311_55:                             ;   in Loop: Header=BB311_50 Depth=1
	s_or_b64 exec, exec, s[12:13]
	global_load_dwordx2 v[54:55], v[20:21], off offset:1024
	s_waitcnt vmcnt(0)
	v_and_b32_e32 v56, 0xff, v54
	v_bfe_u32 v57, v54, 8, 8
	v_bfe_u32 v58, v54, 16, 8
	v_lshrrev_b32_e32 v54, 24, v54
	v_and_b32_e32 v59, 0xff, v55
	v_bfe_u32 v60, v55, 8, 8
	v_bfe_u32 v61, v55, 16, 8
	v_lshrrev_b32_e32 v55, 24, v55
	v_cvt_f32_fp8_e32 v56, v56
	v_cvt_f32_fp8_e32 v57, v57
	v_cvt_f32_fp8_e32 v58, v58
	v_cvt_f32_fp8_e32 v54, v54
	v_cvt_f32_fp8_e32 v59, v59
	v_cvt_f32_fp8_e32 v60, v60
	v_cvt_f32_fp8_e32 v61, v61
	v_cvt_f32_fp8_e32 v55, v55
	;; [unrolled: 63-line block ×5, first 2 shown]
	v_mul_f32_e32 v70, s22, v70
	v_mul_f32_e32 v71, s22, v71
	;; [unrolled: 1-line block ×8, first 2 shown]
	v_cvt_pk_bf16_f32 v75, v70, s0
	v_cvt_pk_bf16_f32 v74, v71, s0
	;; [unrolled: 1-line block ×8, first 2 shown]
	s_and_saveexec_b64 s[0:1], vcc
	s_cbranch_execz .LBB311_48
; %bb.62:                               ;   in Loop: Header=BB311_50 Depth=1
	v_cmp_gt_i32_e32 vcc, s33, v45
	s_nop 1
	v_cndmask_b32_e32 v75, 0, v75, vcc
	v_cmp_gt_i32_e32 vcc, s33, v52
	s_nop 1
	v_cndmask_b32_e32 v74, 0, v74, vcc
	;; [unrolled: 3-line block ×8, first 2 shown]
	s_branch .LBB311_48
.LBB311_63:
	s_or_b64 exec, exec, s[6:7]
.LBB311_64:
	s_or_b64 exec, exec, s[2:3]
	ds_bpermute_b32 v2, v24, v10
	ds_bpermute_b32 v3, v24, v11
	;; [unrolled: 1-line block ×4, first 2 shown]
	v_and_b32_e32 v1, 0x3c3, v0
	v_cmp_ne_u32_e32 vcc, 64, v1
	s_waitcnt lgkmcnt(2)
	v_pk_add_f32 v[2:3], v[10:11], v[2:3]
	ds_bpermute_b32 v6, v25, v2
	ds_bpermute_b32 v7, v25, v3
	s_waitcnt lgkmcnt(2)
	v_pk_add_f32 v[8:9], v[14:15], v[4:5]
	ds_bpermute_b32 v14, v24, v12
	ds_bpermute_b32 v15, v24, v13
	;; [unrolled: 1-line block ×4, first 2 shown]
	s_waitcnt lgkmcnt(4)
	v_pk_add_f32 v[4:5], v[2:3], v[6:7]
	s_waitcnt lgkmcnt(0)
	v_pk_add_f32 v[6:7], v[12:13], v[14:15]
	s_barrier
	v_pk_add_f32 v[2:3], v[8:9], v[10:11]
	ds_bpermute_b32 v8, v25, v6
	ds_bpermute_b32 v9, v25, v7
	s_waitcnt lgkmcnt(0)
	s_and_saveexec_b64 s[0:1], vcc
	s_xor_b64 s[0:1], exec, s[0:1]
; %bb.65:
                                        ; implicit-def: $vgpr23
; %bb.66:
	s_or_saveexec_b64 s[0:1], s[0:1]
	v_pk_add_f32 v[6:7], v[6:7], v[8:9]
	s_xor_b64 exec, exec, s[0:1]
	s_cbranch_execz .LBB311_68
; %bb.67:
	v_add_u32_e32 v8, 0xd0, v23
	ds_write2_b32 v8, v4, v5 offset1:16
	ds_write2_b32 v8, v2, v3 offset0:32 offset1:48
	ds_write2_b32 v8, v6, v7 offset0:64 offset1:80
.LBB311_68:
	s_or_b64 exec, exec, s[0:1]
	v_cmp_gt_u32_e32 vcc, 64, v0
	v_lshrrev_b32_e32 v0, 2, v0
	s_waitcnt lgkmcnt(0)
	s_barrier
	s_and_saveexec_b64 s[0:1], vcc
	s_cbranch_execz .LBB311_77
; %bb.69:
	v_mov_b32_e32 v8, 0xd0
	v_cmp_eq_u32_e32 vcc, 0, v26
	v_lshl_add_u32 v8, v0, 2, v8
	s_and_saveexec_b64 s[2:3], vcc
	s_cbranch_execnz .LBB311_80
; %bb.70:
	s_or_b64 exec, exec, s[2:3]
	s_and_saveexec_b64 s[2:3], vcc
	s_cbranch_execnz .LBB311_81
.LBB311_71:
	s_or_b64 exec, exec, s[2:3]
	s_and_saveexec_b64 s[2:3], vcc
	s_cbranch_execnz .LBB311_82
.LBB311_72:
	s_or_b64 exec, exec, s[2:3]
	s_and_saveexec_b64 s[2:3], vcc
	s_cbranch_execnz .LBB311_83
.LBB311_73:
	s_or_b64 exec, exec, s[2:3]
	s_and_saveexec_b64 s[2:3], vcc
	s_cbranch_execnz .LBB311_84
.LBB311_74:
	s_or_b64 exec, exec, s[2:3]
	s_and_saveexec_b64 s[2:3], vcc
	s_cbranch_execz .LBB311_76
.LBB311_75:
	ds_read_b32 v8, v8 offset:320
	s_waitcnt lgkmcnt(0)
	v_add_f32_e32 v7, v7, v8
.LBB311_76:
	s_or_b64 exec, exec, s[2:3]
.LBB311_77:
	s_or_b64 exec, exec, s[0:1]
	v_cmp_eq_u32_e32 vcc, 0, v1
	s_barrier
	s_and_saveexec_b64 s[0:1], vcc
	s_cbranch_execz .LBB311_79
; %bb.78:
	s_mul_i32 s0, s10, s11
	s_mul_i32 s0, s0, s5
	s_mulk_i32 s0, 0x60
	s_ashr_i32 s1, s0, 31
	s_lshl_b64 s[0:1], s[0:1], 1
	s_add_u32 s2, s26, s0
	s_mul_i32 s0, s11, s24
	s_addc_u32 s3, s27, s1
	s_ashr_i32 s1, s0, 31
	s_lshl_b64 s[0:1], s[0:1], 1
	s_add_u32 s2, s2, s0
	s_mul_i32 s0, s4, 0x60
	s_addc_u32 s3, s3, s1
	s_ashr_i32 s1, s0, 31
	s_lshl_b64 s[0:1], s[0:1], 1
	s_add_u32 s0, s2, s0
	s_addc_u32 s1, s3, s1
	v_lshlrev_b32_e32 v0, 1, v0
	v_cvt_pk_bf16_f32 v1, v4, s0
	global_store_short v0, v1, s[0:1]
	v_cvt_pk_bf16_f32 v1, v5, s0
	global_store_short v0, v1, s[0:1] offset:32
	v_cvt_pk_bf16_f32 v1, v2, s0
	global_store_short v0, v1, s[0:1] offset:64
	;; [unrolled: 2-line block ×5, first 2 shown]
.LBB311_79:
	s_endpgm
.LBB311_80:
	ds_read_b32 v9, v8
	s_waitcnt lgkmcnt(0)
	v_add_f32_e32 v4, v4, v9
	s_or_b64 exec, exec, s[2:3]
	s_and_saveexec_b64 s[2:3], vcc
	s_cbranch_execz .LBB311_71
.LBB311_81:
	ds_read_b32 v9, v8 offset:64
	s_waitcnt lgkmcnt(0)
	v_add_f32_e32 v5, v5, v9
	s_or_b64 exec, exec, s[2:3]
	s_and_saveexec_b64 s[2:3], vcc
	s_cbranch_execz .LBB311_72
.LBB311_82:
	ds_read_b32 v9, v8 offset:128
	s_waitcnt lgkmcnt(0)
	v_add_f32_e32 v2, v2, v9
	s_or_b64 exec, exec, s[2:3]
	s_and_saveexec_b64 s[2:3], vcc
	s_cbranch_execz .LBB311_73
.LBB311_83:
	ds_read_b32 v9, v8 offset:192
	s_waitcnt lgkmcnt(0)
	v_add_f32_e32 v3, v3, v9
	s_or_b64 exec, exec, s[2:3]
	s_and_saveexec_b64 s[2:3], vcc
	s_cbranch_execz .LBB311_74
.LBB311_84:
	ds_read_b32 v9, v8 offset:256
	s_waitcnt lgkmcnt(0)
	v_add_f32_e32 v6, v6, v9
	s_or_b64 exec, exec, s[2:3]
	s_and_saveexec_b64 s[2:3], vcc
	s_cbranch_execnz .LBB311_75
	s_branch .LBB311_76
	.section	.rodata,"a",@progbits
	.p2align	6, 0x0
	.amdhsa_kernel _ZN4vllm25paged_attention_v1_kernelI14__hip_bfloat16hLi96ELi32ELi128ELNS_18Fp8KVCacheDataTypeE1ELb1EEEvPT_PKS3_PKT0_S9_ifPKiSB_iPKfiiiSD_SD_iiiii
		.amdhsa_group_segment_fixed_size 208
		.amdhsa_private_segment_fixed_size 0
		.amdhsa_kernarg_size 384
		.amdhsa_user_sgpr_count 2
		.amdhsa_user_sgpr_dispatch_ptr 0
		.amdhsa_user_sgpr_queue_ptr 0
		.amdhsa_user_sgpr_kernarg_segment_ptr 1
		.amdhsa_user_sgpr_dispatch_id 0
		.amdhsa_user_sgpr_kernarg_preload_length 0
		.amdhsa_user_sgpr_kernarg_preload_offset 0
		.amdhsa_user_sgpr_private_segment_size 0
		.amdhsa_uses_dynamic_stack 0
		.amdhsa_enable_private_segment 0
		.amdhsa_system_sgpr_workgroup_id_x 1
		.amdhsa_system_sgpr_workgroup_id_y 1
		.amdhsa_system_sgpr_workgroup_id_z 1
		.amdhsa_system_sgpr_workgroup_info 0
		.amdhsa_system_vgpr_workitem_id 0
		.amdhsa_next_free_vgpr 97
		.amdhsa_next_free_sgpr 48
		.amdhsa_accum_offset 100
		.amdhsa_reserve_vcc 1
		.amdhsa_float_round_mode_32 0
		.amdhsa_float_round_mode_16_64 0
		.amdhsa_float_denorm_mode_32 3
		.amdhsa_float_denorm_mode_16_64 3
		.amdhsa_dx10_clamp 1
		.amdhsa_ieee_mode 1
		.amdhsa_fp16_overflow 0
		.amdhsa_tg_split 0
		.amdhsa_exception_fp_ieee_invalid_op 0
		.amdhsa_exception_fp_denorm_src 0
		.amdhsa_exception_fp_ieee_div_zero 0
		.amdhsa_exception_fp_ieee_overflow 0
		.amdhsa_exception_fp_ieee_underflow 0
		.amdhsa_exception_fp_ieee_inexact 0
		.amdhsa_exception_int_div_zero 0
	.end_amdhsa_kernel
	.section	.text._ZN4vllm25paged_attention_v1_kernelI14__hip_bfloat16hLi96ELi32ELi128ELNS_18Fp8KVCacheDataTypeE1ELb1EEEvPT_PKS3_PKT0_S9_ifPKiSB_iPKfiiiSD_SD_iiiii,"axG",@progbits,_ZN4vllm25paged_attention_v1_kernelI14__hip_bfloat16hLi96ELi32ELi128ELNS_18Fp8KVCacheDataTypeE1ELb1EEEvPT_PKS3_PKT0_S9_ifPKiSB_iPKfiiiSD_SD_iiiii,comdat
.Lfunc_end311:
	.size	_ZN4vllm25paged_attention_v1_kernelI14__hip_bfloat16hLi96ELi32ELi128ELNS_18Fp8KVCacheDataTypeE1ELb1EEEvPT_PKS3_PKT0_S9_ifPKiSB_iPKfiiiSD_SD_iiiii, .Lfunc_end311-_ZN4vllm25paged_attention_v1_kernelI14__hip_bfloat16hLi96ELi32ELi128ELNS_18Fp8KVCacheDataTypeE1ELb1EEEvPT_PKS3_PKT0_S9_ifPKiSB_iPKfiiiSD_SD_iiiii
                                        ; -- End function
	.set _ZN4vllm25paged_attention_v1_kernelI14__hip_bfloat16hLi96ELi32ELi128ELNS_18Fp8KVCacheDataTypeE1ELb1EEEvPT_PKS3_PKT0_S9_ifPKiSB_iPKfiiiSD_SD_iiiii.num_vgpr, 97
	.set _ZN4vllm25paged_attention_v1_kernelI14__hip_bfloat16hLi96ELi32ELi128ELNS_18Fp8KVCacheDataTypeE1ELb1EEEvPT_PKS3_PKT0_S9_ifPKiSB_iPKfiiiSD_SD_iiiii.num_agpr, 0
	.set _ZN4vllm25paged_attention_v1_kernelI14__hip_bfloat16hLi96ELi32ELi128ELNS_18Fp8KVCacheDataTypeE1ELb1EEEvPT_PKS3_PKT0_S9_ifPKiSB_iPKfiiiSD_SD_iiiii.numbered_sgpr, 48
	.set _ZN4vllm25paged_attention_v1_kernelI14__hip_bfloat16hLi96ELi32ELi128ELNS_18Fp8KVCacheDataTypeE1ELb1EEEvPT_PKS3_PKT0_S9_ifPKiSB_iPKfiiiSD_SD_iiiii.num_named_barrier, 0
	.set _ZN4vllm25paged_attention_v1_kernelI14__hip_bfloat16hLi96ELi32ELi128ELNS_18Fp8KVCacheDataTypeE1ELb1EEEvPT_PKS3_PKT0_S9_ifPKiSB_iPKfiiiSD_SD_iiiii.private_seg_size, 0
	.set _ZN4vllm25paged_attention_v1_kernelI14__hip_bfloat16hLi96ELi32ELi128ELNS_18Fp8KVCacheDataTypeE1ELb1EEEvPT_PKS3_PKT0_S9_ifPKiSB_iPKfiiiSD_SD_iiiii.uses_vcc, 1
	.set _ZN4vllm25paged_attention_v1_kernelI14__hip_bfloat16hLi96ELi32ELi128ELNS_18Fp8KVCacheDataTypeE1ELb1EEEvPT_PKS3_PKT0_S9_ifPKiSB_iPKfiiiSD_SD_iiiii.uses_flat_scratch, 0
	.set _ZN4vllm25paged_attention_v1_kernelI14__hip_bfloat16hLi96ELi32ELi128ELNS_18Fp8KVCacheDataTypeE1ELb1EEEvPT_PKS3_PKT0_S9_ifPKiSB_iPKfiiiSD_SD_iiiii.has_dyn_sized_stack, 0
	.set _ZN4vllm25paged_attention_v1_kernelI14__hip_bfloat16hLi96ELi32ELi128ELNS_18Fp8KVCacheDataTypeE1ELb1EEEvPT_PKS3_PKT0_S9_ifPKiSB_iPKfiiiSD_SD_iiiii.has_recursion, 0
	.set _ZN4vllm25paged_attention_v1_kernelI14__hip_bfloat16hLi96ELi32ELi128ELNS_18Fp8KVCacheDataTypeE1ELb1EEEvPT_PKS3_PKT0_S9_ifPKiSB_iPKfiiiSD_SD_iiiii.has_indirect_call, 0
	.section	.AMDGPU.csdata,"",@progbits
; Kernel info:
; codeLenInByte = 9404
; TotalNumSgprs: 54
; NumVgprs: 97
; NumAgprs: 0
; TotalNumVgprs: 97
; ScratchSize: 0
; MemoryBound: 0
; FloatMode: 240
; IeeeMode: 1
; LDSByteSize: 208 bytes/workgroup (compile time only)
; SGPRBlocks: 6
; VGPRBlocks: 12
; NumSGPRsForWavesPerEU: 54
; NumVGPRsForWavesPerEU: 97
; AccumOffset: 100
; Occupancy: 4
; WaveLimiterHint : 1
; COMPUTE_PGM_RSRC2:SCRATCH_EN: 0
; COMPUTE_PGM_RSRC2:USER_SGPR: 2
; COMPUTE_PGM_RSRC2:TRAP_HANDLER: 0
; COMPUTE_PGM_RSRC2:TGID_X_EN: 1
; COMPUTE_PGM_RSRC2:TGID_Y_EN: 1
; COMPUTE_PGM_RSRC2:TGID_Z_EN: 1
; COMPUTE_PGM_RSRC2:TIDIG_COMP_CNT: 0
; COMPUTE_PGM_RSRC3_GFX90A:ACCUM_OFFSET: 24
; COMPUTE_PGM_RSRC3_GFX90A:TG_SPLIT: 0
	.section	.text._ZN4vllm25paged_attention_v1_kernelI14__hip_bfloat16hLi112ELi32ELi128ELNS_18Fp8KVCacheDataTypeE1ELb1EEEvPT_PKS3_PKT0_S9_ifPKiSB_iPKfiiiSD_SD_iiiii,"axG",@progbits,_ZN4vllm25paged_attention_v1_kernelI14__hip_bfloat16hLi112ELi32ELi128ELNS_18Fp8KVCacheDataTypeE1ELb1EEEvPT_PKS3_PKT0_S9_ifPKiSB_iPKfiiiSD_SD_iiiii,comdat
	.protected	_ZN4vllm25paged_attention_v1_kernelI14__hip_bfloat16hLi112ELi32ELi128ELNS_18Fp8KVCacheDataTypeE1ELb1EEEvPT_PKS3_PKT0_S9_ifPKiSB_iPKfiiiSD_SD_iiiii ; -- Begin function _ZN4vllm25paged_attention_v1_kernelI14__hip_bfloat16hLi112ELi32ELi128ELNS_18Fp8KVCacheDataTypeE1ELb1EEEvPT_PKS3_PKT0_S9_ifPKiSB_iPKfiiiSD_SD_iiiii
	.globl	_ZN4vllm25paged_attention_v1_kernelI14__hip_bfloat16hLi112ELi32ELi128ELNS_18Fp8KVCacheDataTypeE1ELb1EEEvPT_PKS3_PKT0_S9_ifPKiSB_iPKfiiiSD_SD_iiiii
	.p2align	8
	.type	_ZN4vllm25paged_attention_v1_kernelI14__hip_bfloat16hLi112ELi32ELi128ELNS_18Fp8KVCacheDataTypeE1ELb1EEEvPT_PKS3_PKT0_S9_ifPKiSB_iPKfiiiSD_SD_iiiii,@function
_ZN4vllm25paged_attention_v1_kernelI14__hip_bfloat16hLi112ELi32ELi128ELNS_18Fp8KVCacheDataTypeE1ELb1EEEvPT_PKS3_PKT0_S9_ifPKiSB_iPKfiiiSD_SD_iiiii: ; @_ZN4vllm25paged_attention_v1_kernelI14__hip_bfloat16hLi112ELi32ELi128ELNS_18Fp8KVCacheDataTypeE1ELb1EEEvPT_PKS3_PKT0_S9_ifPKiSB_iPKfiiiSD_SD_iiiii
; %bb.0:
	s_load_dword s5, s[0:1], 0x80
	s_load_dwordx2 s[6:7], s[0:1], 0x30
	s_load_dwordx2 s[36:37], s[0:1], 0x20
	s_mov_b32 s10, s3
	s_ashr_i32 s11, s3, 31
	s_lshl_b64 s[8:9], s[10:11], 2
	s_waitcnt lgkmcnt(0)
	s_add_u32 s6, s6, s8
	s_addc_u32 s7, s7, s9
	s_abs_i32 s3, s36
	v_cvt_f32_u32_e32 v1, s3
	s_sub_i32 s11, 0, s3
	s_abs_i32 s9, s5
	s_xor_b32 s8, s5, s36
	v_rcp_iflag_f32_e32 v1, v1
	s_ashr_i32 s8, s8, 31
	s_mov_b32 s44, 0
	v_mul_f32_e32 v1, 0x4f7ffffe, v1
	v_cvt_u32_f32_e32 v1, v1
	s_nop 0
	v_readfirstlane_b32 s12, v1
	s_mul_i32 s11, s11, s12
	s_mul_hi_u32 s11, s12, s11
	s_add_i32 s12, s12, s11
	s_mul_hi_u32 s11, s9, s12
	s_mul_i32 s12, s11, s3
	s_sub_i32 s9, s9, s12
	s_add_i32 s12, s11, 1
	s_sub_i32 s13, s9, s3
	s_cmp_ge_u32 s9, s3
	s_cselect_b32 s11, s12, s11
	s_cselect_b32 s9, s13, s9
	s_add_i32 s12, s11, 1
	s_cmp_ge_u32 s9, s3
	s_cselect_b32 s3, s12, s11
	s_xor_b32 s3, s3, s8
	s_sub_i32 s14, s3, s8
	s_abs_i32 s11, s14
	v_cvt_f32_u32_e32 v1, s11
	s_load_dwordx2 s[8:9], s[0:1], 0x40
	s_sub_i32 s3, 0, s11
	s_abs_i32 s12, s2
	v_rcp_iflag_f32_e32 v1, v1
	s_nop 0
	v_mul_f32_e32 v1, 0x4f7ffffe, v1
	v_cvt_u32_f32_e32 v1, v1
	s_nop 0
	v_readfirstlane_b32 s13, v1
	s_mul_i32 s3, s3, s13
	s_mul_hi_u32 s3, s13, s3
	s_add_i32 s13, s13, s3
	s_waitcnt lgkmcnt(0)
	s_cmp_eq_u64 s[8:9], 0
	s_mul_hi_u32 s13, s12, s13
	s_cbranch_scc1 .LBB312_2
; %bb.1:
	s_ashr_i32 s3, s2, 31
	s_lshl_b64 s[16:17], s[2:3], 2
	s_add_u32 s8, s8, s16
	s_addc_u32 s9, s9, s17
	s_load_dword s44, s[8:9], 0x0
.LBB312_2:
	s_load_dword s33, s[6:7], 0x0
	s_load_dwordx4 s[16:19], s[0:1], 0x48
	s_ashr_i32 s8, s2, 31
	s_ashr_i32 s9, s14, 31
	v_and_b32_e32 v2, 1, v0
	s_movk_i32 s3, 0x70
	s_mul_i32 s24, s2, 0x70
	v_cmp_gt_u32_e32 vcc, 28, v0
	v_lshlrev_b32_e32 v18, 3, v0
	s_and_saveexec_b64 s[6:7], vcc
	s_cbranch_execz .LBB312_4
; %bb.3:
	s_load_dwordx2 s[14:15], s[0:1], 0x8
	s_waitcnt lgkmcnt(0)
	s_mul_i32 s20, s16, s10
	s_ashr_i32 s21, s20, 31
	s_lshl_b64 s[20:21], s[20:21], 1
	v_lshlrev_b32_e32 v1, 2, v0
	s_add_u32 s16, s14, s20
	s_addc_u32 s19, s15, s21
	s_ashr_i32 s25, s24, 31
	s_lshl_b64 s[14:15], s[24:25], 1
	s_add_u32 s14, s16, s14
	s_addc_u32 s15, s19, s15
	global_load_dwordx2 v[4:5], v18, s[14:15]
	v_and_b32_e32 v1, 0xff8, v1
	v_mad_u32_u24 v1, v2, s3, v1
	s_waitcnt vmcnt(0)
	ds_write_b64 v1, v[4:5]
.LBB312_4:
	s_or_b64 exec, exec, s[6:7]
	s_mul_i32 s7, s13, s11
	s_sub_i32 s7, s12, s7
	s_xor_b32 s6, s8, s9
	s_add_i32 s8, s13, 1
	s_sub_i32 s9, s7, s11
	s_load_dwordx4 s[20:23], s[0:1], 0x68
	s_load_dword s3, s[0:1], 0x78
	s_cmp_ge_u32 s7, s11
	s_cselect_b32 s8, s8, s13
	s_cselect_b32 s7, s9, s7
	s_add_i32 s9, s8, 1
	s_cmp_ge_u32 s7, s11
	s_cselect_b32 s7, s9, s8
	s_waitcnt lgkmcnt(0)
	s_abs_i32 s16, s23
	v_cvt_f32_u32_e32 v1, s16
	s_xor_b32 s7, s7, s6
	s_sub_i32 s43, s7, s6
	s_sub_i32 s6, 0, s16
	v_rcp_iflag_f32_e32 v1, v1
	s_add_i32 s11, s33, -1
	s_abs_i32 s8, s11
	v_mul_f32_e32 v1, 0x4f7ffffe, v1
	v_cvt_u32_f32_e32 v1, v1
	s_barrier
	v_readfirstlane_b32 s25, v1
	s_mul_i32 s6, s6, s25
	s_mul_hi_u32 s6, s25, s6
	s_add_i32 s25, s25, s6
	s_cmp_lt_i32 s3, 0
	s_mul_hi_u32 s9, s8, s25
	s_cbranch_scc0 .LBB312_6
; %bb.5:
	s_mul_i32 s6, s20, s36
	s_add_i32 s6, s43, s6
	s_mul_i32 s6, s6, s3
	s_sub_i32 s36, 1, s6
	s_mov_b64 s[6:7], 0
	s_branch .LBB312_7
.LBB312_6:
	s_mov_b64 s[6:7], -1
                                        ; implicit-def: $sgpr36
.LBB312_7:
	s_load_dwordx2 s[28:29], s[0:1], 0x28
	s_ashr_i32 s19, s11, 31
	s_andn2_b64 vcc, exec, s[6:7]
	s_ashr_i32 s23, s23, 31
	s_cbranch_vccnz .LBB312_9
; %bb.8:
	s_mul_i32 s6, s5, s20
	s_add_i32 s2, s6, s2
	s_mul_i32 s2, s2, s3
	s_add_i32 s36, s2, 1
.LBB312_9:
	s_load_dword s2, s[0:1], 0x38
	s_load_dwordx2 s[26:27], s[0:1], 0x0
	s_load_dwordx2 s[34:35], s[0:1], 0x18
	s_load_dword s11, s[0:1], 0x88
	s_load_dwordx4 s[12:15], s[0:1], 0x58
	s_mul_i32 s3, s9, s16
	s_waitcnt lgkmcnt(0)
	s_mul_i32 s30, s2, s10
	s_sub_i32 s3, s8, s3
	s_ashr_i32 s31, s30, 31
	s_xor_b32 s2, s19, s23
	s_add_i32 s6, s9, 1
	s_sub_i32 s7, s3, s16
	s_cmp_ge_u32 s3, s16
	s_cselect_b32 s6, s6, s9
	s_cselect_b32 s3, s7, s3
	s_add_i32 s7, s6, 1
	s_cmp_ge_u32 s3, s16
	s_cselect_b32 s3, s7, s6
	s_xor_b32 s3, s3, s2
	s_sub_i32 s42, s3, s2
	s_add_i32 s2, s33, 31
	s_ashr_i32 s3, s2, 31
	s_lshr_b32 s3, s3, 27
	s_add_i32 s2, s2, s3
	s_ashr_i32 s20, s2, 5
	v_lshrrev_b32_e32 v1, 6, v0
	v_cmp_gt_i32_e64 s[6:7], s20, v1
	v_mov_b32_e32 v15, 0xff7fffff
	s_mul_i32 s43, s43, s18
	v_lshrrev_b32_e32 v20, 4, v0
	v_lshlrev_b32_e32 v24, 5, v1
	v_mbcnt_lo_u32_b32 v12, -1, 0
	s_and_saveexec_b64 s[18:19], s[6:7]
	s_cbranch_execz .LBB312_21
; %bb.10:
	s_load_dwordx2 s[0:1], s[0:1], 0x10
	s_sub_i32 s45, s42, s21
	s_ashr_i32 s2, s43, 31
	v_bfe_u32 v13, v0, 1, 5
	v_mov_b32_e32 v5, 0
	s_waitcnt lgkmcnt(0)
	s_add_u32 s0, s0, s43
	s_addc_u32 s1, s1, s2
	s_abs_i32 s46, s22
	v_cvt_f32_u32_e32 v3, s46
	v_lshlrev_b32_e32 v4, 4, v13
	v_lshl_add_u64 v[6:7], s[0:1], 0, v[4:5]
	s_sub_i32 s0, 0, s46
	v_rcp_iflag_f32_e32 v3, v3
	v_cmp_eq_u32_e32 vcc, 0, v2
	v_mul_u32_u24_e32 v14, 0x70, v2
	v_lshlrev_b32_e32 v4, 2, v2
	v_mul_f32_e32 v3, 0x4f7ffffe, v3
	v_cvt_u32_f32_e32 v3, v3
	v_mbcnt_hi_u32_b32 v23, -1, v12
	v_lshl_add_u64 v[6:7], v[6:7], 0, v[4:5]
	v_and_b32_e32 v4, 60, v20
	v_mul_lo_u32 v2, s0, v3
	v_mul_hi_u32 v2, v3, v2
	v_add_u32_e32 v16, v3, v2
	v_subrev_u32_e32 v2, s33, v13
	s_lshl_b64 s[0:1], s[30:31], 2
	v_add_u32_e32 v19, 1, v2
	v_lshlrev_b32_e32 v2, 2, v13
	s_add_u32 s0, s28, s0
	v_lshl_or_b32 v2, v1, 7, v2
	s_addc_u32 s1, s29, s1
	v_add_u32_e32 v21, 0xf0, v2
	v_and_b32_e32 v2, 64, v23
	s_mov_b32 s47, s17
	v_cmp_neq_f32_e64 s[2:3], s44, 0
	v_lshl_add_u64 v[8:9], s[0:1], 0, v[4:5]
	v_lshlrev_b32_e32 v17, 5, v1
	v_mov_b32_e32 v22, 0xff7fffff
	s_mov_b64 s[38:39], 0
	v_xor_b32_e32 v25, 1, v23
	v_add_u32_e32 v26, 64, v2
	v_mov_b32_e32 v15, 0xff7fffff
	v_mov_b32_e32 v27, v1
	s_branch .LBB312_13
.LBB312_11:                             ;   in Loop: Header=BB312_13 Depth=1
	s_or_b64 exec, exec, s[40:41]
.LBB312_12:                             ;   in Loop: Header=BB312_13 Depth=1
	s_or_b64 exec, exec, s[8:9]
	v_add_u32_e32 v27, 2, v27
	v_cmp_le_i32_e64 s[0:1], s20, v27
	v_lshl_add_u64 v[8:9], v[8:9], 0, 8
	v_add_u32_e32 v17, 64, v17
	s_or_b64 s[38:39], s[0:1], s[38:39]
	v_add_u32_e32 v21, 0x100, v21
	s_andn2_b64 exec, exec, s[38:39]
	s_cbranch_execz .LBB312_20
.LBB312_13:                             ; =>This Inner Loop Header: Depth=1
	v_mul_hi_u32 v2, v17, s25
	s_waitcnt lgkmcnt(0)
	v_mul_lo_u32 v3, v2, s16
	v_sub_u32_e32 v3, v17, v3
	v_add_u32_e32 v4, 1, v2
	v_cmp_le_u32_e64 s[0:1], s16, v3
	s_nop 1
	v_cndmask_b32_e64 v2, v2, v4, s[0:1]
	v_subrev_u32_e32 v4, s16, v3
	v_cndmask_b32_e64 v3, v3, v4, s[0:1]
	v_add_u32_e32 v4, 1, v2
	v_cmp_le_u32_e64 s[0:1], s16, v3
	s_nop 1
	v_cndmask_b32_e64 v2, v2, v4, s[0:1]
	v_xor_b32_e32 v2, s23, v2
	v_subrev_u32_e32 v2, s23, v2
	v_add_u32_e32 v3, s36, v2
	v_sub_u32_e32 v5, 0, v3
	v_ashrrev_i32_e32 v4, 31, v3
	v_max_i32_e32 v3, v3, v5
	v_mul_hi_u32 v5, v3, v16
	v_mul_lo_u32 v5, v5, s46
	v_sub_u32_e32 v3, v3, v5
	v_subrev_u32_e32 v5, s46, v3
	v_cmp_le_u32_e64 s[0:1], s46, v3
	v_cmp_ge_i32_e64 s[8:9], s45, v2
	s_nop 0
	v_cndmask_b32_e64 v3, v3, v5, s[0:1]
	v_subrev_u32_e32 v5, s46, v3
	v_cmp_le_u32_e64 s[0:1], s46, v3
	s_nop 1
	v_cndmask_b32_e64 v3, v3, v5, s[0:1]
	v_xor_b32_e32 v3, v3, v4
	v_sub_u32_e32 v3, v3, v4
	v_cmp_ne_u32_e64 s[0:1], 0, v3
	s_and_b64 s[0:1], s[0:1], s[8:9]
	s_and_saveexec_b64 s[8:9], s[0:1]
	s_xor_b64 s[0:1], exec, s[8:9]
	s_cbranch_execz .LBB312_17
; %bb.14:                               ;   in Loop: Header=BB312_13 Depth=1
	s_and_saveexec_b64 s[8:9], vcc
; %bb.15:                               ;   in Loop: Header=BB312_13 Depth=1
	ds_write_b32 v21, v22
; %bb.16:                               ;   in Loop: Header=BB312_13 Depth=1
	s_or_b64 exec, exec, s[8:9]
.LBB312_17:                             ;   in Loop: Header=BB312_13 Depth=1
	s_andn2_saveexec_b64 s[8:9], s[0:1]
	s_cbranch_execz .LBB312_12
; %bb.18:                               ;   in Loop: Header=BB312_13 Depth=1
	global_load_dword v2, v[8:9], off
	s_waitcnt vmcnt(0)
	v_mad_i64_i32 v[10:11], s[0:1], v2, s47, v[6:7]
	global_load_dword v52, v[10:11], off offset:8
	global_load_dword v53, v[10:11], off offset:512
	;; [unrolled: 1-line block ×7, first 2 shown]
	global_load_dword v55, v[10:11], off
	ds_read_b128 v[42:45], v14
	ds_read_b128 v[62:65], v14 offset:16
	ds_read_b128 v[66:69], v14 offset:32
	;; [unrolled: 1-line block ×5, first 2 shown]
	s_load_dword s40, s[12:13], 0x0
	s_waitcnt lgkmcnt(0)
	v_lshlrev_b32_e32 v83, 16, v42
	v_lshlrev_b32_e32 v48, 16, v72
	v_and_b32_e32 v49, 0xffff0000, v72
	v_lshlrev_b32_e32 v84, 16, v43
	v_lshlrev_b32_e32 v56, 16, v70
	;; [unrolled: 1-line block ×6, first 2 shown]
	v_and_b32_e32 v94, 0xffff0000, v42
	v_and_b32_e32 v95, 0xffff0000, v43
	;; [unrolled: 1-line block ×7, first 2 shown]
	v_lshlrev_b32_e32 v86, 16, v45
	v_lshlrev_b32_e32 v50, 16, v71
	;; [unrolled: 1-line block ×3, first 2 shown]
	v_and_b32_e32 v97, 0xffff0000, v45
	v_and_b32_e32 v51, 0xffff0000, v71
	;; [unrolled: 1-line block ×3, first 2 shown]
	v_lshlrev_b32_e32 v29, 16, v80
	v_and_b32_e32 v37, 0xffff0000, v80
	v_lshlrev_b32_e32 v85, 16, v44
	v_lshlrev_b32_e32 v38, 16, v75
	;; [unrolled: 1-line block ×3, first 2 shown]
	v_and_b32_e32 v96, 0xffff0000, v44
	v_and_b32_e32 v44, 0xffff0000, v75
	;; [unrolled: 1-line block ×3, first 2 shown]
	v_cmp_lt_i32_e64 s[0:1], v25, v26
	v_lshlrev_b32_e32 v28, 16, v81
	v_and_b32_e32 v35, 0xffff0000, v81
	v_and_b32_e32 v98, 0xffff0000, v62
	v_lshlrev_b32_e32 v87, 16, v62
	v_lshlrev_b32_e32 v89, 16, v64
	v_and_b32_e32 v64, 0xffff0000, v64
	v_lshlrev_b32_e32 v88, 16, v63
	v_lshlrev_b32_e32 v91, 16, v66
	v_and_b32_e32 v63, 0xffff0000, v63
	v_lshlrev_b32_e32 v90, 16, v65
	v_and_b32_e32 v65, 0xffff0000, v65
	;; [unrolled: 2-line block ×3, first 2 shown]
	v_and_b32_e32 v62, 0xffff0000, v69
	global_load_dword v69, v[10:11], off offset:2048
	v_lshlrev_b32_e32 v93, 16, v68
	v_and_b32_e32 v68, 0xffff0000, v68
	ds_read_b128 v[2:5], v14 offset:96
	v_lshlrev_b32_e32 v92, 16, v67
	v_and_b32_e32 v67, 0xffff0000, v67
	v_cndmask_b32_e64 v34, v23, v25, s[0:1]
	v_lshlrev_b32_e32 v34, 2, v34
	s_waitcnt lgkmcnt(0)
	v_and_b32_e32 v32, 0xffff0000, v2
	v_lshlrev_b32_e32 v2, 16, v2
	s_waitcnt vmcnt(8)
	v_bfe_u32 v72, v52, 8, 8
	v_and_b32_e32 v70, 0xff, v52
	s_waitcnt vmcnt(7)
	v_and_b32_e32 v76, 0xff, v53
	v_bfe_u32 v77, v53, 8, 8
	v_bfe_u32 v78, v53, 16, 8
	v_lshrrev_b32_e32 v53, 24, v53
	v_cvt_f32_fp8_e32 v72, v72
	s_waitcnt vmcnt(1)
	v_bfe_u32 v73, v55, 8, 8
	v_and_b32_e32 v71, 0xff, v55
	v_bfe_u32 v74, v52, 16, 8
	v_lshrrev_b32_e32 v52, 24, v52
	v_cvt_f32_fp8_e32 v70, v70
	v_cvt_f32_fp8_e32 v73, v73
	;; [unrolled: 1-line block ×3, first 2 shown]
	v_bfe_u32 v80, v54, 8, 8
	v_cvt_f32_fp8_e32 v71, v71
	v_cvt_f32_fp8_e32 v52, v52
	;; [unrolled: 1-line block ×3, first 2 shown]
	v_bfe_u32 v75, v55, 16, 8
	v_lshrrev_b32_e32 v55, 24, v55
	v_and_b32_e32 v79, 0xff, v54
	v_cvt_f32_fp8_e32 v76, v76
	v_cvt_f32_fp8_e32 v80, v80
	v_and_b32_e32 v99, 0xff, v60
	v_cvt_f32_fp8_e32 v55, v55
	v_cvt_f32_fp8_e32 v79, v79
	v_mul_f32_e32 v72, s40, v72
	v_bfe_u32 v81, v54, 16, 8
	v_lshrrev_b32_e32 v54, 24, v54
	v_cvt_f32_fp8_e32 v99, v99
	v_mul_f32_e32 v70, s40, v70
	v_mul_f32_e32 v73, s40, v73
	;; [unrolled: 1-line block ×3, first 2 shown]
	v_cvt_pk_bf16_f32 v72, v72, s0
	v_cvt_f32_fp8_e32 v54, v54
	v_mul_f32_e32 v71, s40, v71
	v_mul_f32_e32 v52, s40, v52
	;; [unrolled: 1-line block ×3, first 2 shown]
	v_cvt_pk_bf16_f32 v70, v70, s0
	v_cvt_pk_bf16_f32 v73, v73, s0
	;; [unrolled: 1-line block ×3, first 2 shown]
	v_lshlrev_b32_e32 v72, 16, v72
	v_mul_f32_e32 v76, s40, v76
	v_mul_f32_e32 v80, s40, v80
	v_cvt_pk_bf16_f32 v71, v71, s0
	v_cvt_pk_bf16_f32 v52, v52, s0
	;; [unrolled: 1-line block ×3, first 2 shown]
	v_lshlrev_b32_e32 v70, 16, v70
	v_lshlrev_b32_e32 v73, 16, v73
	;; [unrolled: 1-line block ×3, first 2 shown]
	v_mul_f32_e32 v53, v96, v72
	v_bfe_u32 v100, v60, 8, 8
	v_mul_f32_e32 v55, s40, v55
	v_mul_f32_e32 v79, s40, v79
	v_cvt_pk_bf16_f32 v76, v76, s0
	v_cvt_pk_bf16_f32 v80, v80, s0
	v_lshlrev_b32_e32 v71, 16, v71
	v_lshlrev_b32_e32 v102, 16, v52
	;; [unrolled: 1-line block ×3, first 2 shown]
	v_mul_f32_e32 v52, v85, v70
	v_fmac_f32_e32 v53, v94, v73
	v_cvt_f32_fp8_e32 v100, v100
	v_mul_f32_e32 v99, s40, v99
	v_cvt_pk_bf16_f32 v55, v55, s0
	v_cvt_pk_bf16_f32 v79, v79, s0
	v_lshlrev_b32_e32 v76, 16, v76
	v_lshlrev_b32_e32 v80, 16, v80
	v_fmac_f32_e32 v52, v83, v71
	v_fmac_f32_e32 v53, v98, v77
	v_mul_f32_e32 v54, s40, v54
	v_lshlrev_b32_e32 v103, 16, v55
	v_lshlrev_b32_e32 v79, 16, v79
	v_mul_f32_e32 v55, v97, v102
	v_fmac_f32_e32 v52, v87, v76
	v_fmac_f32_e32 v53, v64, v80
	v_cvt_pk_bf16_f32 v64, v99, s0
	v_cvt_pk_bf16_f32 v54, v54, s0
	v_fmac_f32_e32 v55, v95, v103
	v_fmac_f32_e32 v52, v89, v79
	v_lshlrev_b32_e32 v64, 16, v64
	v_lshlrev_b32_e32 v105, 16, v54
	v_fmac_f32_e32 v55, v63, v104
	v_fmac_f32_e32 v52, v91, v64
	v_and_b32_e32 v64, 0xff, v82
	v_fmac_f32_e32 v55, v65, v105
	v_mul_f32_e32 v65, s40, v100
	v_cvt_f32_fp8_e32 v64, v64
	v_cvt_pk_bf16_f32 v65, v65, s0
	v_lshlrev_b32_e32 v65, 16, v65
	global_load_dword v70, v[10:11], off offset:2056
	global_load_dword v72, v[10:11], off offset:2560
	v_fmac_f32_e32 v53, v66, v65
	v_bfe_u32 v65, v82, 8, 8
	v_mul_f32_e32 v64, s40, v64
	v_cvt_f32_fp8_e32 v65, v65
	v_cvt_pk_bf16_f32 v64, v64, s0
	v_lshlrev_b32_e32 v64, 16, v64
	v_and_b32_e32 v73, 0xff, v58
	v_fmac_f32_e32 v52, v93, v64
	global_load_dword v64, v[10:11], off offset:2568
	v_cvt_f32_fp8_e32 v73, v73
	v_mul_f32_e32 v65, s40, v65
	v_cvt_pk_bf16_f32 v65, v65, s0
	v_lshlrev_b32_e32 v65, 16, v65
	v_fmac_f32_e32 v53, v68, v65
	v_mul_f32_e32 v68, s40, v73
	global_load_dword v73, v[10:11], off offset:3072
	s_nop 0
	global_load_dword v10, v[10:11], off offset:3080
	v_cvt_f32_fp8_e32 v74, v74
	v_bfe_u32 v101, v60, 16, 8
	v_cvt_f32_fp8_e32 v75, v75
	v_lshrrev_b32_e32 v60, 24, v60
	v_cvt_f32_fp8_e32 v78, v78
	v_cvt_f32_fp8_e32 v60, v60
	;; [unrolled: 1-line block ×3, first 2 shown]
	v_mul_f32_e32 v74, s40, v74
	v_cvt_f32_fp8_e32 v63, v101
	v_mul_f32_e32 v75, s40, v75
	v_cvt_pk_bf16_f32 v74, v74, s0
	v_bfe_u32 v66, v82, 16, 8
	v_lshrrev_b32_e32 v71, 24, v82
	v_mul_f32_e32 v78, s40, v78
	v_cvt_pk_bf16_f32 v75, v75, s0
	v_lshlrev_b32_e32 v74, 16, v74
	v_mul_f32_e32 v60, s40, v60
	v_cvt_f32_fp8_e32 v66, v66
	v_cvt_f32_fp8_e32 v71, v71
	v_mul_f32_e32 v81, s40, v81
	v_cvt_pk_bf16_f32 v78, v78, s0
	v_lshlrev_b32_e32 v75, 16, v75
	v_mul_f32_e32 v54, v86, v74
	v_cvt_pk_bf16_f32 v60, v60, s0
	v_cvt_pk_bf16_f32 v81, v81, s0
	v_lshlrev_b32_e32 v78, 16, v78
	v_fmac_f32_e32 v54, v84, v75
	v_mul_f32_e32 v63, s40, v63
	v_lshlrev_b32_e32 v60, 16, v60
	v_lshlrev_b32_e32 v81, 16, v81
	v_fmac_f32_e32 v54, v88, v78
	v_cvt_pk_bf16_f32 v63, v63, s0
	v_fmac_f32_e32 v55, v67, v60
	v_bfe_u32 v67, v61, 16, 8
	v_fmac_f32_e32 v54, v90, v81
	v_mul_f32_e32 v66, s40, v66
	v_lshlrev_b32_e32 v63, 16, v63
	v_mul_f32_e32 v71, s40, v71
	v_bfe_u32 v60, v61, 8, 8
	v_cvt_f32_fp8_e32 v67, v67
	v_cvt_pk_bf16_f32 v66, v66, s0
	v_fmac_f32_e32 v54, v92, v63
	v_and_b32_e32 v63, 0xff, v61
	v_cvt_pk_bf16_f32 v71, v71, s0
	v_cvt_f32_fp8_e32 v60, v60
	v_cvt_f32_fp8_e32 v63, v63
	v_lshlrev_b32_e32 v66, 16, v66
	v_lshlrev_b32_e32 v71, 16, v71
	v_bfe_u32 v65, v58, 8, 8
	v_fmac_f32_e32 v54, v59, v66
	s_waitcnt vmcnt(5)
	v_and_b32_e32 v59, 0xff, v69
	v_bfe_u32 v66, v69, 8, 8
	v_fmac_f32_e32 v55, v62, v71
	v_bfe_u32 v62, v69, 16, 8
	v_lshrrev_b32_e32 v69, 24, v69
	v_mul_f32_e32 v67, s40, v67
	v_lshrrev_b32_e32 v61, 24, v61
	v_cvt_f32_fp8_e32 v65, v65
	v_cvt_f32_fp8_e32 v69, v69
	v_mul_f32_e32 v60, s40, v60
	v_cvt_pk_bf16_f32 v67, v67, s0
	v_cvt_f32_fp8_e32 v61, v61
	s_waitcnt vmcnt(4)
	v_and_b32_e32 v71, 0xff, v70
	v_bfe_u32 v11, v58, 16, 8
	v_lshrrev_b32_e32 v58, 24, v58
	v_cvt_f32_fp8_e32 v71, v71
	v_mul_f32_e32 v63, s40, v63
	v_cvt_pk_bf16_f32 v60, v60, s0
	v_cvt_f32_fp8_e32 v58, v58
	v_lshlrev_b32_e32 v67, 16, v67
	v_cvt_pk_bf16_f32 v63, v63, s0
	v_cvt_f32_fp8_e32 v11, v11
	v_cvt_f32_fp8_e32 v59, v59
	v_lshlrev_b32_e32 v60, 16, v60
	v_fmac_f32_e32 v54, v50, v67
	s_waitcnt vmcnt(3)
	v_lshrrev_b32_e32 v67, 24, v72
	v_mul_f32_e32 v65, s40, v65
	v_cvt_f32_fp8_e32 v62, v62
	v_mul_f32_e32 v69, s40, v69
	v_lshlrev_b32_e32 v63, 16, v63
	v_fmac_f32_e32 v53, v57, v60
	v_and_b32_e32 v57, 0xff, v72
	v_bfe_u32 v60, v72, 8, 8
	v_bfe_u32 v50, v72, 16, 8
	v_cvt_f32_fp8_e32 v67, v67
	s_waitcnt vmcnt(2)
	v_and_b32_e32 v72, 0xff, v64
	v_mul_f32_e32 v61, s40, v61
	v_cvt_pk_bf16_f32 v65, v65, s0
	v_fmac_f32_e32 v52, v56, v63
	v_cvt_pk_bf16_f32 v63, v69, s0
	v_mul_f32_e32 v69, s40, v71
	v_bfe_u32 v71, v70, 16, 8
	v_cvt_f32_fp8_e32 v72, v72
	v_cvt_pk_bf16_f32 v61, v61, s0
	v_cvt_pk_bf16_f32 v68, v68, s0
	v_mul_f32_e32 v58, s40, v58
	v_cvt_f32_fp8_e32 v71, v71
	v_lshlrev_b32_e32 v65, 16, v65
	v_mul_f32_e32 v11, s40, v11
	v_cvt_f32_fp8_e32 v66, v66
	v_cvt_pk_bf16_f32 v58, v58, s0
	v_mul_f32_e32 v59, s40, v59
	v_cvt_f32_fp8_e32 v57, v57
	v_lshlrev_b32_e32 v61, 16, v61
	v_lshlrev_b32_e32 v68, 16, v68
	v_fmac_f32_e32 v53, v49, v65
	s_waitcnt vmcnt(1)
	v_lshrrev_b32_e32 v65, 24, v73
	v_cvt_pk_bf16_f32 v11, v11, s0
	v_cvt_pk_bf16_f32 v59, v59, s0
	v_mul_f32_e32 v62, s40, v62
	v_bfe_u32 v56, v70, 8, 8
	v_lshrrev_b32_e32 v70, 24, v70
	v_cvt_f32_fp8_e32 v50, v50
	v_mul_f32_e32 v67, s40, v67
	v_fmac_f32_e32 v55, v51, v61
	v_fmac_f32_e32 v52, v48, v68
	v_and_b32_e32 v48, 0xff, v73
	v_bfe_u32 v68, v73, 8, 8
	v_bfe_u32 v49, v73, 16, 8
	v_cvt_f32_fp8_e32 v65, v65
	s_waitcnt vmcnt(0)
	v_and_b32_e32 v73, 0xff, v10
	v_lshlrev_b32_e32 v58, 16, v58
	v_cvt_pk_bf16_f32 v62, v62, s0
	v_cvt_f32_fp8_e32 v56, v56
	v_cvt_f32_fp8_e32 v70, v70
	v_cvt_pk_bf16_f32 v61, v67, s0
	v_mul_f32_e32 v67, s40, v72
	v_bfe_u32 v72, v64, 16, 8
	v_cvt_f32_fp8_e32 v73, v73
	v_lshlrev_b32_e32 v11, 16, v11
	v_fmac_f32_e32 v55, v47, v58
	v_lshlrev_b32_e32 v58, 16, v59
	v_cvt_pk_bf16_f32 v69, v69, s0
	v_mul_f32_e32 v71, s40, v71
	v_cvt_f32_fp8_e32 v60, v60
	v_bfe_u32 v51, v64, 8, 8
	v_cvt_f32_fp8_e32 v72, v72
	v_lshrrev_b32_e32 v64, 24, v64
	v_fmac_f32_e32 v54, v46, v11
	v_fmac_f32_e32 v52, v40, v58
	v_lshlrev_b32_e32 v40, 16, v62
	v_mul_f32_e32 v66, s40, v66
	v_cvt_pk_bf16_f32 v71, v71, s0
	v_mul_f32_e32 v57, s40, v57
	v_cvt_f32_fp8_e32 v51, v51
	v_cvt_f32_fp8_e32 v64, v64
	;; [unrolled: 1-line block ×3, first 2 shown]
	v_fmac_f32_e32 v54, v38, v40
	v_lshlrev_b32_e32 v38, 16, v69
	v_cvt_pk_bf16_f32 v66, v66, s0
	v_cvt_pk_bf16_f32 v57, v57, s0
	v_mul_f32_e32 v50, s40, v50
	v_cvt_f32_fp8_e32 v68, v68
	v_cvt_f32_fp8_e32 v49, v49
	v_mul_f32_e32 v65, s40, v65
	v_bfe_u32 v11, v10, 8, 8
	v_fmac_f32_e32 v52, v36, v38
	v_lshlrev_b32_e32 v36, 16, v71
	v_mul_f32_e32 v56, s40, v56
	v_mul_f32_e32 v70, s40, v70
	v_cvt_pk_bf16_f32 v50, v50, s0
	v_cvt_f32_fp8_e32 v11, v11
	v_cvt_pk_bf16_f32 v46, v65, s0
	v_mul_f32_e32 v65, s40, v73
	v_bfe_u32 v73, v10, 16, 8
	v_lshlrev_b32_e32 v59, 16, v66
	v_fmac_f32_e32 v54, v33, v36
	v_lshlrev_b32_e32 v33, 16, v57
	v_cvt_pk_bf16_f32 v56, v56, s0
	v_cvt_pk_bf16_f32 v70, v70, s0
	v_mul_f32_e32 v60, s40, v60
	v_cvt_pk_bf16_f32 v67, v67, s0
	v_mul_f32_e32 v72, s40, v72
	v_cvt_f32_fp8_e32 v73, v73
	v_lshrrev_b32_e32 v10, 24, v10
	v_fmac_f32_e32 v53, v45, v59
	v_lshlrev_b32_e32 v45, 16, v63
	v_fmac_f32_e32 v52, v31, v33
	v_lshlrev_b32_e32 v31, 16, v50
	v_cvt_pk_bf16_f32 v60, v60, s0
	v_mul_f32_e32 v51, s40, v51
	v_cvt_pk_bf16_f32 v72, v72, s0
	v_mul_f32_e32 v64, s40, v64
	v_mul_f32_e32 v48, s40, v48
	v_cvt_f32_fp8_e32 v10, v10
	v_fmac_f32_e32 v55, v44, v45
	v_lshlrev_b32_e32 v40, 16, v56
	v_lshlrev_b32_e32 v38, 16, v70
	v_fmac_f32_e32 v54, v30, v31
	v_lshlrev_b32_e32 v30, 16, v67
	v_cvt_pk_bf16_f32 v51, v51, s0
	v_cvt_pk_bf16_f32 v64, v64, s0
	;; [unrolled: 1-line block ×3, first 2 shown]
	v_mul_f32_e32 v68, s40, v68
	v_mul_f32_e32 v49, s40, v49
	v_fmac_f32_e32 v53, v43, v40
	v_fmac_f32_e32 v55, v42, v38
	v_lshlrev_b32_e32 v36, 16, v60
	v_lshlrev_b32_e32 v33, 16, v61
	v_fmac_f32_e32 v52, v29, v30
	v_lshlrev_b32_e32 v29, 16, v72
	v_cvt_pk_bf16_f32 v68, v68, s0
	v_cvt_pk_bf16_f32 v49, v49, s0
	v_mul_f32_e32 v11, s40, v11
	v_fmac_f32_e32 v53, v41, v36
	v_fmac_f32_e32 v55, v39, v33
	v_lshlrev_b32_e32 v31, 16, v51
	v_lshlrev_b32_e32 v30, 16, v64
	v_fmac_f32_e32 v54, v28, v29
	v_lshlrev_b32_e32 v28, 16, v48
	v_cvt_pk_bf16_f32 v65, v65, s0
	v_cvt_pk_bf16_f32 v11, v11, s0
	v_mul_f32_e32 v73, s40, v73
	v_lshlrev_b32_e32 v47, 16, v3
	v_fmac_f32_e32 v53, v37, v31
	v_fmac_f32_e32 v55, v35, v30
	v_lshlrev_b32_e32 v29, 16, v68
	v_fmac_f32_e32 v52, v2, v28
	v_and_b32_e32 v2, 0xffff0000, v3
	v_lshlrev_b32_e32 v3, 16, v49
	v_lshlrev_b32_e32 v28, 16, v46
	v_cvt_pk_bf16_f32 v73, v73, s0
	v_mul_f32_e32 v10, s40, v10
	v_fmac_f32_e32 v53, v32, v29
	v_fmac_f32_e32 v54, v47, v3
	;; [unrolled: 1-line block ×3, first 2 shown]
	v_lshlrev_b32_e32 v2, 16, v4
	v_and_b32_e32 v3, 0xffff0000, v4
	v_lshlrev_b32_e32 v4, 16, v65
	v_lshlrev_b32_e32 v11, 16, v11
	v_cvt_pk_bf16_f32 v10, v10, s0
	v_fmac_f32_e32 v52, v4, v2
	v_fmac_f32_e32 v53, v11, v3
	v_lshlrev_b32_e32 v2, 16, v5
	v_lshlrev_b32_e32 v4, 16, v73
	v_and_b32_e32 v3, 0xffff0000, v5
	v_lshlrev_b32_e32 v5, 16, v10
	v_fmac_f32_e32 v54, v4, v2
	v_add_f32_e32 v2, v52, v53
	v_fmac_f32_e32 v55, v5, v3
	v_add_f32_e32 v2, v2, v54
	v_add_f32_e32 v2, v55, v2
	ds_bpermute_b32 v3, v34, v2
	s_and_saveexec_b64 s[40:41], vcc
	s_cbranch_execz .LBB312_11
; %bb.19:                               ;   in Loop: Header=BB312_13 Depth=1
	v_add_u32_e32 v4, v19, v17
	v_cvt_f32_i32_e32 v4, v4
	s_waitcnt lgkmcnt(0)
	v_add_f32_e32 v2, v2, v3
	v_add_u32_e32 v5, v13, v17
	v_cmp_gt_i32_e64 s[0:1], s33, v5
	v_mul_f32_e32 v3, s44, v4
	v_cndmask_b32_e64 v3, 0, v3, s[2:3]
	v_fmac_f32_e32 v3, s37, v2
	v_cndmask_b32_e64 v2, 0, v3, s[0:1]
	ds_write_b32 v21, v2
	v_max_f32_e32 v2, v15, v15
	v_max_f32_e32 v2, v2, v3
	v_cndmask_b32_e64 v15, v15, v2, s[0:1]
	s_branch .LBB312_11
.LBB312_20:
	s_or_b64 exec, exec, s[38:39]
.LBB312_21:
	s_or_b64 exec, exec, s[18:19]
	v_mbcnt_hi_u32_b32 v2, -1, v12
	v_and_b32_e32 v9, 64, v2
	v_add_u32_e32 v10, 64, v9
	s_waitcnt lgkmcnt(0)
	v_xor_b32_e32 v3, 32, v2
	v_cmp_lt_i32_e32 vcc, v3, v10
	v_xor_b32_e32 v6, 16, v2
	v_max_f32_e32 v5, v15, v15
	v_cndmask_b32_e32 v3, v2, v3, vcc
	v_lshlrev_b32_e32 v3, 2, v3
	ds_bpermute_b32 v4, v3, v15
	v_cmp_lt_i32_e32 vcc, v6, v10
	v_xor_b32_e32 v7, 8, v2
	v_xor_b32_e32 v8, 4, v2
	;; [unrolled: 1-line block ×3, first 2 shown]
	s_waitcnt lgkmcnt(0)
	v_max_f32_e32 v4, v4, v4
	v_max_f32_e32 v5, v5, v4
	v_cndmask_b32_e32 v4, v2, v6, vcc
	v_lshlrev_b32_e32 v4, 2, v4
	ds_bpermute_b32 v6, v4, v5
	v_cmp_lt_i32_e32 vcc, v7, v10
	v_and_b32_e32 v25, 63, v0
	s_waitcnt lgkmcnt(0)
	v_max_f32_e32 v6, v6, v6
	v_max_f32_e32 v6, v5, v6
	v_cndmask_b32_e32 v5, v2, v7, vcc
	v_lshlrev_b32_e32 v5, 2, v5
	ds_bpermute_b32 v7, v5, v6
	v_cmp_lt_i32_e32 vcc, v8, v10
	s_waitcnt lgkmcnt(0)
	v_max_f32_e32 v7, v7, v7
	v_max_f32_e32 v7, v6, v7
	v_cndmask_b32_e32 v6, v2, v8, vcc
	v_lshlrev_b32_e32 v6, 2, v6
	ds_bpermute_b32 v8, v6, v7
	v_cmp_lt_i32_e32 vcc, v11, v10
	s_waitcnt lgkmcnt(0)
	v_max_f32_e32 v8, v8, v8
	v_max_f32_e32 v8, v7, v8
	v_cndmask_b32_e32 v7, v2, v11, vcc
	v_lshlrev_b32_e32 v26, 2, v7
	ds_bpermute_b32 v11, v26, v8
	v_cmp_eq_u32_e32 vcc, 0, v25
	v_lshlrev_b32_e32 v7, 2, v1
	s_and_saveexec_b64 s[0:1], vcc
	s_cbranch_execz .LBB312_23
; %bb.22:
	s_waitcnt lgkmcnt(0)
	v_max_f32_e32 v11, v11, v11
	v_max_f32_e32 v8, v8, v8
	;; [unrolled: 1-line block ×3, first 2 shown]
	ds_write_b32 v7, v8 offset:224
.LBB312_23:
	s_or_b64 exec, exec, s[0:1]
	v_cmp_gt_u32_e64 s[0:1], 2, v25
	s_waitcnt lgkmcnt(0)
	v_mov_b32_e32 v11, 0xff7fffff
	v_lshlrev_b32_e32 v8, 2, v25
	s_barrier
	s_and_saveexec_b64 s[2:3], s[0:1]
; %bb.24:
	ds_read_b32 v11, v8 offset:224
; %bb.25:
	s_or_b64 exec, exec, s[2:3]
	v_xor_b32_e32 v12, 1, v2
	v_cmp_lt_i32_e64 s[2:3], v12, v10
	v_lshlrev_b32_e32 v9, 2, v9
	s_nop 0
	v_cndmask_b32_e64 v10, v2, v12, s[2:3]
	v_lshlrev_b32_e32 v27, 2, v10
	s_waitcnt lgkmcnt(0)
	ds_bpermute_b32 v10, v27, v11
	v_max_f32_e32 v11, v11, v11
	s_lshl_b32 s2, s20, 5
	s_min_i32 s37, s2, s33
	v_cmp_gt_i32_e64 s[2:3], s37, v0
	s_waitcnt lgkmcnt(0)
	v_max_f32_e32 v10, v10, v10
	v_max_f32_e32 v10, v11, v10
	ds_bpermute_b32 v10, v9, v10
	v_mov_b32_e32 v9, 0
	s_and_saveexec_b64 s[12:13], s[2:3]
	s_cbranch_execz .LBB312_29
; %bb.26:
	v_mov_b32_e32 v9, 0xf0
	v_lshl_add_u32 v11, v0, 2, v9
	v_mov_b32_e32 v9, 0
	s_mov_b64 s[18:19], 0
	v_mov_b32_e32 v12, v0
.LBB312_27:                             ; =>This Inner Loop Header: Depth=1
	ds_read_b32 v13, v11
	v_add_u32_e32 v12, 0x80, v12
	v_cmp_le_i32_e64 s[8:9], s37, v12
	s_or_b64 s[18:19], s[8:9], s[18:19]
	s_waitcnt lgkmcnt(0)
	v_sub_f32_e32 v13, v13, v10
	v_mul_f32_e32 v13, 0x3fb8aa3b, v13
	v_exp_f32_e32 v13, v13
	ds_write_b32 v11, v13
	v_add_f32_e32 v9, v9, v13
	v_add_u32_e32 v11, 0x200, v11
	s_andn2_b64 exec, exec, s[18:19]
	s_cbranch_execnz .LBB312_27
; %bb.28:
	s_or_b64 exec, exec, s[18:19]
.LBB312_29:
	s_or_b64 exec, exec, s[12:13]
	ds_bpermute_b32 v3, v3, v9
	s_waitcnt lgkmcnt(0)
	v_add_f32_e32 v3, v9, v3
	ds_bpermute_b32 v4, v4, v3
	s_waitcnt lgkmcnt(0)
	v_add_f32_e32 v3, v3, v4
	;; [unrolled: 3-line block ×6, first 2 shown]
	s_and_saveexec_b64 s[8:9], vcc
; %bb.30:
	ds_write_b32 v7, v3 offset:232
; %bb.31:
	s_or_b64 exec, exec, s[8:9]
	s_waitcnt lgkmcnt(0)
	s_barrier
	s_and_saveexec_b64 s[8:9], s[0:1]
; %bb.32:
	ds_read_b32 v3, v8 offset:232
; %bb.33:
	s_or_b64 exec, exec, s[8:9]
	s_waitcnt lgkmcnt(0)
	ds_bpermute_b32 v4, v27, v3
	v_lshlrev_b32_e32 v2, 2, v2
	v_and_b32_e32 v2, 0x100, v2
	s_waitcnt lgkmcnt(0)
	v_add_f32_e32 v3, v3, v4
	ds_bpermute_b32 v2, v2, v3
	s_and_saveexec_b64 s[0:1], s[2:3]
	s_cbranch_execz .LBB312_46
; %bb.34:
	s_waitcnt lgkmcnt(0)
	v_add_f32_e32 v2, 0x358637bd, v2
	v_div_scale_f32 v3, s[2:3], v2, v2, 1.0
	v_rcp_f32_e32 v4, v3
	v_div_scale_f32 v5, vcc, 1.0, v2, 1.0
	s_movk_i32 s2, 0x7f
	v_fma_f32 v6, -v3, v4, 1.0
	v_fmac_f32_e32 v4, v6, v4
	v_mul_f32_e32 v6, v5, v4
	v_fma_f32 v7, -v3, v6, v5
	v_fmac_f32_e32 v6, v7, v4
	v_fma_f32 v3, -v3, v6, v5
	v_div_fmas_f32 v3, v3, v4, v6
	v_xad_u32 v4, v0, -1, s37
	v_div_fixup_f32 v2, v3, v2, 1.0
	v_cmp_lt_u32_e32 vcc, s2, v4
	s_mov_b64 s[8:9], -1
	v_mov_b32_e32 v3, v0
	s_and_saveexec_b64 s[2:3], vcc
	s_cbranch_execz .LBB312_43
; %bb.35:
	v_lshrrev_b32_e32 v4, 7, v4
	v_add_u32_e32 v6, -1, v4
	v_lshrrev_b32_e32 v5, 1, v6
	v_mov_b32_e32 v3, v2
	v_add_u32_e32 v5, 1, v5
	v_cmp_lt_u32_e32 vcc, 13, v6
	v_mov_b32_e32 v8, 0
	s_and_saveexec_b64 s[8:9], vcc
	s_cbranch_execz .LBB312_39
; %bb.36:
	v_mov_b32_e32 v7, 0xf0
	v_and_b32_e32 v6, -8, v5
	v_lshl_add_u32 v7, v0, 2, v7
	s_mov_b32 s18, 0
	s_mov_b64 s[12:13], 0
.LBB312_37:                             ; =>This Inner Loop Header: Depth=1
	ds_read2st64_b32 v[8:9], v7 offset1:2
	ds_read2st64_b32 v[10:11], v7 offset0:4 offset1:6
	ds_read2st64_b32 v[12:13], v7 offset0:8 offset1:10
	;; [unrolled: 1-line block ×3, first 2 shown]
	v_add_u32_e32 v6, -8, v6
	s_waitcnt lgkmcnt(3)
	v_pk_mul_f32 v[8:9], v[2:3], v[8:9]
	s_waitcnt lgkmcnt(2)
	v_pk_mul_f32 v[10:11], v[2:3], v[10:11]
	ds_write2st64_b32 v7, v8, v9 offset1:2
	ds_write2st64_b32 v7, v10, v11 offset0:4 offset1:6
	ds_read2st64_b32 v[10:11], v7 offset0:16 offset1:18
	s_waitcnt lgkmcnt(4)
	v_pk_mul_f32 v[8:9], v[2:3], v[12:13]
	ds_write2st64_b32 v7, v8, v9 offset0:8 offset1:10
	s_waitcnt lgkmcnt(4)
	v_pk_mul_f32 v[8:9], v[2:3], v[14:15]
	ds_write2st64_b32 v7, v8, v9 offset0:12 offset1:14
	ds_read2st64_b32 v[8:9], v7 offset0:20 offset1:22
	s_waitcnt lgkmcnt(3)
	v_pk_mul_f32 v[10:11], v[2:3], v[10:11]
	ds_read2st64_b32 v[12:13], v7 offset0:24 offset1:26
	ds_write2st64_b32 v7, v10, v11 offset0:16 offset1:18
	ds_read2st64_b32 v[10:11], v7 offset0:28 offset1:30
	s_waitcnt lgkmcnt(3)
	v_pk_mul_f32 v[8:9], v[2:3], v[8:9]
	ds_write2st64_b32 v7, v8, v9 offset0:20 offset1:22
	s_waitcnt lgkmcnt(3)
	v_pk_mul_f32 v[8:9], v[2:3], v[12:13]
	ds_write2st64_b32 v7, v8, v9 offset0:24 offset1:26
	s_waitcnt lgkmcnt(2)
	v_pk_mul_f32 v[8:9], v[2:3], v[10:11]
	s_add_i32 s18, s18, 16
	v_cmp_eq_u32_e32 vcc, 0, v6
	ds_write2st64_b32 v7, v8, v9 offset0:28 offset1:30
	v_add_u32_e32 v7, 0x2000, v7
	s_or_b64 s[12:13], vcc, s[12:13]
	v_mov_b32_e32 v8, s18
	s_andn2_b64 exec, exec, s[12:13]
	s_cbranch_execnz .LBB312_37
; %bb.38:
	s_or_b64 exec, exec, s[12:13]
.LBB312_39:
	s_or_b64 exec, exec, s[8:9]
	v_and_b32_e32 v5, 7, v5
	v_cmp_ne_u32_e32 vcc, 0, v5
	s_and_saveexec_b64 s[8:9], vcc
	s_cbranch_execz .LBB312_42
; %bb.40:
	v_lshlrev_b32_e32 v6, 9, v8
	v_lshlrev_b32_e32 v7, 2, v0
	s_movk_i32 s12, 0xf0
	v_add3_u32 v6, v6, v7, s12
	s_mov_b64 s[12:13], 0
.LBB312_41:                             ; =>This Inner Loop Header: Depth=1
	ds_read2st64_b32 v[8:9], v6 offset1:2
	v_add_u32_e32 v5, -1, v5
	v_cmp_eq_u32_e32 vcc, 0, v5
	s_or_b64 s[12:13], vcc, s[12:13]
	s_waitcnt lgkmcnt(0)
	v_pk_mul_f32 v[8:9], v[2:3], v[8:9]
	ds_write2st64_b32 v6, v8, v9 offset1:2
	v_add_u32_e32 v6, 0x400, v6
	s_andn2_b64 exec, exec, s[12:13]
	s_cbranch_execnz .LBB312_41
.LBB312_42:
	s_or_b64 exec, exec, s[8:9]
	v_add_u32_e32 v4, 1, v4
	v_and_b32_e32 v5, 0x3fffffe, v4
	v_cmp_ne_u32_e32 vcc, v4, v5
	v_lshl_add_u32 v3, v5, 7, v0
	s_orn2_b64 s[8:9], vcc, exec
.LBB312_43:
	s_or_b64 exec, exec, s[2:3]
	s_and_b64 exec, exec, s[8:9]
	s_cbranch_execz .LBB312_46
; %bb.44:
	v_mov_b32_e32 v4, 0xf0
	v_lshl_add_u32 v4, v3, 2, v4
	s_mov_b64 s[2:3], 0
.LBB312_45:                             ; =>This Inner Loop Header: Depth=1
	ds_read_b32 v5, v4
	v_add_u32_e32 v3, 0x80, v3
	v_cmp_le_i32_e32 vcc, s37, v3
	s_or_b64 s[2:3], vcc, s[2:3]
	s_waitcnt lgkmcnt(0)
	v_mul_f32_e32 v5, v2, v5
	ds_write_b32 v4, v5
	v_add_u32_e32 v4, 0x200, v4
	s_andn2_b64 exec, exec, s[2:3]
	s_cbranch_execnz .LBB312_45
.LBB312_46:
	s_or_b64 exec, exec, s[0:1]
	v_mov_b32_e32 v13, 0
	v_and_b32_e32 v28, 3, v0
	v_mov_b32_e32 v12, 0
	v_mov_b32_e32 v15, 0
	;; [unrolled: 1-line block ×6, first 2 shown]
	s_waitcnt lgkmcnt(0)
	s_barrier
	s_and_saveexec_b64 s[2:3], s[6:7]
	s_cbranch_execz .LBB312_66
; %bb.47:
	s_sub_i32 s18, s42, s21
	s_ashr_i32 s1, s43, 31
	s_add_u32 s0, s34, s43
	s_addc_u32 s1, s35, s1
	s_abs_i32 s19, s22
	v_cvt_f32_u32_e32 v2, s19
	v_and_b32_e32 v10, 0x1f8, v18
	v_mov_b32_e32 v11, 0
	v_and_b32_e32 v29, 24, v18
	v_rcp_iflag_f32_e32 v2, v2
	v_lshl_add_u64 v[18:19], s[0:1], 0, v[10:11]
	s_sub_i32 s0, 0, s19
	s_add_i32 s21, s20, -1
	v_mul_f32_e32 v2, 0x4f7ffffe, v2
	v_cvt_u32_f32_e32 v2, v2
	v_and_b32_e32 v10, 60, v20
	s_mov_b64 s[6:7], 0
	v_mov_b32_e32 v16, v11
	v_mul_lo_u32 v3, s0, v2
	v_mul_hi_u32 v3, v2, v3
	s_lshl_b64 s[0:1], s[30:31], 2
	v_add_u32_e32 v30, v2, v3
	s_add_u32 s0, s28, s0
	v_lshlrev_b32_e32 v2, 5, v28
	s_addc_u32 s1, s29, s1
	v_lshl_or_b32 v2, v1, 7, v2
	v_lshl_add_u64 v[20:21], s[0:1], 0, v[10:11]
	v_add_u32_e32 v10, 0xf0, v2
	v_mov_b32_e32 v17, v11
	v_mov_b32_e32 v14, v11
	;; [unrolled: 1-line block ×5, first 2 shown]
	s_branch .LBB312_50
.LBB312_48:                             ;   in Loop: Header=BB312_50 Depth=1
	s_or_b64 exec, exec, s[0:1]
	v_cvt_pk_bf16_f32 v6, v6, s0
	v_cvt_pk_bf16_f32 v7, v7, s0
	;; [unrolled: 1-line block ×4, first 2 shown]
	v_lshlrev_b32_e32 v7, 16, v7
	v_lshlrev_b32_e32 v47, 16, v92
	;; [unrolled: 1-line block ×4, first 2 shown]
	v_mul_f32_e32 v47, v7, v47
	v_mul_f32_e32 v48, v6, v48
	v_lshlrev_b32_e32 v9, 16, v9
	v_lshlrev_b32_e32 v49, 16, v90
	;; [unrolled: 1-line block ×4, first 2 shown]
	v_cvt_pk_bf16_f32 v2, v2, s0
	v_cvt_pk_bf16_f32 v3, v3, s0
	;; [unrolled: 1-line block ×4, first 2 shown]
	v_mul_f32_e32 v49, v9, v49
	v_mul_f32_e32 v50, v8, v50
	v_cvt_pk_bf16_f32 v49, v49, s0
	v_cvt_pk_bf16_f32 v50, v50, s0
	v_lshlrev_b32_e32 v3, 16, v3
	v_lshlrev_b32_e32 v51, 16, v88
	;; [unrolled: 1-line block ×6, first 2 shown]
	v_cvt_pk_bf16_f32 v4, v4, s0
	v_cvt_pk_bf16_f32 v5, v5, s0
	v_mul_f32_e32 v51, v3, v51
	v_mul_f32_e32 v52, v2, v52
	v_add_f32_e32 v47, v48, v47
	v_lshlrev_b32_e32 v48, 16, v50
	v_lshlrev_b32_e32 v49, 16, v49
	v_cvt_pk_bf16_f32 v51, v51, s0
	v_cvt_pk_bf16_f32 v52, v52, s0
	v_lshlrev_b32_e32 v5, 16, v5
	v_lshlrev_b32_e32 v53, 16, v86
	;; [unrolled: 1-line block ×4, first 2 shown]
	v_add_f32_e32 v48, v48, v49
	v_mul_f32_e32 v53, v5, v53
	v_mul_f32_e32 v54, v4, v54
	v_add_f32_e32 v47, v48, v47
	v_lshlrev_b32_e32 v48, 16, v52
	v_lshlrev_b32_e32 v49, 16, v51
	v_cvt_pk_bf16_f32 v53, v53, s0
	v_cvt_pk_bf16_f32 v54, v54, s0
	v_add_f32_e32 v48, v48, v49
	v_add_f32_e32 v47, v48, v47
	v_lshlrev_b32_e32 v48, 16, v54
	v_lshlrev_b32_e32 v49, 16, v53
	v_add_f32_e32 v48, v48, v49
	v_add_f32_e32 v47, v48, v47
	v_add_f32_e32 v13, v13, v47
	v_lshlrev_b32_e32 v47, 16, v81
	v_lshlrev_b32_e32 v48, 16, v78
	v_mul_f32_e32 v47, v7, v47
	v_mul_f32_e32 v48, v6, v48
	v_lshlrev_b32_e32 v49, 16, v77
	v_lshlrev_b32_e32 v50, 16, v75
	v_cvt_pk_bf16_f32 v47, v47, s0
	v_cvt_pk_bf16_f32 v48, v48, s0
	v_mul_f32_e32 v49, v9, v49
	v_mul_f32_e32 v50, v8, v50
	v_cvt_pk_bf16_f32 v49, v49, s0
	v_cvt_pk_bf16_f32 v50, v50, s0
	v_lshlrev_b32_e32 v51, 16, v74
	v_lshlrev_b32_e32 v52, 16, v73
	;; [unrolled: 1-line block ×4, first 2 shown]
	v_mul_f32_e32 v51, v3, v51
	v_mul_f32_e32 v52, v2, v52
	v_add_f32_e32 v47, v48, v47
	v_lshlrev_b32_e32 v48, 16, v50
	v_lshlrev_b32_e32 v49, 16, v49
	v_cvt_pk_bf16_f32 v51, v51, s0
	v_cvt_pk_bf16_f32 v52, v52, s0
	v_lshlrev_b32_e32 v53, 16, v72
	v_lshlrev_b32_e32 v54, 16, v71
	v_add_f32_e32 v48, v48, v49
	v_mul_f32_e32 v53, v5, v53
	v_mul_f32_e32 v54, v4, v54
	v_add_f32_e32 v47, v48, v47
	v_lshlrev_b32_e32 v48, 16, v52
	v_lshlrev_b32_e32 v49, 16, v51
	v_cvt_pk_bf16_f32 v53, v53, s0
	v_cvt_pk_bf16_f32 v54, v54, s0
	v_add_f32_e32 v48, v48, v49
	v_add_f32_e32 v47, v48, v47
	v_lshlrev_b32_e32 v48, 16, v54
	v_lshlrev_b32_e32 v49, 16, v53
	v_add_f32_e32 v48, v48, v49
	v_add_f32_e32 v47, v48, v47
	;; [unrolled: 1-line block ×3, first 2 shown]
	v_lshlrev_b32_e32 v47, 16, v70
	v_lshlrev_b32_e32 v48, 16, v69
	v_mul_f32_e32 v47, v7, v47
	v_mul_f32_e32 v48, v6, v48
	v_lshlrev_b32_e32 v49, 16, v68
	v_lshlrev_b32_e32 v50, 16, v67
	v_cvt_pk_bf16_f32 v47, v47, s0
	v_cvt_pk_bf16_f32 v48, v48, s0
	v_mul_f32_e32 v49, v9, v49
	v_mul_f32_e32 v50, v8, v50
	v_cvt_pk_bf16_f32 v49, v49, s0
	v_cvt_pk_bf16_f32 v50, v50, s0
	v_lshlrev_b32_e32 v51, 16, v66
	v_lshlrev_b32_e32 v52, 16, v65
	v_lshlrev_b32_e32 v48, 16, v48
	v_lshlrev_b32_e32 v47, 16, v47
	v_lshlrev_b32_e32 v38, 16, v38
	v_lshlrev_b32_e32 v37, 16, v37
	v_lshlrev_b32_e32 v36, 16, v36
	v_lshlrev_b32_e32 v35, 16, v35
	v_mul_f32_e32 v51, v3, v51
	v_mul_f32_e32 v52, v2, v52
	v_add_f32_e32 v47, v48, v47
	v_lshlrev_b32_e32 v48, 16, v50
	v_lshlrev_b32_e32 v49, 16, v49
	v_mul_f32_e32 v38, v7, v38
	v_mul_f32_e32 v37, v6, v37
	;; [unrolled: 1-line block ×4, first 2 shown]
	v_lshlrev_b32_e32 v34, 16, v34
	v_lshlrev_b32_e32 v33, 16, v33
	v_cvt_pk_bf16_f32 v51, v51, s0
	v_cvt_pk_bf16_f32 v52, v52, s0
	v_lshlrev_b32_e32 v53, 16, v64
	v_lshlrev_b32_e32 v54, 16, v63
	v_add_f32_e32 v48, v48, v49
	v_cvt_pk_bf16_f32 v38, v38, s0
	v_cvt_pk_bf16_f32 v37, v37, s0
	;; [unrolled: 1-line block ×4, first 2 shown]
	v_mul_f32_e32 v34, v3, v34
	v_mul_f32_e32 v33, v2, v33
	v_lshlrev_b32_e32 v32, 16, v32
	v_lshlrev_b32_e32 v31, 16, v31
	v_mul_f32_e32 v53, v5, v53
	v_mul_f32_e32 v54, v4, v54
	v_add_f32_e32 v47, v48, v47
	v_lshlrev_b32_e32 v48, 16, v52
	v_lshlrev_b32_e32 v49, 16, v51
	v_cvt_pk_bf16_f32 v34, v34, s0
	v_cvt_pk_bf16_f32 v33, v33, s0
	v_mul_f32_e32 v32, v5, v32
	v_mul_f32_e32 v31, v4, v31
	v_lshlrev_b32_e32 v37, 16, v37
	v_lshlrev_b32_e32 v38, 16, v38
	;; [unrolled: 1-line block ×4, first 2 shown]
	v_cvt_pk_bf16_f32 v53, v53, s0
	v_cvt_pk_bf16_f32 v54, v54, s0
	v_add_f32_e32 v48, v48, v49
	v_cvt_pk_bf16_f32 v32, v32, s0
	v_cvt_pk_bf16_f32 v31, v31, s0
	v_add_f32_e32 v37, v37, v38
	v_add_f32_e32 v35, v35, v36
	v_lshlrev_b32_e32 v33, 16, v33
	v_lshlrev_b32_e32 v34, 16, v34
	v_add_f32_e32 v47, v48, v47
	v_lshlrev_b32_e32 v48, 16, v54
	v_lshlrev_b32_e32 v49, 16, v53
	v_add_f32_e32 v35, v35, v37
	v_add_f32_e32 v33, v33, v34
	v_lshlrev_b32_e32 v31, 16, v31
	v_lshlrev_b32_e32 v32, 16, v32
	v_add_f32_e32 v48, v48, v49
	v_add_f32_e32 v33, v33, v35
	v_add_f32_e32 v31, v31, v32
	v_add_f32_e32 v47, v48, v47
	v_add_f32_e32 v31, v31, v33
	v_add_f32_e32 v15, v15, v47
	v_lshlrev_b32_e32 v47, 16, v62
	v_lshlrev_b32_e32 v46, 16, v46
	v_add_f32_e32 v16, v16, v31
	v_lshlrev_b32_e32 v31, 16, v84
	v_mul_f32_e32 v47, v7, v47
	v_lshlrev_b32_e32 v48, 16, v61
	v_mul_f32_e32 v46, v7, v46
	;; [unrolled: 2-line block ×4, first 2 shown]
	v_lshlrev_b32_e32 v49, 16, v60
	v_lshlrev_b32_e32 v50, 16, v59
	v_mul_f32_e32 v45, v6, v45
	v_lshlrev_b32_e32 v44, 16, v44
	v_mul_f32_e32 v6, v6, v31
	v_lshlrev_b32_e32 v31, 16, v82
	v_cvt_pk_bf16_f32 v47, v47, s0
	v_cvt_pk_bf16_f32 v48, v48, s0
	v_mul_f32_e32 v49, v9, v49
	v_mul_f32_e32 v50, v8, v50
	;; [unrolled: 1-line block ×3, first 2 shown]
	v_lshlrev_b32_e32 v43, 16, v43
	v_mul_f32_e32 v9, v9, v31
	v_lshlrev_b32_e32 v31, 16, v80
	v_cvt_pk_bf16_f32 v49, v49, s0
	v_cvt_pk_bf16_f32 v50, v50, s0
	v_lshlrev_b32_e32 v51, 16, v58
	v_lshlrev_b32_e32 v52, 16, v57
	;; [unrolled: 1-line block ×4, first 2 shown]
	v_mul_f32_e32 v43, v8, v43
	v_lshlrev_b32_e32 v42, 16, v42
	v_mul_f32_e32 v8, v8, v31
	v_lshlrev_b32_e32 v31, 16, v79
	v_mul_f32_e32 v51, v3, v51
	v_mul_f32_e32 v52, v2, v52
	v_add_f32_e32 v47, v48, v47
	v_lshlrev_b32_e32 v48, 16, v50
	v_lshlrev_b32_e32 v49, 16, v49
	v_mul_f32_e32 v42, v3, v42
	v_lshlrev_b32_e32 v41, 16, v41
	v_mul_f32_e32 v3, v3, v31
	v_lshlrev_b32_e32 v31, 16, v76
	v_cvt_pk_bf16_f32 v51, v51, s0
	v_cvt_pk_bf16_f32 v52, v52, s0
	v_lshlrev_b32_e32 v53, 16, v56
	v_lshlrev_b32_e32 v54, 16, v55
	v_add_f32_e32 v48, v48, v49
	v_cvt_pk_bf16_f32 v46, v46, s0
	v_cvt_pk_bf16_f32 v45, v45, s0
	;; [unrolled: 1-line block ×4, first 2 shown]
	v_mul_f32_e32 v41, v2, v41
	v_lshlrev_b32_e32 v40, 16, v40
	v_lshlrev_b32_e32 v39, 16, v39
	v_cvt_pk_bf16_f32 v7, v7, s0
	v_cvt_pk_bf16_f32 v6, v6, s0
	;; [unrolled: 1-line block ×4, first 2 shown]
	v_mul_f32_e32 v2, v2, v31
	v_lshlrev_b32_e32 v23, 16, v23
	v_lshlrev_b32_e32 v22, 16, v22
	v_mul_f32_e32 v53, v5, v53
	v_mul_f32_e32 v54, v4, v54
	v_add_f32_e32 v47, v48, v47
	v_lshlrev_b32_e32 v48, 16, v52
	v_lshlrev_b32_e32 v49, 16, v51
	v_cvt_pk_bf16_f32 v42, v42, s0
	v_cvt_pk_bf16_f32 v41, v41, s0
	v_mul_f32_e32 v40, v5, v40
	v_mul_f32_e32 v39, v4, v39
	v_lshlrev_b32_e32 v45, 16, v45
	v_lshlrev_b32_e32 v46, 16, v46
	;; [unrolled: 1-line block ×4, first 2 shown]
	v_cvt_pk_bf16_f32 v3, v3, s0
	v_cvt_pk_bf16_f32 v2, v2, s0
	v_mul_f32_e32 v5, v5, v23
	v_mul_f32_e32 v4, v4, v22
	v_lshlrev_b32_e32 v6, 16, v6
	v_lshlrev_b32_e32 v7, 16, v7
	;; [unrolled: 1-line block ×4, first 2 shown]
	v_cvt_pk_bf16_f32 v53, v53, s0
	v_cvt_pk_bf16_f32 v54, v54, s0
	v_add_f32_e32 v48, v48, v49
	v_cvt_pk_bf16_f32 v40, v40, s0
	v_cvt_pk_bf16_f32 v39, v39, s0
	v_add_f32_e32 v45, v45, v46
	v_add_f32_e32 v43, v43, v44
	v_lshlrev_b32_e32 v41, 16, v41
	v_lshlrev_b32_e32 v42, 16, v42
	v_cvt_pk_bf16_f32 v5, v5, s0
	v_cvt_pk_bf16_f32 v4, v4, s0
	v_lshlrev_b32_e32 v2, 16, v2
	v_lshlrev_b32_e32 v3, 16, v3
	v_add_f32_e32 v6, v7, v6
	v_add_f32_e32 v7, v9, v8
	;; [unrolled: 1-line block ×3, first 2 shown]
	v_lshlrev_b32_e32 v48, 16, v54
	v_lshlrev_b32_e32 v49, 16, v53
	v_add_f32_e32 v43, v43, v45
	v_add_f32_e32 v41, v41, v42
	v_lshlrev_b32_e32 v39, 16, v39
	v_lshlrev_b32_e32 v40, 16, v40
	;; [unrolled: 1-line block ×4, first 2 shown]
	v_add_f32_e32 v6, v7, v6
	v_add_f32_e32 v2, v3, v2
	;; [unrolled: 1-line block ×13, first 2 shown]
.LBB312_49:                             ;   in Loop: Header=BB312_50 Depth=1
	s_or_b64 exec, exec, s[8:9]
	v_add_u32_e32 v1, 2, v1
	v_cmp_le_i32_e32 vcc, s20, v1
	v_lshl_add_u64 v[20:21], v[20:21], 0, 8
	v_add_u32_e32 v24, 64, v24
	s_or_b64 s[6:7], vcc, s[6:7]
	v_add_u32_e32 v10, 0x100, v10
	s_andn2_b64 exec, exec, s[6:7]
	s_cbranch_execz .LBB312_65
.LBB312_50:                             ; =>This Inner Loop Header: Depth=1
	v_mul_hi_u32 v2, v24, s25
	v_mul_lo_u32 v3, v2, s16
	v_sub_u32_e32 v3, v24, v3
	v_add_u32_e32 v4, 1, v2
	v_cmp_le_u32_e32 vcc, s16, v3
	s_nop 1
	v_cndmask_b32_e32 v2, v2, v4, vcc
	v_subrev_u32_e32 v4, s16, v3
	v_cndmask_b32_e32 v3, v3, v4, vcc
	v_add_u32_e32 v4, 1, v2
	v_cmp_le_u32_e32 vcc, s16, v3
	s_nop 1
	v_cndmask_b32_e32 v2, v2, v4, vcc
	v_xor_b32_e32 v2, s23, v2
	v_subrev_u32_e32 v2, s23, v2
	v_add_u32_e32 v3, s36, v2
	v_sub_u32_e32 v5, 0, v3
	v_ashrrev_i32_e32 v4, 31, v3
	v_max_i32_e32 v3, v3, v5
	v_mul_hi_u32 v5, v3, v30
	v_mul_lo_u32 v5, v5, s19
	v_sub_u32_e32 v3, v3, v5
	v_subrev_u32_e32 v5, s19, v3
	v_cmp_le_u32_e32 vcc, s19, v3
	v_cmp_lt_i32_e64 s[0:1], s18, v2
	s_nop 0
	v_cndmask_b32_e32 v3, v3, v5, vcc
	v_subrev_u32_e32 v5, s19, v3
	v_cmp_le_u32_e32 vcc, s19, v3
	s_nop 1
	v_cndmask_b32_e32 v3, v3, v5, vcc
	v_xor_b32_e32 v3, v3, v4
	v_sub_u32_e32 v3, v3, v4
	v_cmp_eq_u32_e32 vcc, 0, v3
	s_or_b64 s[0:1], vcc, s[0:1]
	s_and_saveexec_b64 s[8:9], s[0:1]
	s_cbranch_execz .LBB312_49
; %bb.51:                               ;   in Loop: Header=BB312_50 Depth=1
	global_load_dword v2, v[20:21], off
	v_add_u32_e32 v47, v29, v24
	v_cmp_eq_u32_e32 vcc, s21, v1
	v_add_u32_e32 v53, 1, v47
	v_add_u32_e32 v52, 2, v47
	;; [unrolled: 1-line block ×7, first 2 shown]
	s_waitcnt vmcnt(0)
	v_mad_i64_i32 v[22:23], s[0:1], v2, s17, v[18:19]
	global_load_dwordx2 v[32:33], v[22:23], off
	ds_read2_b64 v[6:9], v10 offset1:1
	ds_read2_b64 v[2:5], v10 offset0:2 offset1:3
	s_load_dword s22, s[14:15], 0x0
	s_waitcnt vmcnt(0)
	v_and_b32_e32 v31, 0xff, v32
	v_bfe_u32 v34, v32, 8, 8
	v_bfe_u32 v35, v32, 16, 8
	v_lshrrev_b32_e32 v32, 24, v32
	v_and_b32_e32 v36, 0xff, v33
	v_bfe_u32 v37, v33, 8, 8
	v_bfe_u32 v38, v33, 16, 8
	v_lshrrev_b32_e32 v33, 24, v33
	v_cvt_f32_fp8_e32 v31, v31
	v_cvt_f32_fp8_e32 v34, v34
	v_cvt_f32_fp8_e32 v35, v35
	v_cvt_f32_fp8_e32 v32, v32
	v_cvt_f32_fp8_e32 v36, v36
	v_cvt_f32_fp8_e32 v37, v37
	v_cvt_f32_fp8_e32 v38, v38
	v_cvt_f32_fp8_e32 v33, v33
	s_waitcnt lgkmcnt(0)
	v_mul_f32_e32 v31, s22, v31
	v_mul_f32_e32 v34, s22, v34
	v_mul_f32_e32 v35, s22, v35
	v_mul_f32_e32 v32, s22, v32
	v_mul_f32_e32 v39, s22, v36
	v_mul_f32_e32 v40, s22, v37
	v_mul_f32_e32 v41, s22, v38
	v_mul_f32_e32 v42, s22, v33
	v_cvt_pk_bf16_f32 v37, v31, s0
	v_cvt_pk_bf16_f32 v38, v34, s0
	v_cvt_pk_bf16_f32 v35, v35, s0
	v_cvt_pk_bf16_f32 v36, v32, s0
	v_cvt_pk_bf16_f32 v33, v39, s0
	v_cvt_pk_bf16_f32 v34, v40, s0
	v_cvt_pk_bf16_f32 v31, v41, s0
	v_cvt_pk_bf16_f32 v32, v42, s0
	s_and_saveexec_b64 s[12:13], vcc
	s_cbranch_execz .LBB312_53
; %bb.52:                               ;   in Loop: Header=BB312_50 Depth=1
	v_cmp_gt_i32_e64 s[0:1], s33, v47
	s_nop 1
	v_cndmask_b32_e64 v37, 0, v37, s[0:1]
	v_cmp_gt_i32_e64 s[0:1], s33, v53
	s_nop 1
	v_cndmask_b32_e64 v38, 0, v38, s[0:1]
	v_cmp_gt_i32_e64 s[0:1], s33, v52
	s_nop 1
	v_cndmask_b32_e64 v35, 0, v35, s[0:1]
	v_cmp_gt_i32_e64 s[0:1], s33, v51
	s_nop 1
	v_cndmask_b32_e64 v36, 0, v36, s[0:1]
	v_cmp_gt_i32_e64 s[0:1], s33, v50
	s_nop 1
	v_cndmask_b32_e64 v33, 0, v33, s[0:1]
	v_cmp_gt_i32_e64 s[0:1], s33, v49
	s_nop 1
	v_cndmask_b32_e64 v34, 0, v34, s[0:1]
	v_cmp_gt_i32_e64 s[0:1], s33, v48
	s_nop 1
	v_cndmask_b32_e64 v31, 0, v31, s[0:1]
	v_cmp_gt_i32_e64 s[0:1], s33, v54
	s_nop 1
	v_cndmask_b32_e64 v32, 0, v32, s[0:1]
.LBB312_53:                             ;   in Loop: Header=BB312_50 Depth=1
	s_or_b64 exec, exec, s[12:13]
	global_load_dwordx2 v[40:41], v[22:23], off offset:512
	s_waitcnt vmcnt(0)
	v_and_b32_e32 v39, 0xff, v40
	v_bfe_u32 v42, v40, 8, 8
	v_bfe_u32 v43, v40, 16, 8
	v_lshrrev_b32_e32 v40, 24, v40
	v_and_b32_e32 v44, 0xff, v41
	v_bfe_u32 v45, v41, 8, 8
	v_bfe_u32 v46, v41, 16, 8
	v_lshrrev_b32_e32 v41, 24, v41
	v_cvt_f32_fp8_e32 v39, v39
	v_cvt_f32_fp8_e32 v42, v42
	v_cvt_f32_fp8_e32 v43, v43
	v_cvt_f32_fp8_e32 v40, v40
	v_cvt_f32_fp8_e32 v44, v44
	v_cvt_f32_fp8_e32 v45, v45
	v_cvt_f32_fp8_e32 v46, v46
	v_cvt_f32_fp8_e32 v41, v41
	v_mul_f32_e32 v39, s22, v39
	v_mul_f32_e32 v42, s22, v42
	v_mul_f32_e32 v43, s22, v43
	v_mul_f32_e32 v40, s22, v40
	v_mul_f32_e32 v55, s22, v44
	v_mul_f32_e32 v56, s22, v45
	v_mul_f32_e32 v57, s22, v46
	v_mul_f32_e32 v58, s22, v41
	v_cvt_pk_bf16_f32 v45, v39, s0
	v_cvt_pk_bf16_f32 v46, v42, s0
	v_cvt_pk_bf16_f32 v43, v43, s0
	v_cvt_pk_bf16_f32 v44, v40, s0
	v_cvt_pk_bf16_f32 v41, v55, s0
	v_cvt_pk_bf16_f32 v42, v56, s0
	v_cvt_pk_bf16_f32 v39, v57, s0
	v_cvt_pk_bf16_f32 v40, v58, s0
	s_and_saveexec_b64 s[12:13], vcc
	s_cbranch_execz .LBB312_55
; %bb.54:                               ;   in Loop: Header=BB312_50 Depth=1
	v_cmp_gt_i32_e64 s[0:1], s33, v47
	s_nop 1
	v_cndmask_b32_e64 v45, 0, v45, s[0:1]
	v_cmp_gt_i32_e64 s[0:1], s33, v53
	s_nop 1
	v_cndmask_b32_e64 v46, 0, v46, s[0:1]
	v_cmp_gt_i32_e64 s[0:1], s33, v52
	s_nop 1
	v_cndmask_b32_e64 v43, 0, v43, s[0:1]
	v_cmp_gt_i32_e64 s[0:1], s33, v51
	s_nop 1
	v_cndmask_b32_e64 v44, 0, v44, s[0:1]
	v_cmp_gt_i32_e64 s[0:1], s33, v50
	s_nop 1
	v_cndmask_b32_e64 v41, 0, v41, s[0:1]
	v_cmp_gt_i32_e64 s[0:1], s33, v49
	s_nop 1
	v_cndmask_b32_e64 v42, 0, v42, s[0:1]
	v_cmp_gt_i32_e64 s[0:1], s33, v48
	s_nop 1
	v_cndmask_b32_e64 v39, 0, v39, s[0:1]
	v_cmp_gt_i32_e64 s[0:1], s33, v54
	s_nop 1
	v_cndmask_b32_e64 v40, 0, v40, s[0:1]
.LBB312_55:                             ;   in Loop: Header=BB312_50 Depth=1
	s_or_b64 exec, exec, s[12:13]
	global_load_dwordx2 v[56:57], v[22:23], off offset:1024
	s_waitcnt vmcnt(0)
	v_and_b32_e32 v55, 0xff, v56
	v_bfe_u32 v58, v56, 8, 8
	v_bfe_u32 v59, v56, 16, 8
	v_lshrrev_b32_e32 v56, 24, v56
	v_and_b32_e32 v60, 0xff, v57
	v_bfe_u32 v61, v57, 8, 8
	v_bfe_u32 v62, v57, 16, 8
	v_lshrrev_b32_e32 v57, 24, v57
	v_cvt_f32_fp8_e32 v55, v55
	v_cvt_f32_fp8_e32 v58, v58
	v_cvt_f32_fp8_e32 v59, v59
	v_cvt_f32_fp8_e32 v56, v56
	v_cvt_f32_fp8_e32 v60, v60
	v_cvt_f32_fp8_e32 v61, v61
	v_cvt_f32_fp8_e32 v62, v62
	v_cvt_f32_fp8_e32 v57, v57
	;; [unrolled: 63-line block ×6, first 2 shown]
	v_mul_f32_e32 v76, s22, v76
	v_mul_f32_e32 v79, s22, v79
	;; [unrolled: 1-line block ×8, first 2 shown]
	v_cvt_pk_bf16_f32 v83, v76, s0
	v_cvt_pk_bf16_f32 v84, v79, s0
	;; [unrolled: 1-line block ×8, first 2 shown]
	s_and_saveexec_b64 s[0:1], vcc
	s_cbranch_execz .LBB312_48
; %bb.64:                               ;   in Loop: Header=BB312_50 Depth=1
	v_cmp_gt_i32_e32 vcc, s33, v47
	s_nop 1
	v_cndmask_b32_e32 v83, 0, v83, vcc
	v_cmp_gt_i32_e32 vcc, s33, v53
	s_nop 1
	v_cndmask_b32_e32 v84, 0, v84, vcc
	;; [unrolled: 3-line block ×8, first 2 shown]
	s_branch .LBB312_48
.LBB312_65:
	s_or_b64 exec, exec, s[6:7]
.LBB312_66:
	s_or_b64 exec, exec, s[2:3]
	ds_bpermute_b32 v2, v26, v16
	ds_bpermute_b32 v3, v26, v17
	;; [unrolled: 1-line block ×6, first 2 shown]
	s_waitcnt lgkmcnt(4)
	v_pk_add_f32 v[2:3], v[16:17], v[2:3]
	ds_bpermute_b32 v8, v27, v2
	ds_bpermute_b32 v9, v27, v3
	;; [unrolled: 1-line block ×3, first 2 shown]
	s_waitcnt lgkmcnt(5)
	v_pk_add_f32 v[4:5], v[14:15], v[4:5]
	s_waitcnt lgkmcnt(3)
	v_pk_add_f32 v[12:13], v[12:13], v[6:7]
	ds_bpermute_b32 v14, v27, v4
	ds_bpermute_b32 v15, v27, v5
	;; [unrolled: 1-line block ×4, first 2 shown]
	s_waitcnt lgkmcnt(5)
	v_pk_add_f32 v[6:7], v[2:3], v[8:9]
	s_waitcnt lgkmcnt(4)
	v_add_f32_e32 v8, v11, v1
	ds_bpermute_b32 v9, v27, v8
	v_and_b32_e32 v1, 0x3c3, v0
	s_waitcnt lgkmcnt(3)
	v_pk_add_f32 v[4:5], v[4:5], v[14:15]
	s_waitcnt lgkmcnt(1)
	v_pk_add_f32 v[2:3], v[12:13], v[16:17]
	v_cmp_ne_u32_e32 vcc, 64, v1
	s_waitcnt lgkmcnt(0)
	s_barrier
	s_and_saveexec_b64 s[0:1], vcc
	s_xor_b64 s[0:1], exec, s[0:1]
; %bb.67:
                                        ; implicit-def: $vgpr25
; %bb.68:
	s_or_saveexec_b64 s[0:1], s[0:1]
	v_add_f32_e32 v8, v8, v9
	s_xor_b64 exec, exec, s[0:1]
	s_cbranch_execz .LBB312_70
; %bb.69:
	v_add_u32_e32 v9, 0xf0, v25
	ds_write2_b32 v9, v6, v7 offset1:16
	ds_write2_b32 v9, v4, v5 offset0:32 offset1:48
	ds_write2_b32 v9, v2, v3 offset0:64 offset1:80
	ds_write_b32 v9, v8 offset:384
.LBB312_70:
	s_or_b64 exec, exec, s[0:1]
	v_cmp_gt_u32_e32 vcc, 64, v0
	v_lshrrev_b32_e32 v0, 2, v0
	s_waitcnt lgkmcnt(0)
	s_barrier
	s_and_saveexec_b64 s[0:1], vcc
	s_cbranch_execz .LBB312_80
; %bb.71:
	v_mov_b32_e32 v9, 0xf0
	v_cmp_eq_u32_e32 vcc, 0, v28
	v_lshl_add_u32 v9, v0, 2, v9
	s_and_saveexec_b64 s[2:3], vcc
	s_cbranch_execnz .LBB312_83
; %bb.72:
	s_or_b64 exec, exec, s[2:3]
	s_and_saveexec_b64 s[2:3], vcc
	s_cbranch_execnz .LBB312_84
.LBB312_73:
	s_or_b64 exec, exec, s[2:3]
	s_and_saveexec_b64 s[2:3], vcc
	s_cbranch_execnz .LBB312_85
.LBB312_74:
	s_or_b64 exec, exec, s[2:3]
	s_and_saveexec_b64 s[2:3], vcc
	s_cbranch_execnz .LBB312_86
.LBB312_75:
	s_or_b64 exec, exec, s[2:3]
	s_and_saveexec_b64 s[2:3], vcc
	s_cbranch_execnz .LBB312_87
.LBB312_76:
	s_or_b64 exec, exec, s[2:3]
	s_and_saveexec_b64 s[2:3], vcc
	s_cbranch_execnz .LBB312_88
.LBB312_77:
	s_or_b64 exec, exec, s[2:3]
	s_and_saveexec_b64 s[2:3], vcc
	s_cbranch_execz .LBB312_79
.LBB312_78:
	ds_read_b32 v9, v9 offset:384
	s_waitcnt lgkmcnt(0)
	v_add_f32_e32 v8, v8, v9
.LBB312_79:
	s_or_b64 exec, exec, s[2:3]
.LBB312_80:
	s_or_b64 exec, exec, s[0:1]
	v_cmp_eq_u32_e32 vcc, 0, v1
	s_barrier
	s_and_saveexec_b64 s[0:1], vcc
	s_cbranch_execz .LBB312_82
; %bb.81:
	s_mul_i32 s0, s10, s11
	s_mul_i32 s0, s0, s5
	s_mulk_i32 s0, 0x70
	s_ashr_i32 s1, s0, 31
	s_lshl_b64 s[0:1], s[0:1], 1
	s_add_u32 s2, s26, s0
	s_mul_i32 s0, s11, s24
	s_addc_u32 s3, s27, s1
	s_ashr_i32 s1, s0, 31
	s_lshl_b64 s[0:1], s[0:1], 1
	s_add_u32 s2, s2, s0
	s_mul_i32 s0, s4, 0x70
	s_addc_u32 s3, s3, s1
	s_ashr_i32 s1, s0, 31
	s_lshl_b64 s[0:1], s[0:1], 1
	s_add_u32 s0, s2, s0
	s_addc_u32 s1, s3, s1
	v_lshlrev_b32_e32 v0, 1, v0
	v_cvt_pk_bf16_f32 v1, v6, s0
	global_store_short v0, v1, s[0:1]
	v_cvt_pk_bf16_f32 v1, v7, s0
	global_store_short v0, v1, s[0:1] offset:32
	v_cvt_pk_bf16_f32 v1, v4, s0
	global_store_short v0, v1, s[0:1] offset:64
	;; [unrolled: 2-line block ×6, first 2 shown]
.LBB312_82:
	s_endpgm
.LBB312_83:
	ds_read_b32 v10, v9
	s_waitcnt lgkmcnt(0)
	v_add_f32_e32 v6, v6, v10
	s_or_b64 exec, exec, s[2:3]
	s_and_saveexec_b64 s[2:3], vcc
	s_cbranch_execz .LBB312_73
.LBB312_84:
	ds_read_b32 v10, v9 offset:64
	s_waitcnt lgkmcnt(0)
	v_add_f32_e32 v7, v7, v10
	s_or_b64 exec, exec, s[2:3]
	s_and_saveexec_b64 s[2:3], vcc
	s_cbranch_execz .LBB312_74
.LBB312_85:
	ds_read_b32 v10, v9 offset:128
	s_waitcnt lgkmcnt(0)
	v_add_f32_e32 v4, v4, v10
	s_or_b64 exec, exec, s[2:3]
	s_and_saveexec_b64 s[2:3], vcc
	s_cbranch_execz .LBB312_75
.LBB312_86:
	ds_read_b32 v10, v9 offset:192
	s_waitcnt lgkmcnt(0)
	v_add_f32_e32 v5, v5, v10
	s_or_b64 exec, exec, s[2:3]
	s_and_saveexec_b64 s[2:3], vcc
	s_cbranch_execz .LBB312_76
.LBB312_87:
	ds_read_b32 v10, v9 offset:256
	s_waitcnt lgkmcnt(0)
	v_add_f32_e32 v2, v2, v10
	s_or_b64 exec, exec, s[2:3]
	s_and_saveexec_b64 s[2:3], vcc
	s_cbranch_execz .LBB312_77
.LBB312_88:
	ds_read_b32 v10, v9 offset:320
	s_waitcnt lgkmcnt(0)
	v_add_f32_e32 v3, v3, v10
	s_or_b64 exec, exec, s[2:3]
	s_and_saveexec_b64 s[2:3], vcc
	s_cbranch_execnz .LBB312_78
	s_branch .LBB312_79
	.section	.rodata,"a",@progbits
	.p2align	6, 0x0
	.amdhsa_kernel _ZN4vllm25paged_attention_v1_kernelI14__hip_bfloat16hLi112ELi32ELi128ELNS_18Fp8KVCacheDataTypeE1ELb1EEEvPT_PKS3_PKT0_S9_ifPKiSB_iPKfiiiSD_SD_iiiii
		.amdhsa_group_segment_fixed_size 240
		.amdhsa_private_segment_fixed_size 0
		.amdhsa_kernarg_size 384
		.amdhsa_user_sgpr_count 2
		.amdhsa_user_sgpr_dispatch_ptr 0
		.amdhsa_user_sgpr_queue_ptr 0
		.amdhsa_user_sgpr_kernarg_segment_ptr 1
		.amdhsa_user_sgpr_dispatch_id 0
		.amdhsa_user_sgpr_kernarg_preload_length 0
		.amdhsa_user_sgpr_kernarg_preload_offset 0
		.amdhsa_user_sgpr_private_segment_size 0
		.amdhsa_uses_dynamic_stack 0
		.amdhsa_enable_private_segment 0
		.amdhsa_system_sgpr_workgroup_id_x 1
		.amdhsa_system_sgpr_workgroup_id_y 1
		.amdhsa_system_sgpr_workgroup_id_z 1
		.amdhsa_system_sgpr_workgroup_info 0
		.amdhsa_system_vgpr_workitem_id 0
		.amdhsa_next_free_vgpr 106
		.amdhsa_next_free_sgpr 48
		.amdhsa_accum_offset 108
		.amdhsa_reserve_vcc 1
		.amdhsa_float_round_mode_32 0
		.amdhsa_float_round_mode_16_64 0
		.amdhsa_float_denorm_mode_32 3
		.amdhsa_float_denorm_mode_16_64 3
		.amdhsa_dx10_clamp 1
		.amdhsa_ieee_mode 1
		.amdhsa_fp16_overflow 0
		.amdhsa_tg_split 0
		.amdhsa_exception_fp_ieee_invalid_op 0
		.amdhsa_exception_fp_denorm_src 0
		.amdhsa_exception_fp_ieee_div_zero 0
		.amdhsa_exception_fp_ieee_overflow 0
		.amdhsa_exception_fp_ieee_underflow 0
		.amdhsa_exception_fp_ieee_inexact 0
		.amdhsa_exception_int_div_zero 0
	.end_amdhsa_kernel
	.section	.text._ZN4vllm25paged_attention_v1_kernelI14__hip_bfloat16hLi112ELi32ELi128ELNS_18Fp8KVCacheDataTypeE1ELb1EEEvPT_PKS3_PKT0_S9_ifPKiSB_iPKfiiiSD_SD_iiiii,"axG",@progbits,_ZN4vllm25paged_attention_v1_kernelI14__hip_bfloat16hLi112ELi32ELi128ELNS_18Fp8KVCacheDataTypeE1ELb1EEEvPT_PKS3_PKT0_S9_ifPKiSB_iPKfiiiSD_SD_iiiii,comdat
.Lfunc_end312:
	.size	_ZN4vllm25paged_attention_v1_kernelI14__hip_bfloat16hLi112ELi32ELi128ELNS_18Fp8KVCacheDataTypeE1ELb1EEEvPT_PKS3_PKT0_S9_ifPKiSB_iPKfiiiSD_SD_iiiii, .Lfunc_end312-_ZN4vllm25paged_attention_v1_kernelI14__hip_bfloat16hLi112ELi32ELi128ELNS_18Fp8KVCacheDataTypeE1ELb1EEEvPT_PKS3_PKT0_S9_ifPKiSB_iPKfiiiSD_SD_iiiii
                                        ; -- End function
	.set _ZN4vllm25paged_attention_v1_kernelI14__hip_bfloat16hLi112ELi32ELi128ELNS_18Fp8KVCacheDataTypeE1ELb1EEEvPT_PKS3_PKT0_S9_ifPKiSB_iPKfiiiSD_SD_iiiii.num_vgpr, 106
	.set _ZN4vllm25paged_attention_v1_kernelI14__hip_bfloat16hLi112ELi32ELi128ELNS_18Fp8KVCacheDataTypeE1ELb1EEEvPT_PKS3_PKT0_S9_ifPKiSB_iPKfiiiSD_SD_iiiii.num_agpr, 0
	.set _ZN4vllm25paged_attention_v1_kernelI14__hip_bfloat16hLi112ELi32ELi128ELNS_18Fp8KVCacheDataTypeE1ELb1EEEvPT_PKS3_PKT0_S9_ifPKiSB_iPKfiiiSD_SD_iiiii.numbered_sgpr, 48
	.set _ZN4vllm25paged_attention_v1_kernelI14__hip_bfloat16hLi112ELi32ELi128ELNS_18Fp8KVCacheDataTypeE1ELb1EEEvPT_PKS3_PKT0_S9_ifPKiSB_iPKfiiiSD_SD_iiiii.num_named_barrier, 0
	.set _ZN4vllm25paged_attention_v1_kernelI14__hip_bfloat16hLi112ELi32ELi128ELNS_18Fp8KVCacheDataTypeE1ELb1EEEvPT_PKS3_PKT0_S9_ifPKiSB_iPKfiiiSD_SD_iiiii.private_seg_size, 0
	.set _ZN4vllm25paged_attention_v1_kernelI14__hip_bfloat16hLi112ELi32ELi128ELNS_18Fp8KVCacheDataTypeE1ELb1EEEvPT_PKS3_PKT0_S9_ifPKiSB_iPKfiiiSD_SD_iiiii.uses_vcc, 1
	.set _ZN4vllm25paged_attention_v1_kernelI14__hip_bfloat16hLi112ELi32ELi128ELNS_18Fp8KVCacheDataTypeE1ELb1EEEvPT_PKS3_PKT0_S9_ifPKiSB_iPKfiiiSD_SD_iiiii.uses_flat_scratch, 0
	.set _ZN4vllm25paged_attention_v1_kernelI14__hip_bfloat16hLi112ELi32ELi128ELNS_18Fp8KVCacheDataTypeE1ELb1EEEvPT_PKS3_PKT0_S9_ifPKiSB_iPKfiiiSD_SD_iiiii.has_dyn_sized_stack, 0
	.set _ZN4vllm25paged_attention_v1_kernelI14__hip_bfloat16hLi112ELi32ELi128ELNS_18Fp8KVCacheDataTypeE1ELb1EEEvPT_PKS3_PKT0_S9_ifPKiSB_iPKfiiiSD_SD_iiiii.has_recursion, 0
	.set _ZN4vllm25paged_attention_v1_kernelI14__hip_bfloat16hLi112ELi32ELi128ELNS_18Fp8KVCacheDataTypeE1ELb1EEEvPT_PKS3_PKT0_S9_ifPKiSB_iPKfiiiSD_SD_iiiii.has_indirect_call, 0
	.section	.AMDGPU.csdata,"",@progbits
; Kernel info:
; codeLenInByte = 10408
; TotalNumSgprs: 54
; NumVgprs: 106
; NumAgprs: 0
; TotalNumVgprs: 106
; ScratchSize: 0
; MemoryBound: 0
; FloatMode: 240
; IeeeMode: 1
; LDSByteSize: 240 bytes/workgroup (compile time only)
; SGPRBlocks: 6
; VGPRBlocks: 13
; NumSGPRsForWavesPerEU: 54
; NumVGPRsForWavesPerEU: 106
; AccumOffset: 108
; Occupancy: 4
; WaveLimiterHint : 1
; COMPUTE_PGM_RSRC2:SCRATCH_EN: 0
; COMPUTE_PGM_RSRC2:USER_SGPR: 2
; COMPUTE_PGM_RSRC2:TRAP_HANDLER: 0
; COMPUTE_PGM_RSRC2:TGID_X_EN: 1
; COMPUTE_PGM_RSRC2:TGID_Y_EN: 1
; COMPUTE_PGM_RSRC2:TGID_Z_EN: 1
; COMPUTE_PGM_RSRC2:TIDIG_COMP_CNT: 0
; COMPUTE_PGM_RSRC3_GFX90A:ACCUM_OFFSET: 26
; COMPUTE_PGM_RSRC3_GFX90A:TG_SPLIT: 0
	.section	.text._ZN4vllm25paged_attention_v1_kernelI14__hip_bfloat16hLi120ELi32ELi128ELNS_18Fp8KVCacheDataTypeE1ELb1EEEvPT_PKS3_PKT0_S9_ifPKiSB_iPKfiiiSD_SD_iiiii,"axG",@progbits,_ZN4vllm25paged_attention_v1_kernelI14__hip_bfloat16hLi120ELi32ELi128ELNS_18Fp8KVCacheDataTypeE1ELb1EEEvPT_PKS3_PKT0_S9_ifPKiSB_iPKfiiiSD_SD_iiiii,comdat
	.protected	_ZN4vllm25paged_attention_v1_kernelI14__hip_bfloat16hLi120ELi32ELi128ELNS_18Fp8KVCacheDataTypeE1ELb1EEEvPT_PKS3_PKT0_S9_ifPKiSB_iPKfiiiSD_SD_iiiii ; -- Begin function _ZN4vllm25paged_attention_v1_kernelI14__hip_bfloat16hLi120ELi32ELi128ELNS_18Fp8KVCacheDataTypeE1ELb1EEEvPT_PKS3_PKT0_S9_ifPKiSB_iPKfiiiSD_SD_iiiii
	.globl	_ZN4vllm25paged_attention_v1_kernelI14__hip_bfloat16hLi120ELi32ELi128ELNS_18Fp8KVCacheDataTypeE1ELb1EEEvPT_PKS3_PKT0_S9_ifPKiSB_iPKfiiiSD_SD_iiiii
	.p2align	8
	.type	_ZN4vllm25paged_attention_v1_kernelI14__hip_bfloat16hLi120ELi32ELi128ELNS_18Fp8KVCacheDataTypeE1ELb1EEEvPT_PKS3_PKT0_S9_ifPKiSB_iPKfiiiSD_SD_iiiii,@function
_ZN4vllm25paged_attention_v1_kernelI14__hip_bfloat16hLi120ELi32ELi128ELNS_18Fp8KVCacheDataTypeE1ELb1EEEvPT_PKS3_PKT0_S9_ifPKiSB_iPKfiiiSD_SD_iiiii: ; @_ZN4vllm25paged_attention_v1_kernelI14__hip_bfloat16hLi120ELi32ELi128ELNS_18Fp8KVCacheDataTypeE1ELb1EEEvPT_PKS3_PKT0_S9_ifPKiSB_iPKfiiiSD_SD_iiiii
; %bb.0:
	s_load_dword s5, s[0:1], 0x80
	s_load_dwordx2 s[6:7], s[0:1], 0x30
	s_load_dwordx2 s[36:37], s[0:1], 0x20
	s_mov_b32 s10, s3
	s_ashr_i32 s11, s3, 31
	s_lshl_b64 s[8:9], s[10:11], 2
	s_waitcnt lgkmcnt(0)
	s_add_u32 s6, s6, s8
	s_addc_u32 s7, s7, s9
	s_abs_i32 s3, s36
	v_cvt_f32_u32_e32 v1, s3
	s_sub_i32 s11, 0, s3
	s_abs_i32 s9, s5
	s_xor_b32 s8, s5, s36
	v_rcp_iflag_f32_e32 v1, v1
	s_ashr_i32 s8, s8, 31
	s_mov_b32 s44, 0
	v_mul_f32_e32 v1, 0x4f7ffffe, v1
	v_cvt_u32_f32_e32 v1, v1
	s_nop 0
	v_readfirstlane_b32 s12, v1
	s_mul_i32 s11, s11, s12
	s_mul_hi_u32 s11, s12, s11
	s_add_i32 s12, s12, s11
	s_mul_hi_u32 s11, s9, s12
	s_mul_i32 s12, s11, s3
	s_sub_i32 s9, s9, s12
	s_add_i32 s12, s11, 1
	s_sub_i32 s13, s9, s3
	s_cmp_ge_u32 s9, s3
	s_cselect_b32 s11, s12, s11
	s_cselect_b32 s9, s13, s9
	s_add_i32 s12, s11, 1
	s_cmp_ge_u32 s9, s3
	s_cselect_b32 s3, s12, s11
	s_xor_b32 s3, s3, s8
	s_sub_i32 s14, s3, s8
	s_abs_i32 s11, s14
	v_cvt_f32_u32_e32 v1, s11
	s_load_dwordx2 s[8:9], s[0:1], 0x40
	s_sub_i32 s3, 0, s11
	s_abs_i32 s12, s2
	v_rcp_iflag_f32_e32 v1, v1
	s_nop 0
	v_mul_f32_e32 v1, 0x4f7ffffe, v1
	v_cvt_u32_f32_e32 v1, v1
	s_nop 0
	v_readfirstlane_b32 s13, v1
	s_mul_i32 s3, s3, s13
	s_mul_hi_u32 s3, s13, s3
	s_add_i32 s13, s13, s3
	s_waitcnt lgkmcnt(0)
	s_cmp_eq_u64 s[8:9], 0
	s_mul_hi_u32 s13, s12, s13
	s_cbranch_scc1 .LBB313_2
; %bb.1:
	s_ashr_i32 s3, s2, 31
	s_lshl_b64 s[16:17], s[2:3], 2
	s_add_u32 s8, s8, s16
	s_addc_u32 s9, s9, s17
	s_load_dword s44, s[8:9], 0x0
.LBB313_2:
	s_load_dword s33, s[6:7], 0x0
	s_load_dwordx4 s[16:19], s[0:1], 0x48
	s_ashr_i32 s8, s2, 31
	s_ashr_i32 s9, s14, 31
	v_and_b32_e32 v2, 1, v0
	s_movk_i32 s3, 0x78
	s_mul_i32 s24, s2, 0x78
	v_cmp_gt_u32_e32 vcc, 30, v0
	v_lshlrev_b32_e32 v18, 3, v0
	s_and_saveexec_b64 s[6:7], vcc
	s_cbranch_execz .LBB313_4
; %bb.3:
	s_load_dwordx2 s[14:15], s[0:1], 0x8
	s_waitcnt lgkmcnt(0)
	s_mul_i32 s20, s16, s10
	s_ashr_i32 s21, s20, 31
	s_lshl_b64 s[20:21], s[20:21], 1
	v_lshlrev_b32_e32 v1, 2, v0
	s_add_u32 s16, s14, s20
	s_addc_u32 s19, s15, s21
	s_ashr_i32 s25, s24, 31
	s_lshl_b64 s[14:15], s[24:25], 1
	s_add_u32 s14, s16, s14
	s_addc_u32 s15, s19, s15
	global_load_dwordx2 v[4:5], v18, s[14:15]
	v_and_b32_e32 v1, 0xff8, v1
	v_mad_u32_u24 v1, v2, s3, v1
	s_waitcnt vmcnt(0)
	ds_write_b64 v1, v[4:5]
.LBB313_4:
	s_or_b64 exec, exec, s[6:7]
	s_mul_i32 s7, s13, s11
	s_sub_i32 s7, s12, s7
	s_xor_b32 s6, s8, s9
	s_add_i32 s8, s13, 1
	s_sub_i32 s9, s7, s11
	s_load_dwordx4 s[20:23], s[0:1], 0x68
	s_load_dword s3, s[0:1], 0x78
	s_cmp_ge_u32 s7, s11
	s_cselect_b32 s8, s8, s13
	s_cselect_b32 s7, s9, s7
	s_add_i32 s9, s8, 1
	s_cmp_ge_u32 s7, s11
	s_cselect_b32 s7, s9, s8
	s_waitcnt lgkmcnt(0)
	s_abs_i32 s25, s23
	v_cvt_f32_u32_e32 v1, s25
	s_xor_b32 s7, s7, s6
	s_sub_i32 s43, s7, s6
	s_sub_i32 s6, 0, s25
	v_rcp_iflag_f32_e32 v1, v1
	s_add_i32 s11, s33, -1
	s_abs_i32 s8, s11
	v_mul_f32_e32 v1, 0x4f7ffffe, v1
	v_cvt_u32_f32_e32 v1, v1
	s_barrier
	v_readfirstlane_b32 s42, v1
	s_mul_i32 s6, s6, s42
	s_mul_hi_u32 s6, s42, s6
	s_add_i32 s42, s42, s6
	s_cmp_lt_i32 s3, 0
	s_mul_hi_u32 s9, s8, s42
	s_cbranch_scc0 .LBB313_6
; %bb.5:
	s_mul_i32 s6, s20, s36
	s_add_i32 s6, s43, s6
	s_mul_i32 s6, s6, s3
	s_sub_i32 s36, 1, s6
	s_mov_b64 s[6:7], 0
	s_branch .LBB313_7
.LBB313_6:
	s_mov_b64 s[6:7], -1
                                        ; implicit-def: $sgpr36
.LBB313_7:
	s_load_dwordx2 s[28:29], s[0:1], 0x28
	s_ashr_i32 s16, s11, 31
	s_andn2_b64 vcc, exec, s[6:7]
	s_ashr_i32 s23, s23, 31
	s_cbranch_vccnz .LBB313_9
; %bb.8:
	s_mul_i32 s6, s5, s20
	s_add_i32 s2, s6, s2
	s_mul_i32 s2, s2, s3
	s_add_i32 s36, s2, 1
.LBB313_9:
	s_load_dword s2, s[0:1], 0x38
	s_load_dwordx2 s[26:27], s[0:1], 0x0
	s_load_dwordx2 s[34:35], s[0:1], 0x18
	s_load_dword s11, s[0:1], 0x88
	s_load_dwordx4 s[12:15], s[0:1], 0x58
	s_mul_i32 s3, s9, s25
	s_waitcnt lgkmcnt(0)
	s_mul_i32 s30, s2, s10
	s_sub_i32 s3, s8, s3
	s_ashr_i32 s31, s30, 31
	s_xor_b32 s2, s16, s23
	s_add_i32 s6, s9, 1
	s_sub_i32 s7, s3, s25
	s_cmp_ge_u32 s3, s25
	s_cselect_b32 s6, s6, s9
	s_cselect_b32 s3, s7, s3
	s_add_i32 s7, s6, 1
	s_cmp_ge_u32 s3, s25
	s_cselect_b32 s3, s7, s6
	s_xor_b32 s3, s3, s2
	s_sub_i32 s16, s3, s2
	s_add_i32 s2, s33, 31
	s_ashr_i32 s3, s2, 31
	s_lshr_b32 s3, s3, 27
	s_add_i32 s2, s2, s3
	s_ashr_i32 s20, s2, 5
	v_lshrrev_b32_e32 v1, 6, v0
	v_cmp_le_i32_e64 s[6:7], s20, v1
	v_cmp_gt_i32_e32 vcc, s20, v1
	v_mov_b32_e32 v17, 0xff7fffff
	s_mul_i32 s43, s43, s18
	v_lshrrev_b32_e32 v22, 4, v0
	v_lshlrev_b32_e32 v28, 5, v1
	v_mbcnt_lo_u32_b32 v14, -1, 0
	s_and_saveexec_b64 s[18:19], vcc
	s_cbranch_execz .LBB313_21
; %bb.10:
	s_load_dwordx2 s[0:1], s[0:1], 0x10
	s_sub_i32 s45, s16, s21
	s_ashr_i32 s2, s43, 31
	v_bfe_u32 v15, v0, 1, 5
	v_mov_b32_e32 v5, 0
	s_waitcnt lgkmcnt(0)
	s_add_u32 s0, s0, s43
	s_addc_u32 s1, s1, s2
	s_abs_i32 s46, s22
	v_cvt_f32_u32_e32 v3, s46
	v_lshlrev_b32_e32 v4, 4, v15
	v_lshl_add_u64 v[6:7], s[0:1], 0, v[4:5]
	s_sub_i32 s0, 0, s46
	v_rcp_iflag_f32_e32 v3, v3
	v_cmp_eq_u32_e32 vcc, 0, v2
	v_mul_u32_u24_e32 v16, 0x78, v2
	v_lshlrev_b32_e32 v4, 2, v2
	v_mul_f32_e32 v3, 0x4f7ffffe, v3
	v_cvt_u32_f32_e32 v3, v3
	v_mbcnt_hi_u32_b32 v25, -1, v14
	v_lshl_add_u64 v[6:7], v[6:7], 0, v[4:5]
	v_and_b32_e32 v4, 60, v22
	v_mul_lo_u32 v2, s0, v3
	v_mul_hi_u32 v2, v3, v2
	v_add_u32_e32 v19, v3, v2
	v_subrev_u32_e32 v2, s33, v15
	s_lshl_b64 s[0:1], s[30:31], 2
	v_add_u32_e32 v21, 1, v2
	v_lshlrev_b32_e32 v2, 2, v15
	s_add_u32 s0, s28, s0
	v_lshl_or_b32 v2, v1, 7, v2
	s_addc_u32 s1, s29, s1
	v_add_u32_e32 v23, 0x100, v2
	v_and_b32_e32 v2, 64, v25
	s_mov_b32 s47, s17
	v_cmp_neq_f32_e64 s[2:3], s44, 0
	v_lshl_add_u64 v[8:9], s[0:1], 0, v[4:5]
	v_lshlrev_b32_e32 v20, 5, v1
	v_mov_b32_e32 v24, 0xff7fffff
	s_mov_b64 s[38:39], 0
	v_xor_b32_e32 v26, 1, v25
	v_add_u32_e32 v27, 64, v2
	v_mov_b32_e32 v17, 0xff7fffff
	v_mov_b32_e32 v29, v1
	s_branch .LBB313_13
.LBB313_11:                             ;   in Loop: Header=BB313_13 Depth=1
	s_or_b64 exec, exec, s[40:41]
.LBB313_12:                             ;   in Loop: Header=BB313_13 Depth=1
	s_or_b64 exec, exec, s[8:9]
	v_add_u32_e32 v29, 2, v29
	v_cmp_le_i32_e64 s[0:1], s20, v29
	v_lshl_add_u64 v[8:9], v[8:9], 0, 8
	v_add_u32_e32 v20, 64, v20
	s_or_b64 s[38:39], s[0:1], s[38:39]
	v_add_u32_e32 v23, 0x100, v23
	s_andn2_b64 exec, exec, s[38:39]
	s_cbranch_execz .LBB313_20
.LBB313_13:                             ; =>This Inner Loop Header: Depth=1
	v_mul_hi_u32 v2, v20, s42
	s_waitcnt lgkmcnt(0)
	v_mul_lo_u32 v3, v2, s25
	v_sub_u32_e32 v3, v20, v3
	v_add_u32_e32 v4, 1, v2
	v_cmp_le_u32_e64 s[0:1], s25, v3
	s_nop 1
	v_cndmask_b32_e64 v2, v2, v4, s[0:1]
	v_subrev_u32_e32 v4, s25, v3
	v_cndmask_b32_e64 v3, v3, v4, s[0:1]
	v_add_u32_e32 v4, 1, v2
	v_cmp_le_u32_e64 s[0:1], s25, v3
	s_nop 1
	v_cndmask_b32_e64 v2, v2, v4, s[0:1]
	v_xor_b32_e32 v2, s23, v2
	v_subrev_u32_e32 v2, s23, v2
	v_add_u32_e32 v3, s36, v2
	v_sub_u32_e32 v5, 0, v3
	v_ashrrev_i32_e32 v4, 31, v3
	v_max_i32_e32 v3, v3, v5
	v_mul_hi_u32 v5, v3, v19
	v_mul_lo_u32 v5, v5, s46
	v_sub_u32_e32 v3, v3, v5
	v_subrev_u32_e32 v5, s46, v3
	v_cmp_le_u32_e64 s[0:1], s46, v3
	v_cmp_ge_i32_e64 s[8:9], s45, v2
	s_nop 0
	v_cndmask_b32_e64 v3, v3, v5, s[0:1]
	v_subrev_u32_e32 v5, s46, v3
	v_cmp_le_u32_e64 s[0:1], s46, v3
	s_nop 1
	v_cndmask_b32_e64 v3, v3, v5, s[0:1]
	v_xor_b32_e32 v3, v3, v4
	v_sub_u32_e32 v3, v3, v4
	v_cmp_ne_u32_e64 s[0:1], 0, v3
	s_and_b64 s[0:1], s[0:1], s[8:9]
	s_and_saveexec_b64 s[8:9], s[0:1]
	s_xor_b64 s[0:1], exec, s[8:9]
	s_cbranch_execz .LBB313_17
; %bb.14:                               ;   in Loop: Header=BB313_13 Depth=1
	s_and_saveexec_b64 s[8:9], vcc
; %bb.15:                               ;   in Loop: Header=BB313_13 Depth=1
	ds_write_b32 v23, v24
; %bb.16:                               ;   in Loop: Header=BB313_13 Depth=1
	s_or_b64 exec, exec, s[8:9]
.LBB313_17:                             ;   in Loop: Header=BB313_13 Depth=1
	s_andn2_saveexec_b64 s[8:9], s[0:1]
	s_cbranch_execz .LBB313_12
; %bb.18:                               ;   in Loop: Header=BB313_13 Depth=1
	global_load_dword v2, v[8:9], off
	s_waitcnt vmcnt(0)
	v_mad_i64_i32 v[10:11], s[0:1], v2, s47, v[6:7]
	global_load_dword v31, v[10:11], off offset:8
	global_load_dword v32, v[10:11], off offset:512
	;; [unrolled: 1-line block ×7, first 2 shown]
	global_load_dword v54, v[10:11], off
	ds_read2_b64 v[42:45], v16 offset1:1
	ds_read2_b64 v[60:63], v16 offset0:2 offset1:3
	ds_read2_b64 v[64:67], v16 offset0:4 offset1:5
	;; [unrolled: 1-line block ×5, first 2 shown]
	s_load_dword s40, s[12:13], 0x0
	s_waitcnt lgkmcnt(0)
	v_lshlrev_b32_e32 v82, 16, v43
	v_lshlrev_b32_e32 v83, 16, v44
	;; [unrolled: 1-line block ×3, first 2 shown]
	v_and_b32_e32 v50, 0xffff0000, v72
	v_lshlrev_b32_e32 v84, 16, v45
	v_lshlrev_b32_e32 v41, 16, v73
	;; [unrolled: 1-line block ×5, first 2 shown]
	v_and_b32_e32 v95, 0xffff0000, v43
	v_and_b32_e32 v96, 0xffff0000, v44
	;; [unrolled: 1-line block ×7, first 2 shown]
	v_lshlrev_b32_e32 v39, 16, v74
	v_and_b32_e32 v47, 0xffff0000, v74
	v_lshlrev_b32_e32 v81, 16, v42
	v_lshlrev_b32_e32 v38, 16, v75
	;; [unrolled: 1-line block ×3, first 2 shown]
	v_and_b32_e32 v94, 0xffff0000, v42
	v_and_b32_e32 v46, 0xffff0000, v75
	;; [unrolled: 1-line block ×3, first 2 shown]
	v_lshlrev_b32_e32 v53, 16, v70
	v_and_b32_e32 v55, 0xffff0000, v70
	v_lshlrev_b32_e32 v85, 16, v60
	v_lshlrev_b32_e32 v51, 16, v71
	v_and_b32_e32 v60, 0xffff0000, v60
	v_and_b32_e32 v52, 0xffff0000, v71
	v_lshlrev_b32_e32 v86, 16, v61
	v_lshlrev_b32_e32 v87, 16, v62
	;; [unrolled: 1-line block ×3, first 2 shown]
	v_and_b32_e32 v62, 0xffff0000, v62
	v_lshlrev_b32_e32 v90, 16, v65
	v_and_b32_e32 v61, 0xffff0000, v61
	v_and_b32_e32 v63, 0xffff0000, v63
	v_lshlrev_b32_e32 v89, 16, v64
	v_and_b32_e32 v64, 0xffff0000, v64
	v_and_b32_e32 v65, 0xffff0000, v65
	ds_read2_b64 v[2:5], v16 offset0:12 offset1:13
	ds_read_b64 v[12:13], v16 offset:112
	v_lshlrev_b32_e32 v56, 16, v69
	v_and_b32_e32 v57, 0xffff0000, v69
	global_load_dword v69, v[10:11], off offset:2048
	v_lshlrev_b32_e32 v91, 16, v66
	v_and_b32_e32 v66, 0xffff0000, v66
	v_lshlrev_b32_e32 v92, 16, v67
	v_and_b32_e32 v67, 0xffff0000, v67
	;; [unrolled: 2-line block ×3, first 2 shown]
	s_waitcnt lgkmcnt(1)
	v_and_b32_e32 v40, 0xffff0000, v2
	v_lshlrev_b32_e32 v2, 16, v2
	s_waitcnt vmcnt(8)
	v_bfe_u32 v72, v31, 8, 8
	s_waitcnt vmcnt(7)
	v_and_b32_e32 v76, 0xff, v32
	v_bfe_u32 v77, v32, 8, 8
	v_bfe_u32 v78, v32, 16, 8
	v_lshrrev_b32_e32 v32, 24, v32
	v_cvt_f32_fp8_e32 v72, v72
	v_cvt_f32_fp8_e32 v32, v32
	s_waitcnt vmcnt(1)
	v_bfe_u32 v73, v54, 8, 8
	v_cvt_f32_fp8_e32 v73, v73
	v_cvt_f32_fp8_e32 v77, v77
	v_mul_f32_e32 v72, s40, v72
	v_bfe_u32 v74, v31, 16, 8
	v_mul_f32_e32 v73, s40, v73
	v_mul_f32_e32 v32, s40, v32
	v_cvt_pk_bf16_f32 v72, v72, s0
	v_bfe_u32 v75, v54, 16, 8
	v_and_b32_e32 v79, 0xff, v35
	v_bfe_u32 v98, v35, 8, 8
	v_bfe_u32 v99, v35, 16, 8
	v_lshrrev_b32_e32 v35, 24, v35
	v_cvt_f32_fp8_e32 v74, v74
	v_mul_f32_e32 v77, s40, v77
	v_cvt_pk_bf16_f32 v73, v73, s0
	v_cvt_pk_bf16_f32 v32, v32, s0
	v_lshlrev_b32_e32 v72, 16, v72
	v_and_b32_e32 v70, 0xff, v31
	v_lshrrev_b32_e32 v31, 24, v31
	v_cvt_f32_fp8_e32 v75, v75
	v_cvt_f32_fp8_e32 v35, v35
	v_cvt_pk_bf16_f32 v77, v77, s0
	v_lshlrev_b32_e32 v73, 16, v73
	v_lshlrev_b32_e32 v104, 16, v32
	v_mul_f32_e32 v32, v96, v72
	v_and_b32_e32 v71, 0xff, v54
	v_lshrrev_b32_e32 v54, 24, v54
	v_and_b32_e32 v100, 0xff, v30
	v_cvt_f32_fp8_e32 v31, v31
	v_cvt_f32_fp8_e32 v78, v78
	v_lshlrev_b32_e32 v77, 16, v77
	v_fmac_f32_e32 v32, v94, v73
	v_cvt_f32_fp8_e32 v70, v70
	v_cvt_f32_fp8_e32 v71, v71
	;; [unrolled: 1-line block ×8, first 2 shown]
	v_fmac_f32_e32 v32, v60, v77
	v_bfe_u32 v60, v30, 16, 8
	v_mul_f32_e32 v74, s40, v74
	v_cvt_f32_fp8_e32 v60, v60
	v_bfe_u32 v101, v30, 8, 8
	v_mul_f32_e32 v75, s40, v75
	v_mul_f32_e32 v35, s40, v35
	v_cvt_pk_bf16_f32 v74, v74, s0
	v_lshrrev_b32_e32 v30, 24, v30
	v_cvt_f32_fp8_e32 v101, v101
	v_mul_f32_e32 v31, s40, v31
	v_mul_f32_e32 v78, s40, v78
	v_cvt_pk_bf16_f32 v75, v75, s0
	v_cvt_pk_bf16_f32 v35, v35, s0
	v_lshlrev_b32_e32 v74, 16, v74
	v_cvt_f32_fp8_e32 v30, v30
	v_mul_f32_e32 v70, s40, v70
	v_mul_f32_e32 v71, s40, v71
	;; [unrolled: 1-line block ×8, first 2 shown]
	v_cvt_pk_bf16_f32 v31, v31, s0
	v_cvt_pk_bf16_f32 v78, v78, s0
	v_lshlrev_b32_e32 v75, 16, v75
	v_lshlrev_b32_e32 v105, 16, v35
	v_mul_f32_e32 v35, v84, v74
	v_cvt_pk_bf16_f32 v70, v70, s0
	v_cvt_pk_bf16_f32 v71, v71, s0
	;; [unrolled: 1-line block ×8, first 2 shown]
	v_lshlrev_b32_e32 v102, 16, v31
	v_lshlrev_b32_e32 v78, 16, v78
	v_fmac_f32_e32 v35, v82, v75
	v_cmp_lt_i32_e64 s[0:1], v26, v27
	v_mul_f32_e32 v60, s40, v60
	v_lshlrev_b32_e32 v103, 16, v54
	v_lshlrev_b32_e32 v98, 16, v98
	;; [unrolled: 1-line block ×3, first 2 shown]
	v_mul_f32_e32 v54, v97, v102
	v_fmac_f32_e32 v35, v86, v78
	v_cvt_pk_bf16_f32 v60, v60, s0
	v_fmac_f32_e32 v54, v95, v103
	v_fmac_f32_e32 v32, v62, v98
	;; [unrolled: 1-line block ×3, first 2 shown]
	v_mul_f32_e32 v62, s40, v101
	v_mul_f32_e32 v30, s40, v30
	v_lshlrev_b32_e32 v60, 16, v60
	v_fmac_f32_e32 v54, v61, v104
	v_cvt_pk_bf16_f32 v62, v62, s0
	v_cvt_pk_bf16_f32 v30, v30, s0
	v_fmac_f32_e32 v35, v90, v60
	v_bfe_u32 v60, v59, 8, 8
	v_lshlrev_b32_e32 v70, 16, v70
	v_fmac_f32_e32 v54, v63, v105
	v_lshlrev_b32_e32 v62, 16, v62
	v_cvt_f32_fp8_e32 v60, v60
	v_lshlrev_b32_e32 v30, 16, v30
	v_lshlrev_b32_e32 v71, 16, v71
	v_mul_f32_e32 v31, v83, v70
	v_fmac_f32_e32 v32, v64, v62
	v_and_b32_e32 v62, 0xff, v59
	global_load_dword v63, v[10:11], off offset:2056
	v_bfe_u32 v64, v59, 16, 8
	v_lshrrev_b32_e32 v59, 24, v59
	v_fmac_f32_e32 v54, v65, v30
	global_load_dword v65, v[10:11], off offset:2560
	v_fmac_f32_e32 v31, v81, v71
	v_cvt_f32_fp8_e32 v59, v59
	v_lshrrev_b32_e32 v71, 24, v80
	v_cvt_f32_fp8_e32 v71, v71
	v_mul_f32_e32 v60, s40, v60
	v_cvt_pk_bf16_f32 v60, v60, s0
	v_mul_f32_e32 v59, s40, v59
	v_lshlrev_b32_e32 v60, 16, v60
	v_cvt_pk_bf16_f32 v59, v59, s0
	v_fmac_f32_e32 v32, v66, v60
	v_mul_f32_e32 v66, s40, v71
	global_load_dword v71, v[10:11], off offset:2568
	v_lshlrev_b32_e32 v59, 16, v59
	v_fmac_f32_e32 v54, v67, v59
	global_load_dword v59, v[10:11], off offset:3072
	global_load_dword v67, v[10:11], off offset:3080
	s_nop 0
	global_load_dword v10, v[10:11], off offset:3584
	v_cvt_f32_fp8_e32 v62, v62
	v_lshlrev_b32_e32 v76, 16, v76
	v_lshlrev_b32_e32 v79, 16, v79
	v_fmac_f32_e32 v31, v85, v76
	v_mul_f32_e32 v62, s40, v62
	v_lshlrev_b32_e32 v100, 16, v100
	v_fmac_f32_e32 v31, v87, v79
	v_cvt_f32_fp8_e32 v64, v64
	v_cvt_pk_bf16_f32 v62, v62, s0
	v_bfe_u32 v70, v80, 16, 8
	v_fmac_f32_e32 v31, v89, v100
	v_and_b32_e32 v30, 0xff, v80
	v_lshlrev_b32_e32 v62, 16, v62
	v_cvt_f32_fp8_e32 v70, v70
	v_cvt_f32_fp8_e32 v30, v30
	v_fmac_f32_e32 v31, v91, v62
	v_bfe_u32 v62, v80, 8, 8
	v_cvt_f32_fp8_e32 v62, v62
	v_mul_f32_e32 v64, s40, v64
	v_cvt_pk_bf16_f32 v64, v64, s0
	v_mul_f32_e32 v70, s40, v70
	v_mul_f32_e32 v30, s40, v30
	v_cvt_pk_bf16_f32 v70, v70, s0
	v_and_b32_e32 v60, 0xff, v58
	v_lshlrev_b32_e32 v64, 16, v64
	v_cvt_pk_bf16_f32 v30, v30, s0
	v_mul_f32_e32 v62, s40, v62
	v_cvt_f32_fp8_e32 v60, v60
	v_fmac_f32_e32 v35, v92, v64
	v_bfe_u32 v64, v58, 8, 8
	v_lshlrev_b32_e32 v70, 16, v70
	v_cvt_pk_bf16_f32 v62, v62, s0
	v_cvt_f32_fp8_e32 v64, v64
	v_bfe_u32 v72, v58, 16, 8
	v_lshrrev_b32_e32 v58, 24, v58
	s_waitcnt vmcnt(6)
	v_and_b32_e32 v11, 0xff, v69
	v_lshlrev_b32_e32 v30, 16, v30
	v_fmac_f32_e32 v35, v56, v70
	v_cvt_f32_fp8_e32 v58, v58
	v_cvt_f32_fp8_e32 v11, v11
	v_fmac_f32_e32 v31, v93, v30
	v_bfe_u32 v30, v69, 8, 8
	v_bfe_u32 v73, v69, 16, 8
	v_lshrrev_b32_e32 v69, 24, v69
	v_lshlrev_b32_e32 v62, 16, v62
	v_cvt_f32_fp8_e32 v72, v72
	v_cvt_f32_fp8_e32 v69, v69
	v_fmac_f32_e32 v32, v68, v62
	v_cvt_pk_bf16_f32 v66, v66, s0
	v_mul_f32_e32 v60, s40, v60
	v_cvt_f32_fp8_e32 v73, v73
	v_cvt_pk_bf16_f32 v60, v60, s0
	v_mul_f32_e32 v64, s40, v64
	v_lshlrev_b32_e32 v66, 16, v66
	v_cvt_pk_bf16_f32 v64, v64, s0
	v_mul_f32_e32 v58, s40, v58
	v_cvt_f32_fp8_e32 v30, v30
	v_mul_f32_e32 v11, s40, v11
	v_fmac_f32_e32 v54, v57, v66
	s_waitcnt vmcnt(5)
	v_and_b32_e32 v62, 0xff, v63
	v_cvt_f32_fp8_e32 v62, v62
	v_bfe_u32 v56, v63, 16, 8
	v_cvt_f32_fp8_e32 v56, v56
	s_waitcnt vmcnt(4)
	v_and_b32_e32 v70, 0xff, v65
	v_cvt_f32_fp8_e32 v70, v70
	v_bfe_u32 v68, v63, 8, 8
	v_lshlrev_b32_e32 v60, 16, v60
	v_mul_f32_e32 v72, s40, v72
	v_mul_f32_e32 v66, s40, v70
	v_bfe_u32 v70, v65, 16, 8
	v_cvt_pk_bf16_f32 v58, v58, s0
	v_cvt_pk_bf16_f32 v11, v11, s0
	v_mul_f32_e32 v69, s40, v69
	v_cvt_f32_fp8_e32 v68, v68
	v_lshrrev_b32_e32 v63, 24, v63
	v_cvt_f32_fp8_e32 v70, v70
	v_fmac_f32_e32 v31, v53, v60
	s_waitcnt vmcnt(3)
	v_and_b32_e32 v53, 0xff, v71
	v_lshlrev_b32_e32 v64, 16, v64
	v_cvt_pk_bf16_f32 v72, v72, s0
	v_mul_f32_e32 v73, s40, v73
	v_cvt_pk_bf16_f32 v69, v69, s0
	v_mul_f32_e32 v62, s40, v62
	v_cvt_f32_fp8_e32 v63, v63
	v_bfe_u32 v57, v65, 8, 8
	v_lshrrev_b32_e32 v65, 24, v65
	v_cvt_f32_fp8_e32 v53, v53
	v_fmac_f32_e32 v32, v55, v64
	v_bfe_u32 v55, v71, 16, 8
	v_lshlrev_b32_e32 v58, 16, v58
	v_lshlrev_b32_e32 v11, 16, v11
	v_cvt_pk_bf16_f32 v73, v73, s0
	v_cvt_pk_bf16_f32 v62, v62, s0
	v_mul_f32_e32 v56, s40, v56
	v_cvt_f32_fp8_e32 v57, v57
	v_cvt_f32_fp8_e32 v65, v65
	v_bfe_u32 v60, v71, 8, 8
	v_cvt_f32_fp8_e32 v55, v55
	v_lshrrev_b32_e32 v64, 24, v71
	s_waitcnt vmcnt(2)
	v_and_b32_e32 v71, 0xff, v59
	v_lshlrev_b32_e32 v72, 16, v72
	v_fmac_f32_e32 v54, v52, v58
	s_waitcnt vmcnt(1)
	v_and_b32_e32 v52, 0xff, v67
	v_bfe_u32 v58, v67, 8, 8
	v_fmac_f32_e32 v31, v49, v11
	v_bfe_u32 v11, v67, 16, 8
	v_lshrrev_b32_e32 v49, 24, v67
	s_waitcnt vmcnt(0)
	v_and_b32_e32 v67, 0xff, v10
	v_lshlrev_b32_e32 v69, 16, v69
	v_mul_f32_e32 v30, s40, v30
	v_cvt_pk_bf16_f32 v56, v56, s0
	v_cvt_f32_fp8_e32 v60, v60
	v_cvt_f32_fp8_e32 v64, v64
	;; [unrolled: 1-line block ×3, first 2 shown]
	v_fmac_f32_e32 v35, v51, v72
	v_bfe_u32 v51, v59, 8, 8
	v_bfe_u32 v72, v59, 16, 8
	v_lshrrev_b32_e32 v59, 24, v59
	v_cvt_f32_fp8_e32 v67, v67
	v_lshlrev_b32_e32 v73, 16, v73
	v_fmac_f32_e32 v54, v48, v69
	v_lshlrev_b32_e32 v48, 16, v62
	v_cvt_pk_bf16_f32 v30, v30, s0
	v_mul_f32_e32 v68, s40, v68
	v_cvt_pk_bf16_f32 v66, v66, s0
	v_mul_f32_e32 v70, s40, v70
	v_cvt_f32_fp8_e32 v51, v51
	v_cvt_f32_fp8_e32 v72, v72
	;; [unrolled: 1-line block ×3, first 2 shown]
	v_fmac_f32_e32 v35, v41, v73
	v_fmac_f32_e32 v31, v39, v48
	v_lshlrev_b32_e32 v39, 16, v56
	v_cvt_pk_bf16_f32 v68, v68, s0
	v_mul_f32_e32 v63, s40, v63
	v_cvt_pk_bf16_f32 v70, v70, s0
	v_mul_f32_e32 v53, s40, v53
	v_cvt_f32_fp8_e32 v52, v52
	v_cvt_f32_fp8_e32 v58, v58
	v_lshlrev_b32_e32 v30, 16, v30
	v_fmac_f32_e32 v35, v38, v39
	v_lshlrev_b32_e32 v38, 16, v66
	v_cvt_pk_bf16_f32 v63, v63, s0
	v_mul_f32_e32 v57, s40, v57
	v_mul_f32_e32 v65, s40, v65
	v_cvt_pk_bf16_f32 v53, v53, s0
	v_mul_f32_e32 v55, s40, v55
	v_cvt_f32_fp8_e32 v11, v11
	v_cvt_f32_fp8_e32 v49, v49
	v_fmac_f32_e32 v32, v50, v30
	v_bfe_u32 v30, v10, 8, 8
	v_lshlrev_b32_e32 v62, 16, v68
	v_fmac_f32_e32 v31, v37, v38
	v_lshlrev_b32_e32 v37, 16, v70
	v_cvt_pk_bf16_f32 v57, v57, s0
	v_cvt_pk_bf16_f32 v65, v65, s0
	v_mul_f32_e32 v60, s40, v60
	v_cvt_pk_bf16_f32 v55, v55, s0
	v_mul_f32_e32 v64, s40, v64
	v_mul_f32_e32 v71, s40, v71
	v_cvt_f32_fp8_e32 v30, v30
	v_mul_f32_e32 v50, s40, v67
	v_bfe_u32 v67, v10, 16, 8
	v_fmac_f32_e32 v32, v47, v62
	v_lshlrev_b32_e32 v47, 16, v63
	v_fmac_f32_e32 v35, v36, v37
	v_lshlrev_b32_e32 v36, 16, v53
	v_cvt_pk_bf16_f32 v60, v60, s0
	v_cvt_pk_bf16_f32 v64, v64, s0
	;; [unrolled: 1-line block ×3, first 2 shown]
	v_mul_f32_e32 v51, s40, v51
	v_mul_f32_e32 v72, s40, v72
	;; [unrolled: 1-line block ×3, first 2 shown]
	v_cvt_f32_fp8_e32 v67, v67
	v_lshrrev_b32_e32 v10, 24, v10
	v_fmac_f32_e32 v54, v46, v47
	v_lshlrev_b32_e32 v39, 16, v57
	v_lshlrev_b32_e32 v38, 16, v65
	v_fmac_f32_e32 v31, v34, v36
	v_lshlrev_b32_e32 v34, 16, v55
	v_cvt_pk_bf16_f32 v51, v51, s0
	v_cvt_pk_bf16_f32 v72, v72, s0
	;; [unrolled: 1-line block ×3, first 2 shown]
	v_mul_f32_e32 v52, s40, v52
	v_mul_f32_e32 v58, s40, v58
	v_cvt_f32_fp8_e32 v10, v10
	v_fmac_f32_e32 v32, v45, v39
	v_fmac_f32_e32 v54, v44, v38
	v_lshlrev_b32_e32 v37, 16, v60
	v_lshlrev_b32_e32 v36, 16, v64
	v_fmac_f32_e32 v35, v33, v34
	v_lshlrev_b32_e32 v33, 16, v71
	v_cvt_pk_bf16_f32 v52, v52, s0
	v_cvt_pk_bf16_f32 v58, v58, s0
	v_mul_f32_e32 v11, s40, v11
	v_mul_f32_e32 v49, s40, v49
	v_lshlrev_b32_e32 v41, 16, v3
	v_fmac_f32_e32 v32, v43, v37
	v_fmac_f32_e32 v54, v42, v36
	v_lshlrev_b32_e32 v34, 16, v51
	v_fmac_f32_e32 v31, v2, v33
	v_and_b32_e32 v2, 0xffff0000, v3
	v_lshlrev_b32_e32 v3, 16, v72
	v_lshlrev_b32_e32 v33, 16, v59
	v_cvt_pk_bf16_f32 v11, v11, s0
	v_cvt_pk_bf16_f32 v49, v49, s0
	v_mul_f32_e32 v30, s40, v30
	v_fmac_f32_e32 v32, v40, v34
	v_fmac_f32_e32 v35, v41, v3
	;; [unrolled: 1-line block ×3, first 2 shown]
	v_lshlrev_b32_e32 v2, 16, v4
	v_and_b32_e32 v3, 0xffff0000, v4
	v_lshlrev_b32_e32 v4, 16, v52
	v_lshlrev_b32_e32 v33, 16, v58
	v_cvt_pk_bf16_f32 v50, v50, s0
	v_cvt_pk_bf16_f32 v30, v30, s0
	v_mul_f32_e32 v67, s40, v67
	v_fmac_f32_e32 v31, v4, v2
	v_fmac_f32_e32 v32, v33, v3
	v_lshlrev_b32_e32 v2, 16, v5
	v_and_b32_e32 v3, 0xffff0000, v5
	v_lshlrev_b32_e32 v4, 16, v11
	v_lshlrev_b32_e32 v5, 16, v49
	v_cvt_pk_bf16_f32 v67, v67, s0
	v_mul_f32_e32 v10, s40, v10
	v_fmac_f32_e32 v35, v4, v2
	v_fmac_f32_e32 v54, v5, v3
	s_waitcnt lgkmcnt(0)
	v_lshlrev_b32_e32 v2, 16, v12
	v_and_b32_e32 v3, 0xffff0000, v12
	v_lshlrev_b32_e32 v4, 16, v50
	v_lshlrev_b32_e32 v5, 16, v30
	v_cvt_pk_bf16_f32 v10, v10, s0
	v_fmac_f32_e32 v31, v4, v2
	v_fmac_f32_e32 v32, v5, v3
	v_lshlrev_b32_e32 v2, 16, v13
	v_lshlrev_b32_e32 v4, 16, v67
	v_and_b32_e32 v3, 0xffff0000, v13
	v_lshlrev_b32_e32 v5, 16, v10
	v_fmac_f32_e32 v35, v4, v2
	v_add_f32_e32 v2, v31, v32
	v_cndmask_b32_e64 v61, v25, v26, s[0:1]
	v_fmac_f32_e32 v54, v5, v3
	v_add_f32_e32 v2, v2, v35
	v_lshlrev_b32_e32 v61, 2, v61
	v_add_f32_e32 v2, v54, v2
	ds_bpermute_b32 v3, v61, v2
	s_and_saveexec_b64 s[40:41], vcc
	s_cbranch_execz .LBB313_11
; %bb.19:                               ;   in Loop: Header=BB313_13 Depth=1
	v_add_u32_e32 v4, v21, v20
	v_cvt_f32_i32_e32 v4, v4
	s_waitcnt lgkmcnt(0)
	v_add_f32_e32 v2, v2, v3
	v_add_u32_e32 v5, v15, v20
	v_cmp_gt_i32_e64 s[0:1], s33, v5
	v_mul_f32_e32 v3, s44, v4
	v_cndmask_b32_e64 v3, 0, v3, s[2:3]
	v_fmac_f32_e32 v3, s37, v2
	v_cndmask_b32_e64 v2, 0, v3, s[0:1]
	ds_write_b32 v23, v2
	v_max_f32_e32 v2, v17, v17
	v_max_f32_e32 v2, v2, v3
	v_cndmask_b32_e64 v17, v17, v2, s[0:1]
	s_branch .LBB313_11
.LBB313_20:
	s_or_b64 exec, exec, s[38:39]
.LBB313_21:
	s_or_b64 exec, exec, s[18:19]
	v_mbcnt_hi_u32_b32 v2, -1, v14
	v_and_b32_e32 v10, 64, v2
	v_add_u32_e32 v11, 64, v10
	s_waitcnt lgkmcnt(0)
	v_xor_b32_e32 v3, 32, v2
	v_cmp_lt_i32_e32 vcc, v3, v11
	v_xor_b32_e32 v6, 16, v2
	v_max_f32_e32 v5, v17, v17
	v_cndmask_b32_e32 v3, v2, v3, vcc
	v_lshlrev_b32_e32 v3, 2, v3
	ds_bpermute_b32 v4, v3, v17
	v_cmp_lt_i32_e32 vcc, v6, v11
	v_xor_b32_e32 v7, 8, v2
	v_xor_b32_e32 v8, 4, v2
	;; [unrolled: 1-line block ×3, first 2 shown]
	s_waitcnt lgkmcnt(0)
	v_max_f32_e32 v4, v4, v4
	v_max_f32_e32 v4, v5, v4
	v_cndmask_b32_e32 v5, v2, v6, vcc
	v_lshlrev_b32_e32 v5, 2, v5
	ds_bpermute_b32 v6, v5, v4
	v_cmp_lt_i32_e32 vcc, v7, v11
	s_waitcnt lgkmcnt(0)
	v_max_f32_e32 v6, v6, v6
	v_max_f32_e32 v4, v4, v6
	v_cndmask_b32_e32 v6, v2, v7, vcc
	v_lshlrev_b32_e32 v6, 2, v6
	ds_bpermute_b32 v7, v6, v4
	v_cmp_lt_i32_e32 vcc, v8, v11
	;; [unrolled: 7-line block ×3, first 2 shown]
	s_waitcnt lgkmcnt(0)
	v_max_f32_e32 v8, v8, v8
	v_max_f32_e32 v9, v4, v8
	v_cndmask_b32_e32 v4, v2, v12, vcc
	v_lshlrev_b32_e32 v29, 2, v4
	ds_bpermute_b32 v12, v29, v9
	v_and_b32_e32 v4, 63, v0
	v_cmp_eq_u32_e32 vcc, 0, v4
	v_lshlrev_b32_e32 v8, 2, v1
	s_and_saveexec_b64 s[0:1], vcc
	s_cbranch_execz .LBB313_23
; %bb.22:
	s_waitcnt lgkmcnt(0)
	v_max_f32_e32 v12, v12, v12
	v_max_f32_e32 v9, v9, v9
	;; [unrolled: 1-line block ×3, first 2 shown]
	ds_write_b32 v8, v9 offset:240
.LBB313_23:
	s_or_b64 exec, exec, s[0:1]
	v_cmp_gt_u32_e64 s[0:1], 2, v4
	s_waitcnt lgkmcnt(0)
	v_mov_b32_e32 v12, 0xff7fffff
	v_lshlrev_b32_e32 v9, 2, v4
	s_barrier
	s_and_saveexec_b64 s[2:3], s[0:1]
; %bb.24:
	ds_read_b32 v12, v9 offset:240
; %bb.25:
	s_or_b64 exec, exec, s[2:3]
	v_xor_b32_e32 v13, 1, v2
	v_cmp_lt_i32_e64 s[2:3], v13, v11
	v_lshlrev_b32_e32 v10, 2, v10
	s_nop 0
	v_cndmask_b32_e64 v11, v2, v13, s[2:3]
	v_lshlrev_b32_e32 v30, 2, v11
	s_waitcnt lgkmcnt(0)
	ds_bpermute_b32 v11, v30, v12
	v_max_f32_e32 v12, v12, v12
	s_lshl_b32 s2, s20, 5
	s_min_i32 s37, s2, s33
	v_cmp_gt_i32_e64 s[2:3], s37, v0
	s_waitcnt lgkmcnt(0)
	v_max_f32_e32 v11, v11, v11
	v_max_f32_e32 v11, v12, v11
	ds_bpermute_b32 v11, v10, v11
	v_mov_b32_e32 v10, 0
	s_and_saveexec_b64 s[12:13], s[2:3]
	s_cbranch_execz .LBB313_29
; %bb.26:
	v_mov_b32_e32 v10, 0x100
	v_lshl_add_u32 v12, v0, 2, v10
	v_mov_b32_e32 v10, 0
	s_mov_b64 s[18:19], 0
	v_mov_b32_e32 v13, v0
.LBB313_27:                             ; =>This Inner Loop Header: Depth=1
	ds_read_b32 v14, v12
	v_add_u32_e32 v13, 0x80, v13
	v_cmp_le_i32_e64 s[8:9], s37, v13
	s_or_b64 s[18:19], s[8:9], s[18:19]
	s_waitcnt lgkmcnt(0)
	v_sub_f32_e32 v14, v14, v11
	v_mul_f32_e32 v14, 0x3fb8aa3b, v14
	v_exp_f32_e32 v14, v14
	ds_write_b32 v12, v14
	v_add_f32_e32 v10, v10, v14
	v_add_u32_e32 v12, 0x200, v12
	s_andn2_b64 exec, exec, s[18:19]
	s_cbranch_execnz .LBB313_27
; %bb.28:
	s_or_b64 exec, exec, s[18:19]
.LBB313_29:
	s_or_b64 exec, exec, s[12:13]
	ds_bpermute_b32 v3, v3, v10
	s_waitcnt lgkmcnt(0)
	v_add_f32_e32 v3, v10, v3
	ds_bpermute_b32 v5, v5, v3
	s_waitcnt lgkmcnt(0)
	v_add_f32_e32 v3, v3, v5
	;; [unrolled: 3-line block ×6, first 2 shown]
	s_and_saveexec_b64 s[8:9], vcc
; %bb.30:
	ds_write_b32 v8, v3 offset:248
; %bb.31:
	s_or_b64 exec, exec, s[8:9]
	s_waitcnt lgkmcnt(0)
	s_barrier
	s_and_saveexec_b64 s[8:9], s[0:1]
; %bb.32:
	ds_read_b32 v3, v9 offset:248
; %bb.33:
	s_or_b64 exec, exec, s[8:9]
	s_waitcnt lgkmcnt(0)
	ds_bpermute_b32 v5, v30, v3
	v_lshlrev_b32_e32 v2, 2, v2
	v_and_b32_e32 v2, 0x100, v2
	s_waitcnt lgkmcnt(0)
	v_add_f32_e32 v3, v3, v5
	ds_bpermute_b32 v2, v2, v3
	s_and_saveexec_b64 s[0:1], s[2:3]
	s_cbranch_execz .LBB313_46
; %bb.34:
	s_waitcnt lgkmcnt(0)
	v_add_f32_e32 v2, 0x358637bd, v2
	v_div_scale_f32 v3, s[2:3], v2, v2, 1.0
	v_rcp_f32_e32 v5, v3
	v_div_scale_f32 v6, vcc, 1.0, v2, 1.0
	s_movk_i32 s2, 0x7f
	v_fma_f32 v7, -v3, v5, 1.0
	v_fmac_f32_e32 v5, v7, v5
	v_mul_f32_e32 v7, v6, v5
	v_fma_f32 v8, -v3, v7, v6
	v_fmac_f32_e32 v7, v8, v5
	v_fma_f32 v3, -v3, v7, v6
	v_div_fmas_f32 v3, v3, v5, v7
	v_xad_u32 v5, v0, -1, s37
	v_div_fixup_f32 v2, v3, v2, 1.0
	v_cmp_lt_u32_e32 vcc, s2, v5
	s_mov_b64 s[8:9], -1
	v_mov_b32_e32 v3, v0
	s_and_saveexec_b64 s[2:3], vcc
	s_cbranch_execz .LBB313_43
; %bb.35:
	v_lshrrev_b32_e32 v5, 7, v5
	v_add_u32_e32 v7, -1, v5
	v_lshrrev_b32_e32 v6, 1, v7
	v_mov_b32_e32 v3, v2
	v_add_u32_e32 v6, 1, v6
	v_cmp_lt_u32_e32 vcc, 13, v7
	v_mov_b32_e32 v9, 0
	s_and_saveexec_b64 s[8:9], vcc
	s_cbranch_execz .LBB313_39
; %bb.36:
	v_mov_b32_e32 v8, 0x100
	v_and_b32_e32 v7, -8, v6
	v_lshl_add_u32 v8, v0, 2, v8
	s_mov_b32 s18, 0
	s_mov_b64 s[12:13], 0
.LBB313_37:                             ; =>This Inner Loop Header: Depth=1
	ds_read2st64_b32 v[10:11], v8 offset1:2
	ds_read2st64_b32 v[12:13], v8 offset0:4 offset1:6
	ds_read2st64_b32 v[14:15], v8 offset0:8 offset1:10
	;; [unrolled: 1-line block ×3, first 2 shown]
	v_add_u32_e32 v7, -8, v7
	s_waitcnt lgkmcnt(3)
	v_pk_mul_f32 v[10:11], v[2:3], v[10:11]
	s_waitcnt lgkmcnt(2)
	v_pk_mul_f32 v[12:13], v[2:3], v[12:13]
	ds_write2st64_b32 v8, v10, v11 offset1:2
	ds_write2st64_b32 v8, v12, v13 offset0:4 offset1:6
	ds_read2st64_b32 v[12:13], v8 offset0:16 offset1:18
	s_waitcnt lgkmcnt(4)
	v_pk_mul_f32 v[10:11], v[2:3], v[14:15]
	ds_write2st64_b32 v8, v10, v11 offset0:8 offset1:10
	s_waitcnt lgkmcnt(4)
	v_pk_mul_f32 v[10:11], v[2:3], v[16:17]
	ds_write2st64_b32 v8, v10, v11 offset0:12 offset1:14
	ds_read2st64_b32 v[10:11], v8 offset0:20 offset1:22
	s_waitcnt lgkmcnt(3)
	v_pk_mul_f32 v[12:13], v[2:3], v[12:13]
	ds_read2st64_b32 v[14:15], v8 offset0:24 offset1:26
	ds_write2st64_b32 v8, v12, v13 offset0:16 offset1:18
	ds_read2st64_b32 v[12:13], v8 offset0:28 offset1:30
	s_waitcnt lgkmcnt(3)
	v_pk_mul_f32 v[10:11], v[2:3], v[10:11]
	ds_write2st64_b32 v8, v10, v11 offset0:20 offset1:22
	s_waitcnt lgkmcnt(3)
	v_pk_mul_f32 v[10:11], v[2:3], v[14:15]
	ds_write2st64_b32 v8, v10, v11 offset0:24 offset1:26
	s_waitcnt lgkmcnt(2)
	v_pk_mul_f32 v[10:11], v[2:3], v[12:13]
	s_add_i32 s18, s18, 16
	v_cmp_eq_u32_e32 vcc, 0, v7
	ds_write2st64_b32 v8, v10, v11 offset0:28 offset1:30
	v_add_u32_e32 v8, 0x2000, v8
	s_or_b64 s[12:13], vcc, s[12:13]
	v_mov_b32_e32 v9, s18
	s_andn2_b64 exec, exec, s[12:13]
	s_cbranch_execnz .LBB313_37
; %bb.38:
	s_or_b64 exec, exec, s[12:13]
.LBB313_39:
	s_or_b64 exec, exec, s[8:9]
	v_and_b32_e32 v6, 7, v6
	v_cmp_ne_u32_e32 vcc, 0, v6
	s_and_saveexec_b64 s[8:9], vcc
	s_cbranch_execz .LBB313_42
; %bb.40:
	v_lshlrev_b32_e32 v7, 9, v9
	v_lshlrev_b32_e32 v8, 2, v0
	s_movk_i32 s12, 0x100
	v_add3_u32 v7, v7, v8, s12
	s_mov_b64 s[12:13], 0
.LBB313_41:                             ; =>This Inner Loop Header: Depth=1
	ds_read2st64_b32 v[8:9], v7 offset1:2
	v_add_u32_e32 v6, -1, v6
	v_cmp_eq_u32_e32 vcc, 0, v6
	s_or_b64 s[12:13], vcc, s[12:13]
	s_waitcnt lgkmcnt(0)
	v_pk_mul_f32 v[8:9], v[2:3], v[8:9]
	ds_write2st64_b32 v7, v8, v9 offset1:2
	v_add_u32_e32 v7, 0x400, v7
	s_andn2_b64 exec, exec, s[12:13]
	s_cbranch_execnz .LBB313_41
.LBB313_42:
	s_or_b64 exec, exec, s[8:9]
	v_add_u32_e32 v5, 1, v5
	v_and_b32_e32 v6, 0x3fffffe, v5
	v_cmp_ne_u32_e32 vcc, v5, v6
	v_lshl_add_u32 v3, v6, 7, v0
	s_orn2_b64 s[8:9], vcc, exec
.LBB313_43:
	s_or_b64 exec, exec, s[2:3]
	s_and_b64 exec, exec, s[8:9]
	s_cbranch_execz .LBB313_46
; %bb.44:
	v_mov_b32_e32 v5, 0x100
	v_lshl_add_u32 v5, v3, 2, v5
	s_mov_b64 s[2:3], 0
.LBB313_45:                             ; =>This Inner Loop Header: Depth=1
	ds_read_b32 v6, v5
	v_add_u32_e32 v3, 0x80, v3
	v_cmp_le_i32_e32 vcc, s37, v3
	s_or_b64 s[2:3], vcc, s[2:3]
	s_waitcnt lgkmcnt(0)
	v_mul_f32_e32 v6, v2, v6
	ds_write_b32 v5, v6
	v_add_u32_e32 v5, 0x200, v5
	s_andn2_b64 exec, exec, s[2:3]
	s_cbranch_execnz .LBB313_45
.LBB313_46:
	s_or_b64 exec, exec, s[0:1]
	v_lshrrev_b32_e32 v31, 2, v4
	s_waitcnt lgkmcnt(0)
	s_barrier
	s_and_saveexec_b64 s[0:1], s[6:7]
	s_xor_b64 s[0:1], exec, s[0:1]
; %bb.47:
	v_lshrrev_b32_e32 v31, 2, v4
                                        ; implicit-def: $vgpr28
                                        ; implicit-def: $vgpr1
                                        ; implicit-def: $vgpr18
                                        ; implicit-def: $vgpr22
; %bb.48:
	s_or_saveexec_b64 s[6:7], s[0:1]
	v_mov_b32_e32 v11, 0
	v_and_b32_e32 v32, 3, v0
	v_mov_b32_e32 v10, 0
	v_mov_b32_e32 v13, 0
	;; [unrolled: 1-line block ×7, first 2 shown]
	s_xor_b64 exec, exec, s[6:7]
	s_cbranch_execz .LBB313_72
; %bb.49:
	s_sub_i32 s21, s16, s21
	s_ashr_i32 s0, s43, 31
	s_add_u32 s8, s34, s43
	s_addc_u32 s9, s35, s0
	s_abs_i32 s22, s22
	v_cvt_f32_u32_e32 v2, s22
	v_or_b32_e32 v3, 0x70, v31
	s_movk_i32 s0, 0x78
	v_and_b32_e32 v33, 24, v18
	v_rcp_iflag_f32_e32 v2, v2
	v_cmp_gt_u32_e32 vcc, s0, v3
	s_sub_i32 s0, 0, s22
	s_add_i32 s34, s20, -1
	v_mul_f32_e32 v2, 0x4f7ffffe, v2
	v_cvt_u32_f32_e32 v2, v2
	v_lshl_or_b32 v20, v3, 5, v33
	v_mov_b32_e32 v19, 0
	s_mov_b32 s37, s17
	v_mul_lo_u32 v3, s0, v2
	s_lshl_b64 s[0:1], s[30:31], 2
	v_mul_hi_u32 v3, v2, v3
	s_add_u32 s0, s28, s0
	v_add_u32_e32 v34, v2, v3
	v_and_b32_e32 v2, 60, v22
	v_mov_b32_e32 v3, v19
	s_addc_u32 s1, s29, s1
	v_lshl_add_u64 v[22:23], s[0:1], 0, v[2:3]
	v_lshlrev_b32_e32 v2, 5, v32
	v_lshl_or_b32 v2, v1, 7, v2
	v_lshl_or_b32 v18, v31, 5, v33
	v_mov_b32_e32 v21, v19
	v_add_u32_e32 v35, 0x100, v2
	s_mov_b64 s[12:13], 0
	v_mov_b32_e32 v16, v19
	v_mov_b32_e32 v17, v19
	;; [unrolled: 1-line block ×8, first 2 shown]
	s_branch .LBB313_53
.LBB313_50:                             ;   in Loop: Header=BB313_53 Depth=1
	s_or_b64 exec, exec, s[18:19]
	v_and_b32_e32 v52, 0xffff0000, v7
	v_lshlrev_b32_e32 v92, 16, v92
	v_mul_f32_e32 v52, v52, v92
	v_lshlrev_b32_e32 v92, 16, v7
	v_lshlrev_b32_e32 v91, 16, v91
	v_mul_f32_e32 v91, v92, v91
	v_and_b32_e32 v92, 0xffff0000, v6
	v_lshlrev_b32_e32 v25, 16, v25
	v_mul_f32_e32 v25, v92, v25
	v_lshlrev_b32_e32 v92, 16, v6
	v_lshlrev_b32_e32 v24, 16, v24
	v_mul_f32_e32 v24, v92, v24
	v_and_b32_e32 v92, 0xffff0000, v3
	v_lshlrev_b32_e32 v9, 16, v9
	v_mul_f32_e32 v9, v92, v9
	v_lshlrev_b32_e32 v92, 16, v3
	v_lshlrev_b32_e32 v8, 16, v8
	v_mul_f32_e32 v8, v92, v8
	v_and_b32_e32 v92, 0xffff0000, v2
	v_lshlrev_b32_e32 v5, 16, v5
	v_cvt_pk_bf16_f32 v52, v52, s0
	v_cvt_pk_bf16_f32 v91, v91, s0
	;; [unrolled: 1-line block ×4, first 2 shown]
	v_mul_f32_e32 v5, v92, v5
	v_lshlrev_b32_e32 v92, 16, v2
	v_lshlrev_b32_e32 v4, 16, v4
	v_cvt_pk_bf16_f32 v9, v9, s0
	v_cvt_pk_bf16_f32 v8, v8, s0
	v_mul_f32_e32 v4, v92, v4
	v_lshlrev_b32_e32 v91, 16, v91
	v_lshlrev_b32_e32 v52, 16, v52
	;; [unrolled: 1-line block ×4, first 2 shown]
	v_cvt_pk_bf16_f32 v5, v5, s0
	v_cvt_pk_bf16_f32 v4, v4, s0
	v_lshlrev_b32_e32 v8, 16, v8
	v_lshlrev_b32_e32 v9, 16, v9
	v_add_f32_e32 v52, v52, v91
	v_add_f32_e32 v24, v25, v24
	v_lshlrev_b32_e32 v4, 16, v4
	v_lshlrev_b32_e32 v5, 16, v5
	v_add_f32_e32 v24, v24, v52
	v_add_f32_e32 v8, v9, v8
	;; [unrolled: 1-line block ×6, first 2 shown]
.LBB313_51:                             ;   in Loop: Header=BB313_53 Depth=1
	s_or_b64 exec, exec, s[2:3]
	v_and_b32_e32 v4, 0xffff0000, v7
	v_lshlrev_b32_e32 v5, 16, v90
	v_lshlrev_b32_e32 v7, 16, v7
	;; [unrolled: 1-line block ×3, first 2 shown]
	v_mul_f32_e32 v5, v4, v5
	v_mul_f32_e32 v8, v7, v8
	v_and_b32_e32 v9, 0xffff0000, v6
	v_lshlrev_b32_e32 v24, 16, v88
	v_lshlrev_b32_e32 v6, 16, v6
	v_lshlrev_b32_e32 v25, 16, v87
	v_cvt_pk_bf16_f32 v5, v5, s0
	v_cvt_pk_bf16_f32 v8, v8, s0
	v_mul_f32_e32 v24, v9, v24
	v_mul_f32_e32 v25, v6, v25
	v_cvt_pk_bf16_f32 v24, v24, s0
	v_cvt_pk_bf16_f32 v25, v25, s0
	v_and_b32_e32 v52, 0xffff0000, v3
	v_lshlrev_b32_e32 v86, 16, v86
	v_lshlrev_b32_e32 v3, 16, v3
	;; [unrolled: 1-line block ×5, first 2 shown]
	v_mul_f32_e32 v86, v52, v86
	v_mul_f32_e32 v85, v3, v85
	v_add_f32_e32 v5, v8, v5
	v_lshlrev_b32_e32 v8, 16, v25
	v_lshlrev_b32_e32 v24, 16, v24
	v_cvt_pk_bf16_f32 v86, v86, s0
	v_cvt_pk_bf16_f32 v85, v85, s0
	v_and_b32_e32 v87, 0xffff0000, v2
	v_lshlrev_b32_e32 v27, 16, v27
	v_lshlrev_b32_e32 v2, 16, v2
	;; [unrolled: 1-line block ×3, first 2 shown]
	v_add_f32_e32 v8, v8, v24
	v_mul_f32_e32 v27, v87, v27
	v_mul_f32_e32 v26, v2, v26
	v_add_f32_e32 v5, v8, v5
	v_lshlrev_b32_e32 v8, 16, v85
	v_lshlrev_b32_e32 v24, 16, v86
	v_cvt_pk_bf16_f32 v27, v27, s0
	v_cvt_pk_bf16_f32 v26, v26, s0
	v_add_f32_e32 v8, v8, v24
	v_add_f32_e32 v5, v8, v5
	v_lshlrev_b32_e32 v8, 16, v26
	v_lshlrev_b32_e32 v24, 16, v27
	v_add_f32_e32 v8, v8, v24
	v_add_f32_e32 v5, v8, v5
	v_add_f32_e32 v10, v10, v5
	v_lshlrev_b32_e32 v5, 16, v84
	v_lshlrev_b32_e32 v8, 16, v83
	v_mul_f32_e32 v5, v4, v5
	v_mul_f32_e32 v8, v7, v8
	v_lshlrev_b32_e32 v24, 16, v82
	v_lshlrev_b32_e32 v25, 16, v81
	v_cvt_pk_bf16_f32 v5, v5, s0
	v_cvt_pk_bf16_f32 v8, v8, s0
	v_mul_f32_e32 v24, v9, v24
	v_mul_f32_e32 v25, v6, v25
	v_cvt_pk_bf16_f32 v24, v24, s0
	v_cvt_pk_bf16_f32 v25, v25, s0
	v_lshlrev_b32_e32 v26, 16, v80
	v_lshlrev_b32_e32 v27, 16, v79
	v_lshlrev_b32_e32 v8, 16, v8
	v_lshlrev_b32_e32 v5, 16, v5
	v_mul_f32_e32 v26, v52, v26
	v_mul_f32_e32 v27, v3, v27
	v_add_f32_e32 v5, v8, v5
	v_lshlrev_b32_e32 v8, 16, v25
	v_lshlrev_b32_e32 v24, 16, v24
	v_cvt_pk_bf16_f32 v26, v26, s0
	v_cvt_pk_bf16_f32 v27, v27, s0
	v_lshlrev_b32_e32 v78, 16, v78
	v_lshlrev_b32_e32 v77, 16, v77
	v_add_f32_e32 v8, v8, v24
	v_mul_f32_e32 v78, v87, v78
	v_mul_f32_e32 v77, v2, v77
	v_add_f32_e32 v5, v8, v5
	v_lshlrev_b32_e32 v8, 16, v27
	v_lshlrev_b32_e32 v24, 16, v26
	v_cvt_pk_bf16_f32 v78, v78, s0
	v_cvt_pk_bf16_f32 v77, v77, s0
	v_add_f32_e32 v8, v8, v24
	v_add_f32_e32 v5, v8, v5
	v_lshlrev_b32_e32 v8, 16, v77
	v_lshlrev_b32_e32 v24, 16, v78
	v_add_f32_e32 v8, v8, v24
	v_add_f32_e32 v5, v8, v5
	v_add_f32_e32 v13, v13, v5
	v_lshlrev_b32_e32 v5, 16, v76
	v_lshlrev_b32_e32 v8, 16, v75
	v_mul_f32_e32 v5, v4, v5
	v_mul_f32_e32 v8, v7, v8
	v_lshlrev_b32_e32 v24, 16, v74
	v_lshlrev_b32_e32 v25, 16, v73
	v_cvt_pk_bf16_f32 v5, v5, s0
	v_cvt_pk_bf16_f32 v8, v8, s0
	v_mul_f32_e32 v24, v9, v24
	v_mul_f32_e32 v25, v6, v25
	v_cvt_pk_bf16_f32 v24, v24, s0
	v_cvt_pk_bf16_f32 v25, v25, s0
	v_lshlrev_b32_e32 v26, 16, v72
	v_lshlrev_b32_e32 v27, 16, v71
	v_lshlrev_b32_e32 v8, 16, v8
	v_lshlrev_b32_e32 v5, 16, v5
	v_mul_f32_e32 v26, v52, v26
	v_mul_f32_e32 v27, v3, v27
	v_add_f32_e32 v5, v8, v5
	v_lshlrev_b32_e32 v8, 16, v25
	v_lshlrev_b32_e32 v24, 16, v24
	v_cvt_pk_bf16_f32 v26, v26, s0
	v_cvt_pk_bf16_f32 v27, v27, s0
	v_lshlrev_b32_e32 v70, 16, v70
	v_lshlrev_b32_e32 v69, 16, v69
	;; [unrolled: 40-line block ×5, first 2 shown]
	v_add_f32_e32 v8, v8, v24
	v_mul_f32_e32 v45, v87, v45
	v_mul_f32_e32 v44, v2, v44
	v_add_f32_e32 v5, v8, v5
	v_lshlrev_b32_e32 v8, 16, v27
	v_lshlrev_b32_e32 v24, 16, v26
	v_cvt_pk_bf16_f32 v45, v45, s0
	v_cvt_pk_bf16_f32 v44, v44, s0
	v_add_f32_e32 v8, v8, v24
	v_add_f32_e32 v5, v8, v5
	v_lshlrev_b32_e32 v8, 16, v44
	v_lshlrev_b32_e32 v24, 16, v45
	v_add_f32_e32 v8, v8, v24
	v_add_f32_e32 v5, v8, v5
	;; [unrolled: 1-line block ×3, first 2 shown]
	v_lshlrev_b32_e32 v5, 16, v43
	v_mul_f32_e32 v4, v4, v5
	v_lshlrev_b32_e32 v5, 16, v42
	v_mul_f32_e32 v5, v7, v5
	v_lshlrev_b32_e32 v7, 16, v41
	v_lshlrev_b32_e32 v8, 16, v40
	v_cvt_pk_bf16_f32 v4, v4, s0
	v_cvt_pk_bf16_f32 v5, v5, s0
	v_mul_f32_e32 v7, v9, v7
	v_mul_f32_e32 v6, v6, v8
	v_cvt_pk_bf16_f32 v7, v7, s0
	v_cvt_pk_bf16_f32 v6, v6, s0
	v_lshlrev_b32_e32 v8, 16, v39
	v_lshlrev_b32_e32 v9, 16, v38
	;; [unrolled: 1-line block ×4, first 2 shown]
	v_mul_f32_e32 v8, v52, v8
	v_mul_f32_e32 v3, v3, v9
	v_add_f32_e32 v4, v5, v4
	v_lshlrev_b32_e32 v5, 16, v6
	v_lshlrev_b32_e32 v6, 16, v7
	v_cvt_pk_bf16_f32 v8, v8, s0
	v_cvt_pk_bf16_f32 v3, v3, s0
	v_lshlrev_b32_e32 v9, 16, v37
	v_lshlrev_b32_e32 v24, 16, v36
	v_add_f32_e32 v5, v5, v6
	v_mul_f32_e32 v9, v87, v9
	v_mul_f32_e32 v2, v2, v24
	v_add_f32_e32 v4, v5, v4
	v_lshlrev_b32_e32 v3, 16, v3
	v_lshlrev_b32_e32 v5, 16, v8
	v_cvt_pk_bf16_f32 v9, v9, s0
	v_cvt_pk_bf16_f32 v2, v2, s0
	v_add_f32_e32 v3, v3, v5
	v_add_f32_e32 v3, v3, v4
	v_lshlrev_b32_e32 v2, 16, v2
	v_lshlrev_b32_e32 v4, 16, v9
	v_add_f32_e32 v2, v2, v4
	v_add_f32_e32 v2, v2, v3
	v_add_f32_e32 v16, v16, v2
.LBB313_52:                             ;   in Loop: Header=BB313_53 Depth=1
	s_or_b64 exec, exec, s[16:17]
	v_add_u32_e32 v1, 2, v1
	v_cmp_le_i32_e64 s[0:1], s20, v1
	v_lshl_add_u64 v[22:23], v[22:23], 0, 8
	v_add_u32_e32 v28, 64, v28
	s_or_b64 s[12:13], s[0:1], s[12:13]
	v_add_u32_e32 v35, 0x100, v35
	s_andn2_b64 exec, exec, s[12:13]
	s_cbranch_execz .LBB313_71
.LBB313_53:                             ; =>This Inner Loop Header: Depth=1
	v_mul_hi_u32 v2, v28, s42
	v_mul_lo_u32 v3, v2, s25
	v_sub_u32_e32 v3, v28, v3
	v_add_u32_e32 v4, 1, v2
	v_cmp_le_u32_e64 s[0:1], s25, v3
	s_nop 1
	v_cndmask_b32_e64 v2, v2, v4, s[0:1]
	v_subrev_u32_e32 v4, s25, v3
	v_cndmask_b32_e64 v3, v3, v4, s[0:1]
	v_add_u32_e32 v4, 1, v2
	v_cmp_le_u32_e64 s[0:1], s25, v3
	s_nop 1
	v_cndmask_b32_e64 v2, v2, v4, s[0:1]
	v_xor_b32_e32 v2, s23, v2
	v_subrev_u32_e32 v2, s23, v2
	v_add_u32_e32 v3, s36, v2
	v_sub_u32_e32 v5, 0, v3
	v_ashrrev_i32_e32 v4, 31, v3
	v_max_i32_e32 v3, v3, v5
	v_mul_hi_u32 v5, v3, v34
	v_mul_lo_u32 v5, v5, s22
	v_sub_u32_e32 v3, v3, v5
	v_subrev_u32_e32 v5, s22, v3
	v_cmp_le_u32_e64 s[0:1], s22, v3
	v_cmp_lt_i32_e64 s[2:3], s21, v2
	s_nop 0
	v_cndmask_b32_e64 v3, v3, v5, s[0:1]
	v_subrev_u32_e32 v5, s22, v3
	v_cmp_le_u32_e64 s[0:1], s22, v3
	s_nop 1
	v_cndmask_b32_e64 v3, v3, v5, s[0:1]
	v_xor_b32_e32 v3, v3, v4
	v_sub_u32_e32 v3, v3, v4
	v_cmp_eq_u32_e64 s[0:1], 0, v3
	s_or_b64 s[0:1], s[0:1], s[2:3]
	s_and_saveexec_b64 s[16:17], s[0:1]
	s_cbranch_execz .LBB313_52
; %bb.54:                               ;   in Loop: Header=BB313_53 Depth=1
	global_load_dword v4, v[22:23], off
	v_mov_b64_e32 v[2:3], s[8:9]
	v_add_u32_e32 v52, v33, v28
	s_waitcnt vmcnt(0)
	v_mad_i64_i32 v[24:25], s[0:1], v4, s37, v[2:3]
	v_lshl_add_u64 v[26:27], v[24:25], 0, v[18:19]
	global_load_dwordx2 v[36:37], v[26:27], off
	ds_read2_b64 v[6:9], v35 offset1:1
	ds_read2_b64 v[2:5], v35 offset0:2 offset1:3
	s_load_dword s28, s[14:15], 0x0
	v_cmp_eq_u32_e64 s[0:1], s34, v1
	s_waitcnt vmcnt(0)
	v_and_b32_e32 v38, 0xff, v36
	v_bfe_u32 v39, v36, 8, 8
	v_bfe_u32 v40, v36, 16, 8
	v_lshrrev_b32_e32 v36, 24, v36
	v_and_b32_e32 v41, 0xff, v37
	v_bfe_u32 v42, v37, 8, 8
	v_bfe_u32 v43, v37, 16, 8
	v_lshrrev_b32_e32 v37, 24, v37
	v_cvt_f32_fp8_e32 v38, v38
	v_cvt_f32_fp8_e32 v39, v39
	v_cvt_f32_fp8_e32 v40, v40
	v_cvt_f32_fp8_e32 v36, v36
	v_cvt_f32_fp8_e32 v41, v41
	v_cvt_f32_fp8_e32 v42, v42
	v_cvt_f32_fp8_e32 v43, v43
	v_cvt_f32_fp8_e32 v37, v37
	s_waitcnt lgkmcnt(0)
	v_mul_f32_e32 v38, s28, v38
	v_mul_f32_e32 v39, s28, v39
	;; [unrolled: 1-line block ×8, first 2 shown]
	v_cvt_pk_bf16_f32 v42, v38, s0
	v_cvt_pk_bf16_f32 v43, v39, s0
	;; [unrolled: 1-line block ×8, first 2 shown]
	s_and_saveexec_b64 s[18:19], s[0:1]
	s_cbranch_execz .LBB313_56
; %bb.55:                               ;   in Loop: Header=BB313_53 Depth=1
	v_cmp_gt_i32_e64 s[2:3], s33, v52
	v_add_u32_e32 v44, 1, v52
	s_nop 0
	v_cndmask_b32_e64 v42, 0, v42, s[2:3]
	v_cmp_gt_i32_e64 s[2:3], s33, v44
	v_add_u32_e32 v44, 2, v52
	s_nop 0
	v_cndmask_b32_e64 v43, 0, v43, s[2:3]
	;; [unrolled: 4-line block ×7, first 2 shown]
	v_cmp_gt_i32_e64 s[2:3], s33, v44
	s_nop 1
	v_cndmask_b32_e64 v37, 0, v37, s[2:3]
.LBB313_56:                             ;   in Loop: Header=BB313_53 Depth=1
	s_or_b64 exec, exec, s[18:19]
	global_load_dwordx2 v[44:45], v[26:27], off offset:512
	s_waitcnt vmcnt(0)
	v_and_b32_e32 v46, 0xff, v44
	v_bfe_u32 v47, v44, 8, 8
	v_bfe_u32 v48, v44, 16, 8
	v_lshrrev_b32_e32 v44, 24, v44
	v_and_b32_e32 v49, 0xff, v45
	v_bfe_u32 v50, v45, 8, 8
	v_bfe_u32 v51, v45, 16, 8
	v_lshrrev_b32_e32 v45, 24, v45
	v_cvt_f32_fp8_e32 v46, v46
	v_cvt_f32_fp8_e32 v47, v47
	;; [unrolled: 1-line block ×8, first 2 shown]
	v_mul_f32_e32 v46, s28, v46
	v_mul_f32_e32 v47, s28, v47
	;; [unrolled: 1-line block ×8, first 2 shown]
	v_cvt_pk_bf16_f32 v50, v46, s0
	v_cvt_pk_bf16_f32 v51, v47, s0
	;; [unrolled: 1-line block ×8, first 2 shown]
	s_and_saveexec_b64 s[18:19], s[0:1]
	s_cbranch_execz .LBB313_58
; %bb.57:                               ;   in Loop: Header=BB313_53 Depth=1
	v_cmp_gt_i32_e64 s[2:3], s33, v52
	v_add_u32_e32 v53, 1, v52
	s_nop 0
	v_cndmask_b32_e64 v50, 0, v50, s[2:3]
	v_cmp_gt_i32_e64 s[2:3], s33, v53
	v_add_u32_e32 v53, 2, v52
	s_nop 0
	v_cndmask_b32_e64 v51, 0, v51, s[2:3]
	;; [unrolled: 4-line block ×7, first 2 shown]
	v_cmp_gt_i32_e64 s[2:3], s33, v53
	s_nop 1
	v_cndmask_b32_e64 v45, 0, v45, s[2:3]
.LBB313_58:                             ;   in Loop: Header=BB313_53 Depth=1
	s_or_b64 exec, exec, s[18:19]
	global_load_dwordx2 v[54:55], v[26:27], off offset:1024
	s_waitcnt vmcnt(0)
	v_and_b32_e32 v53, 0xff, v54
	v_bfe_u32 v56, v54, 8, 8
	v_bfe_u32 v57, v54, 16, 8
	v_lshrrev_b32_e32 v54, 24, v54
	v_and_b32_e32 v58, 0xff, v55
	v_bfe_u32 v59, v55, 8, 8
	v_bfe_u32 v60, v55, 16, 8
	v_lshrrev_b32_e32 v55, 24, v55
	v_cvt_f32_fp8_e32 v53, v53
	v_cvt_f32_fp8_e32 v56, v56
	;; [unrolled: 1-line block ×8, first 2 shown]
	v_mul_f32_e32 v53, s28, v53
	v_mul_f32_e32 v56, s28, v56
	;; [unrolled: 1-line block ×8, first 2 shown]
	v_cvt_pk_bf16_f32 v59, v53, s0
	v_cvt_pk_bf16_f32 v60, v56, s0
	;; [unrolled: 1-line block ×8, first 2 shown]
	s_and_saveexec_b64 s[18:19], s[0:1]
	s_cbranch_execz .LBB313_60
; %bb.59:                               ;   in Loop: Header=BB313_53 Depth=1
	v_cmp_gt_i32_e64 s[2:3], s33, v52
	v_add_u32_e32 v61, 1, v52
	s_nop 0
	v_cndmask_b32_e64 v59, 0, v59, s[2:3]
	v_cmp_gt_i32_e64 s[2:3], s33, v61
	v_add_u32_e32 v61, 2, v52
	s_nop 0
	v_cndmask_b32_e64 v60, 0, v60, s[2:3]
	;; [unrolled: 4-line block ×7, first 2 shown]
	v_cmp_gt_i32_e64 s[2:3], s33, v61
	s_nop 1
	v_cndmask_b32_e64 v54, 0, v54, s[2:3]
.LBB313_60:                             ;   in Loop: Header=BB313_53 Depth=1
	s_or_b64 exec, exec, s[18:19]
	global_load_dwordx2 v[62:63], v[26:27], off offset:1536
	s_waitcnt vmcnt(0)
	v_and_b32_e32 v61, 0xff, v62
	v_bfe_u32 v64, v62, 8, 8
	v_bfe_u32 v65, v62, 16, 8
	v_lshrrev_b32_e32 v62, 24, v62
	v_and_b32_e32 v66, 0xff, v63
	v_bfe_u32 v67, v63, 8, 8
	v_bfe_u32 v68, v63, 16, 8
	v_lshrrev_b32_e32 v63, 24, v63
	v_cvt_f32_fp8_e32 v61, v61
	v_cvt_f32_fp8_e32 v64, v64
	v_cvt_f32_fp8_e32 v65, v65
	v_cvt_f32_fp8_e32 v62, v62
	v_cvt_f32_fp8_e32 v66, v66
	v_cvt_f32_fp8_e32 v67, v67
	v_cvt_f32_fp8_e32 v68, v68
	v_cvt_f32_fp8_e32 v63, v63
	v_mul_f32_e32 v61, s28, v61
	v_mul_f32_e32 v64, s28, v64
	;; [unrolled: 1-line block ×8, first 2 shown]
	v_cvt_pk_bf16_f32 v67, v61, s0
	v_cvt_pk_bf16_f32 v68, v64, s0
	v_cvt_pk_bf16_f32 v65, v65, s0
	v_cvt_pk_bf16_f32 v66, v62, s0
	v_cvt_pk_bf16_f32 v63, v69, s0
	v_cvt_pk_bf16_f32 v64, v70, s0
	v_cvt_pk_bf16_f32 v61, v71, s0
	v_cvt_pk_bf16_f32 v62, v72, s0
	s_and_saveexec_b64 s[18:19], s[0:1]
	s_cbranch_execz .LBB313_62
; %bb.61:                               ;   in Loop: Header=BB313_53 Depth=1
	v_cmp_gt_i32_e64 s[2:3], s33, v52
	v_add_u32_e32 v69, 1, v52
	s_nop 0
	v_cndmask_b32_e64 v67, 0, v67, s[2:3]
	v_cmp_gt_i32_e64 s[2:3], s33, v69
	v_add_u32_e32 v69, 2, v52
	s_nop 0
	v_cndmask_b32_e64 v68, 0, v68, s[2:3]
	;; [unrolled: 4-line block ×7, first 2 shown]
	v_cmp_gt_i32_e64 s[2:3], s33, v69
	s_nop 1
	v_cndmask_b32_e64 v62, 0, v62, s[2:3]
.LBB313_62:                             ;   in Loop: Header=BB313_53 Depth=1
	s_or_b64 exec, exec, s[18:19]
	global_load_dwordx2 v[70:71], v[26:27], off offset:2048
	s_waitcnt vmcnt(0)
	v_and_b32_e32 v69, 0xff, v70
	v_bfe_u32 v72, v70, 8, 8
	v_bfe_u32 v73, v70, 16, 8
	v_lshrrev_b32_e32 v70, 24, v70
	v_and_b32_e32 v74, 0xff, v71
	v_bfe_u32 v75, v71, 8, 8
	v_bfe_u32 v76, v71, 16, 8
	v_lshrrev_b32_e32 v71, 24, v71
	v_cvt_f32_fp8_e32 v69, v69
	v_cvt_f32_fp8_e32 v72, v72
	;; [unrolled: 1-line block ×8, first 2 shown]
	v_mul_f32_e32 v69, s28, v69
	v_mul_f32_e32 v72, s28, v72
	;; [unrolled: 1-line block ×8, first 2 shown]
	v_cvt_pk_bf16_f32 v75, v69, s0
	v_cvt_pk_bf16_f32 v76, v72, s0
	;; [unrolled: 1-line block ×8, first 2 shown]
	s_and_saveexec_b64 s[18:19], s[0:1]
	s_cbranch_execz .LBB313_64
; %bb.63:                               ;   in Loop: Header=BB313_53 Depth=1
	v_cmp_gt_i32_e64 s[2:3], s33, v52
	v_add_u32_e32 v77, 1, v52
	s_nop 0
	v_cndmask_b32_e64 v75, 0, v75, s[2:3]
	v_cmp_gt_i32_e64 s[2:3], s33, v77
	v_add_u32_e32 v77, 2, v52
	s_nop 0
	v_cndmask_b32_e64 v76, 0, v76, s[2:3]
	;; [unrolled: 4-line block ×7, first 2 shown]
	v_cmp_gt_i32_e64 s[2:3], s33, v77
	s_nop 1
	v_cndmask_b32_e64 v70, 0, v70, s[2:3]
.LBB313_64:                             ;   in Loop: Header=BB313_53 Depth=1
	s_or_b64 exec, exec, s[18:19]
	global_load_dwordx2 v[78:79], v[26:27], off offset:2560
	s_waitcnt vmcnt(0)
	v_and_b32_e32 v77, 0xff, v78
	v_bfe_u32 v80, v78, 8, 8
	v_bfe_u32 v81, v78, 16, 8
	v_lshrrev_b32_e32 v78, 24, v78
	v_and_b32_e32 v82, 0xff, v79
	v_bfe_u32 v83, v79, 8, 8
	v_bfe_u32 v84, v79, 16, 8
	v_lshrrev_b32_e32 v79, 24, v79
	v_cvt_f32_fp8_e32 v77, v77
	v_cvt_f32_fp8_e32 v80, v80
	;; [unrolled: 1-line block ×8, first 2 shown]
	v_mul_f32_e32 v77, s28, v77
	v_mul_f32_e32 v80, s28, v80
	;; [unrolled: 1-line block ×8, first 2 shown]
	v_cvt_pk_bf16_f32 v83, v77, s0
	v_cvt_pk_bf16_f32 v84, v80, s0
	v_cvt_pk_bf16_f32 v81, v81, s0
	v_cvt_pk_bf16_f32 v82, v78, s0
	v_cvt_pk_bf16_f32 v79, v85, s0
	v_cvt_pk_bf16_f32 v80, v86, s0
	v_cvt_pk_bf16_f32 v77, v87, s0
	v_cvt_pk_bf16_f32 v78, v88, s0
	s_and_saveexec_b64 s[18:19], s[0:1]
	s_cbranch_execz .LBB313_66
; %bb.65:                               ;   in Loop: Header=BB313_53 Depth=1
	v_cmp_gt_i32_e64 s[2:3], s33, v52
	v_add_u32_e32 v85, 1, v52
	s_nop 0
	v_cndmask_b32_e64 v83, 0, v83, s[2:3]
	v_cmp_gt_i32_e64 s[2:3], s33, v85
	v_add_u32_e32 v85, 2, v52
	s_nop 0
	v_cndmask_b32_e64 v84, 0, v84, s[2:3]
	;; [unrolled: 4-line block ×7, first 2 shown]
	v_cmp_gt_i32_e64 s[2:3], s33, v85
	s_nop 1
	v_cndmask_b32_e64 v78, 0, v78, s[2:3]
.LBB313_66:                             ;   in Loop: Header=BB313_53 Depth=1
	s_or_b64 exec, exec, s[18:19]
	global_load_dwordx2 v[26:27], v[26:27], off offset:3072
	s_waitcnt vmcnt(0)
	v_and_b32_e32 v85, 0xff, v26
	v_bfe_u32 v86, v26, 8, 8
	v_bfe_u32 v87, v26, 16, 8
	v_lshrrev_b32_e32 v26, 24, v26
	v_and_b32_e32 v88, 0xff, v27
	v_bfe_u32 v89, v27, 8, 8
	v_bfe_u32 v90, v27, 16, 8
	v_lshrrev_b32_e32 v27, 24, v27
	v_cvt_f32_fp8_e32 v85, v85
	v_cvt_f32_fp8_e32 v86, v86
	;; [unrolled: 1-line block ×8, first 2 shown]
	v_mul_f32_e32 v85, s28, v85
	v_mul_f32_e32 v86, s28, v86
	;; [unrolled: 1-line block ×8, first 2 shown]
	v_cvt_pk_bf16_f32 v89, v85, s0
	v_cvt_pk_bf16_f32 v90, v86, s0
	;; [unrolled: 1-line block ×8, first 2 shown]
	s_and_saveexec_b64 s[18:19], s[0:1]
	s_cbranch_execz .LBB313_68
; %bb.67:                               ;   in Loop: Header=BB313_53 Depth=1
	v_cmp_gt_i32_e64 s[2:3], s33, v52
	v_add_u32_e32 v91, 1, v52
	s_nop 0
	v_cndmask_b32_e64 v89, 0, v89, s[2:3]
	v_cmp_gt_i32_e64 s[2:3], s33, v91
	v_add_u32_e32 v91, 2, v52
	s_nop 0
	v_cndmask_b32_e64 v90, 0, v90, s[2:3]
	;; [unrolled: 4-line block ×7, first 2 shown]
	v_cmp_gt_i32_e64 s[2:3], s33, v91
	s_nop 1
	v_cndmask_b32_e64 v27, 0, v27, s[2:3]
.LBB313_68:                             ;   in Loop: Header=BB313_53 Depth=1
	s_or_b64 exec, exec, s[18:19]
	v_cvt_pk_bf16_f32 v7, v6, v7
	v_cvt_pk_bf16_f32 v6, v8, v9
	;; [unrolled: 1-line block ×4, first 2 shown]
	s_and_saveexec_b64 s[2:3], vcc
	s_cbranch_execz .LBB313_51
; %bb.69:                               ;   in Loop: Header=BB313_53 Depth=1
	v_lshl_add_u64 v[4:5], v[24:25], 0, v[20:21]
	global_load_dwordx2 v[4:5], v[4:5], off
	s_waitcnt vmcnt(0)
	v_and_b32_e32 v8, 0xff, v4
	v_bfe_u32 v9, v4, 8, 8
	v_bfe_u32 v24, v4, 16, 8
	v_lshrrev_b32_e32 v4, 24, v4
	v_and_b32_e32 v25, 0xff, v5
	v_bfe_u32 v91, v5, 8, 8
	v_bfe_u32 v92, v5, 16, 8
	v_lshrrev_b32_e32 v5, 24, v5
	v_cvt_f32_fp8_e32 v8, v8
	v_cvt_f32_fp8_e32 v9, v9
	;; [unrolled: 1-line block ×8, first 2 shown]
	v_mul_f32_e32 v8, s28, v8
	v_mul_f32_e32 v9, s28, v9
	;; [unrolled: 1-line block ×8, first 2 shown]
	v_cvt_pk_bf16_f32 v91, v8, s0
	v_cvt_pk_bf16_f32 v92, v9, s0
	v_cvt_pk_bf16_f32 v24, v24, s0
	v_cvt_pk_bf16_f32 v25, v4, s0
	v_cvt_pk_bf16_f32 v8, v93, s0
	v_cvt_pk_bf16_f32 v9, v94, s0
	v_cvt_pk_bf16_f32 v4, v95, s0
	v_cvt_pk_bf16_f32 v5, v5, s0
	s_and_saveexec_b64 s[18:19], s[0:1]
	s_cbranch_execz .LBB313_50
; %bb.70:                               ;   in Loop: Header=BB313_53 Depth=1
	v_cmp_gt_i32_e64 s[0:1], s33, v52
	v_add_u32_e32 v93, 1, v52
	s_nop 0
	v_cndmask_b32_e64 v91, 0, v91, s[0:1]
	v_cmp_gt_i32_e64 s[0:1], s33, v93
	v_add_u32_e32 v93, 2, v52
	s_nop 0
	v_cndmask_b32_e64 v92, 0, v92, s[0:1]
	;; [unrolled: 4-line block ×5, first 2 shown]
	v_cmp_gt_i32_e64 s[0:1], s33, v93
	v_add_u32_e32 v93, 6, v52
	v_add_u32_e32 v52, 7, v52
	v_cndmask_b32_e64 v9, 0, v9, s[0:1]
	v_cmp_gt_i32_e64 s[0:1], s33, v93
	s_nop 1
	v_cndmask_b32_e64 v4, 0, v4, s[0:1]
	v_cmp_gt_i32_e64 s[0:1], s33, v52
	s_nop 1
	v_cndmask_b32_e64 v5, 0, v5, s[0:1]
	s_branch .LBB313_50
.LBB313_71:
	s_or_b64 exec, exec, s[12:13]
.LBB313_72:
	s_or_b64 exec, exec, s[6:7]
	ds_bpermute_b32 v2, v29, v16
	ds_bpermute_b32 v3, v29, v17
	;; [unrolled: 1-line block ×6, first 2 shown]
	s_waitcnt lgkmcnt(4)
	v_pk_add_f32 v[2:3], v[16:17], v[2:3]
	ds_bpermute_b32 v16, v29, v10
	ds_bpermute_b32 v17, v29, v11
	s_waitcnt lgkmcnt(4)
	v_pk_add_f32 v[4:5], v[14:15], v[4:5]
	s_waitcnt lgkmcnt(2)
	v_pk_add_f32 v[12:13], v[12:13], v[8:9]
	ds_bpermute_b32 v6, v30, v2
	ds_bpermute_b32 v7, v30, v3
	s_waitcnt lgkmcnt(2)
	v_pk_add_f32 v[10:11], v[10:11], v[16:17]
	ds_bpermute_b32 v14, v30, v4
	ds_bpermute_b32 v15, v30, v5
	;; [unrolled: 1-line block ×6, first 2 shown]
	v_and_b32_e32 v1, 0x3c0, v0
	s_waitcnt lgkmcnt(6)
	v_pk_add_f32 v[8:9], v[2:3], v[6:7]
	s_waitcnt lgkmcnt(4)
	v_pk_add_f32 v[6:7], v[4:5], v[14:15]
	s_waitcnt lgkmcnt(2)
	v_pk_add_f32 v[4:5], v[12:13], v[18:19]
	s_waitcnt lgkmcnt(0)
	v_pk_add_f32 v[2:3], v[10:11], v[16:17]
	v_cmp_eq_u32_e64 s[0:1], 64, v1
	v_cmp_eq_u32_e32 vcc, 0, v32
	s_barrier
	s_and_saveexec_b64 s[2:3], s[0:1]
	s_cbranch_execz .LBB313_77
; %bb.73:
	s_and_saveexec_b64 s[0:1], vcc
	s_cbranch_execz .LBB313_75
; %bb.74:
	v_mov_b32_e32 v1, 0x100
	v_lshl_add_u32 v1, v31, 2, v1
	ds_write2_b32 v1, v8, v9 offset1:16
	ds_write2_b32 v1, v6, v7 offset0:32 offset1:48
	ds_write2_b32 v1, v4, v5 offset0:64 offset1:80
	ds_write_b32 v1, v2 offset:384
.LBB313_75:
	s_or_b64 exec, exec, s[0:1]
	v_or_b32_e32 v1, 0x70, v31
	s_movk_i32 s0, 0x78
	v_cmp_gt_u32_e64 s[0:1], s0, v1
	s_and_b64 s[0:1], vcc, s[0:1]
	s_and_b64 exec, exec, s[0:1]
; %bb.76:
	v_mov_b32_e32 v1, 0x100
	v_lshl_add_u32 v1, v31, 2, v1
	ds_write_b32 v1, v3 offset:448
.LBB313_77:
	s_or_b64 exec, exec, s[2:3]
	v_cmp_gt_u32_e64 s[0:1], 64, v0
	v_lshrrev_b32_e32 v0, 2, v0
	s_waitcnt lgkmcnt(0)
	s_barrier
	s_and_saveexec_b64 s[6:7], s[0:1]
	s_cbranch_execz .LBB313_95
; %bb.78:
	s_and_saveexec_b64 s[2:3], vcc
	s_cbranch_execz .LBB313_80
; %bb.79:
	v_mov_b32_e32 v1, 0x100
	v_lshl_add_u32 v1, v0, 2, v1
	ds_read_b32 v1, v1
	s_waitcnt lgkmcnt(0)
	v_add_f32_e32 v8, v8, v1
.LBB313_80:
	s_or_b64 exec, exec, s[2:3]
	v_or_b32_e32 v1, 16, v0
	s_movk_i32 s8, 0x78
	v_cmp_gt_u32_e64 s[2:3], s8, v1
	s_and_b64 s[12:13], vcc, s[2:3]
	s_and_saveexec_b64 s[2:3], s[12:13]
	s_cbranch_execz .LBB313_82
; %bb.81:
	v_mov_b32_e32 v1, 0x100
	v_lshl_add_u32 v1, v0, 2, v1
	ds_read_b32 v1, v1 offset:64
	s_waitcnt lgkmcnt(0)
	v_add_f32_e32 v9, v9, v1
.LBB313_82:
	s_or_b64 exec, exec, s[2:3]
	v_or_b32_e32 v1, 32, v0
	v_cmp_gt_u32_e64 s[2:3], s8, v1
	s_and_b64 s[8:9], vcc, s[2:3]
	s_and_saveexec_b64 s[2:3], s[8:9]
	s_cbranch_execz .LBB313_84
; %bb.83:
	v_mov_b32_e32 v1, 0x100
	v_lshl_add_u32 v1, v0, 2, v1
	ds_read_b32 v1, v1 offset:128
	s_waitcnt lgkmcnt(0)
	v_add_f32_e32 v6, v6, v1
.LBB313_84:
	s_or_b64 exec, exec, s[2:3]
	v_or_b32_e32 v1, 48, v0
	s_movk_i32 s8, 0x78
	v_cmp_gt_u32_e64 s[2:3], s8, v1
	s_and_b64 s[12:13], vcc, s[2:3]
	s_and_saveexec_b64 s[2:3], s[12:13]
	s_cbranch_execz .LBB313_86
; %bb.85:
	v_mov_b32_e32 v1, 0x100
	v_lshl_add_u32 v1, v0, 2, v1
	ds_read_b32 v1, v1 offset:192
	s_waitcnt lgkmcnt(0)
	v_add_f32_e32 v7, v7, v1
.LBB313_86:
	s_or_b64 exec, exec, s[2:3]
	v_or_b32_e32 v1, 64, v0
	v_cmp_gt_u32_e64 s[2:3], s8, v1
	s_and_b64 s[8:9], vcc, s[2:3]
	s_and_saveexec_b64 s[2:3], s[8:9]
	s_cbranch_execz .LBB313_88
; %bb.87:
	v_mov_b32_e32 v1, 0x100
	v_lshl_add_u32 v1, v0, 2, v1
	ds_read_b32 v1, v1 offset:256
	s_waitcnt lgkmcnt(0)
	v_add_f32_e32 v4, v4, v1
.LBB313_88:
	;; [unrolled: 27-line block ×3, first 2 shown]
	s_or_b64 exec, exec, s[2:3]
	v_or_b32_e32 v1, 0x70, v0
	s_movk_i32 s2, 0x78
	v_cmp_gt_u32_e64 s[2:3], s2, v1
	s_and_b64 s[8:9], vcc, s[2:3]
	s_and_saveexec_b64 s[2:3], s[8:9]
	s_cbranch_execz .LBB313_94
; %bb.93:
	v_mov_b32_e32 v1, 0x100
	v_lshl_add_u32 v1, v0, 2, v1
	ds_read_b32 v1, v1 offset:448
	s_waitcnt lgkmcnt(0)
	v_add_f32_e32 v3, v3, v1
.LBB313_94:
	s_or_b64 exec, exec, s[2:3]
.LBB313_95:
	s_or_b64 exec, exec, s[6:7]
	s_barrier
	s_and_saveexec_b64 s[2:3], s[0:1]
	s_cbranch_execz .LBB313_112
; %bb.96:
	s_mul_i32 s0, s10, s11
	s_mul_i32 s0, s0, s5
	s_mulk_i32 s0, 0x78
	s_ashr_i32 s1, s0, 31
	s_lshl_b64 s[0:1], s[0:1], 1
	s_add_u32 s2, s26, s0
	s_mul_i32 s0, s11, s24
	s_addc_u32 s3, s27, s1
	s_ashr_i32 s1, s0, 31
	s_lshl_b64 s[0:1], s[0:1], 1
	s_add_u32 s2, s2, s0
	s_mul_i32 s0, s4, 0x78
	s_addc_u32 s3, s3, s1
	s_ashr_i32 s1, s0, 31
	s_lshl_b64 s[0:1], s[0:1], 1
	s_add_u32 s2, s2, s0
	s_movk_i32 s5, 0x78
	s_addc_u32 s3, s3, s1
	v_lshlrev_b32_e32 v1, 1, v0
	s_and_saveexec_b64 s[0:1], vcc
	s_cbranch_execz .LBB313_98
; %bb.97:
	v_cvt_pk_bf16_f32 v8, v8, s0
	global_store_short v1, v8, s[2:3]
.LBB313_98:
	s_or_b64 exec, exec, s[0:1]
	v_or_b32_e32 v8, 16, v0
	v_cmp_gt_u32_e64 s[0:1], s5, v8
	s_and_b64 s[4:5], vcc, s[0:1]
	s_and_saveexec_b64 s[0:1], s[4:5]
	s_cbranch_execz .LBB313_100
; %bb.99:
	v_cvt_pk_bf16_f32 v8, v9, s0
	global_store_short v1, v8, s[2:3] offset:32
.LBB313_100:
	s_or_b64 exec, exec, s[0:1]
	v_or_b32_e32 v8, 32, v0
	s_movk_i32 s4, 0x78
	v_cmp_gt_u32_e64 s[0:1], s4, v8
	s_and_b64 s[6:7], vcc, s[0:1]
	s_and_saveexec_b64 s[0:1], s[6:7]
	s_cbranch_execz .LBB313_102
; %bb.101:
	v_cvt_pk_bf16_f32 v6, v6, s0
	global_store_short v1, v6, s[2:3] offset:64
.LBB313_102:
	s_or_b64 exec, exec, s[0:1]
	v_or_b32_e32 v6, 48, v0
	v_cmp_gt_u32_e64 s[0:1], s4, v6
	s_and_b64 s[4:5], vcc, s[0:1]
	s_and_saveexec_b64 s[0:1], s[4:5]
	s_cbranch_execz .LBB313_104
; %bb.103:
	v_cvt_pk_bf16_f32 v6, v7, s0
	global_store_short v1, v6, s[2:3] offset:96
.LBB313_104:
	s_or_b64 exec, exec, s[0:1]
	v_or_b32_e32 v6, 64, v0
	s_movk_i32 s4, 0x78
	v_cmp_gt_u32_e64 s[0:1], s4, v6
	s_and_b64 s[6:7], vcc, s[0:1]
	s_and_saveexec_b64 s[0:1], s[6:7]
	s_cbranch_execz .LBB313_106
; %bb.105:
	v_cvt_pk_bf16_f32 v4, v4, s0
	global_store_short v1, v4, s[2:3] offset:128
.LBB313_106:
	s_or_b64 exec, exec, s[0:1]
	v_or_b32_e32 v4, 0x50, v0
	v_cmp_gt_u32_e64 s[0:1], s4, v4
	s_and_b64 s[4:5], vcc, s[0:1]
	s_and_saveexec_b64 s[0:1], s[4:5]
	s_cbranch_execz .LBB313_108
; %bb.107:
	v_cvt_pk_bf16_f32 v4, v5, s0
	global_store_short v1, v4, s[2:3] offset:160
.LBB313_108:
	s_or_b64 exec, exec, s[0:1]
	v_or_b32_e32 v4, 0x60, v0
	s_movk_i32 s4, 0x78
	v_cmp_gt_u32_e64 s[0:1], s4, v4
	s_and_b64 s[6:7], vcc, s[0:1]
	s_and_saveexec_b64 s[0:1], s[6:7]
	s_cbranch_execz .LBB313_110
; %bb.109:
	v_cvt_pk_bf16_f32 v2, v2, s0
	global_store_short v1, v2, s[2:3] offset:192
.LBB313_110:
	s_or_b64 exec, exec, s[0:1]
	v_or_b32_e32 v0, 0x70, v0
	v_cmp_gt_u32_e64 s[0:1], s4, v0
	s_and_b64 s[0:1], vcc, s[0:1]
	s_and_b64 exec, exec, s[0:1]
	s_cbranch_execz .LBB313_112
; %bb.111:
	v_cvt_pk_bf16_f32 v0, v3, s0
	global_store_short v1, v0, s[2:3] offset:224
.LBB313_112:
	s_endpgm
	.section	.rodata,"a",@progbits
	.p2align	6, 0x0
	.amdhsa_kernel _ZN4vllm25paged_attention_v1_kernelI14__hip_bfloat16hLi120ELi32ELi128ELNS_18Fp8KVCacheDataTypeE1ELb1EEEvPT_PKS3_PKT0_S9_ifPKiSB_iPKfiiiSD_SD_iiiii
		.amdhsa_group_segment_fixed_size 256
		.amdhsa_private_segment_fixed_size 0
		.amdhsa_kernarg_size 384
		.amdhsa_user_sgpr_count 2
		.amdhsa_user_sgpr_dispatch_ptr 0
		.amdhsa_user_sgpr_queue_ptr 0
		.amdhsa_user_sgpr_kernarg_segment_ptr 1
		.amdhsa_user_sgpr_dispatch_id 0
		.amdhsa_user_sgpr_kernarg_preload_length 0
		.amdhsa_user_sgpr_kernarg_preload_offset 0
		.amdhsa_user_sgpr_private_segment_size 0
		.amdhsa_uses_dynamic_stack 0
		.amdhsa_enable_private_segment 0
		.amdhsa_system_sgpr_workgroup_id_x 1
		.amdhsa_system_sgpr_workgroup_id_y 1
		.amdhsa_system_sgpr_workgroup_id_z 1
		.amdhsa_system_sgpr_workgroup_info 0
		.amdhsa_system_vgpr_workitem_id 0
		.amdhsa_next_free_vgpr 106
		.amdhsa_next_free_sgpr 48
		.amdhsa_accum_offset 108
		.amdhsa_reserve_vcc 1
		.amdhsa_float_round_mode_32 0
		.amdhsa_float_round_mode_16_64 0
		.amdhsa_float_denorm_mode_32 3
		.amdhsa_float_denorm_mode_16_64 3
		.amdhsa_dx10_clamp 1
		.amdhsa_ieee_mode 1
		.amdhsa_fp16_overflow 0
		.amdhsa_tg_split 0
		.amdhsa_exception_fp_ieee_invalid_op 0
		.amdhsa_exception_fp_denorm_src 0
		.amdhsa_exception_fp_ieee_div_zero 0
		.amdhsa_exception_fp_ieee_overflow 0
		.amdhsa_exception_fp_ieee_underflow 0
		.amdhsa_exception_fp_ieee_inexact 0
		.amdhsa_exception_int_div_zero 0
	.end_amdhsa_kernel
	.section	.text._ZN4vllm25paged_attention_v1_kernelI14__hip_bfloat16hLi120ELi32ELi128ELNS_18Fp8KVCacheDataTypeE1ELb1EEEvPT_PKS3_PKT0_S9_ifPKiSB_iPKfiiiSD_SD_iiiii,"axG",@progbits,_ZN4vllm25paged_attention_v1_kernelI14__hip_bfloat16hLi120ELi32ELi128ELNS_18Fp8KVCacheDataTypeE1ELb1EEEvPT_PKS3_PKT0_S9_ifPKiSB_iPKfiiiSD_SD_iiiii,comdat
.Lfunc_end313:
	.size	_ZN4vllm25paged_attention_v1_kernelI14__hip_bfloat16hLi120ELi32ELi128ELNS_18Fp8KVCacheDataTypeE1ELb1EEEvPT_PKS3_PKT0_S9_ifPKiSB_iPKfiiiSD_SD_iiiii, .Lfunc_end313-_ZN4vllm25paged_attention_v1_kernelI14__hip_bfloat16hLi120ELi32ELi128ELNS_18Fp8KVCacheDataTypeE1ELb1EEEvPT_PKS3_PKT0_S9_ifPKiSB_iPKfiiiSD_SD_iiiii
                                        ; -- End function
	.set _ZN4vllm25paged_attention_v1_kernelI14__hip_bfloat16hLi120ELi32ELi128ELNS_18Fp8KVCacheDataTypeE1ELb1EEEvPT_PKS3_PKT0_S9_ifPKiSB_iPKfiiiSD_SD_iiiii.num_vgpr, 106
	.set _ZN4vllm25paged_attention_v1_kernelI14__hip_bfloat16hLi120ELi32ELi128ELNS_18Fp8KVCacheDataTypeE1ELb1EEEvPT_PKS3_PKT0_S9_ifPKiSB_iPKfiiiSD_SD_iiiii.num_agpr, 0
	.set _ZN4vllm25paged_attention_v1_kernelI14__hip_bfloat16hLi120ELi32ELi128ELNS_18Fp8KVCacheDataTypeE1ELb1EEEvPT_PKS3_PKT0_S9_ifPKiSB_iPKfiiiSD_SD_iiiii.numbered_sgpr, 48
	.set _ZN4vllm25paged_attention_v1_kernelI14__hip_bfloat16hLi120ELi32ELi128ELNS_18Fp8KVCacheDataTypeE1ELb1EEEvPT_PKS3_PKT0_S9_ifPKiSB_iPKfiiiSD_SD_iiiii.num_named_barrier, 0
	.set _ZN4vllm25paged_attention_v1_kernelI14__hip_bfloat16hLi120ELi32ELi128ELNS_18Fp8KVCacheDataTypeE1ELb1EEEvPT_PKS3_PKT0_S9_ifPKiSB_iPKfiiiSD_SD_iiiii.private_seg_size, 0
	.set _ZN4vllm25paged_attention_v1_kernelI14__hip_bfloat16hLi120ELi32ELi128ELNS_18Fp8KVCacheDataTypeE1ELb1EEEvPT_PKS3_PKT0_S9_ifPKiSB_iPKfiiiSD_SD_iiiii.uses_vcc, 1
	.set _ZN4vllm25paged_attention_v1_kernelI14__hip_bfloat16hLi120ELi32ELi128ELNS_18Fp8KVCacheDataTypeE1ELb1EEEvPT_PKS3_PKT0_S9_ifPKiSB_iPKfiiiSD_SD_iiiii.uses_flat_scratch, 0
	.set _ZN4vllm25paged_attention_v1_kernelI14__hip_bfloat16hLi120ELi32ELi128ELNS_18Fp8KVCacheDataTypeE1ELb1EEEvPT_PKS3_PKT0_S9_ifPKiSB_iPKfiiiSD_SD_iiiii.has_dyn_sized_stack, 0
	.set _ZN4vllm25paged_attention_v1_kernelI14__hip_bfloat16hLi120ELi32ELi128ELNS_18Fp8KVCacheDataTypeE1ELb1EEEvPT_PKS3_PKT0_S9_ifPKiSB_iPKfiiiSD_SD_iiiii.has_recursion, 0
	.set _ZN4vllm25paged_attention_v1_kernelI14__hip_bfloat16hLi120ELi32ELi128ELNS_18Fp8KVCacheDataTypeE1ELb1EEEvPT_PKS3_PKT0_S9_ifPKiSB_iPKfiiiSD_SD_iiiii.has_indirect_call, 0
	.section	.AMDGPU.csdata,"",@progbits
; Kernel info:
; codeLenInByte = 12112
; TotalNumSgprs: 54
; NumVgprs: 106
; NumAgprs: 0
; TotalNumVgprs: 106
; ScratchSize: 0
; MemoryBound: 0
; FloatMode: 240
; IeeeMode: 1
; LDSByteSize: 256 bytes/workgroup (compile time only)
; SGPRBlocks: 6
; VGPRBlocks: 13
; NumSGPRsForWavesPerEU: 54
; NumVGPRsForWavesPerEU: 106
; AccumOffset: 108
; Occupancy: 4
; WaveLimiterHint : 1
; COMPUTE_PGM_RSRC2:SCRATCH_EN: 0
; COMPUTE_PGM_RSRC2:USER_SGPR: 2
; COMPUTE_PGM_RSRC2:TRAP_HANDLER: 0
; COMPUTE_PGM_RSRC2:TGID_X_EN: 1
; COMPUTE_PGM_RSRC2:TGID_Y_EN: 1
; COMPUTE_PGM_RSRC2:TGID_Z_EN: 1
; COMPUTE_PGM_RSRC2:TIDIG_COMP_CNT: 0
; COMPUTE_PGM_RSRC3_GFX90A:ACCUM_OFFSET: 26
; COMPUTE_PGM_RSRC3_GFX90A:TG_SPLIT: 0
	.section	.text._ZN4vllm25paged_attention_v1_kernelI14__hip_bfloat16hLi128ELi32ELi128ELNS_18Fp8KVCacheDataTypeE1ELb1EEEvPT_PKS3_PKT0_S9_ifPKiSB_iPKfiiiSD_SD_iiiii,"axG",@progbits,_ZN4vllm25paged_attention_v1_kernelI14__hip_bfloat16hLi128ELi32ELi128ELNS_18Fp8KVCacheDataTypeE1ELb1EEEvPT_PKS3_PKT0_S9_ifPKiSB_iPKfiiiSD_SD_iiiii,comdat
	.protected	_ZN4vllm25paged_attention_v1_kernelI14__hip_bfloat16hLi128ELi32ELi128ELNS_18Fp8KVCacheDataTypeE1ELb1EEEvPT_PKS3_PKT0_S9_ifPKiSB_iPKfiiiSD_SD_iiiii ; -- Begin function _ZN4vllm25paged_attention_v1_kernelI14__hip_bfloat16hLi128ELi32ELi128ELNS_18Fp8KVCacheDataTypeE1ELb1EEEvPT_PKS3_PKT0_S9_ifPKiSB_iPKfiiiSD_SD_iiiii
	.globl	_ZN4vllm25paged_attention_v1_kernelI14__hip_bfloat16hLi128ELi32ELi128ELNS_18Fp8KVCacheDataTypeE1ELb1EEEvPT_PKS3_PKT0_S9_ifPKiSB_iPKfiiiSD_SD_iiiii
	.p2align	8
	.type	_ZN4vllm25paged_attention_v1_kernelI14__hip_bfloat16hLi128ELi32ELi128ELNS_18Fp8KVCacheDataTypeE1ELb1EEEvPT_PKS3_PKT0_S9_ifPKiSB_iPKfiiiSD_SD_iiiii,@function
_ZN4vllm25paged_attention_v1_kernelI14__hip_bfloat16hLi128ELi32ELi128ELNS_18Fp8KVCacheDataTypeE1ELb1EEEvPT_PKS3_PKT0_S9_ifPKiSB_iPKfiiiSD_SD_iiiii: ; @_ZN4vllm25paged_attention_v1_kernelI14__hip_bfloat16hLi128ELi32ELi128ELNS_18Fp8KVCacheDataTypeE1ELb1EEEvPT_PKS3_PKT0_S9_ifPKiSB_iPKfiiiSD_SD_iiiii
; %bb.0:
	s_load_dword s5, s[0:1], 0x80
	s_load_dwordx2 s[6:7], s[0:1], 0x30
	s_load_dwordx2 s[36:37], s[0:1], 0x20
	s_mov_b32 s10, s3
	s_ashr_i32 s11, s3, 31
	s_lshl_b64 s[8:9], s[10:11], 2
	s_waitcnt lgkmcnt(0)
	s_add_u32 s6, s6, s8
	s_addc_u32 s7, s7, s9
	s_abs_i32 s3, s36
	v_cvt_f32_u32_e32 v1, s3
	s_sub_i32 s11, 0, s3
	s_abs_i32 s9, s5
	s_xor_b32 s8, s5, s36
	v_rcp_iflag_f32_e32 v1, v1
	s_ashr_i32 s8, s8, 31
	s_mov_b32 s44, 0
	v_mul_f32_e32 v1, 0x4f7ffffe, v1
	v_cvt_u32_f32_e32 v1, v1
	s_nop 0
	v_readfirstlane_b32 s12, v1
	s_mul_i32 s11, s11, s12
	s_mul_hi_u32 s11, s12, s11
	s_add_i32 s12, s12, s11
	s_mul_hi_u32 s11, s9, s12
	s_mul_i32 s12, s11, s3
	s_sub_i32 s9, s9, s12
	s_add_i32 s12, s11, 1
	s_sub_i32 s13, s9, s3
	s_cmp_ge_u32 s9, s3
	s_cselect_b32 s11, s12, s11
	s_cselect_b32 s9, s13, s9
	s_add_i32 s12, s11, 1
	s_cmp_ge_u32 s9, s3
	s_cselect_b32 s3, s12, s11
	s_xor_b32 s3, s3, s8
	s_sub_i32 s14, s3, s8
	s_abs_i32 s11, s14
	v_cvt_f32_u32_e32 v1, s11
	s_load_dwordx2 s[8:9], s[0:1], 0x40
	s_sub_i32 s3, 0, s11
	s_abs_i32 s12, s2
	v_rcp_iflag_f32_e32 v1, v1
	s_nop 0
	v_mul_f32_e32 v1, 0x4f7ffffe, v1
	v_cvt_u32_f32_e32 v1, v1
	s_nop 0
	v_readfirstlane_b32 s13, v1
	s_mul_i32 s3, s3, s13
	s_mul_hi_u32 s3, s13, s3
	s_add_i32 s13, s13, s3
	s_waitcnt lgkmcnt(0)
	s_cmp_eq_u64 s[8:9], 0
	s_mul_hi_u32 s13, s12, s13
	s_cbranch_scc1 .LBB314_2
; %bb.1:
	s_ashr_i32 s3, s2, 31
	s_lshl_b64 s[16:17], s[2:3], 2
	s_add_u32 s8, s8, s16
	s_addc_u32 s9, s9, s17
	s_load_dword s44, s[8:9], 0x0
.LBB314_2:
	s_load_dword s33, s[6:7], 0x0
	s_load_dwordx4 s[16:19], s[0:1], 0x48
	s_ashr_i32 s8, s2, 31
	s_ashr_i32 s9, s14, 31
	v_and_b32_e32 v2, 1, v0
	s_lshl_b32 s24, s2, 7
	v_cmp_gt_u32_e32 vcc, 32, v0
	v_lshlrev_b32_e32 v41, 3, v0
	s_and_saveexec_b64 s[6:7], vcc
	s_cbranch_execz .LBB314_4
; %bb.3:
	s_load_dwordx2 s[14:15], s[0:1], 0x8
	s_waitcnt lgkmcnt(0)
	s_mul_i32 s20, s16, s10
	s_ashr_i32 s21, s20, 31
	s_lshl_b64 s[20:21], s[20:21], 1
	v_lshlrev_b32_e32 v1, 2, v0
	s_add_u32 s3, s14, s20
	s_addc_u32 s16, s15, s21
	s_ashr_i32 s25, s24, 31
	s_lshl_b64 s[14:15], s[24:25], 1
	s_add_u32 s14, s3, s14
	s_addc_u32 s15, s16, s15
	global_load_dwordx2 v[4:5], v41, s[14:15]
	v_and_b32_e32 v1, 0xff8, v1
	v_lshl_add_u32 v1, v2, 7, v1
	s_waitcnt vmcnt(0)
	ds_write_b64 v1, v[4:5]
.LBB314_4:
	s_or_b64 exec, exec, s[6:7]
	s_mul_i32 s7, s13, s11
	s_sub_i32 s7, s12, s7
	s_xor_b32 s6, s8, s9
	s_add_i32 s8, s13, 1
	s_sub_i32 s9, s7, s11
	s_load_dwordx4 s[20:23], s[0:1], 0x68
	s_load_dword s3, s[0:1], 0x78
	s_cmp_ge_u32 s7, s11
	s_cselect_b32 s8, s8, s13
	s_cselect_b32 s7, s9, s7
	s_add_i32 s9, s8, 1
	s_cmp_ge_u32 s7, s11
	s_cselect_b32 s7, s9, s8
	s_waitcnt lgkmcnt(0)
	s_abs_i32 s16, s23
	v_cvt_f32_u32_e32 v1, s16
	s_xor_b32 s7, s7, s6
	s_sub_i32 s43, s7, s6
	s_sub_i32 s6, 0, s16
	v_rcp_iflag_f32_e32 v1, v1
	s_add_i32 s11, s33, -1
	s_abs_i32 s8, s11
	v_mul_f32_e32 v1, 0x4f7ffffe, v1
	v_cvt_u32_f32_e32 v1, v1
	s_barrier
	v_readfirstlane_b32 s25, v1
	s_mul_i32 s6, s6, s25
	s_mul_hi_u32 s6, s25, s6
	s_add_i32 s25, s25, s6
	s_cmp_lt_i32 s3, 0
	s_mul_hi_u32 s9, s8, s25
	s_cbranch_scc0 .LBB314_6
; %bb.5:
	s_mul_i32 s6, s20, s36
	s_add_i32 s6, s43, s6
	s_mul_i32 s6, s6, s3
	s_sub_i32 s36, 1, s6
	s_mov_b64 s[6:7], 0
	s_branch .LBB314_7
.LBB314_6:
	s_mov_b64 s[6:7], -1
                                        ; implicit-def: $sgpr36
.LBB314_7:
	s_load_dwordx2 s[28:29], s[0:1], 0x28
	s_ashr_i32 s19, s11, 31
	s_andn2_b64 vcc, exec, s[6:7]
	s_ashr_i32 s23, s23, 31
	s_cbranch_vccnz .LBB314_9
; %bb.8:
	s_mul_i32 s6, s5, s20
	s_add_i32 s2, s6, s2
	s_mul_i32 s2, s2, s3
	s_add_i32 s36, s2, 1
.LBB314_9:
	s_load_dword s2, s[0:1], 0x38
	s_load_dwordx2 s[26:27], s[0:1], 0x0
	s_load_dwordx2 s[34:35], s[0:1], 0x18
	s_load_dword s11, s[0:1], 0x88
	s_load_dwordx4 s[12:15], s[0:1], 0x58
	s_mul_i32 s3, s9, s16
	s_waitcnt lgkmcnt(0)
	s_mul_i32 s30, s2, s10
	s_sub_i32 s3, s8, s3
	s_ashr_i32 s31, s30, 31
	s_xor_b32 s2, s19, s23
	s_add_i32 s6, s9, 1
	s_sub_i32 s7, s3, s16
	s_cmp_ge_u32 s3, s16
	s_cselect_b32 s6, s6, s9
	s_cselect_b32 s3, s7, s3
	s_add_i32 s7, s6, 1
	s_cmp_ge_u32 s3, s16
	s_cselect_b32 s3, s7, s6
	s_xor_b32 s3, s3, s2
	s_sub_i32 s42, s3, s2
	s_add_i32 s2, s33, 31
	s_ashr_i32 s3, s2, 31
	s_lshr_b32 s3, s3, 27
	s_add_i32 s2, s2, s3
	s_ashr_i32 s20, s2, 5
	v_lshrrev_b32_e32 v1, 6, v0
	v_cmp_gt_i32_e64 s[6:7], s20, v1
	v_mov_b32_e32 v46, 0xff7fffff
	s_mul_i32 s43, s43, s18
	v_lshrrev_b32_e32 v42, 4, v0
	v_lshlrev_b32_e32 v40, 5, v1
	v_mbcnt_lo_u32_b32 v43, -1, 0
	s_and_saveexec_b64 s[18:19], s[6:7]
	s_cbranch_execz .LBB314_21
; %bb.10:
	s_load_dwordx2 s[0:1], s[0:1], 0x10
	s_sub_i32 s45, s42, s21
	s_ashr_i32 s2, s43, 31
	v_bfe_u32 v44, v0, 1, 5
	v_mov_b32_e32 v5, 0
	s_waitcnt lgkmcnt(0)
	s_add_u32 s0, s0, s43
	s_addc_u32 s1, s1, s2
	s_abs_i32 s46, s22
	v_cvt_f32_u32_e32 v3, s46
	v_lshlrev_b32_e32 v4, 4, v44
	v_lshl_add_u64 v[6:7], s[0:1], 0, v[4:5]
	s_sub_i32 s0, 0, s46
	v_rcp_iflag_f32_e32 v3, v3
	v_cmp_eq_u32_e32 vcc, 0, v2
	v_lshlrev_b32_e32 v45, 7, v2
	v_lshlrev_b32_e32 v4, 2, v2
	v_mul_f32_e32 v3, 0x4f7ffffe, v3
	v_cvt_u32_f32_e32 v3, v3
	v_mbcnt_hi_u32_b32 v52, -1, v43
	v_lshl_add_u64 v[34:35], v[6:7], 0, v[4:5]
	v_and_b32_e32 v4, 60, v42
	v_mul_lo_u32 v2, s0, v3
	v_mul_hi_u32 v2, v3, v2
	v_add_u32_e32 v47, v3, v2
	v_subrev_u32_e32 v2, s33, v44
	s_lshl_b64 s[0:1], s[30:31], 2
	v_add_u32_e32 v49, 1, v2
	v_lshlrev_b32_e32 v2, 2, v44
	s_add_u32 s0, s28, s0
	v_lshl_or_b32 v2, v1, 7, v2
	s_addc_u32 s1, s29, s1
	v_add_u32_e32 v50, 0x110, v2
	v_and_b32_e32 v2, 64, v52
	s_mov_b32 s47, s17
	v_cmp_neq_f32_e64 s[2:3], s44, 0
	v_lshl_add_u64 v[36:37], s[0:1], 0, v[4:5]
	v_lshlrev_b32_e32 v48, 5, v1
	v_mov_b32_e32 v51, 0xff7fffff
	s_mov_b64 s[38:39], 0
	v_xor_b32_e32 v53, 1, v52
	v_add_u32_e32 v54, 64, v2
	v_mov_b32_e32 v46, 0xff7fffff
	v_mov_b32_e32 v55, v1
	s_branch .LBB314_13
.LBB314_11:                             ;   in Loop: Header=BB314_13 Depth=1
	s_or_b64 exec, exec, s[40:41]
.LBB314_12:                             ;   in Loop: Header=BB314_13 Depth=1
	s_or_b64 exec, exec, s[8:9]
	v_add_u32_e32 v55, 2, v55
	v_cmp_le_i32_e64 s[0:1], s20, v55
	v_lshl_add_u64 v[36:37], v[36:37], 0, 8
	v_add_u32_e32 v48, 64, v48
	s_or_b64 s[38:39], s[0:1], s[38:39]
	v_add_u32_e32 v50, 0x100, v50
	s_andn2_b64 exec, exec, s[38:39]
	s_cbranch_execz .LBB314_20
.LBB314_13:                             ; =>This Inner Loop Header: Depth=1
	v_mul_hi_u32 v2, v48, s25
	s_waitcnt lgkmcnt(0)
	v_mul_lo_u32 v3, v2, s16
	v_sub_u32_e32 v3, v48, v3
	v_add_u32_e32 v4, 1, v2
	v_cmp_le_u32_e64 s[0:1], s16, v3
	s_nop 1
	v_cndmask_b32_e64 v2, v2, v4, s[0:1]
	v_subrev_u32_e32 v4, s16, v3
	v_cndmask_b32_e64 v3, v3, v4, s[0:1]
	v_add_u32_e32 v4, 1, v2
	v_cmp_le_u32_e64 s[0:1], s16, v3
	s_nop 1
	v_cndmask_b32_e64 v2, v2, v4, s[0:1]
	v_xor_b32_e32 v2, s23, v2
	v_subrev_u32_e32 v2, s23, v2
	v_add_u32_e32 v3, s36, v2
	v_sub_u32_e32 v5, 0, v3
	v_ashrrev_i32_e32 v4, 31, v3
	v_max_i32_e32 v3, v3, v5
	v_mul_hi_u32 v5, v3, v47
	v_mul_lo_u32 v5, v5, s46
	v_sub_u32_e32 v3, v3, v5
	v_subrev_u32_e32 v5, s46, v3
	v_cmp_le_u32_e64 s[0:1], s46, v3
	v_cmp_ge_i32_e64 s[8:9], s45, v2
	s_nop 0
	v_cndmask_b32_e64 v3, v3, v5, s[0:1]
	v_subrev_u32_e32 v5, s46, v3
	v_cmp_le_u32_e64 s[0:1], s46, v3
	s_nop 1
	v_cndmask_b32_e64 v3, v3, v5, s[0:1]
	v_xor_b32_e32 v3, v3, v4
	v_sub_u32_e32 v3, v3, v4
	v_cmp_ne_u32_e64 s[0:1], 0, v3
	s_and_b64 s[0:1], s[0:1], s[8:9]
	s_and_saveexec_b64 s[8:9], s[0:1]
	s_xor_b64 s[0:1], exec, s[8:9]
	s_cbranch_execz .LBB314_17
; %bb.14:                               ;   in Loop: Header=BB314_13 Depth=1
	s_and_saveexec_b64 s[8:9], vcc
; %bb.15:                               ;   in Loop: Header=BB314_13 Depth=1
	ds_write_b32 v50, v51
; %bb.16:                               ;   in Loop: Header=BB314_13 Depth=1
	s_or_b64 exec, exec, s[8:9]
.LBB314_17:                             ;   in Loop: Header=BB314_13 Depth=1
	s_andn2_saveexec_b64 s[8:9], s[0:1]
	s_cbranch_execz .LBB314_12
; %bb.18:                               ;   in Loop: Header=BB314_13 Depth=1
	global_load_dword v2, v[36:37], off
	s_waitcnt vmcnt(0)
	v_mad_i64_i32 v[38:39], s[0:1], v2, s47, v[34:35]
	global_load_dword v69, v[38:39], off offset:8
	global_load_dword v68, v[38:39], off offset:512
	;; [unrolled: 1-line block ×7, first 2 shown]
	global_load_dword v71, v[38:39], off
	ds_read_b128 v[30:33], v45
	ds_read_b128 v[26:29], v45 offset:16
	ds_read_b128 v[22:25], v45 offset:32
	;; [unrolled: 1-line block ×5, first 2 shown]
	s_load_dword s40, s[12:13], 0x0
	s_waitcnt lgkmcnt(0)
	v_lshlrev_b32_e32 v83, 16, v23
	v_lshlrev_b32_e32 v87, 16, v19
	;; [unrolled: 1-line block ×7, first 2 shown]
	v_and_b32_e32 v89, 0xffff0000, v23
	v_and_b32_e32 v91, 0xffff0000, v19
	v_and_b32_e32 v92, 0xffff0000, v20
	v_and_b32_e32 v23, 0xffff0000, v21
	v_and_b32_e32 v21, 0xffff0000, v15
	v_and_b32_e32 v15, 0xffff0000, v10
	v_and_b32_e32 v10, 0xffff0000, v13
	v_lshlrev_b32_e32 v86, 16, v18
	v_lshlrev_b32_e32 v65, 16, v16
	;; [unrolled: 1-line block ×3, first 2 shown]
	v_and_b32_e32 v90, 0xffff0000, v18
	v_and_b32_e32 v18, 0xffff0000, v16
	;; [unrolled: 1-line block ×3, first 2 shown]
	v_lshlrev_b32_e32 v77, 16, v33
	v_and_b32_e32 v33, 0xffff0000, v33
	v_lshlrev_b32_e32 v75, 16, v31
	v_and_b32_e32 v31, 0xffff0000, v31
	;; [unrolled: 2-line block ×6, first 2 shown]
	v_lshlrev_b32_e32 v81, 16, v29
	v_lshlrev_b32_e32 v80, 16, v28
	v_and_b32_e32 v28, 0xffff0000, v28
	v_and_b32_e32 v88, 0xffff0000, v22
	ds_read_b128 v[2:5], v45 offset:96
	ds_read_b128 v[6:9], v45 offset:112
	v_lshlrev_b32_e32 v82, 16, v22
	v_lshlrev_b32_e32 v84, 16, v24
	v_and_b32_e32 v29, 0xffff0000, v29
	v_and_b32_e32 v24, 0xffff0000, v24
	v_lshlrev_b32_e32 v85, 16, v25
	v_and_b32_e32 v25, 0xffff0000, v25
	v_lshlrev_b32_e32 v70, 16, v14
	v_and_b32_e32 v22, 0xffff0000, v14
	v_and_b32_e32 v14, 0xffff0000, v11
	v_lshlrev_b32_e32 v62, 16, v11
	v_lshlrev_b32_e32 v61, 16, v12
	v_and_b32_e32 v12, 0xffff0000, v12
	s_waitcnt lgkmcnt(1)
	v_and_b32_e32 v11, 0xffff0000, v2
	v_lshlrev_b32_e32 v2, 16, v2
	s_waitcnt vmcnt(7)
	v_and_b32_e32 v13, 0xff, v69
	v_bfe_u32 v19, v69, 8, 8
	v_bfe_u32 v93, v69, 16, 8
	v_lshrrev_b32_e32 v69, 24, v69
	v_cvt_f32_fp8_e32 v69, v69
	s_waitcnt vmcnt(6)
	v_and_b32_e32 v95, 0xff, v68
	v_bfe_u32 v96, v68, 8, 8
	s_waitcnt vmcnt(0)
	v_bfe_u32 v20, v71, 8, 8
	v_and_b32_e32 v17, 0xff, v71
	v_bfe_u32 v94, v71, 16, 8
	v_lshrrev_b32_e32 v71, 24, v71
	v_cvt_f32_fp8_e32 v20, v20
	v_bfe_u32 v97, v68, 16, 8
	v_lshrrev_b32_e32 v68, 24, v68
	v_cvt_f32_fp8_e32 v71, v71
	v_cvt_f32_fp8_e32 v68, v68
	v_mul_f32_e32 v20, s40, v20
	v_mul_f32_e32 v69, s40, v69
	v_cvt_f32_fp8_e32 v17, v17
	v_cvt_f32_fp8_e32 v19, v19
	v_mul_f32_e32 v71, s40, v71
	v_cvt_pk_bf16_f32 v20, v20, s0
	v_cvt_pk_bf16_f32 v69, v69, s0
	v_cvt_f32_fp8_e32 v93, v93
	v_mul_f32_e32 v68, s40, v68
	v_cvt_pk_bf16_f32 v71, v71, s0
	v_lshlrev_b32_e32 v104, 16, v20
	v_lshlrev_b32_e32 v20, 16, v69
	v_cvt_f32_fp8_e32 v94, v94
	v_cvt_f32_fp8_e32 v96, v96
	v_cvt_pk_bf16_f32 v68, v68, s0
	v_lshlrev_b32_e32 v69, 16, v71
	v_mul_f32_e32 v20, v33, v20
	v_and_b32_e32 v98, 0xff, v67
	v_bfe_u32 v99, v67, 8, 8
	v_bfe_u32 v100, v67, 16, 8
	v_lshrrev_b32_e32 v67, 24, v67
	v_and_b32_e32 v101, 0xff, v59
	v_bfe_u32 v102, v59, 8, 8
	v_cvt_f32_fp8_e32 v95, v95
	v_cvt_f32_fp8_e32 v97, v97
	v_lshlrev_b32_e32 v68, 16, v68
	v_fmac_f32_e32 v20, v31, v69
	v_cvt_f32_fp8_e32 v13, v13
	v_cvt_f32_fp8_e32 v98, v98
	;; [unrolled: 1-line block ×7, first 2 shown]
	v_mul_f32_e32 v17, s40, v17
	v_mul_f32_e32 v19, s40, v19
	v_fmac_f32_e32 v20, v27, v68
	v_bfe_u32 v27, v59, 16, 8
	v_mul_f32_e32 v93, s40, v93
	v_cvt_pk_bf16_f32 v17, v17, s0
	v_cvt_pk_bf16_f32 v19, v19, s0
	v_cvt_f32_fp8_e32 v27, v27
	v_mul_f32_e32 v94, s40, v94
	v_mul_f32_e32 v96, s40, v96
	v_cvt_pk_bf16_f32 v93, v93, s0
	v_lshlrev_b32_e32 v103, 16, v17
	v_lshlrev_b32_e32 v17, 16, v19
	v_mul_f32_e32 v95, s40, v95
	v_mul_f32_e32 v97, s40, v97
	v_cvt_pk_bf16_f32 v94, v94, s0
	v_cvt_pk_bf16_f32 v96, v96, s0
	v_lshlrev_b32_e32 v19, 16, v93
	v_mul_f32_e32 v17, v32, v17
	v_mul_f32_e32 v13, s40, v13
	;; [unrolled: 1-line block ×8, first 2 shown]
	v_cvt_pk_bf16_f32 v95, v95, s0
	v_cvt_pk_bf16_f32 v97, v97, s0
	v_lshlrev_b32_e32 v93, 16, v94
	v_lshlrev_b32_e32 v94, 16, v96
	v_mul_f32_e32 v19, v77, v19
	v_fmac_f32_e32 v17, v30, v104
	v_cvt_pk_bf16_f32 v13, v13, s0
	v_cvt_pk_bf16_f32 v98, v98, s0
	;; [unrolled: 1-line block ×6, first 2 shown]
	v_lshlrev_b32_e32 v71, 16, v95
	v_lshlrev_b32_e32 v95, 16, v97
	v_fmac_f32_e32 v19, v75, v93
	v_fmac_f32_e32 v17, v26, v94
	v_cvt_pk_bf16_f32 v26, v102, s0
	v_cmp_lt_i32_e64 s[0:1], v53, v54
	v_mul_f32_e32 v27, s40, v27
	v_lshlrev_b32_e32 v96, 16, v98
	v_lshlrev_b32_e32 v98, 16, v100
	v_fmac_f32_e32 v19, v79, v95
	v_cvt_pk_bf16_f32 v27, v27, s0
	v_fmac_f32_e32 v19, v81, v98
	v_lshlrev_b32_e32 v27, 16, v27
	v_fmac_f32_e32 v19, v83, v27
	v_and_b32_e32 v27, 0xff, v58
	v_lshlrev_b32_e32 v97, 16, v99
	v_cvt_f32_fp8_e32 v27, v27
	v_lshlrev_b32_e32 v13, 16, v13
	v_fmac_f32_e32 v17, v28, v97
	v_lshrrev_b32_e32 v28, 24, v59
	v_bfe_u32 v30, v58, 8, 8
	v_mul_f32_e32 v13, v76, v13
	v_cvt_f32_fp8_e32 v28, v28
	v_cvt_f32_fp8_e32 v30, v30
	v_fmac_f32_e32 v13, v74, v103
	v_lshrrev_b32_e32 v32, 24, v58
	v_fmac_f32_e32 v13, v78, v71
	v_lshlrev_b32_e32 v26, 16, v26
	v_mul_f32_e32 v27, s40, v27
	v_cvt_f32_fp8_e32 v32, v32
	v_bfe_u32 v33, v57, 8, 8
	v_lshlrev_b32_e32 v99, 16, v101
	v_fmac_f32_e32 v13, v80, v96
	v_fmac_f32_e32 v17, v88, v26
	global_load_dword v26, v[38:39], off offset:2048
	v_cvt_pk_bf16_f32 v27, v27, s0
	v_cvt_f32_fp8_e32 v33, v33
	v_fmac_f32_e32 v13, v82, v99
	v_mul_f32_e32 v28, s40, v28
	v_mul_f32_e32 v30, s40, v30
	v_lshlrev_b32_e32 v27, 16, v27
	v_lshlrev_b32_e32 v67, 16, v67
	v_cvt_pk_bf16_f32 v28, v28, s0
	v_cvt_pk_bf16_f32 v30, v30, s0
	v_fmac_f32_e32 v13, v84, v27
	v_and_b32_e32 v27, 0xff, v57
	v_fmac_f32_e32 v20, v29, v67
	v_lshlrev_b32_e32 v28, 16, v28
	v_mul_f32_e32 v32, s40, v32
	v_cvt_f32_fp8_e32 v27, v27
	v_lshlrev_b32_e32 v30, 16, v30
	v_fmac_f32_e32 v20, v89, v28
	global_load_dword v28, v[38:39], off offset:2056
	v_bfe_u32 v31, v58, 16, 8
	v_fmac_f32_e32 v17, v24, v30
	global_load_dword v24, v[38:39], off offset:2560
	global_load_dword v58, v[38:39], off offset:2568
	v_cvt_pk_bf16_f32 v30, v32, s0
	v_mul_f32_e32 v32, s40, v33
	v_bfe_u32 v33, v57, 16, 8
	v_lshrrev_b32_e32 v57, 24, v57
	v_cvt_f32_fp8_e32 v57, v57
	v_mul_f32_e32 v27, s40, v27
	v_cvt_pk_bf16_f32 v27, v27, s0
	v_lshlrev_b32_e32 v30, 16, v30
	v_mul_f32_e32 v57, s40, v57
	v_lshlrev_b32_e32 v27, 16, v27
	v_fmac_f32_e32 v20, v25, v30
	v_cvt_pk_bf16_f32 v30, v57, s0
	v_fmac_f32_e32 v13, v86, v27
	global_load_dword v27, v[38:39], off offset:3072
	global_load_dword v57, v[38:39], off offset:3080
	;; [unrolled: 1-line block ×3, first 2 shown]
	s_nop 0
	global_load_dword v38, v[38:39], off offset:3592
	v_cvt_f32_fp8_e32 v31, v31
	v_cvt_f32_fp8_e32 v33, v33
	v_cvt_pk_bf16_f32 v32, v32, s0
	v_bfe_u32 v25, v56, 8, 8
	v_mul_f32_e32 v31, s40, v31
	v_cvt_pk_bf16_f32 v31, v31, s0
	v_lshlrev_b32_e32 v31, 16, v31
	v_fmac_f32_e32 v19, v85, v31
	v_and_b32_e32 v31, 0xff, v56
	v_cvt_f32_fp8_e32 v31, v31
	v_mul_f32_e32 v33, s40, v33
	v_lshlrev_b32_e32 v32, 16, v32
	v_cvt_pk_bf16_f32 v33, v33, s0
	v_cvt_f32_fp8_e32 v25, v25
	v_fmac_f32_e32 v17, v90, v32
	v_mul_f32_e32 v31, s40, v31
	v_bfe_u32 v39, v56, 16, 8
	v_lshlrev_b32_e32 v33, 16, v33
	v_cvt_pk_bf16_f32 v31, v31, s0
	v_cvt_f32_fp8_e32 v39, v39
	v_lshrrev_b32_e32 v56, 24, v56
	v_fmac_f32_e32 v19, v87, v33
	v_cvt_f32_fp8_e32 v56, v56
	v_lshlrev_b32_e32 v31, 16, v31
	v_mul_f32_e32 v25, s40, v25
	v_lshlrev_b32_e32 v30, 16, v30
	v_fmac_f32_e32 v13, v73, v31
	v_cvt_pk_bf16_f32 v25, v25, s0
	v_fmac_f32_e32 v20, v91, v30
	v_mul_f32_e32 v39, s40, v39
	v_lshlrev_b32_e32 v25, 16, v25
	v_cvt_pk_bf16_f32 v39, v39, s0
	v_mul_f32_e32 v56, s40, v56
	v_fmac_f32_e32 v17, v92, v25
	v_cvt_pk_bf16_f32 v56, v56, s0
	v_lshlrev_b32_e32 v39, 16, v39
	v_fmac_f32_e32 v19, v72, v39
	v_lshlrev_b32_e32 v56, 16, v56
	v_fmac_f32_e32 v20, v23, v56
	v_cndmask_b32_e64 v29, v52, v53, s[0:1]
	v_lshlrev_b32_e32 v29, 2, v29
	s_waitcnt vmcnt(7)
	v_and_b32_e32 v32, 0xff, v26
	v_cvt_f32_fp8_e32 v32, v32
	v_bfe_u32 v33, v26, 16, 8
	v_cvt_f32_fp8_e32 v33, v33
	v_bfe_u32 v67, v26, 8, 8
	v_lshrrev_b32_e32 v26, 24, v26
	v_cvt_f32_fp8_e32 v67, v67
	v_mul_f32_e32 v32, s40, v32
	v_cvt_f32_fp8_e32 v26, v26
	v_cvt_pk_bf16_f32 v32, v32, s0
	v_mul_f32_e32 v33, s40, v33
	v_lshlrev_b32_e32 v32, 16, v32
	v_cvt_pk_bf16_f32 v33, v33, s0
	v_fmac_f32_e32 v13, v70, v32
	v_mul_f32_e32 v67, s40, v67
	v_mul_f32_e32 v26, s40, v26
	v_lshlrev_b32_e32 v33, 16, v33
	v_cvt_pk_bf16_f32 v67, v67, s0
	s_waitcnt vmcnt(6)
	v_and_b32_e32 v68, 0xff, v28
	v_bfe_u32 v30, v28, 8, 8
	v_bfe_u32 v69, v28, 16, 8
	v_lshrrev_b32_e32 v28, 24, v28
	s_waitcnt vmcnt(4)
	v_and_b32_e32 v73, 0xff, v58
	v_cvt_f32_fp8_e32 v73, v73
	v_cvt_f32_fp8_e32 v68, v68
	v_cvt_f32_fp8_e32 v28, v28
	v_and_b32_e32 v31, 0xff, v24
	v_cvt_f32_fp8_e32 v30, v30
	v_cvt_f32_fp8_e32 v31, v31
	v_bfe_u32 v71, v24, 8, 8
	v_bfe_u32 v25, v24, 16, 8
	v_lshrrev_b32_e32 v24, 24, v24
	v_cvt_f32_fp8_e32 v69, v69
	v_cvt_f32_fp8_e32 v71, v71
	;; [unrolled: 1-line block ×3, first 2 shown]
	s_waitcnt vmcnt(2)
	v_and_b32_e32 v70, 0xff, v57
	v_cvt_f32_fp8_e32 v25, v25
	v_bfe_u32 v39, v58, 8, 8
	v_mul_f32_e32 v72, s40, v73
	v_bfe_u32 v73, v58, 16, 8
	v_lshrrev_b32_e32 v58, 24, v58
	v_cvt_f32_fp8_e32 v70, v70
	v_cvt_pk_bf16_f32 v26, v26, s0
	v_mul_f32_e32 v68, s40, v68
	v_mul_f32_e32 v28, s40, v28
	v_cvt_f32_fp8_e32 v39, v39
	v_cvt_f32_fp8_e32 v58, v58
	v_and_b32_e32 v23, 0xff, v27
	v_fmac_f32_e32 v19, v66, v33
	s_waitcnt vmcnt(1)
	v_bfe_u32 v66, v59, 8, 8
	v_cvt_pk_bf16_f32 v68, v68, s0
	v_mul_f32_e32 v30, s40, v30
	v_cvt_pk_bf16_f32 v28, v28, s0
	v_mul_f32_e32 v31, s40, v31
	v_cvt_f32_fp8_e32 v73, v73
	v_cvt_f32_fp8_e32 v23, v23
	v_bfe_u32 v56, v27, 8, 8
	v_bfe_u32 v32, v27, 16, 8
	v_lshrrev_b32_e32 v27, 24, v27
	v_lshlrev_b32_e32 v67, 16, v67
	v_cvt_f32_fp8_e32 v66, v66
	v_lshlrev_b32_e32 v26, 16, v26
	v_cvt_pk_bf16_f32 v30, v30, s0
	v_mul_f32_e32 v69, s40, v69
	v_cvt_pk_bf16_f32 v31, v31, s0
	v_mul_f32_e32 v71, s40, v71
	v_mul_f32_e32 v24, s40, v24
	v_cvt_f32_fp8_e32 v56, v56
	v_cvt_f32_fp8_e32 v32, v32
	;; [unrolled: 1-line block ×3, first 2 shown]
	v_fmac_f32_e32 v17, v22, v67
	v_bfe_u32 v22, v57, 8, 8
	v_fmac_f32_e32 v20, v21, v26
	v_lshlrev_b32_e32 v68, 16, v68
	v_lshlrev_b32_e32 v28, 16, v28
	v_cvt_pk_bf16_f32 v69, v69, s0
	v_cvt_pk_bf16_f32 v71, v71, s0
	v_mul_f32_e32 v25, s40, v25
	v_cvt_pk_bf16_f32 v24, v24, s0
	v_cvt_f32_fp8_e32 v22, v22
	v_mul_f32_e32 v67, s40, v70
	v_bfe_u32 v70, v57, 16, 8
	v_lshrrev_b32_e32 v57, 24, v57
	v_fmac_f32_e32 v13, v65, v68
	v_lshlrev_b32_e32 v30, 16, v30
	v_fmac_f32_e32 v20, v16, v28
	v_lshlrev_b32_e32 v16, 16, v31
	v_cvt_pk_bf16_f32 v25, v25, s0
	v_cvt_pk_bf16_f32 v72, v72, s0
	v_mul_f32_e32 v39, s40, v39
	v_mul_f32_e32 v58, s40, v58
	v_cvt_f32_fp8_e32 v70, v70
	v_cvt_f32_fp8_e32 v57, v57
	v_and_b32_e32 v33, 0xff, v59
	v_fmac_f32_e32 v17, v18, v30
	v_lshlrev_b32_e32 v30, 16, v69
	v_lshlrev_b32_e32 v28, 16, v71
	v_fmac_f32_e32 v13, v63, v16
	v_lshlrev_b32_e32 v16, 16, v24
	v_cvt_pk_bf16_f32 v39, v39, s0
	v_mul_f32_e32 v73, s40, v73
	v_cvt_pk_bf16_f32 v58, v58, s0
	v_mul_f32_e32 v23, s40, v23
	v_cvt_f32_fp8_e32 v33, v33
	v_mul_f32_e32 v66, s40, v66
	v_bfe_u32 v21, v59, 16, 8
	v_lshrrev_b32_e32 v26, 24, v59
	v_fmac_f32_e32 v19, v64, v30
	v_fmac_f32_e32 v17, v15, v28
	v_lshlrev_b32_e32 v15, 16, v25
	v_fmac_f32_e32 v20, v14, v16
	v_lshlrev_b32_e32 v14, 16, v72
	v_cvt_pk_bf16_f32 v73, v73, s0
	v_cvt_pk_bf16_f32 v23, v23, s0
	v_mul_f32_e32 v56, s40, v56
	v_mul_f32_e32 v32, s40, v32
	;; [unrolled: 1-line block ×3, first 2 shown]
	v_cvt_f32_fp8_e32 v21, v21
	v_cvt_f32_fp8_e32 v26, v26
	v_cvt_pk_bf16_f32 v59, v66, s0
	s_waitcnt vmcnt(0)
	v_and_b32_e32 v66, 0xff, v38
	v_bfe_u32 v65, v38, 8, 8
	v_fmac_f32_e32 v19, v62, v15
	v_lshlrev_b32_e32 v15, 16, v39
	v_fmac_f32_e32 v13, v61, v14
	v_lshlrev_b32_e32 v14, 16, v58
	v_cvt_pk_bf16_f32 v56, v56, s0
	v_cvt_pk_bf16_f32 v32, v32, s0
	;; [unrolled: 1-line block ×3, first 2 shown]
	v_mul_f32_e32 v22, s40, v22
	v_cvt_f32_fp8_e32 v66, v66
	v_cvt_f32_fp8_e32 v65, v65
	v_bfe_u32 v68, v38, 16, 8
	v_fmac_f32_e32 v17, v12, v15
	v_lshlrev_b32_e32 v12, 16, v73
	v_fmac_f32_e32 v20, v10, v14
	v_lshlrev_b32_e32 v10, 16, v23
	v_cvt_pk_bf16_f32 v67, v67, s0
	v_cvt_pk_bf16_f32 v22, v22, s0
	v_mul_f32_e32 v70, s40, v70
	v_mul_f32_e32 v57, s40, v57
	v_cvt_f32_fp8_e32 v68, v68
	v_lshrrev_b32_e32 v38, 24, v38
	v_lshlrev_b32_e32 v18, 16, v3
	v_fmac_f32_e32 v19, v60, v12
	v_lshlrev_b32_e32 v12, 16, v56
	v_fmac_f32_e32 v13, v2, v10
	v_and_b32_e32 v2, 0xffff0000, v3
	v_lshlrev_b32_e32 v3, 16, v32
	v_lshlrev_b32_e32 v10, 16, v27
	v_cvt_pk_bf16_f32 v70, v70, s0
	v_cvt_pk_bf16_f32 v57, v57, s0
	v_mul_f32_e32 v33, s40, v33
	v_cvt_f32_fp8_e32 v38, v38
	v_fmac_f32_e32 v17, v11, v12
	v_fmac_f32_e32 v19, v18, v3
	;; [unrolled: 1-line block ×3, first 2 shown]
	v_lshlrev_b32_e32 v2, 16, v4
	v_and_b32_e32 v3, 0xffff0000, v4
	v_lshlrev_b32_e32 v4, 16, v67
	v_lshlrev_b32_e32 v10, 16, v22
	v_cvt_pk_bf16_f32 v33, v33, s0
	v_mul_f32_e32 v21, s40, v21
	v_mul_f32_e32 v26, s40, v26
	v_fmac_f32_e32 v13, v4, v2
	v_fmac_f32_e32 v17, v10, v3
	v_lshlrev_b32_e32 v2, 16, v5
	v_and_b32_e32 v3, 0xffff0000, v5
	v_lshlrev_b32_e32 v4, 16, v70
	v_lshlrev_b32_e32 v5, 16, v57
	v_cvt_pk_bf16_f32 v21, v21, s0
	v_cvt_pk_bf16_f32 v26, v26, s0
	v_mul_f32_e32 v66, s40, v66
	v_mul_f32_e32 v65, s40, v65
	v_fmac_f32_e32 v19, v4, v2
	v_fmac_f32_e32 v20, v5, v3
	s_waitcnt lgkmcnt(0)
	v_lshlrev_b32_e32 v2, 16, v6
	v_and_b32_e32 v3, 0xffff0000, v6
	v_lshlrev_b32_e32 v4, 16, v33
	v_lshlrev_b32_e32 v5, 16, v59
	v_cvt_pk_bf16_f32 v66, v66, s0
	v_cvt_pk_bf16_f32 v65, v65, s0
	v_mul_f32_e32 v68, s40, v68
	v_fmac_f32_e32 v13, v4, v2
	v_fmac_f32_e32 v17, v5, v3
	v_lshlrev_b32_e32 v2, 16, v7
	v_and_b32_e32 v3, 0xffff0000, v7
	v_lshlrev_b32_e32 v4, 16, v21
	v_lshlrev_b32_e32 v5, 16, v26
	v_cvt_pk_bf16_f32 v68, v68, s0
	v_mul_f32_e32 v38, s40, v38
	v_fmac_f32_e32 v19, v4, v2
	v_fmac_f32_e32 v20, v5, v3
	v_lshlrev_b32_e32 v2, 16, v8
	v_and_b32_e32 v3, 0xffff0000, v8
	v_lshlrev_b32_e32 v4, 16, v66
	v_lshlrev_b32_e32 v5, 16, v65
	v_cvt_pk_bf16_f32 v38, v38, s0
	v_fmac_f32_e32 v13, v4, v2
	v_fmac_f32_e32 v17, v5, v3
	v_lshlrev_b32_e32 v2, 16, v9
	v_lshlrev_b32_e32 v4, 16, v68
	v_and_b32_e32 v3, 0xffff0000, v9
	v_lshlrev_b32_e32 v5, 16, v38
	v_fmac_f32_e32 v19, v4, v2
	v_add_f32_e32 v2, v13, v17
	v_fmac_f32_e32 v20, v5, v3
	v_add_f32_e32 v2, v2, v19
	v_add_f32_e32 v2, v20, v2
	ds_bpermute_b32 v3, v29, v2
	s_and_saveexec_b64 s[40:41], vcc
	s_cbranch_execz .LBB314_11
; %bb.19:                               ;   in Loop: Header=BB314_13 Depth=1
	v_add_u32_e32 v4, v49, v48
	v_cvt_f32_i32_e32 v4, v4
	s_waitcnt lgkmcnt(0)
	v_add_f32_e32 v2, v2, v3
	v_add_u32_e32 v5, v44, v48
	v_cmp_gt_i32_e64 s[0:1], s33, v5
	v_mul_f32_e32 v3, s44, v4
	v_cndmask_b32_e64 v3, 0, v3, s[2:3]
	v_fmac_f32_e32 v3, s37, v2
	v_cndmask_b32_e64 v2, 0, v3, s[0:1]
	ds_write_b32 v50, v2
	v_max_f32_e32 v2, v46, v46
	v_max_f32_e32 v2, v2, v3
	v_cndmask_b32_e64 v46, v46, v2, s[0:1]
	s_branch .LBB314_11
.LBB314_20:
	s_or_b64 exec, exec, s[38:39]
.LBB314_21:
	s_or_b64 exec, exec, s[18:19]
	v_mbcnt_hi_u32_b32 v2, -1, v43
	v_and_b32_e32 v9, 64, v2
	v_add_u32_e32 v10, 64, v9
	s_waitcnt lgkmcnt(0)
	v_xor_b32_e32 v3, 32, v2
	v_cmp_lt_i32_e32 vcc, v3, v10
	v_xor_b32_e32 v6, 16, v2
	v_max_f32_e32 v5, v46, v46
	v_cndmask_b32_e32 v3, v2, v3, vcc
	v_lshlrev_b32_e32 v3, 2, v3
	ds_bpermute_b32 v4, v3, v46
	v_cmp_lt_i32_e32 vcc, v6, v10
	v_xor_b32_e32 v7, 8, v2
	v_xor_b32_e32 v8, 4, v2
	;; [unrolled: 1-line block ×3, first 2 shown]
	s_waitcnt lgkmcnt(0)
	v_max_f32_e32 v4, v4, v4
	v_max_f32_e32 v5, v5, v4
	v_cndmask_b32_e32 v4, v2, v6, vcc
	v_lshlrev_b32_e32 v4, 2, v4
	ds_bpermute_b32 v6, v4, v5
	v_cmp_lt_i32_e32 vcc, v7, v10
	v_and_b32_e32 v24, 63, v0
	s_waitcnt lgkmcnt(0)
	v_max_f32_e32 v6, v6, v6
	v_max_f32_e32 v6, v5, v6
	v_cndmask_b32_e32 v5, v2, v7, vcc
	v_lshlrev_b32_e32 v5, 2, v5
	ds_bpermute_b32 v7, v5, v6
	v_cmp_lt_i32_e32 vcc, v8, v10
	s_waitcnt lgkmcnt(0)
	v_max_f32_e32 v7, v7, v7
	v_max_f32_e32 v7, v6, v7
	v_cndmask_b32_e32 v6, v2, v8, vcc
	v_lshlrev_b32_e32 v6, 2, v6
	ds_bpermute_b32 v8, v6, v7
	v_cmp_lt_i32_e32 vcc, v11, v10
	s_waitcnt lgkmcnt(0)
	v_max_f32_e32 v8, v8, v8
	v_max_f32_e32 v8, v7, v8
	v_cndmask_b32_e32 v7, v2, v11, vcc
	v_lshlrev_b32_e32 v25, 2, v7
	ds_bpermute_b32 v11, v25, v8
	v_cmp_eq_u32_e32 vcc, 0, v24
	v_lshlrev_b32_e32 v7, 2, v1
	s_and_saveexec_b64 s[0:1], vcc
	s_cbranch_execz .LBB314_23
; %bb.22:
	s_waitcnt lgkmcnt(0)
	v_max_f32_e32 v11, v11, v11
	v_max_f32_e32 v8, v8, v8
	;; [unrolled: 1-line block ×3, first 2 shown]
	ds_write_b32 v7, v8 offset:256
.LBB314_23:
	s_or_b64 exec, exec, s[0:1]
	v_cmp_gt_u32_e64 s[0:1], 2, v24
	s_waitcnt lgkmcnt(0)
	v_mov_b32_e32 v11, 0xff7fffff
	v_lshlrev_b32_e32 v8, 2, v24
	s_barrier
	s_and_saveexec_b64 s[2:3], s[0:1]
; %bb.24:
	ds_read_b32 v11, v8 offset:256
; %bb.25:
	s_or_b64 exec, exec, s[2:3]
	v_xor_b32_e32 v12, 1, v2
	v_cmp_lt_i32_e64 s[2:3], v12, v10
	v_lshlrev_b32_e32 v9, 2, v9
	s_nop 0
	v_cndmask_b32_e64 v10, v2, v12, s[2:3]
	v_lshlrev_b32_e32 v26, 2, v10
	s_waitcnt lgkmcnt(0)
	ds_bpermute_b32 v10, v26, v11
	v_max_f32_e32 v11, v11, v11
	s_lshl_b32 s2, s20, 5
	s_min_i32 s37, s2, s33
	v_cmp_gt_i32_e64 s[2:3], s37, v0
	s_waitcnt lgkmcnt(0)
	v_max_f32_e32 v10, v10, v10
	v_max_f32_e32 v10, v11, v10
	ds_bpermute_b32 v10, v9, v10
	v_mov_b32_e32 v9, 0
	s_and_saveexec_b64 s[12:13], s[2:3]
	s_cbranch_execz .LBB314_29
; %bb.26:
	v_mov_b32_e32 v9, 0x110
	v_lshl_add_u32 v11, v0, 2, v9
	v_mov_b32_e32 v9, 0
	s_mov_b64 s[18:19], 0
	v_mov_b32_e32 v12, v0
.LBB314_27:                             ; =>This Inner Loop Header: Depth=1
	ds_read_b32 v13, v11
	v_add_u32_e32 v12, 0x80, v12
	v_cmp_le_i32_e64 s[8:9], s37, v12
	s_or_b64 s[18:19], s[8:9], s[18:19]
	s_waitcnt lgkmcnt(0)
	v_sub_f32_e32 v13, v13, v10
	v_mul_f32_e32 v13, 0x3fb8aa3b, v13
	v_exp_f32_e32 v13, v13
	ds_write_b32 v11, v13
	v_add_f32_e32 v9, v9, v13
	v_add_u32_e32 v11, 0x200, v11
	s_andn2_b64 exec, exec, s[18:19]
	s_cbranch_execnz .LBB314_27
; %bb.28:
	s_or_b64 exec, exec, s[18:19]
.LBB314_29:
	s_or_b64 exec, exec, s[12:13]
	ds_bpermute_b32 v3, v3, v9
	s_waitcnt lgkmcnt(0)
	v_add_f32_e32 v3, v9, v3
	ds_bpermute_b32 v4, v4, v3
	s_waitcnt lgkmcnt(0)
	v_add_f32_e32 v3, v3, v4
	;; [unrolled: 3-line block ×6, first 2 shown]
	s_and_saveexec_b64 s[8:9], vcc
; %bb.30:
	ds_write_b32 v7, v3 offset:264
; %bb.31:
	s_or_b64 exec, exec, s[8:9]
	s_waitcnt lgkmcnt(0)
	s_barrier
	s_and_saveexec_b64 s[8:9], s[0:1]
; %bb.32:
	ds_read_b32 v3, v8 offset:264
; %bb.33:
	s_or_b64 exec, exec, s[8:9]
	s_waitcnt lgkmcnt(0)
	ds_bpermute_b32 v4, v26, v3
	v_lshlrev_b32_e32 v2, 2, v2
	v_and_b32_e32 v2, 0x100, v2
	s_waitcnt lgkmcnt(0)
	v_add_f32_e32 v3, v3, v4
	ds_bpermute_b32 v2, v2, v3
	s_and_saveexec_b64 s[0:1], s[2:3]
	s_cbranch_execz .LBB314_46
; %bb.34:
	s_waitcnt lgkmcnt(0)
	v_add_f32_e32 v2, 0x358637bd, v2
	v_div_scale_f32 v3, s[2:3], v2, v2, 1.0
	v_rcp_f32_e32 v4, v3
	v_div_scale_f32 v5, vcc, 1.0, v2, 1.0
	s_movk_i32 s2, 0x7f
	v_fma_f32 v6, -v3, v4, 1.0
	v_fmac_f32_e32 v4, v6, v4
	v_mul_f32_e32 v6, v5, v4
	v_fma_f32 v7, -v3, v6, v5
	v_fmac_f32_e32 v6, v7, v4
	v_fma_f32 v3, -v3, v6, v5
	v_div_fmas_f32 v3, v3, v4, v6
	v_xad_u32 v4, v0, -1, s37
	v_div_fixup_f32 v2, v3, v2, 1.0
	v_cmp_lt_u32_e32 vcc, s2, v4
	s_mov_b64 s[8:9], -1
	v_mov_b32_e32 v3, v0
	s_and_saveexec_b64 s[2:3], vcc
	s_cbranch_execz .LBB314_43
; %bb.35:
	v_lshrrev_b32_e32 v4, 7, v4
	v_add_u32_e32 v6, -1, v4
	v_lshrrev_b32_e32 v5, 1, v6
	v_mov_b32_e32 v3, v2
	v_add_u32_e32 v5, 1, v5
	v_cmp_lt_u32_e32 vcc, 13, v6
	v_mov_b32_e32 v8, 0
	s_and_saveexec_b64 s[8:9], vcc
	s_cbranch_execz .LBB314_39
; %bb.36:
	v_mov_b32_e32 v7, 0x110
	v_and_b32_e32 v6, -8, v5
	v_lshl_add_u32 v7, v0, 2, v7
	s_mov_b32 s18, 0
	s_mov_b64 s[12:13], 0
.LBB314_37:                             ; =>This Inner Loop Header: Depth=1
	ds_read2st64_b32 v[8:9], v7 offset1:2
	ds_read2st64_b32 v[10:11], v7 offset0:4 offset1:6
	ds_read2st64_b32 v[12:13], v7 offset0:8 offset1:10
	;; [unrolled: 1-line block ×3, first 2 shown]
	v_add_u32_e32 v6, -8, v6
	s_waitcnt lgkmcnt(3)
	v_pk_mul_f32 v[8:9], v[2:3], v[8:9]
	s_waitcnt lgkmcnt(2)
	v_pk_mul_f32 v[10:11], v[2:3], v[10:11]
	ds_write2st64_b32 v7, v8, v9 offset1:2
	ds_write2st64_b32 v7, v10, v11 offset0:4 offset1:6
	ds_read2st64_b32 v[10:11], v7 offset0:16 offset1:18
	s_waitcnt lgkmcnt(4)
	v_pk_mul_f32 v[8:9], v[2:3], v[12:13]
	ds_write2st64_b32 v7, v8, v9 offset0:8 offset1:10
	s_waitcnt lgkmcnt(4)
	v_pk_mul_f32 v[8:9], v[2:3], v[14:15]
	ds_write2st64_b32 v7, v8, v9 offset0:12 offset1:14
	ds_read2st64_b32 v[8:9], v7 offset0:20 offset1:22
	s_waitcnt lgkmcnt(3)
	v_pk_mul_f32 v[10:11], v[2:3], v[10:11]
	ds_read2st64_b32 v[12:13], v7 offset0:24 offset1:26
	ds_write2st64_b32 v7, v10, v11 offset0:16 offset1:18
	ds_read2st64_b32 v[10:11], v7 offset0:28 offset1:30
	s_waitcnt lgkmcnt(3)
	v_pk_mul_f32 v[8:9], v[2:3], v[8:9]
	ds_write2st64_b32 v7, v8, v9 offset0:20 offset1:22
	s_waitcnt lgkmcnt(3)
	v_pk_mul_f32 v[8:9], v[2:3], v[12:13]
	ds_write2st64_b32 v7, v8, v9 offset0:24 offset1:26
	s_waitcnt lgkmcnt(2)
	v_pk_mul_f32 v[8:9], v[2:3], v[10:11]
	s_add_i32 s18, s18, 16
	v_cmp_eq_u32_e32 vcc, 0, v6
	ds_write2st64_b32 v7, v8, v9 offset0:28 offset1:30
	v_add_u32_e32 v7, 0x2000, v7
	s_or_b64 s[12:13], vcc, s[12:13]
	v_mov_b32_e32 v8, s18
	s_andn2_b64 exec, exec, s[12:13]
	s_cbranch_execnz .LBB314_37
; %bb.38:
	s_or_b64 exec, exec, s[12:13]
.LBB314_39:
	s_or_b64 exec, exec, s[8:9]
	v_and_b32_e32 v5, 7, v5
	v_cmp_ne_u32_e32 vcc, 0, v5
	s_and_saveexec_b64 s[8:9], vcc
	s_cbranch_execz .LBB314_42
; %bb.40:
	v_lshlrev_b32_e32 v6, 9, v8
	v_lshlrev_b32_e32 v7, 2, v0
	s_movk_i32 s12, 0x110
	v_add3_u32 v6, v6, v7, s12
	s_mov_b64 s[12:13], 0
.LBB314_41:                             ; =>This Inner Loop Header: Depth=1
	ds_read2st64_b32 v[8:9], v6 offset1:2
	v_add_u32_e32 v5, -1, v5
	v_cmp_eq_u32_e32 vcc, 0, v5
	s_or_b64 s[12:13], vcc, s[12:13]
	s_waitcnt lgkmcnt(0)
	v_pk_mul_f32 v[8:9], v[2:3], v[8:9]
	ds_write2st64_b32 v6, v8, v9 offset1:2
	v_add_u32_e32 v6, 0x400, v6
	s_andn2_b64 exec, exec, s[12:13]
	s_cbranch_execnz .LBB314_41
.LBB314_42:
	s_or_b64 exec, exec, s[8:9]
	v_add_u32_e32 v4, 1, v4
	v_and_b32_e32 v5, 0x3fffffe, v4
	v_cmp_ne_u32_e32 vcc, v4, v5
	v_lshl_add_u32 v3, v5, 7, v0
	s_orn2_b64 s[8:9], vcc, exec
.LBB314_43:
	s_or_b64 exec, exec, s[2:3]
	s_and_b64 exec, exec, s[8:9]
	s_cbranch_execz .LBB314_46
; %bb.44:
	v_mov_b32_e32 v4, 0x110
	v_lshl_add_u32 v4, v3, 2, v4
	s_mov_b64 s[2:3], 0
.LBB314_45:                             ; =>This Inner Loop Header: Depth=1
	ds_read_b32 v5, v4
	v_add_u32_e32 v3, 0x80, v3
	v_cmp_le_i32_e32 vcc, s37, v3
	s_or_b64 s[2:3], vcc, s[2:3]
	s_waitcnt lgkmcnt(0)
	v_mul_f32_e32 v5, v2, v5
	ds_write_b32 v4, v5
	v_add_u32_e32 v4, 0x200, v4
	s_andn2_b64 exec, exec, s[2:3]
	s_cbranch_execnz .LBB314_45
.LBB314_46:
	s_or_b64 exec, exec, s[0:1]
	v_mov_b32_e32 v13, 0
	v_and_b32_e32 v27, 3, v0
	v_mov_b32_e32 v12, 0
	v_mov_b32_e32 v15, 0
	;; [unrolled: 1-line block ×7, first 2 shown]
	s_waitcnt lgkmcnt(0)
	s_barrier
	s_and_saveexec_b64 s[2:3], s[6:7]
	s_cbranch_execz .LBB314_68
; %bb.47:
	s_sub_i32 s18, s42, s21
	s_ashr_i32 s1, s43, 31
	s_add_u32 s0, s34, s43
	s_addc_u32 s1, s35, s1
	s_abs_i32 s19, s22
	v_cvt_f32_u32_e32 v2, s19
	v_and_b32_e32 v10, 0x1f8, v41
	v_mov_b32_e32 v11, 0
	v_lshl_add_u64 v[18:19], s[0:1], 0, v[10:11]
	v_rcp_iflag_f32_e32 v2, v2
	s_sub_i32 s0, 0, s19
	s_add_i32 s21, s20, -1
	v_and_b32_e32 v10, 60, v42
	v_mul_f32_e32 v2, 0x4f7ffffe, v2
	v_cvt_u32_f32_e32 v2, v2
	v_and_b32_e32 v28, 24, v41
	s_mov_b64 s[6:7], 0
	v_mov_b32_e32 v16, v11
	v_mul_lo_u32 v3, s0, v2
	v_mul_hi_u32 v3, v2, v3
	s_lshl_b64 s[0:1], s[30:31], 2
	v_add_u32_e32 v29, v2, v3
	s_add_u32 s0, s28, s0
	v_lshlrev_b32_e32 v2, 5, v27
	s_addc_u32 s1, s29, s1
	v_lshl_or_b32 v2, v1, 7, v2
	v_lshl_add_u64 v[20:21], s[0:1], 0, v[10:11]
	v_add_u32_e32 v30, 0x110, v2
	v_mov_b32_e32 v10, v11
	v_mov_b32_e32 v17, v11
	;; [unrolled: 1-line block ×6, first 2 shown]
	s_branch .LBB314_50
.LBB314_48:                             ;   in Loop: Header=BB314_50 Depth=1
	s_or_b64 exec, exec, s[0:1]
	v_cvt_pk_bf16_f32 v7, v7, s0
	v_cvt_pk_bf16_f32 v48, v2, s0
	v_cvt_pk_bf16_f32 v49, v3, s0
	v_lshlrev_b32_e32 v2, 16, v7
	v_lshlrev_b32_e32 v3, 16, v101
	v_cvt_pk_bf16_f32 v6, v6, s0
	v_mul_f32_e32 v3, v2, v3
	v_cvt_pk_bf16_f32 v51, v3, s0
	v_lshlrev_b32_e32 v6, 16, v6
	v_lshlrev_b32_e32 v3, 16, v100
	v_cvt_pk_bf16_f32 v9, v9, s0
	v_mul_f32_e32 v3, v6, v3
	v_cvt_pk_bf16_f32 v50, v4, s0
	v_cvt_pk_bf16_f32 v52, v3, s0
	v_lshlrev_b32_e32 v3, 16, v9
	v_lshlrev_b32_e32 v4, 16, v99
	v_cvt_pk_bf16_f32 v8, v8, s0
	v_mul_f32_e32 v4, v3, v4
	v_cvt_pk_bf16_f32 v53, v4, s0
	v_lshlrev_b32_e32 v7, 16, v8
	v_lshlrev_b32_e32 v4, 16, v98
	v_mul_f32_e32 v4, v7, v4
	v_cvt_pk_bf16_f32 v54, v4, s0
	v_lshlrev_b32_e32 v4, 16, v49
	v_lshlrev_b32_e32 v8, 16, v97
	;; [unrolled: 4-line block ×3, first 2 shown]
	v_cvt_pk_bf16_f32 v5, v5, s0
	v_mul_f32_e32 v9, v8, v9
	v_cvt_pk_bf16_f32 v48, v9, s0
	v_lshlrev_b32_e32 v5, 16, v5
	v_lshlrev_b32_e32 v9, 16, v95
	v_mul_f32_e32 v9, v5, v9
	v_cvt_pk_bf16_f32 v62, v9, s0
	v_lshlrev_b32_e32 v9, 16, v50
	v_lshlrev_b32_e32 v50, 16, v94
	;; [unrolled: 1-line block ×4, first 2 shown]
	v_mul_f32_e32 v50, v9, v50
	v_add_f32_e32 v51, v52, v51
	v_lshlrev_b32_e32 v52, 16, v54
	v_lshlrev_b32_e32 v53, 16, v53
	v_cvt_pk_bf16_f32 v50, v50, s0
	v_add_f32_e32 v52, v52, v53
	v_lshlrev_b32_e32 v48, 16, v48
	v_lshlrev_b32_e32 v49, 16, v49
	v_add_f32_e32 v51, v52, v51
	v_add_f32_e32 v48, v48, v49
	v_lshlrev_b32_e32 v49, 16, v50
	v_lshlrev_b32_e32 v50, 16, v62
	v_add_f32_e32 v48, v48, v51
	v_add_f32_e32 v49, v49, v50
	;; [unrolled: 1-line block ×4, first 2 shown]
	v_lshlrev_b32_e32 v48, 16, v93
	v_lshlrev_b32_e32 v49, 16, v92
	v_mul_f32_e32 v48, v2, v48
	v_mul_f32_e32 v49, v6, v49
	v_lshlrev_b32_e32 v50, 16, v91
	v_lshlrev_b32_e32 v51, 16, v90
	v_cvt_pk_bf16_f32 v48, v48, s0
	v_cvt_pk_bf16_f32 v49, v49, s0
	v_mul_f32_e32 v50, v3, v50
	v_mul_f32_e32 v51, v7, v51
	v_cvt_pk_bf16_f32 v50, v50, s0
	v_cvt_pk_bf16_f32 v51, v51, s0
	v_lshlrev_b32_e32 v52, 16, v89
	v_lshlrev_b32_e32 v53, 16, v88
	;; [unrolled: 1-line block ×4, first 2 shown]
	v_mul_f32_e32 v52, v4, v52
	v_mul_f32_e32 v53, v8, v53
	v_add_f32_e32 v48, v49, v48
	v_lshlrev_b32_e32 v49, 16, v51
	v_lshlrev_b32_e32 v50, 16, v50
	v_cvt_pk_bf16_f32 v52, v52, s0
	v_cvt_pk_bf16_f32 v53, v53, s0
	v_lshlrev_b32_e32 v54, 16, v87
	v_lshlrev_b32_e32 v62, 16, v86
	v_add_f32_e32 v49, v49, v50
	v_mul_f32_e32 v54, v5, v54
	v_mul_f32_e32 v62, v9, v62
	v_add_f32_e32 v48, v49, v48
	v_lshlrev_b32_e32 v49, 16, v53
	v_lshlrev_b32_e32 v50, 16, v52
	v_cvt_pk_bf16_f32 v54, v54, s0
	v_cvt_pk_bf16_f32 v62, v62, s0
	v_add_f32_e32 v49, v49, v50
	v_add_f32_e32 v48, v49, v48
	v_lshlrev_b32_e32 v49, 16, v62
	v_lshlrev_b32_e32 v50, 16, v54
	v_add_f32_e32 v49, v49, v50
	v_add_f32_e32 v48, v49, v48
	;; [unrolled: 1-line block ×3, first 2 shown]
	v_lshlrev_b32_e32 v48, 16, v79
	v_lshlrev_b32_e32 v49, 16, v78
	v_mul_f32_e32 v48, v2, v48
	v_mul_f32_e32 v49, v6, v49
	v_lshlrev_b32_e32 v50, 16, v77
	v_lshlrev_b32_e32 v51, 16, v76
	v_cvt_pk_bf16_f32 v48, v48, s0
	v_cvt_pk_bf16_f32 v49, v49, s0
	v_mul_f32_e32 v50, v3, v50
	v_mul_f32_e32 v51, v7, v51
	v_cvt_pk_bf16_f32 v50, v50, s0
	v_cvt_pk_bf16_f32 v51, v51, s0
	v_lshlrev_b32_e32 v52, 16, v75
	v_lshlrev_b32_e32 v53, 16, v74
	;; [unrolled: 1-line block ×4, first 2 shown]
	v_mul_f32_e32 v52, v4, v52
	v_mul_f32_e32 v53, v8, v53
	v_add_f32_e32 v48, v49, v48
	v_lshlrev_b32_e32 v49, 16, v51
	v_lshlrev_b32_e32 v50, 16, v50
	v_cvt_pk_bf16_f32 v52, v52, s0
	v_cvt_pk_bf16_f32 v53, v53, s0
	v_lshlrev_b32_e32 v54, 16, v73
	v_lshlrev_b32_e32 v62, 16, v72
	v_add_f32_e32 v49, v49, v50
	v_mul_f32_e32 v54, v5, v54
	v_mul_f32_e32 v62, v9, v62
	v_add_f32_e32 v48, v49, v48
	v_lshlrev_b32_e32 v49, 16, v53
	v_lshlrev_b32_e32 v50, 16, v52
	v_cvt_pk_bf16_f32 v54, v54, s0
	v_cvt_pk_bf16_f32 v62, v62, s0
	v_add_f32_e32 v49, v49, v50
	v_add_f32_e32 v48, v49, v48
	v_lshlrev_b32_e32 v49, 16, v62
	v_lshlrev_b32_e32 v50, 16, v54
	v_add_f32_e32 v49, v49, v50
	v_add_f32_e32 v48, v49, v48
	;; [unrolled: 1-line block ×3, first 2 shown]
	v_lshlrev_b32_e32 v48, 16, v71
	v_lshlrev_b32_e32 v49, 16, v70
	v_mul_f32_e32 v48, v2, v48
	v_mul_f32_e32 v49, v6, v49
	v_lshlrev_b32_e32 v50, 16, v69
	v_lshlrev_b32_e32 v51, 16, v68
	v_cvt_pk_bf16_f32 v48, v48, s0
	v_cvt_pk_bf16_f32 v49, v49, s0
	v_mul_f32_e32 v50, v3, v50
	v_mul_f32_e32 v51, v7, v51
	v_lshlrev_b32_e32 v38, 16, v38
	v_lshlrev_b32_e32 v37, 16, v37
	;; [unrolled: 1-line block ×4, first 2 shown]
	v_cvt_pk_bf16_f32 v50, v50, s0
	v_cvt_pk_bf16_f32 v51, v51, s0
	v_lshlrev_b32_e32 v52, 16, v67
	v_lshlrev_b32_e32 v53, 16, v66
	;; [unrolled: 1-line block ×4, first 2 shown]
	v_mul_f32_e32 v38, v2, v38
	v_mul_f32_e32 v37, v6, v37
	;; [unrolled: 1-line block ×4, first 2 shown]
	v_lshlrev_b32_e32 v34, 16, v34
	v_lshlrev_b32_e32 v33, 16, v33
	v_mul_f32_e32 v52, v4, v52
	v_mul_f32_e32 v53, v8, v53
	v_add_f32_e32 v48, v49, v48
	v_lshlrev_b32_e32 v49, 16, v51
	v_lshlrev_b32_e32 v50, 16, v50
	v_cvt_pk_bf16_f32 v38, v38, s0
	v_cvt_pk_bf16_f32 v37, v37, s0
	;; [unrolled: 1-line block ×4, first 2 shown]
	v_mul_f32_e32 v34, v4, v34
	v_mul_f32_e32 v33, v8, v33
	v_lshlrev_b32_e32 v32, 16, v32
	v_lshlrev_b32_e32 v31, 16, v31
	v_cvt_pk_bf16_f32 v52, v52, s0
	v_cvt_pk_bf16_f32 v53, v53, s0
	v_lshlrev_b32_e32 v54, 16, v65
	v_lshlrev_b32_e32 v62, 16, v64
	v_add_f32_e32 v49, v49, v50
	v_cvt_pk_bf16_f32 v34, v34, s0
	v_cvt_pk_bf16_f32 v33, v33, s0
	v_mul_f32_e32 v32, v5, v32
	v_mul_f32_e32 v31, v9, v31
	v_lshlrev_b32_e32 v37, 16, v37
	v_lshlrev_b32_e32 v38, 16, v38
	;; [unrolled: 1-line block ×4, first 2 shown]
	v_mul_f32_e32 v54, v5, v54
	v_mul_f32_e32 v62, v9, v62
	v_add_f32_e32 v48, v49, v48
	v_lshlrev_b32_e32 v49, 16, v53
	v_lshlrev_b32_e32 v50, 16, v52
	v_cvt_pk_bf16_f32 v32, v32, s0
	v_cvt_pk_bf16_f32 v31, v31, s0
	v_add_f32_e32 v37, v37, v38
	v_add_f32_e32 v35, v35, v36
	v_lshlrev_b32_e32 v33, 16, v33
	v_lshlrev_b32_e32 v34, 16, v34
	v_cvt_pk_bf16_f32 v54, v54, s0
	v_cvt_pk_bf16_f32 v62, v62, s0
	v_add_f32_e32 v49, v49, v50
	v_add_f32_e32 v35, v35, v37
	;; [unrolled: 1-line block ×3, first 2 shown]
	v_lshlrev_b32_e32 v31, 16, v31
	v_lshlrev_b32_e32 v32, 16, v32
	v_add_f32_e32 v48, v49, v48
	v_lshlrev_b32_e32 v49, 16, v62
	v_lshlrev_b32_e32 v50, 16, v54
	v_add_f32_e32 v33, v33, v35
	v_add_f32_e32 v31, v31, v32
	;; [unrolled: 1-line block ×5, first 2 shown]
	v_lshlrev_b32_e32 v49, 16, v61
	v_lshlrev_b32_e32 v46, 16, v46
	v_add_f32_e32 v10, v10, v31
	v_lshlrev_b32_e32 v31, 16, v85
	v_add_f32_e32 v17, v17, v48
	v_lshlrev_b32_e32 v48, 16, v63
	v_mul_f32_e32 v49, v6, v49
	v_lshlrev_b32_e32 v47, 16, v47
	v_mul_f32_e32 v46, v6, v46
	v_mul_f32_e32 v6, v6, v31
	v_lshlrev_b32_e32 v31, 16, v84
	v_mul_f32_e32 v48, v2, v48
	v_lshlrev_b32_e32 v51, 16, v59
	v_mul_f32_e32 v47, v2, v47
	v_lshlrev_b32_e32 v44, 16, v44
	v_mul_f32_e32 v2, v2, v31
	v_lshlrev_b32_e32 v31, 16, v83
	v_lshlrev_b32_e32 v50, 16, v60
	v_mul_f32_e32 v51, v7, v51
	v_lshlrev_b32_e32 v45, 16, v45
	v_mul_f32_e32 v44, v7, v44
	v_mul_f32_e32 v7, v7, v31
	v_lshlrev_b32_e32 v31, 16, v82
	v_mul_f32_e32 v50, v3, v50
	v_mul_f32_e32 v45, v3, v45
	;; [unrolled: 1-line block ×3, first 2 shown]
	v_cvt_pk_bf16_f32 v31, v3, s0
	v_lshlrev_b32_e32 v3, 16, v81
	v_lshlrev_b32_e32 v53, 16, v57
	;; [unrolled: 1-line block ×3, first 2 shown]
	v_mul_f32_e32 v3, v8, v3
	v_mul_f32_e32 v53, v8, v53
	;; [unrolled: 1-line block ×3, first 2 shown]
	v_cvt_pk_bf16_f32 v8, v3, s0
	v_lshlrev_b32_e32 v3, 16, v80
	v_mul_f32_e32 v3, v4, v3
	v_cvt_pk_bf16_f32 v48, v48, s0
	v_cvt_pk_bf16_f32 v49, v49, s0
	;; [unrolled: 1-line block ×3, first 2 shown]
	v_lshlrev_b32_e32 v3, 16, v23
	v_cvt_pk_bf16_f32 v50, v50, s0
	v_cvt_pk_bf16_f32 v51, v51, s0
	v_lshlrev_b32_e32 v52, 16, v58
	v_lshlrev_b32_e32 v55, 16, v55
	;; [unrolled: 1-line block ×5, first 2 shown]
	v_mul_f32_e32 v3, v9, v3
	v_mul_f32_e32 v52, v4, v52
	;; [unrolled: 1-line block ×3, first 2 shown]
	v_add_f32_e32 v48, v49, v48
	v_lshlrev_b32_e32 v49, 16, v51
	v_lshlrev_b32_e32 v50, 16, v50
	;; [unrolled: 1-line block ×3, first 2 shown]
	v_mul_f32_e32 v39, v9, v39
	v_cvt_pk_bf16_f32 v9, v3, s0
	v_lshlrev_b32_e32 v3, 16, v22
	v_cvt_pk_bf16_f32 v52, v52, s0
	v_cvt_pk_bf16_f32 v53, v53, s0
	v_lshlrev_b32_e32 v54, 16, v56
	v_add_f32_e32 v49, v49, v50
	v_cvt_pk_bf16_f32 v47, v47, s0
	v_cvt_pk_bf16_f32 v46, v46, s0
	;; [unrolled: 1-line block ×4, first 2 shown]
	v_mul_f32_e32 v43, v4, v43
	v_lshlrev_b32_e32 v41, 16, v41
	v_cvt_pk_bf16_f32 v6, v6, s0
	v_cvt_pk_bf16_f32 v2, v2, s0
	;; [unrolled: 1-line block ×3, first 2 shown]
	v_mul_f32_e32 v3, v5, v3
	v_mul_f32_e32 v54, v5, v54
	v_add_f32_e32 v48, v49, v48
	v_lshlrev_b32_e32 v49, 16, v53
	v_lshlrev_b32_e32 v50, 16, v52
	v_cvt_pk_bf16_f32 v43, v43, s0
	v_cvt_pk_bf16_f32 v42, v42, s0
	v_mul_f32_e32 v41, v5, v41
	v_lshlrev_b32_e32 v46, 16, v46
	v_lshlrev_b32_e32 v47, 16, v47
	;; [unrolled: 1-line block ×4, first 2 shown]
	v_cvt_pk_bf16_f32 v22, v3, s0
	v_lshlrev_b32_e32 v3, 16, v2
	v_lshlrev_b32_e32 v5, 16, v6
	;; [unrolled: 1-line block ×4, first 2 shown]
	v_cvt_pk_bf16_f32 v54, v54, s0
	v_cvt_pk_bf16_f32 v55, v55, s0
	v_add_f32_e32 v49, v49, v50
	v_cvt_pk_bf16_f32 v41, v41, s0
	v_cvt_pk_bf16_f32 v39, v39, s0
	v_add_f32_e32 v46, v46, v47
	v_add_f32_e32 v44, v44, v45
	v_lshlrev_b32_e32 v42, 16, v42
	v_lshlrev_b32_e32 v43, 16, v43
	v_pk_add_f32 v[2:3], v[4:5], v[2:3]
	v_lshlrev_b32_e32 v5, 16, v32
	v_lshlrev_b32_e32 v7, 16, v8
	v_lshlrev_b32_e32 v4, 16, v22
	v_lshlrev_b32_e32 v6, 16, v9
	v_add_f32_e32 v48, v49, v48
	v_lshlrev_b32_e32 v49, 16, v55
	v_lshlrev_b32_e32 v50, 16, v54
	v_add_f32_e32 v44, v44, v46
	v_add_f32_e32 v42, v42, v43
	v_lshlrev_b32_e32 v39, 16, v39
	v_lshlrev_b32_e32 v41, 16, v41
	v_pk_add_f32 v[4:5], v[6:7], v[4:5]
	v_add_f32_e32 v2, v2, v3
	v_add_f32_e32 v49, v49, v50
	;; [unrolled: 1-line block ×11, first 2 shown]
.LBB314_49:                             ;   in Loop: Header=BB314_50 Depth=1
	s_or_b64 exec, exec, s[8:9]
	v_add_u32_e32 v1, 2, v1
	v_cmp_le_i32_e32 vcc, s20, v1
	v_lshl_add_u64 v[20:21], v[20:21], 0, 8
	v_add_u32_e32 v40, 64, v40
	s_or_b64 s[6:7], vcc, s[6:7]
	v_add_u32_e32 v30, 0x100, v30
	s_andn2_b64 exec, exec, s[6:7]
	s_cbranch_execz .LBB314_67
.LBB314_50:                             ; =>This Inner Loop Header: Depth=1
	v_mul_hi_u32 v2, v40, s25
	v_mul_lo_u32 v3, v2, s16
	v_sub_u32_e32 v3, v40, v3
	v_add_u32_e32 v4, 1, v2
	v_cmp_le_u32_e32 vcc, s16, v3
	s_nop 1
	v_cndmask_b32_e32 v2, v2, v4, vcc
	v_subrev_u32_e32 v4, s16, v3
	v_cndmask_b32_e32 v3, v3, v4, vcc
	v_add_u32_e32 v4, 1, v2
	v_cmp_le_u32_e32 vcc, s16, v3
	s_nop 1
	v_cndmask_b32_e32 v2, v2, v4, vcc
	v_xor_b32_e32 v2, s23, v2
	v_subrev_u32_e32 v2, s23, v2
	v_add_u32_e32 v3, s36, v2
	v_sub_u32_e32 v5, 0, v3
	v_ashrrev_i32_e32 v4, 31, v3
	v_max_i32_e32 v3, v3, v5
	v_mul_hi_u32 v5, v3, v29
	v_mul_lo_u32 v5, v5, s19
	v_sub_u32_e32 v3, v3, v5
	v_subrev_u32_e32 v5, s19, v3
	v_cmp_le_u32_e32 vcc, s19, v3
	v_cmp_lt_i32_e64 s[0:1], s18, v2
	s_nop 0
	v_cndmask_b32_e32 v3, v3, v5, vcc
	v_subrev_u32_e32 v5, s19, v3
	v_cmp_le_u32_e32 vcc, s19, v3
	s_nop 1
	v_cndmask_b32_e32 v3, v3, v5, vcc
	v_xor_b32_e32 v3, v3, v4
	v_sub_u32_e32 v3, v3, v4
	v_cmp_eq_u32_e32 vcc, 0, v3
	s_or_b64 s[0:1], vcc, s[0:1]
	s_and_saveexec_b64 s[8:9], s[0:1]
	s_cbranch_execz .LBB314_49
; %bb.51:                               ;   in Loop: Header=BB314_50 Depth=1
	global_load_dword v2, v[20:21], off
	v_add_u32_e32 v48, v28, v40
	v_cmp_eq_u32_e32 vcc, s21, v1
	v_add_u32_e32 v54, 1, v48
	v_add_u32_e32 v53, 2, v48
	;; [unrolled: 1-line block ×7, first 2 shown]
	s_waitcnt vmcnt(0)
	v_mad_i64_i32 v[22:23], s[0:1], v2, s17, v[18:19]
	global_load_dwordx2 v[32:33], v[22:23], off
	ds_read2_b64 v[6:9], v30 offset1:1
	ds_read2_b64 v[2:5], v30 offset0:2 offset1:3
	s_load_dword s22, s[14:15], 0x0
	s_waitcnt vmcnt(0)
	v_and_b32_e32 v31, 0xff, v32
	v_bfe_u32 v34, v32, 8, 8
	v_bfe_u32 v35, v32, 16, 8
	v_lshrrev_b32_e32 v32, 24, v32
	v_and_b32_e32 v36, 0xff, v33
	v_bfe_u32 v37, v33, 8, 8
	v_bfe_u32 v38, v33, 16, 8
	v_lshrrev_b32_e32 v33, 24, v33
	v_cvt_f32_fp8_e32 v31, v31
	v_cvt_f32_fp8_e32 v34, v34
	;; [unrolled: 1-line block ×8, first 2 shown]
	s_waitcnt lgkmcnt(0)
	v_mul_f32_e32 v31, s22, v31
	v_mul_f32_e32 v34, s22, v34
	v_mul_f32_e32 v35, s22, v35
	v_mul_f32_e32 v32, s22, v32
	v_mul_f32_e32 v39, s22, v36
	v_mul_f32_e32 v41, s22, v37
	v_mul_f32_e32 v42, s22, v38
	v_mul_f32_e32 v43, s22, v33
	v_cvt_pk_bf16_f32 v37, v31, s0
	v_cvt_pk_bf16_f32 v38, v34, s0
	v_cvt_pk_bf16_f32 v35, v35, s0
	v_cvt_pk_bf16_f32 v36, v32, s0
	v_cvt_pk_bf16_f32 v33, v39, s0
	v_cvt_pk_bf16_f32 v34, v41, s0
	v_cvt_pk_bf16_f32 v31, v42, s0
	v_cvt_pk_bf16_f32 v32, v43, s0
	s_and_saveexec_b64 s[12:13], vcc
	s_cbranch_execz .LBB314_53
; %bb.52:                               ;   in Loop: Header=BB314_50 Depth=1
	v_cmp_gt_i32_e64 s[0:1], s33, v48
	s_nop 1
	v_cndmask_b32_e64 v37, 0, v37, s[0:1]
	v_cmp_gt_i32_e64 s[0:1], s33, v54
	s_nop 1
	v_cndmask_b32_e64 v38, 0, v38, s[0:1]
	v_cmp_gt_i32_e64 s[0:1], s33, v53
	s_nop 1
	v_cndmask_b32_e64 v35, 0, v35, s[0:1]
	v_cmp_gt_i32_e64 s[0:1], s33, v52
	s_nop 1
	v_cndmask_b32_e64 v36, 0, v36, s[0:1]
	v_cmp_gt_i32_e64 s[0:1], s33, v51
	s_nop 1
	v_cndmask_b32_e64 v33, 0, v33, s[0:1]
	v_cmp_gt_i32_e64 s[0:1], s33, v50
	s_nop 1
	v_cndmask_b32_e64 v34, 0, v34, s[0:1]
	v_cmp_gt_i32_e64 s[0:1], s33, v49
	s_nop 1
	v_cndmask_b32_e64 v31, 0, v31, s[0:1]
	v_cmp_gt_i32_e64 s[0:1], s33, v62
	s_nop 1
	v_cndmask_b32_e64 v32, 0, v32, s[0:1]
.LBB314_53:                             ;   in Loop: Header=BB314_50 Depth=1
	s_or_b64 exec, exec, s[12:13]
	global_load_dwordx2 v[42:43], v[22:23], off offset:512
	s_waitcnt vmcnt(0)
	v_and_b32_e32 v39, 0xff, v42
	v_bfe_u32 v41, v42, 8, 8
	v_bfe_u32 v44, v42, 16, 8
	v_lshrrev_b32_e32 v42, 24, v42
	v_and_b32_e32 v45, 0xff, v43
	v_bfe_u32 v46, v43, 8, 8
	v_bfe_u32 v47, v43, 16, 8
	v_lshrrev_b32_e32 v43, 24, v43
	v_cvt_f32_fp8_e32 v39, v39
	v_cvt_f32_fp8_e32 v41, v41
	v_cvt_f32_fp8_e32 v44, v44
	v_cvt_f32_fp8_e32 v42, v42
	v_cvt_f32_fp8_e32 v45, v45
	v_cvt_f32_fp8_e32 v46, v46
	v_cvt_f32_fp8_e32 v47, v47
	v_cvt_f32_fp8_e32 v43, v43
	v_mul_f32_e32 v39, s22, v39
	v_mul_f32_e32 v41, s22, v41
	v_mul_f32_e32 v44, s22, v44
	v_mul_f32_e32 v42, s22, v42
	v_mul_f32_e32 v55, s22, v45
	v_mul_f32_e32 v56, s22, v46
	v_mul_f32_e32 v57, s22, v47
	v_mul_f32_e32 v58, s22, v43
	v_cvt_pk_bf16_f32 v46, v39, s0
	v_cvt_pk_bf16_f32 v47, v41, s0
	v_cvt_pk_bf16_f32 v44, v44, s0
	v_cvt_pk_bf16_f32 v45, v42, s0
	v_cvt_pk_bf16_f32 v42, v55, s0
	v_cvt_pk_bf16_f32 v43, v56, s0
	v_cvt_pk_bf16_f32 v39, v57, s0
	v_cvt_pk_bf16_f32 v41, v58, s0
	s_and_saveexec_b64 s[12:13], vcc
	s_cbranch_execz .LBB314_55
; %bb.54:                               ;   in Loop: Header=BB314_50 Depth=1
	v_cmp_gt_i32_e64 s[0:1], s33, v48
	s_nop 1
	v_cndmask_b32_e64 v46, 0, v46, s[0:1]
	v_cmp_gt_i32_e64 s[0:1], s33, v54
	s_nop 1
	v_cndmask_b32_e64 v47, 0, v47, s[0:1]
	v_cmp_gt_i32_e64 s[0:1], s33, v53
	s_nop 1
	v_cndmask_b32_e64 v44, 0, v44, s[0:1]
	v_cmp_gt_i32_e64 s[0:1], s33, v52
	s_nop 1
	v_cndmask_b32_e64 v45, 0, v45, s[0:1]
	v_cmp_gt_i32_e64 s[0:1], s33, v51
	s_nop 1
	v_cndmask_b32_e64 v42, 0, v42, s[0:1]
	v_cmp_gt_i32_e64 s[0:1], s33, v50
	s_nop 1
	v_cndmask_b32_e64 v43, 0, v43, s[0:1]
	v_cmp_gt_i32_e64 s[0:1], s33, v49
	s_nop 1
	v_cndmask_b32_e64 v39, 0, v39, s[0:1]
	v_cmp_gt_i32_e64 s[0:1], s33, v62
	s_nop 1
	v_cndmask_b32_e64 v41, 0, v41, s[0:1]
.LBB314_55:                             ;   in Loop: Header=BB314_50 Depth=1
	s_or_b64 exec, exec, s[12:13]
	global_load_dwordx2 v[56:57], v[22:23], off offset:1024
	s_waitcnt vmcnt(0)
	v_and_b32_e32 v55, 0xff, v56
	v_bfe_u32 v58, v56, 8, 8
	v_bfe_u32 v59, v56, 16, 8
	v_lshrrev_b32_e32 v56, 24, v56
	v_and_b32_e32 v60, 0xff, v57
	v_bfe_u32 v61, v57, 8, 8
	v_bfe_u32 v63, v57, 16, 8
	v_lshrrev_b32_e32 v57, 24, v57
	v_cvt_f32_fp8_e32 v55, v55
	v_cvt_f32_fp8_e32 v58, v58
	v_cvt_f32_fp8_e32 v59, v59
	v_cvt_f32_fp8_e32 v56, v56
	v_cvt_f32_fp8_e32 v60, v60
	v_cvt_f32_fp8_e32 v61, v61
	v_cvt_f32_fp8_e32 v63, v63
	v_cvt_f32_fp8_e32 v57, v57
	;; [unrolled: 63-line block ×7, first 2 shown]
	v_mul_f32_e32 v80, s22, v80
	v_mul_f32_e32 v81, s22, v81
	;; [unrolled: 1-line block ×8, first 2 shown]
	v_cvt_pk_bf16_f32 v85, v80, s0
	v_cvt_pk_bf16_f32 v84, v81, s0
	;; [unrolled: 1-line block ×8, first 2 shown]
	s_and_saveexec_b64 s[0:1], vcc
	s_cbranch_execz .LBB314_48
; %bb.66:                               ;   in Loop: Header=BB314_50 Depth=1
	v_cmp_gt_i32_e32 vcc, s33, v48
	s_nop 1
	v_cndmask_b32_e32 v85, 0, v85, vcc
	v_cmp_gt_i32_e32 vcc, s33, v54
	s_nop 1
	v_cndmask_b32_e32 v84, 0, v84, vcc
	;; [unrolled: 3-line block ×8, first 2 shown]
	s_branch .LBB314_48
.LBB314_67:
	s_or_b64 exec, exec, s[6:7]
.LBB314_68:
	s_or_b64 exec, exec, s[2:3]
	ds_bpermute_b32 v2, v25, v10
	ds_bpermute_b32 v3, v25, v11
	ds_bpermute_b32 v4, v25, v16
	ds_bpermute_b32 v5, v25, v17
	ds_bpermute_b32 v6, v25, v14
	ds_bpermute_b32 v7, v25, v15
	s_waitcnt lgkmcnt(4)
	v_pk_add_f32 v[2:3], v[10:11], v[2:3]
	ds_bpermute_b32 v8, v26, v2
	ds_bpermute_b32 v9, v26, v3
	s_waitcnt lgkmcnt(4)
	v_pk_add_f32 v[4:5], v[16:17], v[4:5]
	ds_bpermute_b32 v18, v25, v12
	ds_bpermute_b32 v19, v25, v13
	;; [unrolled: 1-line block ×4, first 2 shown]
	s_waitcnt lgkmcnt(6)
	v_pk_add_f32 v[14:15], v[14:15], v[6:7]
	ds_bpermute_b32 v16, v26, v14
	ds_bpermute_b32 v17, v26, v15
	s_waitcnt lgkmcnt(6)
	v_pk_add_f32 v[6:7], v[2:3], v[8:9]
	s_waitcnt lgkmcnt(4)
	v_pk_add_f32 v[8:9], v[12:13], v[18:19]
	;; [unrolled: 2-line block ×3, first 2 shown]
	ds_bpermute_b32 v10, v26, v8
	ds_bpermute_b32 v11, v26, v9
	v_and_b32_e32 v1, 0x3c3, v0
	s_waitcnt lgkmcnt(2)
	v_pk_add_f32 v[2:3], v[14:15], v[16:17]
	v_cmp_ne_u32_e32 vcc, 64, v1
	s_waitcnt lgkmcnt(0)
	s_barrier
	s_and_saveexec_b64 s[0:1], vcc
	s_xor_b64 s[0:1], exec, s[0:1]
; %bb.69:
                                        ; implicit-def: $vgpr24
; %bb.70:
	s_or_saveexec_b64 s[0:1], s[0:1]
	v_pk_add_f32 v[8:9], v[8:9], v[10:11]
	s_xor_b64 exec, exec, s[0:1]
	s_cbranch_execz .LBB314_72
; %bb.71:
	v_add_u32_e32 v10, 0x110, v24
	ds_write2_b32 v10, v6, v7 offset1:16
	ds_write2_b32 v10, v4, v5 offset0:32 offset1:48
	ds_write2_b32 v10, v2, v3 offset0:64 offset1:80
	;; [unrolled: 1-line block ×3, first 2 shown]
.LBB314_72:
	s_or_b64 exec, exec, s[0:1]
	v_cmp_gt_u32_e32 vcc, 64, v0
	v_lshrrev_b32_e32 v0, 2, v0
	s_waitcnt lgkmcnt(0)
	s_barrier
	s_and_saveexec_b64 s[0:1], vcc
	s_cbranch_execz .LBB314_83
; %bb.73:
	v_mov_b32_e32 v10, 0x110
	v_cmp_eq_u32_e32 vcc, 0, v27
	v_lshl_add_u32 v10, v0, 2, v10
	s_and_saveexec_b64 s[2:3], vcc
	s_cbranch_execnz .LBB314_86
; %bb.74:
	s_or_b64 exec, exec, s[2:3]
	s_and_saveexec_b64 s[2:3], vcc
	s_cbranch_execnz .LBB314_87
.LBB314_75:
	s_or_b64 exec, exec, s[2:3]
	s_and_saveexec_b64 s[2:3], vcc
	s_cbranch_execnz .LBB314_88
.LBB314_76:
	s_or_b64 exec, exec, s[2:3]
	s_and_saveexec_b64 s[2:3], vcc
	s_cbranch_execnz .LBB314_89
.LBB314_77:
	s_or_b64 exec, exec, s[2:3]
	s_and_saveexec_b64 s[2:3], vcc
	s_cbranch_execnz .LBB314_90
.LBB314_78:
	s_or_b64 exec, exec, s[2:3]
	s_and_saveexec_b64 s[2:3], vcc
	s_cbranch_execnz .LBB314_91
.LBB314_79:
	s_or_b64 exec, exec, s[2:3]
	s_and_saveexec_b64 s[2:3], vcc
	s_cbranch_execnz .LBB314_92
.LBB314_80:
	s_or_b64 exec, exec, s[2:3]
	s_and_saveexec_b64 s[2:3], vcc
	s_cbranch_execz .LBB314_82
.LBB314_81:
	ds_read_b32 v10, v10 offset:448
	s_waitcnt lgkmcnt(0)
	v_add_f32_e32 v9, v9, v10
.LBB314_82:
	s_or_b64 exec, exec, s[2:3]
.LBB314_83:
	s_or_b64 exec, exec, s[0:1]
	v_cmp_eq_u32_e32 vcc, 0, v1
	s_barrier
	s_and_saveexec_b64 s[0:1], vcc
	s_cbranch_execz .LBB314_85
; %bb.84:
	s_mul_i32 s0, s10, s11
	s_mul_i32 s0, s0, s5
	s_lshl_b32 s0, s0, 7
	s_ashr_i32 s1, s0, 31
	s_lshl_b64 s[0:1], s[0:1], 1
	s_add_u32 s2, s26, s0
	s_mul_i32 s0, s11, s24
	s_addc_u32 s3, s27, s1
	s_ashr_i32 s1, s0, 31
	s_lshl_b64 s[0:1], s[0:1], 1
	s_add_u32 s2, s2, s0
	s_addc_u32 s3, s3, s1
	s_lshl_b32 s0, s4, 7
	s_ashr_i32 s1, s0, 31
	s_lshl_b64 s[0:1], s[0:1], 1
	s_add_u32 s0, s2, s0
	s_addc_u32 s1, s3, s1
	v_lshlrev_b32_e32 v0, 1, v0
	v_cvt_pk_bf16_f32 v1, v6, s0
	global_store_short v0, v1, s[0:1]
	v_cvt_pk_bf16_f32 v1, v7, s0
	global_store_short v0, v1, s[0:1] offset:32
	v_cvt_pk_bf16_f32 v1, v4, s0
	global_store_short v0, v1, s[0:1] offset:64
	;; [unrolled: 2-line block ×7, first 2 shown]
.LBB314_85:
	s_endpgm
.LBB314_86:
	ds_read_b32 v11, v10
	s_waitcnt lgkmcnt(0)
	v_add_f32_e32 v6, v6, v11
	s_or_b64 exec, exec, s[2:3]
	s_and_saveexec_b64 s[2:3], vcc
	s_cbranch_execz .LBB314_75
.LBB314_87:
	ds_read_b32 v11, v10 offset:64
	s_waitcnt lgkmcnt(0)
	v_add_f32_e32 v7, v7, v11
	s_or_b64 exec, exec, s[2:3]
	s_and_saveexec_b64 s[2:3], vcc
	s_cbranch_execz .LBB314_76
.LBB314_88:
	ds_read_b32 v11, v10 offset:128
	s_waitcnt lgkmcnt(0)
	v_add_f32_e32 v4, v4, v11
	s_or_b64 exec, exec, s[2:3]
	s_and_saveexec_b64 s[2:3], vcc
	s_cbranch_execz .LBB314_77
.LBB314_89:
	ds_read_b32 v11, v10 offset:192
	s_waitcnt lgkmcnt(0)
	v_add_f32_e32 v5, v5, v11
	s_or_b64 exec, exec, s[2:3]
	s_and_saveexec_b64 s[2:3], vcc
	s_cbranch_execz .LBB314_78
.LBB314_90:
	ds_read_b32 v11, v10 offset:256
	s_waitcnt lgkmcnt(0)
	v_add_f32_e32 v2, v2, v11
	s_or_b64 exec, exec, s[2:3]
	s_and_saveexec_b64 s[2:3], vcc
	s_cbranch_execz .LBB314_79
.LBB314_91:
	ds_read_b32 v11, v10 offset:320
	s_waitcnt lgkmcnt(0)
	v_add_f32_e32 v3, v3, v11
	s_or_b64 exec, exec, s[2:3]
	s_and_saveexec_b64 s[2:3], vcc
	s_cbranch_execz .LBB314_80
.LBB314_92:
	ds_read_b32 v11, v10 offset:384
	s_waitcnt lgkmcnt(0)
	v_add_f32_e32 v8, v8, v11
	s_or_b64 exec, exec, s[2:3]
	s_and_saveexec_b64 s[2:3], vcc
	s_cbranch_execnz .LBB314_81
	s_branch .LBB314_82
	.section	.rodata,"a",@progbits
	.p2align	6, 0x0
	.amdhsa_kernel _ZN4vllm25paged_attention_v1_kernelI14__hip_bfloat16hLi128ELi32ELi128ELNS_18Fp8KVCacheDataTypeE1ELb1EEEvPT_PKS3_PKT0_S9_ifPKiSB_iPKfiiiSD_SD_iiiii
		.amdhsa_group_segment_fixed_size 272
		.amdhsa_private_segment_fixed_size 0
		.amdhsa_kernarg_size 384
		.amdhsa_user_sgpr_count 2
		.amdhsa_user_sgpr_dispatch_ptr 0
		.amdhsa_user_sgpr_queue_ptr 0
		.amdhsa_user_sgpr_kernarg_segment_ptr 1
		.amdhsa_user_sgpr_dispatch_id 0
		.amdhsa_user_sgpr_kernarg_preload_length 0
		.amdhsa_user_sgpr_kernarg_preload_offset 0
		.amdhsa_user_sgpr_private_segment_size 0
		.amdhsa_uses_dynamic_stack 0
		.amdhsa_enable_private_segment 0
		.amdhsa_system_sgpr_workgroup_id_x 1
		.amdhsa_system_sgpr_workgroup_id_y 1
		.amdhsa_system_sgpr_workgroup_id_z 1
		.amdhsa_system_sgpr_workgroup_info 0
		.amdhsa_system_vgpr_workitem_id 0
		.amdhsa_next_free_vgpr 106
		.amdhsa_next_free_sgpr 48
		.amdhsa_accum_offset 108
		.amdhsa_reserve_vcc 1
		.amdhsa_float_round_mode_32 0
		.amdhsa_float_round_mode_16_64 0
		.amdhsa_float_denorm_mode_32 3
		.amdhsa_float_denorm_mode_16_64 3
		.amdhsa_dx10_clamp 1
		.amdhsa_ieee_mode 1
		.amdhsa_fp16_overflow 0
		.amdhsa_tg_split 0
		.amdhsa_exception_fp_ieee_invalid_op 0
		.amdhsa_exception_fp_denorm_src 0
		.amdhsa_exception_fp_ieee_div_zero 0
		.amdhsa_exception_fp_ieee_overflow 0
		.amdhsa_exception_fp_ieee_underflow 0
		.amdhsa_exception_fp_ieee_inexact 0
		.amdhsa_exception_int_div_zero 0
	.end_amdhsa_kernel
	.section	.text._ZN4vllm25paged_attention_v1_kernelI14__hip_bfloat16hLi128ELi32ELi128ELNS_18Fp8KVCacheDataTypeE1ELb1EEEvPT_PKS3_PKT0_S9_ifPKiSB_iPKfiiiSD_SD_iiiii,"axG",@progbits,_ZN4vllm25paged_attention_v1_kernelI14__hip_bfloat16hLi128ELi32ELi128ELNS_18Fp8KVCacheDataTypeE1ELb1EEEvPT_PKS3_PKT0_S9_ifPKiSB_iPKfiiiSD_SD_iiiii,comdat
.Lfunc_end314:
	.size	_ZN4vllm25paged_attention_v1_kernelI14__hip_bfloat16hLi128ELi32ELi128ELNS_18Fp8KVCacheDataTypeE1ELb1EEEvPT_PKS3_PKT0_S9_ifPKiSB_iPKfiiiSD_SD_iiiii, .Lfunc_end314-_ZN4vllm25paged_attention_v1_kernelI14__hip_bfloat16hLi128ELi32ELi128ELNS_18Fp8KVCacheDataTypeE1ELb1EEEvPT_PKS3_PKT0_S9_ifPKiSB_iPKfiiiSD_SD_iiiii
                                        ; -- End function
	.set _ZN4vllm25paged_attention_v1_kernelI14__hip_bfloat16hLi128ELi32ELi128ELNS_18Fp8KVCacheDataTypeE1ELb1EEEvPT_PKS3_PKT0_S9_ifPKiSB_iPKfiiiSD_SD_iiiii.num_vgpr, 106
	.set _ZN4vllm25paged_attention_v1_kernelI14__hip_bfloat16hLi128ELi32ELi128ELNS_18Fp8KVCacheDataTypeE1ELb1EEEvPT_PKS3_PKT0_S9_ifPKiSB_iPKfiiiSD_SD_iiiii.num_agpr, 0
	.set _ZN4vllm25paged_attention_v1_kernelI14__hip_bfloat16hLi128ELi32ELi128ELNS_18Fp8KVCacheDataTypeE1ELb1EEEvPT_PKS3_PKT0_S9_ifPKiSB_iPKfiiiSD_SD_iiiii.numbered_sgpr, 48
	.set _ZN4vllm25paged_attention_v1_kernelI14__hip_bfloat16hLi128ELi32ELi128ELNS_18Fp8KVCacheDataTypeE1ELb1EEEvPT_PKS3_PKT0_S9_ifPKiSB_iPKfiiiSD_SD_iiiii.num_named_barrier, 0
	.set _ZN4vllm25paged_attention_v1_kernelI14__hip_bfloat16hLi128ELi32ELi128ELNS_18Fp8KVCacheDataTypeE1ELb1EEEvPT_PKS3_PKT0_S9_ifPKiSB_iPKfiiiSD_SD_iiiii.private_seg_size, 0
	.set _ZN4vllm25paged_attention_v1_kernelI14__hip_bfloat16hLi128ELi32ELi128ELNS_18Fp8KVCacheDataTypeE1ELb1EEEvPT_PKS3_PKT0_S9_ifPKiSB_iPKfiiiSD_SD_iiiii.uses_vcc, 1
	.set _ZN4vllm25paged_attention_v1_kernelI14__hip_bfloat16hLi128ELi32ELi128ELNS_18Fp8KVCacheDataTypeE1ELb1EEEvPT_PKS3_PKT0_S9_ifPKiSB_iPKfiiiSD_SD_iiiii.uses_flat_scratch, 0
	.set _ZN4vllm25paged_attention_v1_kernelI14__hip_bfloat16hLi128ELi32ELi128ELNS_18Fp8KVCacheDataTypeE1ELb1EEEvPT_PKS3_PKT0_S9_ifPKiSB_iPKfiiiSD_SD_iiiii.has_dyn_sized_stack, 0
	.set _ZN4vllm25paged_attention_v1_kernelI14__hip_bfloat16hLi128ELi32ELi128ELNS_18Fp8KVCacheDataTypeE1ELb1EEEvPT_PKS3_PKT0_S9_ifPKiSB_iPKfiiiSD_SD_iiiii.has_recursion, 0
	.set _ZN4vllm25paged_attention_v1_kernelI14__hip_bfloat16hLi128ELi32ELi128ELNS_18Fp8KVCacheDataTypeE1ELb1EEEvPT_PKS3_PKT0_S9_ifPKiSB_iPKfiiiSD_SD_iiiii.has_indirect_call, 0
	.section	.AMDGPU.csdata,"",@progbits
; Kernel info:
; codeLenInByte = 11364
; TotalNumSgprs: 54
; NumVgprs: 106
; NumAgprs: 0
; TotalNumVgprs: 106
; ScratchSize: 0
; MemoryBound: 0
; FloatMode: 240
; IeeeMode: 1
; LDSByteSize: 272 bytes/workgroup (compile time only)
; SGPRBlocks: 6
; VGPRBlocks: 13
; NumSGPRsForWavesPerEU: 54
; NumVGPRsForWavesPerEU: 106
; AccumOffset: 108
; Occupancy: 4
; WaveLimiterHint : 1
; COMPUTE_PGM_RSRC2:SCRATCH_EN: 0
; COMPUTE_PGM_RSRC2:USER_SGPR: 2
; COMPUTE_PGM_RSRC2:TRAP_HANDLER: 0
; COMPUTE_PGM_RSRC2:TGID_X_EN: 1
; COMPUTE_PGM_RSRC2:TGID_Y_EN: 1
; COMPUTE_PGM_RSRC2:TGID_Z_EN: 1
; COMPUTE_PGM_RSRC2:TIDIG_COMP_CNT: 0
; COMPUTE_PGM_RSRC3_GFX90A:ACCUM_OFFSET: 26
; COMPUTE_PGM_RSRC3_GFX90A:TG_SPLIT: 0
	.section	.text._ZN4vllm25paged_attention_v1_kernelI14__hip_bfloat16hLi192ELi32ELi128ELNS_18Fp8KVCacheDataTypeE1ELb1EEEvPT_PKS3_PKT0_S9_ifPKiSB_iPKfiiiSD_SD_iiiii,"axG",@progbits,_ZN4vllm25paged_attention_v1_kernelI14__hip_bfloat16hLi192ELi32ELi128ELNS_18Fp8KVCacheDataTypeE1ELb1EEEvPT_PKS3_PKT0_S9_ifPKiSB_iPKfiiiSD_SD_iiiii,comdat
	.protected	_ZN4vllm25paged_attention_v1_kernelI14__hip_bfloat16hLi192ELi32ELi128ELNS_18Fp8KVCacheDataTypeE1ELb1EEEvPT_PKS3_PKT0_S9_ifPKiSB_iPKfiiiSD_SD_iiiii ; -- Begin function _ZN4vllm25paged_attention_v1_kernelI14__hip_bfloat16hLi192ELi32ELi128ELNS_18Fp8KVCacheDataTypeE1ELb1EEEvPT_PKS3_PKT0_S9_ifPKiSB_iPKfiiiSD_SD_iiiii
	.globl	_ZN4vllm25paged_attention_v1_kernelI14__hip_bfloat16hLi192ELi32ELi128ELNS_18Fp8KVCacheDataTypeE1ELb1EEEvPT_PKS3_PKT0_S9_ifPKiSB_iPKfiiiSD_SD_iiiii
	.p2align	8
	.type	_ZN4vllm25paged_attention_v1_kernelI14__hip_bfloat16hLi192ELi32ELi128ELNS_18Fp8KVCacheDataTypeE1ELb1EEEvPT_PKS3_PKT0_S9_ifPKiSB_iPKfiiiSD_SD_iiiii,@function
_ZN4vllm25paged_attention_v1_kernelI14__hip_bfloat16hLi192ELi32ELi128ELNS_18Fp8KVCacheDataTypeE1ELb1EEEvPT_PKS3_PKT0_S9_ifPKiSB_iPKfiiiSD_SD_iiiii: ; @_ZN4vllm25paged_attention_v1_kernelI14__hip_bfloat16hLi192ELi32ELi128ELNS_18Fp8KVCacheDataTypeE1ELb1EEEvPT_PKS3_PKT0_S9_ifPKiSB_iPKfiiiSD_SD_iiiii
; %bb.0:
	s_load_dword s5, s[0:1], 0x80
	s_load_dwordx2 s[6:7], s[0:1], 0x30
	s_load_dwordx2 s[36:37], s[0:1], 0x20
	s_mov_b32 s10, s3
	s_ashr_i32 s11, s3, 31
	s_lshl_b64 s[8:9], s[10:11], 2
	s_waitcnt lgkmcnt(0)
	s_add_u32 s6, s6, s8
	s_addc_u32 s7, s7, s9
	s_abs_i32 s3, s36
	v_mov_b32_e32 v25, v0
	v_cvt_f32_u32_e32 v0, s3
	s_sub_i32 s11, 0, s3
	s_abs_i32 s9, s5
	s_xor_b32 s8, s5, s36
	v_rcp_iflag_f32_e32 v0, v0
	s_ashr_i32 s8, s8, 31
	s_mov_b32 s52, 0
	v_mul_f32_e32 v0, 0x4f7ffffe, v0
	v_cvt_u32_f32_e32 v0, v0
	s_nop 0
	v_readfirstlane_b32 s12, v0
	s_mul_i32 s11, s11, s12
	s_mul_hi_u32 s11, s12, s11
	s_add_i32 s12, s12, s11
	s_mul_hi_u32 s11, s9, s12
	s_mul_i32 s12, s11, s3
	s_sub_i32 s9, s9, s12
	s_add_i32 s12, s11, 1
	s_sub_i32 s13, s9, s3
	s_cmp_ge_u32 s9, s3
	s_cselect_b32 s11, s12, s11
	s_cselect_b32 s9, s13, s9
	s_add_i32 s12, s11, 1
	s_cmp_ge_u32 s9, s3
	s_cselect_b32 s3, s12, s11
	s_xor_b32 s3, s3, s8
	s_sub_i32 s14, s3, s8
	s_abs_i32 s11, s14
	v_cvt_f32_u32_e32 v0, s11
	s_load_dwordx2 s[8:9], s[0:1], 0x40
	s_sub_i32 s3, 0, s11
	s_abs_i32 s12, s2
	v_rcp_iflag_f32_e32 v0, v0
	s_nop 0
	v_mul_f32_e32 v0, 0x4f7ffffe, v0
	v_cvt_u32_f32_e32 v0, v0
	s_nop 0
	v_readfirstlane_b32 s13, v0
	s_mul_i32 s3, s3, s13
	s_mul_hi_u32 s3, s13, s3
	s_add_i32 s13, s13, s3
	s_waitcnt lgkmcnt(0)
	s_cmp_eq_u64 s[8:9], 0
	s_mul_hi_u32 s13, s12, s13
	s_cbranch_scc1 .LBB315_2
; %bb.1:
	s_ashr_i32 s3, s2, 31
	s_lshl_b64 s[16:17], s[2:3], 2
	s_add_u32 s8, s8, s16
	s_addc_u32 s9, s9, s17
	s_load_dword s52, s[8:9], 0x0
.LBB315_2:
	s_load_dword s33, s[6:7], 0x0
	s_load_dwordx4 s[16:19], s[0:1], 0x48
	s_ashr_i32 s8, s2, 31
	s_ashr_i32 s9, s14, 31
	v_and_b32_e32 v0, 1, v25
	s_movk_i32 s3, 0xc0
	s_mul_i32 s24, s2, 0xc0
	v_cmp_gt_u32_e32 vcc, 48, v25
	v_lshlrev_b32_e32 v22, 3, v25
	s_and_saveexec_b64 s[6:7], vcc
	s_cbranch_execz .LBB315_4
; %bb.3:
	s_load_dwordx2 s[14:15], s[0:1], 0x8
	s_waitcnt lgkmcnt(0)
	s_mul_i32 s20, s16, s10
	s_ashr_i32 s21, s20, 31
	s_lshl_b64 s[20:21], s[20:21], 1
	v_lshlrev_b32_e32 v1, 2, v25
	s_add_u32 s16, s14, s20
	s_addc_u32 s19, s15, s21
	s_ashr_i32 s25, s24, 31
	s_lshl_b64 s[14:15], s[24:25], 1
	s_add_u32 s14, s16, s14
	s_addc_u32 s15, s19, s15
	global_load_dwordx2 v[2:3], v22, s[14:15]
	v_and_b32_e32 v1, 0xff8, v1
	v_mad_u32_u24 v1, v0, s3, v1
	s_waitcnt vmcnt(0)
	ds_write_b64 v1, v[2:3]
.LBB315_4:
	s_or_b64 exec, exec, s[6:7]
	s_mul_i32 s7, s13, s11
	s_sub_i32 s7, s12, s7
	s_xor_b32 s6, s8, s9
	s_add_i32 s8, s13, 1
	s_sub_i32 s9, s7, s11
	s_load_dwordx4 s[20:23], s[0:1], 0x68
	s_load_dword s3, s[0:1], 0x78
	s_cmp_ge_u32 s7, s11
	s_cselect_b32 s8, s8, s13
	s_cselect_b32 s7, s9, s7
	s_add_i32 s9, s8, 1
	s_cmp_ge_u32 s7, s11
	s_cselect_b32 s7, s9, s8
	s_waitcnt lgkmcnt(0)
	s_abs_i32 s16, s23
	v_cvt_f32_u32_e32 v1, s16
	s_xor_b32 s7, s7, s6
	s_sub_i32 s51, s7, s6
	s_sub_i32 s6, 0, s16
	v_rcp_iflag_f32_e32 v1, v1
	s_add_i32 s11, s33, -1
	s_abs_i32 s8, s11
	v_mul_f32_e32 v1, 0x4f7ffffe, v1
	v_cvt_u32_f32_e32 v1, v1
	s_barrier
	v_readfirstlane_b32 s25, v1
	s_mul_i32 s6, s6, s25
	s_mul_hi_u32 s6, s25, s6
	s_add_i32 s25, s25, s6
	s_cmp_lt_i32 s3, 0
	s_mul_hi_u32 s9, s8, s25
	s_cbranch_scc0 .LBB315_6
; %bb.5:
	s_mul_i32 s6, s20, s36
	s_add_i32 s6, s51, s6
	s_mul_i32 s6, s6, s3
	s_sub_i32 s36, 1, s6
	s_mov_b64 s[6:7], 0
	s_branch .LBB315_7
.LBB315_6:
	s_mov_b64 s[6:7], -1
                                        ; implicit-def: $sgpr36
.LBB315_7:
	s_load_dwordx2 s[28:29], s[0:1], 0x28
	s_ashr_i32 s19, s11, 31
	s_andn2_b64 vcc, exec, s[6:7]
	s_ashr_i32 s23, s23, 31
	s_cbranch_vccnz .LBB315_9
; %bb.8:
	s_mul_i32 s6, s5, s20
	s_add_i32 s2, s6, s2
	s_mul_i32 s2, s2, s3
	s_add_i32 s36, s2, 1
.LBB315_9:
	s_load_dword s2, s[0:1], 0x38
	s_load_dwordx2 s[26:27], s[0:1], 0x0
	s_load_dwordx2 s[34:35], s[0:1], 0x18
	s_load_dword s11, s[0:1], 0x88
	s_load_dwordx4 s[12:15], s[0:1], 0x58
	s_mul_i32 s3, s9, s16
	s_waitcnt lgkmcnt(0)
	s_mul_i32 s30, s2, s10
	s_sub_i32 s3, s8, s3
	s_ashr_i32 s31, s30, 31
	s_xor_b32 s2, s19, s23
	s_add_i32 s6, s9, 1
	s_sub_i32 s7, s3, s16
	s_cmp_ge_u32 s3, s16
	s_cselect_b32 s6, s6, s9
	s_cselect_b32 s3, s7, s3
	s_add_i32 s7, s6, 1
	s_cmp_ge_u32 s3, s16
	s_cselect_b32 s3, s7, s6
	s_xor_b32 s3, s3, s2
	s_sub_i32 s50, s3, s2
	s_add_i32 s2, s33, 31
	s_ashr_i32 s3, s2, 31
	s_lshr_b32 s3, s3, 27
	s_add_i32 s2, s2, s3
	s_ashr_i32 s20, s2, 5
	v_lshrrev_b32_e32 v1, 6, v25
	v_cmp_gt_i32_e64 s[6:7], s20, v1
	v_mov_b32_e32 v27, 0xff7fffff
	s_mul_i32 s51, s51, s18
	v_lshrrev_b32_e32 v24, 4, v25
	v_lshlrev_b32_e32 v28, 5, v1
	v_mbcnt_lo_u32_b32 v23, -1, 0
	s_and_saveexec_b64 s[18:19], s[6:7]
	s_cbranch_execz .LBB315_21
; %bb.10:
	s_load_dwordx2 s[0:1], s[0:1], 0x10
	s_sub_i32 s53, s50, s21
	s_ashr_i32 s2, s51, 31
	v_mov_b32_e32 v102, v25
	v_bfe_u32 v25, v25, 1, 5
	s_waitcnt lgkmcnt(0)
	s_add_u32 s0, s0, s51
	s_addc_u32 s1, s1, s2
	s_abs_i32 s55, s22
	v_cvt_f32_u32_e32 v2, s55
	v_lshlrev_b32_e32 v10, 4, v25
	v_mov_b32_e32 v11, 0
	v_cmp_eq_u32_e32 vcc, 0, v0
	v_rcp_iflag_f32_e32 v2, v2
	v_lshl_add_u64 v[12:13], s[0:1], 0, v[10:11]
	v_lshlrev_b32_e32 v10, 2, v0
	v_mul_u32_u24_e32 v26, 0xc0, v0
	v_mul_f32_e32 v0, 0x4f7ffffe, v2
	v_cvt_u32_f32_e32 v0, v0
	s_sub_i32 s0, 0, s55
	v_mbcnt_hi_u32_b32 v34, -1, v23
	v_mov_b32_e32 v3, v11
	v_mul_lo_u32 v2, s0, v0
	v_mul_hi_u32 v2, v0, v2
	v_add_u32_e32 v29, v0, v2
	v_subrev_u32_e32 v0, s33, v25
	s_lshl_b64 s[0:1], s[30:31], 2
	v_add_u32_e32 v31, 1, v0
	v_lshlrev_b32_e32 v0, 2, v25
	s_add_u32 s0, s28, s0
	v_lshl_or_b32 v0, v1, 7, v0
	v_and_b32_e32 v2, 60, v24
	s_addc_u32 s1, s29, s1
	v_add_u32_e32 v32, 0x190, v0
	v_and_b32_e32 v0, 64, v34
	s_mov_b32 s54, s17
	v_cmp_neq_f32_e64 s[2:3], s52, 0
	v_or_b32_e32 v14, 8, v10
	v_mov_b32_e32 v15, v11
	v_lshl_add_u64 v[16:17], s[0:1], 0, v[2:3]
	v_lshlrev_b32_e32 v30, 5, v1
	v_mov_b32_e32 v33, 0xff7fffff
	s_mov_b64 s[38:39], 0
	s_mov_b64 s[40:41], 0x1000
	;; [unrolled: 1-line block ×5, first 2 shown]
	v_xor_b32_e32 v35, 1, v34
	v_add_u32_e32 v36, 64, v0
	v_mov_b32_e32 v27, 0xff7fffff
	v_mov_b32_e32 v37, v1
	s_branch .LBB315_13
.LBB315_11:                             ;   in Loop: Header=BB315_13 Depth=1
	s_or_b64 exec, exec, s[48:49]
.LBB315_12:                             ;   in Loop: Header=BB315_13 Depth=1
	s_or_b64 exec, exec, s[8:9]
	v_add_u32_e32 v37, 2, v37
	v_cmp_le_i32_e64 s[0:1], s20, v37
	v_lshl_add_u64 v[16:17], v[16:17], 0, 8
	v_add_u32_e32 v30, 64, v30
	s_or_b64 s[38:39], s[0:1], s[38:39]
	v_add_u32_e32 v32, 0x100, v32
	s_andn2_b64 exec, exec, s[38:39]
	s_cbranch_execz .LBB315_20
.LBB315_13:                             ; =>This Inner Loop Header: Depth=1
	v_mul_hi_u32 v0, v30, s25
	s_waitcnt lgkmcnt(0)
	v_mul_lo_u32 v2, v0, s16
	v_sub_u32_e32 v2, v30, v2
	v_add_u32_e32 v3, 1, v0
	v_cmp_le_u32_e64 s[0:1], s16, v2
	s_nop 1
	v_cndmask_b32_e64 v0, v0, v3, s[0:1]
	v_subrev_u32_e32 v3, s16, v2
	v_cndmask_b32_e64 v2, v2, v3, s[0:1]
	v_add_u32_e32 v3, 1, v0
	v_cmp_le_u32_e64 s[0:1], s16, v2
	s_nop 1
	v_cndmask_b32_e64 v0, v0, v3, s[0:1]
	v_xor_b32_e32 v0, s23, v0
	v_subrev_u32_e32 v0, s23, v0
	v_add_u32_e32 v2, s36, v0
	v_sub_u32_e32 v4, 0, v2
	v_ashrrev_i32_e32 v3, 31, v2
	v_max_i32_e32 v2, v2, v4
	v_mul_hi_u32 v4, v2, v29
	v_mul_lo_u32 v4, v4, s55
	v_sub_u32_e32 v2, v2, v4
	v_subrev_u32_e32 v4, s55, v2
	v_cmp_le_u32_e64 s[0:1], s55, v2
	v_cmp_ge_i32_e64 s[8:9], s53, v0
	s_nop 0
	v_cndmask_b32_e64 v2, v2, v4, s[0:1]
	v_subrev_u32_e32 v4, s55, v2
	v_cmp_le_u32_e64 s[0:1], s55, v2
	s_nop 1
	v_cndmask_b32_e64 v2, v2, v4, s[0:1]
	v_xor_b32_e32 v2, v2, v3
	v_sub_u32_e32 v2, v2, v3
	v_cmp_ne_u32_e64 s[0:1], 0, v2
	s_and_b64 s[0:1], s[0:1], s[8:9]
	s_and_saveexec_b64 s[8:9], s[0:1]
	s_xor_b64 s[0:1], exec, s[8:9]
	s_cbranch_execz .LBB315_17
; %bb.14:                               ;   in Loop: Header=BB315_13 Depth=1
	s_and_saveexec_b64 s[8:9], vcc
; %bb.15:                               ;   in Loop: Header=BB315_13 Depth=1
	ds_write_b32 v32, v33
; %bb.16:                               ;   in Loop: Header=BB315_13 Depth=1
	s_or_b64 exec, exec, s[8:9]
.LBB315_17:                             ;   in Loop: Header=BB315_13 Depth=1
	s_andn2_saveexec_b64 s[8:9], s[0:1]
	s_cbranch_execz .LBB315_12
; %bb.18:                               ;   in Loop: Header=BB315_13 Depth=1
	global_load_dword v0, v[16:17], off
	s_waitcnt vmcnt(0)
	v_mad_i64_i32 v[18:19], s[0:1], v0, s54, v[12:13]
	v_lshl_add_u64 v[20:21], v[18:19], 0, v[10:11]
	global_load_dword v0, v[20:21], off offset:8
	global_load_dword v5, v[20:21], off offset:512
	;; [unrolled: 1-line block ×7, first 2 shown]
	global_load_dword v84, v[20:21], off
	ds_read_b128 v[6:9], v26
	ds_read_b128 v[38:41], v26 offset:16
	ds_read_b128 v[42:45], v26 offset:32
	;; [unrolled: 1-line block ×5, first 2 shown]
	s_load_dword s48, s[12:13], 0x0
	s_waitcnt lgkmcnt(0)
	v_lshlrev_b32_e32 v89, 16, v38
	v_lshlrev_b32_e32 v91, 16, v40
	;; [unrolled: 1-line block ×3, first 2 shown]
	v_and_b32_e32 v94, 0xffff0000, v38
	v_and_b32_e32 v96, 0xffff0000, v40
	;; [unrolled: 1-line block ×3, first 2 shown]
	v_lshlrev_b32_e32 v92, 16, v41
	v_and_b32_e32 v97, 0xffff0000, v41
	v_lshlrev_b32_e32 v90, 16, v39
	v_and_b32_e32 v95, 0xffff0000, v39
	v_lshlrev_b32_e32 v63, 16, v71
	v_lshlrev_b32_e32 v62, 16, v72
	;; [unrolled: 1-line block ×3, first 2 shown]
	v_and_b32_e32 v65, 0xffff0000, v71
	v_and_b32_e32 v64, 0xffff0000, v72
	;; [unrolled: 1-line block ×3, first 2 shown]
	v_lshlrev_b32_e32 v56, 16, v74
	v_lshlrev_b32_e32 v54, 16, v75
	;; [unrolled: 1-line block ×3, first 2 shown]
	v_and_b32_e32 v57, 0xffff0000, v74
	v_and_b32_e32 v55, 0xffff0000, v75
	;; [unrolled: 1-line block ×3, first 2 shown]
	v_lshlrev_b32_e32 v3, 16, v44
	v_lshlrev_b32_e32 v67, 16, v45
	;; [unrolled: 1-line block ×4, first 2 shown]
	v_and_b32_e32 v100, 0xffff0000, v44
	v_and_b32_e32 v69, 0xffff0000, v45
	v_and_b32_e32 v51, 0xffff0000, v77
	v_lshlrev_b32_e32 v46, 16, v79
	v_lshlrev_b32_e32 v45, 16, v80
	v_and_b32_e32 v49, 0xffff0000, v78
	v_and_b32_e32 v47, 0xffff0000, v79
	;; [unrolled: 1-line block ×3, first 2 shown]
	v_lshlrev_b32_e32 v88, 16, v9
	v_lshlrev_b32_e32 v93, 16, v42
	;; [unrolled: 1-line block ×3, first 2 shown]
	v_and_b32_e32 v9, 0xffff0000, v9
	v_and_b32_e32 v98, 0xffff0000, v42
	;; [unrolled: 1-line block ×3, first 2 shown]
	v_lshlrev_b32_e32 v43, 16, v81
	v_and_b32_e32 v42, 0xffff0000, v81
	v_lshlrev_b32_e32 v87, 16, v8
	v_lshlrev_b32_e32 v85, 16, v6
	v_lshlrev_b32_e32 v86, 16, v7
	v_and_b32_e32 v7, 0xffff0000, v7
	v_and_b32_e32 v8, 0xffff0000, v8
	;; [unrolled: 1-line block ×3, first 2 shown]
	s_waitcnt vmcnt(7)
	v_and_b32_e32 v38, 0xff, v0
	v_bfe_u32 v40, v0, 8, 8
	v_bfe_u32 v70, v0, 16, 8
	v_lshrrev_b32_e32 v0, 24, v0
	v_cvt_f32_fp8_e32 v0, v0
	v_cvt_f32_fp8_e32 v38, v38
	s_waitcnt vmcnt(6)
	v_and_b32_e32 v73, 0xff, v5
	s_waitcnt vmcnt(0)
	v_bfe_u32 v41, v84, 8, 8
	v_cvt_f32_fp8_e32 v41, v41
	v_and_b32_e32 v39, 0xff, v84
	v_bfe_u32 v71, v84, 16, 8
	v_lshrrev_b32_e32 v72, 24, v84
	v_cvt_f32_fp8_e32 v39, v39
	v_bfe_u32 v74, v5, 8, 8
	v_bfe_u32 v75, v5, 16, 8
	v_lshrrev_b32_e32 v5, 24, v5
	v_and_b32_e32 v76, 0xff, v82
	v_cvt_f32_fp8_e32 v40, v40
	v_cvt_f32_fp8_e32 v70, v70
	;; [unrolled: 1-line block ×5, first 2 shown]
	v_mul_f32_e32 v0, s48, v0
	v_bfe_u32 v77, v82, 8, 8
	v_bfe_u32 v78, v82, 16, 8
	v_lshrrev_b32_e32 v79, 24, v82
	v_and_b32_e32 v80, 0xff, v83
	v_cvt_f32_fp8_e32 v74, v74
	v_cvt_f32_fp8_e32 v75, v75
	;; [unrolled: 1-line block ×4, first 2 shown]
	v_mul_f32_e32 v41, s48, v41
	v_cvt_pk_bf16_f32 v0, v0, s0
	v_bfe_u32 v81, v83, 8, 8
	v_bfe_u32 v82, v83, 16, 8
	v_lshrrev_b32_e32 v83, 24, v83
	v_cvt_f32_fp8_e32 v77, v77
	v_cvt_f32_fp8_e32 v78, v78
	;; [unrolled: 1-line block ×4, first 2 shown]
	v_mul_f32_e32 v38, s48, v38
	v_cvt_pk_bf16_f32 v41, v41, s0
	v_lshlrev_b32_e32 v0, 16, v0
	v_mul_f32_e32 v39, s48, v39
	v_cvt_pk_bf16_f32 v38, v38, s0
	v_lshlrev_b32_e32 v101, 16, v41
	v_mul_f32_e32 v41, v9, v0
	v_cvt_f32_fp8_e32 v0, v83
	v_mul_f32_e32 v40, s48, v40
	v_mul_f32_e32 v70, s48, v70
	;; [unrolled: 1-line block ×5, first 2 shown]
	v_cvt_pk_bf16_f32 v39, v39, s0
	v_lshlrev_b32_e32 v38, 16, v38
	v_cvt_f32_fp8_e32 v82, v82
	v_mul_f32_e32 v74, s48, v74
	v_mul_f32_e32 v75, s48, v75
	;; [unrolled: 1-line block ×4, first 2 shown]
	v_cvt_pk_bf16_f32 v40, v40, s0
	v_cvt_pk_bf16_f32 v70, v70, s0
	;; [unrolled: 1-line block ×5, first 2 shown]
	v_lshlrev_b32_e32 v84, 16, v39
	v_mul_f32_e32 v38, v87, v38
	v_mul_f32_e32 v77, s48, v77
	;; [unrolled: 1-line block ×5, first 2 shown]
	v_cvt_pk_bf16_f32 v74, v74, s0
	v_cvt_pk_bf16_f32 v75, v75, s0
	;; [unrolled: 1-line block ×4, first 2 shown]
	v_lshlrev_b32_e32 v39, 16, v40
	v_lshlrev_b32_e32 v40, 16, v70
	;; [unrolled: 1-line block ×5, first 2 shown]
	v_fmac_f32_e32 v38, v85, v84
	v_cvt_pk_bf16_f32 v77, v77, s0
	v_cvt_pk_bf16_f32 v78, v78, s0
	;; [unrolled: 1-line block ×4, first 2 shown]
	v_lshlrev_b32_e32 v73, 16, v74
	v_lshlrev_b32_e32 v74, 16, v75
	;; [unrolled: 1-line block ×4, first 2 shown]
	v_fmac_f32_e32 v41, v7, v71
	v_fmac_f32_e32 v38, v89, v72
	v_mul_f32_e32 v0, s48, v0
	v_lshlrev_b32_e32 v76, 16, v77
	v_lshlrev_b32_e32 v77, 16, v78
	;; [unrolled: 1-line block ×3, first 2 shown]
	v_mul_f32_e32 v40, v88, v40
	v_fmac_f32_e32 v41, v95, v5
	v_fmac_f32_e32 v38, v91, v75
	v_lshlrev_b32_e32 v5, 16, v80
	v_cvt_pk_bf16_f32 v0, v0, s0
	v_fmac_f32_e32 v40, v86, v70
	v_fmac_f32_e32 v41, v97, v78
	;; [unrolled: 1-line block ×3, first 2 shown]
	v_mul_f32_e32 v5, s48, v82
	v_lshlrev_b32_e32 v0, 16, v0
	v_fmac_f32_e32 v40, v90, v74
	v_cvt_pk_bf16_f32 v5, v5, s0
	v_fmac_f32_e32 v41, v99, v0
	v_bfe_u32 v0, v2, 16, 8
	v_fmac_f32_e32 v40, v92, v77
	v_lshlrev_b32_e32 v5, 16, v5
	v_cvt_f32_fp8_e32 v0, v0
	v_and_b32_e32 v70, 0xff, v2
	v_fmac_f32_e32 v40, v4, v5
	v_bfe_u32 v4, v2, 8, 8
	v_lshrrev_b32_e32 v2, 24, v2
	v_cvt_f32_fp8_e32 v72, v2
	v_mul_f32_e32 v0, s48, v0
	v_cvt_pk_bf16_f32 v0, v0, s0
	v_lshlrev_b32_e32 v0, 16, v0
	v_mul_f32_e32 v72, s48, v72
	global_load_dword v71, v[20:21], off offset:2048
	v_fmac_f32_e32 v40, v67, v0
	v_cvt_pk_bf16_f32 v67, v72, s0
	v_and_b32_e32 v72, 0xff, v60
	v_cvt_f32_fp8_e32 v72, v72
	v_cvt_f32_fp8_e32 v81, v81
	;; [unrolled: 1-line block ×4, first 2 shown]
	global_load_dword v0, v[20:21], off offset:2056
	v_lshlrev_b32_e32 v67, 16, v67
	v_fmac_f32_e32 v41, v69, v67
	v_mul_f32_e32 v69, s48, v72
	v_bfe_u32 v72, v60, 8, 8
	v_mul_f32_e32 v81, s48, v81
	v_mul_f32_e32 v5, s48, v70
	;; [unrolled: 1-line block ×3, first 2 shown]
	v_cvt_f32_fp8_e32 v72, v72
	v_cvt_pk_bf16_f32 v81, v81, s0
	v_cvt_pk_bf16_f32 v5, v5, s0
	;; [unrolled: 1-line block ×3, first 2 shown]
	v_cmp_lt_i32_e64 s[0:1], v35, v36
	v_mul_f32_e32 v39, v8, v39
	v_lshlrev_b32_e32 v2, 16, v5
	v_cvt_pk_bf16_f32 v69, v69, s0
	v_fmac_f32_e32 v39, v6, v101
	v_fmac_f32_e32 v38, v3, v2
	v_lshlrev_b32_e32 v69, 16, v69
	v_fmac_f32_e32 v39, v94, v73
	v_fmac_f32_e32 v38, v66, v69
	v_mul_f32_e32 v69, s48, v72
	global_load_dword v72, v[20:21], off offset:2560
	v_fmac_f32_e32 v39, v96, v76
	v_lshlrev_b32_e32 v6, 16, v81
	v_bfe_u32 v66, v60, 16, 8
	v_fmac_f32_e32 v39, v98, v6
	v_lshlrev_b32_e32 v4, 16, v4
	v_cvt_f32_fp8_e32 v66, v66
	v_cvt_pk_bf16_f32 v69, v69, s0
	v_fmac_f32_e32 v39, v100, v4
	v_lshlrev_b32_e32 v69, 16, v69
	v_fmac_f32_e32 v39, v68, v69
	v_bfe_u32 v69, v58, 8, 8
	v_cvt_f32_fp8_e32 v69, v69
	v_mul_f32_e32 v66, s48, v66
	v_cvt_pk_bf16_f32 v66, v66, s0
	v_lshlrev_b32_e32 v66, 16, v66
	v_fmac_f32_e32 v40, v63, v66
	v_mul_f32_e32 v66, s48, v69
	global_load_dword v69, v[20:21], off offset:2568
	v_lshrrev_b32_e32 v60, 24, v60
	v_cvt_f32_fp8_e32 v60, v60
	v_and_b32_e32 v68, 0xff, v58
	v_cvt_f32_fp8_e32 v68, v68
	ds_read_b128 v[6:9], v26 offset:96
	ds_read_b128 v[2:5], v26 offset:112
	v_bfe_u32 v63, v58, 16, 8
	v_mul_f32_e32 v60, s48, v60
	v_cvt_f32_fp8_e32 v63, v63
	v_cvt_pk_bf16_f32 v60, v60, s0
	v_mul_f32_e32 v68, s48, v68
	v_lshrrev_b32_e32 v58, 24, v58
	v_cvt_pk_bf16_f32 v68, v68, s0
	v_cvt_pk_bf16_f32 v66, v66, s0
	v_cvt_f32_fp8_e32 v74, v58
	v_lshlrev_b32_e32 v58, 16, v60
	s_waitcnt lgkmcnt(1)
	v_and_b32_e32 v70, 0xffff0000, v6
	v_fmac_f32_e32 v41, v65, v58
	v_lshlrev_b32_e32 v65, 16, v6
	v_lshlrev_b32_e32 v6, 16, v68
	;; [unrolled: 1-line block ×3, first 2 shown]
	v_mul_f32_e32 v73, s48, v63
	v_lshlrev_b32_e32 v63, 16, v7
	v_fmac_f32_e32 v38, v62, v6
	v_fmac_f32_e32 v39, v64, v58
	v_and_b32_e32 v60, 0xffff0000, v7
	v_lshlrev_b32_e32 v7, 16, v9
	v_and_b32_e32 v6, 0xffff0000, v9
	global_load_dword v9, v[20:21], off offset:3072
	global_load_dword v62, v[20:21], off offset:3080
	;; [unrolled: 1-line block ×4, first 2 shown]
	v_cvt_pk_bf16_f32 v21, v73, s0
	v_lshlrev_b32_e32 v21, 16, v21
	s_waitcnt vmcnt(7)
	v_and_b32_e32 v20, 0xff, v71
	v_fmac_f32_e32 v40, v59, v21
	v_bfe_u32 v21, v71, 8, 8
	v_bfe_u32 v59, v71, 16, 8
	v_lshrrev_b32_e32 v71, 24, v71
	v_mul_f32_e32 v68, s48, v74
	v_cvt_f32_fp8_e32 v71, v71
	v_cvt_f32_fp8_e32 v20, v20
	v_cvt_pk_bf16_f32 v68, v68, s0
	v_lshlrev_b32_e32 v68, 16, v68
	v_cvt_f32_fp8_e32 v21, v21
	v_fmac_f32_e32 v41, v61, v68
	s_waitcnt vmcnt(6)
	v_and_b32_e32 v61, 0xff, v0
	v_cvt_f32_fp8_e32 v61, v61
	v_mul_f32_e32 v68, s48, v71
	v_bfe_u32 v71, v0, 8, 8
	v_mul_f32_e32 v20, s48, v20
	v_cvt_f32_fp8_e32 v71, v71
	v_cvt_pk_bf16_f32 v20, v20, s0
	v_mul_f32_e32 v21, s48, v21
	v_lshlrev_b32_e32 v20, 16, v20
	v_cvt_pk_bf16_f32 v21, v21, s0
	v_mul_f32_e32 v61, s48, v61
	v_fmac_f32_e32 v38, v56, v20
	v_bfe_u32 v20, v0, 16, 8
	v_cvt_f32_fp8_e32 v20, v20
	v_cvt_pk_bf16_f32 v56, v61, s0
	v_mul_f32_e32 v61, s48, v71
	v_lshlrev_b32_e32 v21, 16, v21
	v_fmac_f32_e32 v39, v57, v21
	s_waitcnt vmcnt(5)
	v_and_b32_e32 v71, 0xff, v72
	v_cvt_f32_fp8_e32 v71, v71
	v_bfe_u32 v21, v72, 8, 8
	v_cvt_f32_fp8_e32 v59, v59
	v_cvt_f32_fp8_e32 v21, v21
	v_bfe_u32 v57, v72, 16, 8
	v_mul_f32_e32 v20, s48, v20
	v_cvt_f32_fp8_e32 v57, v57
	v_cvt_pk_bf16_f32 v73, v20, s0
	v_mul_f32_e32 v20, s48, v71
	v_mul_f32_e32 v59, s48, v59
	v_cvt_pk_bf16_f32 v71, v20, s0
	v_mul_f32_e32 v20, s48, v21
	v_lshrrev_b32_e32 v21, 24, v72
	v_cvt_pk_bf16_f32 v59, v59, s0
	v_cvt_f32_fp8_e32 v21, v21
	v_cvt_pk_bf16_f32 v74, v20, s0
	v_mul_f32_e32 v20, s48, v57
	v_lshlrev_b32_e32 v57, 16, v59
	v_fmac_f32_e32 v40, v54, v57
	s_waitcnt vmcnt(4)
	v_and_b32_e32 v54, 0xff, v69
	v_cvt_f32_fp8_e32 v54, v54
	v_cvt_pk_bf16_f32 v57, v20, s0
	v_mul_f32_e32 v20, s48, v21
	v_bfe_u32 v21, v69, 8, 8
	v_cvt_f32_fp8_e32 v21, v21
	v_cvt_pk_bf16_f32 v68, v68, s0
	v_cvt_pk_bf16_f32 v59, v20, s0
	v_mul_f32_e32 v20, s48, v54
	v_lshlrev_b32_e32 v54, 16, v68
	v_fmac_f32_e32 v41, v55, v54
	v_bfe_u32 v54, v69, 16, 8
	v_cvt_f32_fp8_e32 v54, v54
	v_cvt_pk_bf16_f32 v55, v20, s0
	v_mul_f32_e32 v20, s48, v21
	v_lshrrev_b32_e32 v21, 24, v69
	v_cvt_f32_fp8_e32 v21, v21
	v_cvt_pk_bf16_f32 v68, v20, s0
	v_mul_f32_e32 v20, s48, v54
	v_cvt_pk_bf16_f32 v69, v20, s0
	v_mul_f32_e32 v20, s48, v21
	v_lshlrev_b32_e32 v21, 16, v56
	v_fmac_f32_e32 v38, v52, v21
	v_lshrrev_b32_e32 v0, 24, v0
	s_waitcnt vmcnt(3)
	v_and_b32_e32 v54, 0xff, v9
	v_cvt_f32_fp8_e32 v54, v54
	v_bfe_u32 v21, v9, 8, 8
	v_cvt_f32_fp8_e32 v21, v21
	v_cvt_f32_fp8_e32 v0, v0
	v_bfe_u32 v52, v9, 16, 8
	v_cvt_f32_fp8_e32 v52, v52
	v_cvt_pk_bf16_f32 v72, v20, s0
	v_mul_f32_e32 v20, s48, v54
	v_cvt_pk_bf16_f32 v61, v61, s0
	v_cvt_pk_bf16_f32 v54, v20, s0
	v_mul_f32_e32 v20, s48, v21
	v_mul_f32_e32 v0, s48, v0
	v_cvt_pk_bf16_f32 v56, v20, s0
	v_lshlrev_b32_e32 v20, 16, v61
	v_cvt_pk_bf16_f32 v0, v0, s0
	v_mul_f32_e32 v75, s48, v52
	v_fmac_f32_e32 v39, v53, v20
	v_lshl_add_u64 v[20:21], v[18:19], 0, s[40:41]
	v_lshlrev_b32_e32 v52, 16, v73
	v_fmac_f32_e32 v40, v50, v52
	v_lshl_add_u64 v[52:53], v[20:21], 0, v[10:11]
	v_lshlrev_b32_e32 v0, 16, v0
	v_lshl_add_u64 v[20:21], v[20:21], 0, v[14:15]
	global_load_dword v50, v[52:53], off
	s_waitcnt vmcnt(3)
	v_and_b32_e32 v52, 0xff, v62
	v_fmac_f32_e32 v41, v51, v0
	v_bfe_u32 v0, v62, 8, 8
	v_bfe_u32 v51, v62, 16, 8
	v_lshrrev_b32_e32 v61, 24, v62
	global_load_dword v62, v[20:21], off
	s_waitcnt vmcnt(3)
	v_and_b32_e32 v20, 0xff, v64
	v_cvt_f32_fp8_e32 v73, v20
	v_lshlrev_b32_e32 v20, 16, v71
	v_fmac_f32_e32 v38, v48, v20
	v_lshl_add_u64 v[20:21], v[18:19], 0, s[42:43]
	v_lshlrev_b32_e32 v48, 16, v74
	v_fmac_f32_e32 v39, v49, v48
	v_lshl_add_u64 v[48:49], v[20:21], 0, v[10:11]
	v_lshl_add_u64 v[20:21], v[20:21], 0, v[14:15]
	v_cvt_pk_bf16_f32 v53, v75, s0
	v_bfe_u32 v71, v64, 8, 8
	global_load_dword v74, v[48:49], off
	global_load_dword v75, v[20:21], off
	v_bfe_u32 v20, v64, 16, 8
	v_cvt_f32_fp8_e32 v71, v71
	v_cvt_f32_fp8_e32 v20, v20
	v_lshrrev_b32_e32 v21, 24, v64
	v_cvt_f32_fp8_e32 v21, v21
	s_waitcnt vmcnt(4)
	v_and_b32_e32 v49, 0xff, v66
	v_cvt_f32_fp8_e32 v49, v49
	v_mul_f32_e32 v71, s48, v71
	v_mul_f32_e32 v20, s48, v20
	v_cvt_pk_bf16_f32 v64, v71, s0
	v_cvt_pk_bf16_f32 v71, v20, s0
	v_mul_f32_e32 v48, s48, v21
	v_lshlrev_b32_e32 v20, 16, v57
	v_fmac_f32_e32 v40, v46, v20
	v_lshlrev_b32_e32 v46, 16, v59
	v_cvt_pk_bf16_f32 v59, v48, s0
	v_mul_f32_e32 v48, s48, v49
	v_lshl_add_u64 v[20:21], v[18:19], 0, s[44:45]
	v_cvt_pk_bf16_f32 v76, v48, s0
	v_lshl_add_u64 v[18:19], v[18:19], 0, s[46:47]
	v_lshlrev_b32_e32 v48, 16, v55
	v_fmac_f32_e32 v41, v47, v46
	v_lshl_add_u64 v[46:47], v[20:21], 0, v[10:11]
	v_lshl_add_u64 v[20:21], v[20:21], 0, v[14:15]
	v_fmac_f32_e32 v38, v45, v48
	v_lshl_add_u64 v[48:49], v[18:19], 0, v[10:11]
	v_lshl_add_u64 v[18:19], v[18:19], 0, v[14:15]
	global_load_dword v46, v[46:47], off
	s_nop 0
	global_load_dword v20, v[20:21], off
	s_nop 0
	;; [unrolled: 2-line block ×3, first 2 shown]
	global_load_dword v18, v[18:19], off
	v_lshrrev_b32_e32 v9, 24, v9
	v_lshrrev_b32_e32 v55, 24, v66
	v_lshlrev_b32_e32 v47, 16, v68
	v_cvt_f32_fp8_e32 v9, v9
	v_cvt_f32_fp8_e32 v55, v55
	v_fmac_f32_e32 v39, v44, v47
	v_lshlrev_b32_e32 v53, 16, v53
	v_mul_f32_e32 v9, s48, v9
	v_mul_f32_e32 v55, s48, v55
	v_cvt_pk_bf16_f32 v9, v9, s0
	v_cvt_pk_bf16_f32 v47, v55, s0
	v_lshlrev_b32_e32 v55, 16, v72
	v_fmac_f32_e32 v41, v42, v55
	v_lshlrev_b32_e32 v9, 16, v9
	v_fmac_f32_e32 v41, v9, v60
	v_cvt_f32_fp8_e32 v52, v52
	v_lshlrev_b32_e32 v56, 16, v56
	v_lshlrev_b32_e32 v54, 16, v54
	v_fmac_f32_e32 v39, v70, v56
	v_mul_f32_e32 v52, s48, v52
	v_cvt_pk_bf16_f32 v52, v52, s0
	v_lshlrev_b32_e32 v58, 16, v8
	v_cvt_f32_fp8_e32 v0, v0
	v_fmac_f32_e32 v38, v65, v54
	v_and_b32_e32 v8, 0xffff0000, v8
	v_cvt_f32_fp8_e32 v51, v51
	v_mul_f32_e32 v0, s48, v0
	v_cvt_pk_bf16_f32 v0, v0, s0
	v_lshlrev_b32_e32 v0, 16, v0
	v_fmac_f32_e32 v39, v0, v8
	v_mul_f32_e32 v51, s48, v51
	v_cvt_pk_bf16_f32 v51, v51, s0
	v_lshlrev_b32_e32 v51, 16, v51
	s_waitcnt vmcnt(7)
	v_and_b32_e32 v19, 0xff, v50
	v_bfe_u32 v44, v50, 8, 8
	v_bfe_u32 v48, v50, 16, 8
	v_lshrrev_b32_e32 v49, 24, v50
	v_lshlrev_b32_e32 v50, 16, v69
	v_fmac_f32_e32 v40, v43, v50
	v_fmac_f32_e32 v40, v63, v53
	;; [unrolled: 1-line block ×3, first 2 shown]
	v_cvt_f32_fp8_e32 v61, v61
	v_mul_f32_e32 v73, s48, v73
	v_cvt_pk_bf16_f32 v73, v73, s0
	v_bfe_u32 v57, v66, 8, 8
	v_mul_f32_e32 v61, s48, v61
	v_cvt_pk_bf16_f32 v61, v61, s0
	v_cvt_f32_fp8_e32 v57, v57
	v_bfe_u32 v45, v66, 16, 8
	v_cvt_f32_fp8_e32 v45, v45
	s_waitcnt vmcnt(6)
	v_and_b32_e32 v43, 0xff, v62
	s_waitcnt vmcnt(4)
	v_lshrrev_b32_e32 v63, 24, v75
	v_cvt_f32_fp8_e32 v63, v63
	v_mul_f32_e32 v57, s48, v57
	v_bfe_u32 v50, v62, 8, 8
	v_bfe_u32 v42, v62, 16, 8
	v_mul_f32_e32 v63, s48, v63
	v_cvt_pk_bf16_f32 v60, v63, s0
	v_lshrrev_b32_e32 v55, 24, v62
	v_and_b32_e32 v62, 0xff, v74
	v_bfe_u32 v54, v74, 8, 8
	v_bfe_u32 v65, v74, 16, 8
	v_lshrrev_b32_e32 v66, 24, v74
	v_cvt_pk_bf16_f32 v57, v57, s0
	v_cvt_f32_fp8_e32 v19, v19
	v_cvt_f32_fp8_e32 v44, v44
	;; [unrolled: 1-line block ×4, first 2 shown]
	v_mul_f32_e32 v45, s48, v45
	v_cvt_f32_fp8_e32 v43, v43
	v_cvt_f32_fp8_e32 v50, v50
	v_cvt_pk_bf16_f32 v45, v45, s0
	v_cvt_f32_fp8_e32 v42, v42
	v_cvt_f32_fp8_e32 v55, v55
	v_mul_f32_e32 v19, s48, v19
	v_mul_f32_e32 v44, s48, v44
	s_waitcnt vmcnt(3)
	v_and_b32_e32 v69, 0xff, v46
	v_cvt_f32_fp8_e32 v69, v69
	v_bfe_u32 v9, v46, 8, 8
	v_cvt_f32_fp8_e32 v9, v9
	s_waitcnt vmcnt(2)
	v_lshrrev_b32_e32 v8, 24, v20
	v_mul_f32_e32 v63, s48, v69
	v_bfe_u32 v69, v46, 16, 8
	v_cvt_f32_fp8_e32 v69, v69
	v_lshrrev_b32_e32 v46, 24, v46
	v_cvt_f32_fp8_e32 v46, v46
	v_mul_f32_e32 v9, s48, v9
	v_cvt_pk_bf16_f32 v70, v9, s0
	v_mul_f32_e32 v9, s48, v69
	v_cvt_pk_bf16_f32 v69, v9, s0
	v_mul_f32_e32 v9, s48, v46
	v_lshlrev_b32_e32 v46, 16, v52
	v_fmac_f32_e32 v38, v46, v58
	v_and_b32_e32 v46, 0xff, v20
	v_cvt_f32_fp8_e32 v46, v46
	v_bfe_u32 v52, v20, 8, 8
	v_cvt_f32_fp8_e32 v52, v52
	v_cvt_pk_bf16_f32 v58, v9, s0
	v_mul_f32_e32 v9, s48, v46
	v_cvt_pk_bf16_f32 v46, v9, s0
	v_mul_f32_e32 v9, s48, v52
	v_bfe_u32 v0, v20, 16, 8
	v_cvt_f32_fp8_e32 v8, v8
	v_cvt_pk_bf16_f32 v20, v9, s0
	s_waitcnt vmcnt(1)
	v_and_b32_e32 v9, 0xff, v21
	v_cvt_f32_fp8_e32 v9, v9
	v_mul_f32_e32 v8, s48, v8
	v_bfe_u32 v7, v21, 8, 8
	v_cvt_pk_bf16_f32 v51, v8, s0
	v_mul_f32_e32 v8, s48, v9
	v_cvt_f32_fp8_e32 v7, v7
	v_cvt_pk_bf16_f32 v52, v8, s0
	v_bfe_u32 v8, v21, 16, 8
	v_cvt_f32_fp8_e32 v8, v8
	v_lshrrev_b32_e32 v9, 24, v21
	v_cvt_f32_fp8_e32 v9, v9
	v_mul_f32_e32 v7, s48, v7
	v_cvt_pk_bf16_f32 v21, v7, s0
	v_mul_f32_e32 v7, s48, v8
	v_cvt_pk_bf16_f32 v72, v7, s0
	v_mul_f32_e32 v7, s48, v9
	v_lshlrev_b32_e32 v8, 16, v61
	v_fmac_f32_e32 v41, v8, v6
	s_waitcnt lgkmcnt(0)
	v_lshlrev_b32_e32 v8, 16, v2
	v_cvt_pk_bf16_f32 v61, v7, s0
	v_and_b32_e32 v2, 0xffff0000, v2
	v_lshlrev_b32_e32 v7, 16, v64
	s_waitcnt vmcnt(0)
	v_and_b32_e32 v6, 0xff, v18
	v_lshlrev_b32_e32 v9, 16, v73
	v_fmac_f32_e32 v39, v7, v2
	v_bfe_u32 v2, v18, 16, 8
	v_cvt_f32_fp8_e32 v6, v6
	v_fmac_f32_e32 v38, v9, v8
	v_bfe_u32 v8, v18, 8, 8
	v_cvt_f32_fp8_e32 v2, v2
	v_lshrrev_b32_e32 v7, 24, v18
	v_cvt_f32_fp8_e32 v8, v8
	v_cvt_f32_fp8_e32 v7, v7
	v_mul_f32_e32 v6, s48, v6
	v_mul_f32_e32 v2, s48, v2
	v_cvt_pk_bf16_f32 v73, v6, s0
	v_mul_f32_e32 v6, s48, v8
	v_cvt_pk_bf16_f32 v64, v2, s0
	;; [unrolled: 2-line block ×3, first 2 shown]
	v_cvt_pk_bf16_f32 v74, v2, s0
	v_lshlrev_b32_e32 v2, 16, v3
	v_lshlrev_b32_e32 v6, 16, v71
	v_fmac_f32_e32 v40, v6, v2
	v_and_b32_e32 v2, 0xffff0000, v3
	v_lshlrev_b32_e32 v3, 16, v59
	v_fmac_f32_e32 v41, v3, v2
	v_lshlrev_b32_e32 v2, 16, v4
	v_and_b32_e32 v3, 0xffff0000, v4
	v_lshlrev_b32_e32 v4, 16, v76
	v_lshlrev_b32_e32 v6, 16, v57
	v_fmac_f32_e32 v38, v4, v2
	v_fmac_f32_e32 v39, v6, v3
	v_lshlrev_b32_e32 v6, 16, v5
	v_and_b32_e32 v7, 0xffff0000, v5
	ds_read_b128 v[2:5], v26 offset:128
	v_cvt_f32_fp8_e32 v62, v62
	v_cvt_f32_fp8_e32 v54, v54
	v_lshlrev_b32_e32 v8, 16, v45
	v_lshlrev_b32_e32 v9, 16, v47
	v_cvt_pk_bf16_f32 v19, v19, s0
	v_cvt_pk_bf16_f32 v44, v44, s0
	v_mul_f32_e32 v48, s48, v48
	v_mul_f32_e32 v49, s48, v49
	v_cvt_f32_fp8_e32 v65, v65
	v_cvt_f32_fp8_e32 v66, v66
	v_and_b32_e32 v56, 0xff, v75
	v_bfe_u32 v68, v75, 8, 8
	v_fmac_f32_e32 v40, v8, v6
	v_fmac_f32_e32 v41, v9, v7
	ds_read_b128 v[6:9], v26 offset:144
	v_cvt_pk_bf16_f32 v48, v48, s0
	v_cvt_pk_bf16_f32 v49, v49, s0
	v_mul_f32_e32 v43, s48, v43
	v_mul_f32_e32 v50, s48, v50
	v_cvt_f32_fp8_e32 v56, v56
	v_cvt_f32_fp8_e32 v68, v68
	s_waitcnt lgkmcnt(1)
	v_lshlrev_b32_e32 v45, 16, v2
	v_and_b32_e32 v2, 0xffff0000, v2
	v_lshlrev_b32_e32 v19, 16, v19
	v_lshlrev_b32_e32 v44, 16, v44
	v_cvt_pk_bf16_f32 v43, v43, s0
	v_cvt_pk_bf16_f32 v50, v50, s0
	v_mul_f32_e32 v42, s48, v42
	v_mul_f32_e32 v55, s48, v55
	v_fmac_f32_e32 v38, v19, v45
	v_fmac_f32_e32 v39, v44, v2
	v_lshlrev_b32_e32 v2, 16, v3
	v_and_b32_e32 v3, 0xffff0000, v3
	v_lshlrev_b32_e32 v19, 16, v48
	v_lshlrev_b32_e32 v44, 16, v49
	v_cvt_pk_bf16_f32 v42, v42, s0
	v_cvt_pk_bf16_f32 v55, v55, s0
	v_mul_f32_e32 v62, s48, v62
	v_mul_f32_e32 v54, s48, v54
	v_fmac_f32_e32 v40, v19, v2
	v_fmac_f32_e32 v41, v44, v3
	v_lshlrev_b32_e32 v2, 16, v4
	v_and_b32_e32 v3, 0xffff0000, v4
	v_lshlrev_b32_e32 v4, 16, v43
	v_lshlrev_b32_e32 v19, 16, v50
	v_cvt_pk_bf16_f32 v62, v62, s0
	v_cvt_pk_bf16_f32 v54, v54, s0
	v_mul_f32_e32 v65, s48, v65
	v_mul_f32_e32 v66, s48, v66
	v_bfe_u32 v53, v75, 16, 8
	v_fmac_f32_e32 v38, v4, v2
	v_fmac_f32_e32 v39, v19, v3
	v_lshlrev_b32_e32 v2, 16, v5
	v_and_b32_e32 v3, 0xffff0000, v5
	v_lshlrev_b32_e32 v4, 16, v42
	v_lshlrev_b32_e32 v5, 16, v55
	v_cvt_pk_bf16_f32 v65, v65, s0
	v_cvt_pk_bf16_f32 v66, v66, s0
	v_mul_f32_e32 v56, s48, v56
	v_mul_f32_e32 v68, s48, v68
	v_cvt_f32_fp8_e32 v53, v53
	v_fmac_f32_e32 v40, v4, v2
	v_fmac_f32_e32 v41, v5, v3
	s_waitcnt lgkmcnt(0)
	v_lshlrev_b32_e32 v2, 16, v6
	v_and_b32_e32 v3, 0xffff0000, v6
	v_lshlrev_b32_e32 v4, 16, v62
	v_lshlrev_b32_e32 v5, 16, v54
	v_cvt_pk_bf16_f32 v56, v56, s0
	v_cvt_pk_bf16_f32 v68, v68, s0
	v_fmac_f32_e32 v38, v4, v2
	v_fmac_f32_e32 v39, v5, v3
	v_lshlrev_b32_e32 v2, 16, v7
	v_and_b32_e32 v3, 0xffff0000, v7
	v_lshlrev_b32_e32 v4, 16, v65
	v_lshlrev_b32_e32 v5, 16, v66
	v_fmac_f32_e32 v40, v4, v2
	v_fmac_f32_e32 v41, v5, v3
	v_lshlrev_b32_e32 v2, 16, v8
	v_and_b32_e32 v3, 0xffff0000, v8
	v_lshlrev_b32_e32 v4, 16, v56
	v_lshlrev_b32_e32 v5, 16, v68
	v_fmac_f32_e32 v38, v4, v2
	v_fmac_f32_e32 v39, v5, v3
	ds_read_b128 v[2:5], v26 offset:160
	v_mul_f32_e32 v53, s48, v53
	v_cvt_pk_bf16_f32 v53, v53, s0
	v_cvt_f32_fp8_e32 v0, v0
	v_lshlrev_b32_e32 v6, 16, v9
	v_and_b32_e32 v7, 0xffff0000, v9
	v_lshlrev_b32_e32 v8, 16, v53
	v_lshlrev_b32_e32 v9, 16, v60
	v_cvt_pk_bf16_f32 v63, v63, s0
	v_fmac_f32_e32 v40, v8, v6
	v_fmac_f32_e32 v41, v9, v7
	ds_read_b128 v[6:9], v26 offset:176
	s_waitcnt lgkmcnt(1)
	v_lshlrev_b32_e32 v19, 16, v2
	v_and_b32_e32 v2, 0xffff0000, v2
	v_lshlrev_b32_e32 v42, 16, v63
	v_lshlrev_b32_e32 v43, 16, v70
	v_mul_f32_e32 v0, s48, v0
	v_fmac_f32_e32 v38, v42, v19
	v_fmac_f32_e32 v39, v43, v2
	v_lshlrev_b32_e32 v2, 16, v3
	v_and_b32_e32 v3, 0xffff0000, v3
	v_lshlrev_b32_e32 v19, 16, v69
	v_lshlrev_b32_e32 v42, 16, v58
	v_cvt_pk_bf16_f32 v0, v0, s0
	v_fmac_f32_e32 v40, v19, v2
	v_fmac_f32_e32 v41, v42, v3
	v_lshlrev_b32_e32 v2, 16, v4
	v_and_b32_e32 v3, 0xffff0000, v4
	v_lshlrev_b32_e32 v4, 16, v46
	v_lshlrev_b32_e32 v19, 16, v20
	v_fmac_f32_e32 v38, v4, v2
	v_fmac_f32_e32 v39, v19, v3
	v_lshlrev_b32_e32 v2, 16, v5
	v_and_b32_e32 v3, 0xffff0000, v5
	v_lshlrev_b32_e32 v0, 16, v0
	v_lshlrev_b32_e32 v4, 16, v51
	v_fmac_f32_e32 v40, v0, v2
	v_fmac_f32_e32 v41, v4, v3
	s_waitcnt lgkmcnt(0)
	v_lshlrev_b32_e32 v0, 16, v6
	v_and_b32_e32 v2, 0xffff0000, v6
	v_lshlrev_b32_e32 v3, 16, v52
	v_lshlrev_b32_e32 v4, 16, v21
	v_fmac_f32_e32 v38, v3, v0
	v_fmac_f32_e32 v39, v4, v2
	v_lshlrev_b32_e32 v0, 16, v7
	v_and_b32_e32 v2, 0xffff0000, v7
	v_lshlrev_b32_e32 v3, 16, v72
	v_lshlrev_b32_e32 v4, 16, v61
	v_fmac_f32_e32 v40, v3, v0
	v_fmac_f32_e32 v41, v4, v2
	;; [unrolled: 6-line block ×3, first 2 shown]
	v_lshlrev_b32_e32 v0, 16, v9
	v_lshlrev_b32_e32 v3, 16, v64
	v_and_b32_e32 v2, 0xffff0000, v9
	v_lshlrev_b32_e32 v4, 16, v74
	v_fmac_f32_e32 v40, v3, v0
	v_add_f32_e32 v0, v38, v39
	v_cndmask_b32_e64 v67, v34, v35, s[0:1]
	v_fmac_f32_e32 v41, v4, v2
	v_add_f32_e32 v0, v0, v40
	v_lshlrev_b32_e32 v67, 2, v67
	v_add_f32_e32 v0, v41, v0
	ds_bpermute_b32 v2, v67, v0
	s_and_saveexec_b64 s[48:49], vcc
	s_cbranch_execz .LBB315_11
; %bb.19:                               ;   in Loop: Header=BB315_13 Depth=1
	v_add_u32_e32 v3, v31, v30
	v_cvt_f32_i32_e32 v3, v3
	s_waitcnt lgkmcnt(0)
	v_add_f32_e32 v0, v0, v2
	v_add_u32_e32 v4, v25, v30
	v_cmp_gt_i32_e64 s[0:1], s33, v4
	v_mul_f32_e32 v2, s52, v3
	v_cndmask_b32_e64 v2, 0, v2, s[2:3]
	v_fmac_f32_e32 v2, s37, v0
	v_cndmask_b32_e64 v0, 0, v2, s[0:1]
	ds_write_b32 v32, v0
	v_max_f32_e32 v0, v27, v27
	v_max_f32_e32 v0, v0, v2
	v_cndmask_b32_e64 v27, v27, v0, s[0:1]
	s_branch .LBB315_11
.LBB315_20:
	s_or_b64 exec, exec, s[38:39]
	v_mov_b32_e32 v25, v102
.LBB315_21:
	s_or_b64 exec, exec, s[18:19]
	v_mbcnt_hi_u32_b32 v0, -1, v23
	v_and_b32_e32 v8, 64, v0
	v_add_u32_e32 v9, 64, v8
	s_waitcnt lgkmcnt(0)
	v_xor_b32_e32 v2, 32, v0
	v_cmp_lt_i32_e32 vcc, v2, v9
	v_xor_b32_e32 v5, 16, v0
	v_max_f32_e32 v4, v27, v27
	v_cndmask_b32_e32 v2, v0, v2, vcc
	v_lshlrev_b32_e32 v2, 2, v2
	ds_bpermute_b32 v3, v2, v27
	v_cmp_lt_i32_e32 vcc, v5, v9
	v_xor_b32_e32 v6, 8, v0
	v_xor_b32_e32 v7, 4, v0
	;; [unrolled: 1-line block ×3, first 2 shown]
	s_waitcnt lgkmcnt(0)
	v_max_f32_e32 v3, v3, v3
	v_max_f32_e32 v4, v4, v3
	v_cndmask_b32_e32 v3, v0, v5, vcc
	v_lshlrev_b32_e32 v3, 2, v3
	ds_bpermute_b32 v5, v3, v4
	v_cmp_lt_i32_e32 vcc, v6, v9
	v_and_b32_e32 v26, 63, v25
	s_waitcnt lgkmcnt(0)
	v_max_f32_e32 v5, v5, v5
	v_max_f32_e32 v5, v4, v5
	v_cndmask_b32_e32 v4, v0, v6, vcc
	v_lshlrev_b32_e32 v4, 2, v4
	ds_bpermute_b32 v6, v4, v5
	v_cmp_lt_i32_e32 vcc, v7, v9
	s_waitcnt lgkmcnt(0)
	v_max_f32_e32 v6, v6, v6
	v_max_f32_e32 v6, v5, v6
	v_cndmask_b32_e32 v5, v0, v7, vcc
	v_lshlrev_b32_e32 v5, 2, v5
	ds_bpermute_b32 v7, v5, v6
	v_cmp_lt_i32_e32 vcc, v10, v9
	s_waitcnt lgkmcnt(0)
	v_max_f32_e32 v7, v7, v7
	v_max_f32_e32 v7, v6, v7
	v_cndmask_b32_e32 v6, v0, v10, vcc
	v_lshlrev_b32_e32 v23, 2, v6
	ds_bpermute_b32 v10, v23, v7
	v_cmp_eq_u32_e32 vcc, 0, v26
	v_lshlrev_b32_e32 v6, 2, v1
	s_and_saveexec_b64 s[0:1], vcc
	s_cbranch_execz .LBB315_23
; %bb.22:
	s_waitcnt lgkmcnt(0)
	v_max_f32_e32 v10, v10, v10
	v_max_f32_e32 v7, v7, v7
	v_max_f32_e32 v7, v7, v10
	ds_write_b32 v6, v7 offset:384
.LBB315_23:
	s_or_b64 exec, exec, s[0:1]
	v_cmp_gt_u32_e64 s[0:1], 2, v26
	s_waitcnt lgkmcnt(0)
	v_mov_b32_e32 v10, 0xff7fffff
	v_lshlrev_b32_e32 v7, 2, v26
	s_barrier
	s_and_saveexec_b64 s[2:3], s[0:1]
; %bb.24:
	ds_read_b32 v10, v7 offset:384
; %bb.25:
	s_or_b64 exec, exec, s[2:3]
	v_xor_b32_e32 v11, 1, v0
	v_cmp_lt_i32_e64 s[2:3], v11, v9
	v_lshlrev_b32_e32 v8, 2, v8
	s_nop 0
	v_cndmask_b32_e64 v9, v0, v11, s[2:3]
	v_lshlrev_b32_e32 v27, 2, v9
	s_waitcnt lgkmcnt(0)
	ds_bpermute_b32 v9, v27, v10
	v_max_f32_e32 v10, v10, v10
	s_lshl_b32 s2, s20, 5
	s_min_i32 s37, s2, s33
	v_cmp_gt_i32_e64 s[2:3], s37, v25
	s_waitcnt lgkmcnt(0)
	v_max_f32_e32 v9, v9, v9
	v_max_f32_e32 v9, v10, v9
	ds_bpermute_b32 v9, v8, v9
	v_mov_b32_e32 v8, 0
	s_and_saveexec_b64 s[12:13], s[2:3]
	s_cbranch_execz .LBB315_29
; %bb.26:
	v_mov_b32_e32 v8, 0x190
	v_lshl_add_u32 v10, v25, 2, v8
	v_mov_b32_e32 v8, 0
	s_mov_b64 s[18:19], 0
	v_mov_b32_e32 v11, v25
.LBB315_27:                             ; =>This Inner Loop Header: Depth=1
	ds_read_b32 v12, v10
	v_add_u32_e32 v11, 0x80, v11
	v_cmp_le_i32_e64 s[8:9], s37, v11
	s_or_b64 s[18:19], s[8:9], s[18:19]
	s_waitcnt lgkmcnt(0)
	v_sub_f32_e32 v12, v12, v9
	v_mul_f32_e32 v12, 0x3fb8aa3b, v12
	v_exp_f32_e32 v12, v12
	ds_write_b32 v10, v12
	v_add_f32_e32 v8, v8, v12
	v_add_u32_e32 v10, 0x200, v10
	s_andn2_b64 exec, exec, s[18:19]
	s_cbranch_execnz .LBB315_27
; %bb.28:
	s_or_b64 exec, exec, s[18:19]
.LBB315_29:
	s_or_b64 exec, exec, s[12:13]
	ds_bpermute_b32 v2, v2, v8
	s_waitcnt lgkmcnt(0)
	v_add_f32_e32 v2, v8, v2
	ds_bpermute_b32 v3, v3, v2
	s_waitcnt lgkmcnt(0)
	v_add_f32_e32 v2, v2, v3
	;; [unrolled: 3-line block ×6, first 2 shown]
	s_and_saveexec_b64 s[8:9], vcc
; %bb.30:
	ds_write_b32 v6, v2 offset:392
; %bb.31:
	s_or_b64 exec, exec, s[8:9]
	s_waitcnt lgkmcnt(0)
	s_barrier
	s_and_saveexec_b64 s[8:9], s[0:1]
; %bb.32:
	ds_read_b32 v2, v7 offset:392
; %bb.33:
	s_or_b64 exec, exec, s[8:9]
	s_waitcnt lgkmcnt(0)
	ds_bpermute_b32 v3, v27, v2
	v_lshlrev_b32_e32 v0, 2, v0
	v_and_b32_e32 v0, 0x100, v0
	s_waitcnt lgkmcnt(0)
	v_add_f32_e32 v2, v2, v3
	ds_bpermute_b32 v0, v0, v2
	s_and_saveexec_b64 s[0:1], s[2:3]
	s_cbranch_execz .LBB315_46
; %bb.34:
	s_waitcnt lgkmcnt(0)
	v_add_f32_e32 v0, 0x358637bd, v0
	v_div_scale_f32 v2, s[2:3], v0, v0, 1.0
	v_rcp_f32_e32 v3, v2
	v_div_scale_f32 v4, vcc, 1.0, v0, 1.0
	s_movk_i32 s2, 0x7f
	v_fma_f32 v5, -v2, v3, 1.0
	v_fmac_f32_e32 v3, v5, v3
	v_mul_f32_e32 v5, v4, v3
	v_fma_f32 v6, -v2, v5, v4
	v_fmac_f32_e32 v5, v6, v3
	v_fma_f32 v2, -v2, v5, v4
	v_div_fmas_f32 v2, v2, v3, v5
	v_xad_u32 v3, v25, -1, s37
	v_div_fixup_f32 v2, v2, v0, 1.0
	v_cmp_lt_u32_e32 vcc, s2, v3
	s_mov_b64 s[8:9], -1
	v_mov_b32_e32 v0, v25
	s_and_saveexec_b64 s[2:3], vcc
	s_cbranch_execz .LBB315_43
; %bb.35:
	v_lshrrev_b32_e32 v0, 7, v3
	v_add_u32_e32 v5, -1, v0
	v_lshrrev_b32_e32 v4, 1, v5
	v_mov_b32_e32 v3, v2
	v_add_u32_e32 v4, 1, v4
	v_cmp_lt_u32_e32 vcc, 13, v5
	v_mov_b32_e32 v7, 0
	s_and_saveexec_b64 s[8:9], vcc
	s_cbranch_execz .LBB315_39
; %bb.36:
	v_mov_b32_e32 v6, 0x190
	v_and_b32_e32 v5, -8, v4
	v_lshl_add_u32 v6, v25, 2, v6
	s_mov_b32 s18, 0
	s_mov_b64 s[12:13], 0
.LBB315_37:                             ; =>This Inner Loop Header: Depth=1
	ds_read2st64_b32 v[8:9], v6 offset1:2
	ds_read2st64_b32 v[10:11], v6 offset0:4 offset1:6
	ds_read2st64_b32 v[12:13], v6 offset0:8 offset1:10
	;; [unrolled: 1-line block ×3, first 2 shown]
	v_add_u32_e32 v5, -8, v5
	s_waitcnt lgkmcnt(3)
	v_pk_mul_f32 v[8:9], v[2:3], v[8:9]
	s_waitcnt lgkmcnt(2)
	v_pk_mul_f32 v[10:11], v[2:3], v[10:11]
	ds_write2st64_b32 v6, v8, v9 offset1:2
	ds_write2st64_b32 v6, v10, v11 offset0:4 offset1:6
	ds_read2st64_b32 v[10:11], v6 offset0:16 offset1:18
	s_waitcnt lgkmcnt(4)
	v_pk_mul_f32 v[8:9], v[2:3], v[12:13]
	ds_write2st64_b32 v6, v8, v9 offset0:8 offset1:10
	s_waitcnt lgkmcnt(4)
	v_pk_mul_f32 v[8:9], v[2:3], v[14:15]
	ds_write2st64_b32 v6, v8, v9 offset0:12 offset1:14
	ds_read2st64_b32 v[8:9], v6 offset0:20 offset1:22
	s_waitcnt lgkmcnt(3)
	v_pk_mul_f32 v[10:11], v[2:3], v[10:11]
	ds_read2st64_b32 v[12:13], v6 offset0:24 offset1:26
	ds_write2st64_b32 v6, v10, v11 offset0:16 offset1:18
	ds_read2st64_b32 v[10:11], v6 offset0:28 offset1:30
	s_waitcnt lgkmcnt(3)
	v_pk_mul_f32 v[8:9], v[2:3], v[8:9]
	ds_write2st64_b32 v6, v8, v9 offset0:20 offset1:22
	s_waitcnt lgkmcnt(3)
	v_pk_mul_f32 v[8:9], v[2:3], v[12:13]
	ds_write2st64_b32 v6, v8, v9 offset0:24 offset1:26
	s_waitcnt lgkmcnt(2)
	v_pk_mul_f32 v[8:9], v[2:3], v[10:11]
	s_add_i32 s18, s18, 16
	v_cmp_eq_u32_e32 vcc, 0, v5
	ds_write2st64_b32 v6, v8, v9 offset0:28 offset1:30
	v_add_u32_e32 v6, 0x2000, v6
	s_or_b64 s[12:13], vcc, s[12:13]
	v_mov_b32_e32 v7, s18
	s_andn2_b64 exec, exec, s[12:13]
	s_cbranch_execnz .LBB315_37
; %bb.38:
	s_or_b64 exec, exec, s[12:13]
.LBB315_39:
	s_or_b64 exec, exec, s[8:9]
	v_and_b32_e32 v4, 7, v4
	v_cmp_ne_u32_e32 vcc, 0, v4
	s_and_saveexec_b64 s[8:9], vcc
	s_cbranch_execz .LBB315_42
; %bb.40:
	v_lshlrev_b32_e32 v5, 9, v7
	v_lshlrev_b32_e32 v6, 2, v25
	s_movk_i32 s12, 0x190
	v_add3_u32 v5, v5, v6, s12
	s_mov_b64 s[12:13], 0
.LBB315_41:                             ; =>This Inner Loop Header: Depth=1
	ds_read2st64_b32 v[6:7], v5 offset1:2
	v_add_u32_e32 v4, -1, v4
	v_cmp_eq_u32_e32 vcc, 0, v4
	s_or_b64 s[12:13], vcc, s[12:13]
	s_waitcnt lgkmcnt(0)
	v_pk_mul_f32 v[6:7], v[2:3], v[6:7]
	ds_write2st64_b32 v5, v6, v7 offset1:2
	v_add_u32_e32 v5, 0x400, v5
	s_andn2_b64 exec, exec, s[12:13]
	s_cbranch_execnz .LBB315_41
.LBB315_42:
	s_or_b64 exec, exec, s[8:9]
	v_add_u32_e32 v3, 1, v0
	v_and_b32_e32 v4, 0x3fffffe, v3
	v_cmp_ne_u32_e32 vcc, v3, v4
	v_lshl_add_u32 v0, v4, 7, v25
	s_orn2_b64 s[8:9], vcc, exec
.LBB315_43:
	s_or_b64 exec, exec, s[2:3]
	s_and_b64 exec, exec, s[8:9]
	s_cbranch_execz .LBB315_46
; %bb.44:
	v_mov_b32_e32 v3, 0x190
	v_lshl_add_u32 v3, v0, 2, v3
	s_mov_b64 s[2:3], 0
.LBB315_45:                             ; =>This Inner Loop Header: Depth=1
	ds_read_b32 v4, v3
	v_add_u32_e32 v0, 0x80, v0
	v_cmp_le_i32_e32 vcc, s37, v0
	s_or_b64 s[2:3], vcc, s[2:3]
	s_waitcnt lgkmcnt(0)
	v_mul_f32_e32 v4, v2, v4
	ds_write_b32 v3, v4
	v_add_u32_e32 v3, 0x200, v3
	s_andn2_b64 exec, exec, s[2:3]
	s_cbranch_execnz .LBB315_45
.LBB315_46:
	s_or_b64 exec, exec, s[0:1]
	v_mov_b32_e32 v11, 0
	v_and_b32_e32 v29, 3, v25
	v_mov_b32_e32 v10, 0
	v_mov_b32_e32 v13, 0
	;; [unrolled: 1-line block ×11, first 2 shown]
	s_waitcnt lgkmcnt(0)
	s_barrier
	s_and_saveexec_b64 s[2:3], s[6:7]
	s_cbranch_execz .LBB315_76
; %bb.47:
	s_sub_i32 s18, s50, s21
	s_ashr_i32 s1, s51, 31
	s_add_u32 s0, s34, s51
	s_addc_u32 s1, s35, s1
	s_abs_i32 s19, s22
	v_cvt_f32_u32_e32 v0, s19
	v_and_b32_e32 v2, 24, v22
	v_and_b32_e32 v16, 0x1f8, v22
	v_mov_b32_e32 v17, 0
	v_rcp_iflag_f32_e32 v0, v0
	scratch_store_dword off, v27, off offset:48 ; 4-byte Folded Spill
	scratch_store_dword off, v23, off offset:44 ; 4-byte Folded Spill
	;; [unrolled: 1-line block ×5, first 2 shown]
	v_lshl_add_u64 v[2:3], s[0:1], 0, v[16:17]
	v_mul_f32_e32 v0, 0x4f7ffffe, v0
	v_cvt_u32_f32_e32 v0, v0
	s_sub_i32 s0, 0, s19
	scratch_store_dwordx2 off, v[2:3], off offset:28 ; 8-byte Folded Spill
	s_add_i32 s21, s20, -1
	v_mul_lo_u32 v2, s0, v0
	v_mul_hi_u32 v2, v0, v2
	v_add_u32_e32 v0, v0, v2
	s_lshl_b64 s[0:1], s[30:31], 2
	scratch_store_dword off, v0, off offset:20 ; 4-byte Folded Spill
	s_add_u32 s0, s28, s0
	v_lshlrev_b32_e32 v0, 5, v29
	v_and_b32_e32 v16, 60, v24
	s_addc_u32 s1, s29, s1
	v_lshl_or_b32 v0, v1, 7, v0
	v_lshl_add_u64 v[24:25], s[0:1], 0, v[16:17]
	v_add_u32_e32 v35, 0x190, v0
	s_mov_b64 s[6:7], 0
	v_mov_b32_e32 v16, v17
	v_mov_b32_e32 v20, v17
	;; [unrolled: 1-line block ×11, first 2 shown]
	scratch_store_dword off, v29, off offset:52 ; 4-byte Folded Spill
	s_branch .LBB315_50
.LBB315_48:                             ;   in Loop: Header=BB315_50 Depth=1
	s_or_b64 exec, exec, s[12:13]
	v_cvt_pk_bf16_f32 v7, v7, s0
	v_cvt_pk_bf16_f32 v37, v2, s0
	;; [unrolled: 1-line block ×3, first 2 shown]
	v_lshlrev_b32_e32 v2, 16, v7
	v_lshlrev_b32_e32 v3, 16, v36
	v_cvt_pk_bf16_f32 v6, v6, s0
	v_mul_f32_e32 v3, v2, v3
	v_cvt_pk_bf16_f32 v36, v3, s0
	v_lshlrev_b32_e32 v6, 16, v6
	v_lshlrev_b32_e32 v3, 16, v34
	v_cvt_pk_bf16_f32 v9, v9, s0
	v_mul_f32_e32 v3, v6, v3
	v_cvt_pk_bf16_f32 v39, v4, s0
	v_cvt_pk_bf16_f32 v34, v3, s0
	v_lshlrev_b32_e32 v3, 16, v9
	v_lshlrev_b32_e32 v4, 16, v31
	v_cvt_pk_bf16_f32 v8, v8, s0
	v_mul_f32_e32 v4, v3, v4
	v_cvt_pk_bf16_f32 v31, v4, s0
	v_lshlrev_b32_e32 v7, 16, v8
	v_lshlrev_b32_e32 v4, 16, v30
	v_mul_f32_e32 v4, v7, v4
	v_cvt_pk_bf16_f32 v30, v4, s0
	v_lshlrev_b32_e32 v4, 16, v38
	v_lshlrev_b32_e32 v8, 16, v23
	;; [unrolled: 4-line block ×3, first 2 shown]
	v_cvt_pk_bf16_f32 v5, v5, s0
	v_mul_f32_e32 v9, v8, v9
	v_cvt_pk_bf16_f32 v22, v9, s0
	v_lshlrev_b32_e32 v5, 16, v5
	v_lshlrev_b32_e32 v0, 16, v0
	;; [unrolled: 1-line block ×4, first 2 shown]
	v_mul_f32_e32 v0, v5, v0
	v_mul_f32_e32 v33, v9, v33
	v_lshlrev_b32_e32 v34, 16, v34
	v_lshlrev_b32_e32 v36, 16, v36
	;; [unrolled: 1-line block ×4, first 2 shown]
	v_cvt_pk_bf16_f32 v0, v0, s0
	v_cvt_pk_bf16_f32 v33, v33, s0
	v_add_f32_e32 v34, v34, v36
	v_add_f32_e32 v30, v30, v31
	v_lshlrev_b32_e32 v22, 16, v22
	v_lshlrev_b32_e32 v23, 16, v23
	v_add_f32_e32 v30, v30, v34
	v_add_f32_e32 v22, v22, v23
	v_lshlrev_b32_e32 v23, 16, v33
	v_lshlrev_b32_e32 v0, 16, v0
	v_add_f32_e32 v22, v22, v30
	v_add_f32_e32 v0, v23, v0
	;; [unrolled: 1-line block ×4, first 2 shown]
	v_lshlrev_b32_e32 v0, 16, v29
	v_lshlrev_b32_e32 v22, 16, v32
	v_mul_f32_e32 v0, v2, v0
	v_mul_f32_e32 v22, v6, v22
	v_lshlrev_b32_e32 v23, 16, v127
	v_lshlrev_b32_e32 v29, 16, v126
	v_cvt_pk_bf16_f32 v0, v0, s0
	v_cvt_pk_bf16_f32 v22, v22, s0
	v_mul_f32_e32 v23, v3, v23
	v_mul_f32_e32 v29, v7, v29
	v_cvt_pk_bf16_f32 v23, v23, s0
	v_cvt_pk_bf16_f32 v29, v29, s0
	v_lshlrev_b32_e32 v30, 16, v125
	v_lshlrev_b32_e32 v31, 16, v124
	v_lshlrev_b32_e32 v22, 16, v22
	v_lshlrev_b32_e32 v0, 16, v0
	v_mul_f32_e32 v30, v4, v30
	v_mul_f32_e32 v31, v8, v31
	v_add_f32_e32 v0, v22, v0
	v_lshlrev_b32_e32 v22, 16, v29
	v_lshlrev_b32_e32 v23, 16, v23
	v_cvt_pk_bf16_f32 v30, v30, s0
	v_cvt_pk_bf16_f32 v31, v31, s0
	v_lshlrev_b32_e32 v32, 16, v123
	v_lshlrev_b32_e32 v33, 16, v122
	v_add_f32_e32 v22, v22, v23
	v_mul_f32_e32 v32, v5, v32
	v_mul_f32_e32 v33, v9, v33
	v_add_f32_e32 v0, v22, v0
	v_lshlrev_b32_e32 v22, 16, v31
	v_lshlrev_b32_e32 v23, 16, v30
	v_cvt_pk_bf16_f32 v32, v32, s0
	v_cvt_pk_bf16_f32 v33, v33, s0
	v_add_f32_e32 v22, v22, v23
	v_add_f32_e32 v0, v22, v0
	v_lshlrev_b32_e32 v22, 16, v33
	v_lshlrev_b32_e32 v23, 16, v32
	v_add_f32_e32 v22, v22, v23
	v_add_f32_e32 v0, v22, v0
	v_add_f32_e32 v13, v13, v0
	v_lshlrev_b32_e32 v0, 16, v121
	v_lshlrev_b32_e32 v22, 16, v120
	v_mul_f32_e32 v0, v2, v0
	v_mul_f32_e32 v22, v6, v22
	v_lshlrev_b32_e32 v23, 16, v119
	v_lshlrev_b32_e32 v29, 16, v118
	v_cvt_pk_bf16_f32 v0, v0, s0
	v_cvt_pk_bf16_f32 v22, v22, s0
	v_mul_f32_e32 v23, v3, v23
	v_mul_f32_e32 v29, v7, v29
	v_cvt_pk_bf16_f32 v23, v23, s0
	v_cvt_pk_bf16_f32 v29, v29, s0
	v_lshlrev_b32_e32 v30, 16, v117
	v_lshlrev_b32_e32 v31, 16, v116
	v_lshlrev_b32_e32 v22, 16, v22
	v_lshlrev_b32_e32 v0, 16, v0
	v_mul_f32_e32 v30, v4, v30
	v_mul_f32_e32 v31, v8, v31
	v_add_f32_e32 v0, v22, v0
	v_lshlrev_b32_e32 v22, 16, v29
	v_lshlrev_b32_e32 v23, 16, v23
	v_cvt_pk_bf16_f32 v30, v30, s0
	v_cvt_pk_bf16_f32 v31, v31, s0
	v_lshlrev_b32_e32 v32, 16, v115
	v_lshlrev_b32_e32 v33, 16, v114
	v_add_f32_e32 v22, v22, v23
	v_mul_f32_e32 v32, v5, v32
	v_mul_f32_e32 v33, v9, v33
	v_add_f32_e32 v0, v22, v0
	v_lshlrev_b32_e32 v22, 16, v31
	v_lshlrev_b32_e32 v23, 16, v30
	v_cvt_pk_bf16_f32 v32, v32, s0
	v_cvt_pk_bf16_f32 v33, v33, s0
	v_add_f32_e32 v22, v22, v23
	v_add_f32_e32 v0, v22, v0
	v_lshlrev_b32_e32 v22, 16, v33
	v_lshlrev_b32_e32 v23, 16, v32
	v_add_f32_e32 v22, v22, v23
	v_add_f32_e32 v0, v22, v0
	v_add_f32_e32 v12, v12, v0
	;; [unrolled: 40-line block ×8, first 2 shown]
	v_lshlrev_b32_e32 v0, 16, v51
	v_lshlrev_b32_e32 v22, 16, v50
	v_mul_f32_e32 v0, v2, v0
	v_mul_f32_e32 v22, v6, v22
	v_lshlrev_b32_e32 v23, 16, v49
	v_lshlrev_b32_e32 v29, 16, v48
	v_cvt_pk_bf16_f32 v0, v0, s0
	v_cvt_pk_bf16_f32 v22, v22, s0
	v_mul_f32_e32 v23, v3, v23
	v_mul_f32_e32 v29, v7, v29
	v_cvt_pk_bf16_f32 v23, v23, s0
	v_cvt_pk_bf16_f32 v29, v29, s0
	v_lshlrev_b32_e32 v30, 16, v47
	v_lshlrev_b32_e32 v31, 16, v46
	;; [unrolled: 1-line block ×4, first 2 shown]
	v_mul_f32_e32 v30, v4, v30
	v_mul_f32_e32 v31, v8, v31
	v_add_f32_e32 v0, v22, v0
	v_lshlrev_b32_e32 v22, 16, v29
	v_lshlrev_b32_e32 v23, 16, v23
	scratch_load_dword v29, off, off offset:16 ; 4-byte Folded Reload
	v_cvt_pk_bf16_f32 v30, v30, s0
	v_cvt_pk_bf16_f32 v31, v31, s0
	v_lshlrev_b32_e32 v32, 16, v45
	v_lshlrev_b32_e32 v33, 16, v44
	v_add_f32_e32 v22, v22, v23
	v_mul_f32_e32 v32, v5, v32
	v_mul_f32_e32 v33, v9, v33
	v_add_f32_e32 v0, v22, v0
	v_lshlrev_b32_e32 v22, 16, v31
	v_lshlrev_b32_e32 v23, 16, v30
	scratch_load_dword v30, off, off offset:12 ; 4-byte Folded Reload
	scratch_load_dword v31, off, off offset:8 ; 4-byte Folded Reload
	v_cvt_pk_bf16_f32 v32, v32, s0
	v_cvt_pk_bf16_f32 v33, v33, s0
	v_add_f32_e32 v22, v22, v23
	v_add_f32_e32 v0, v22, v0
	v_lshlrev_b32_e32 v22, 16, v33
	v_lshlrev_b32_e32 v23, 16, v32
	scratch_load_dword v32, off, off offset:4 ; 4-byte Folded Reload
	scratch_load_dword v33, off, off        ; 4-byte Folded Reload
	v_add_f32_e32 v22, v22, v23
	v_add_f32_e32 v0, v22, v0
	;; [unrolled: 1-line block ×3, first 2 shown]
	v_lshlrev_b32_e32 v0, 16, v43
	v_lshlrev_b32_e32 v22, 16, v42
	v_mul_f32_e32 v0, v2, v0
	v_mul_f32_e32 v22, v6, v22
	v_lshlrev_b32_e32 v23, 16, v41
	v_cvt_pk_bf16_f32 v0, v0, s0
	v_cvt_pk_bf16_f32 v22, v22, s0
	v_mul_f32_e32 v23, v3, v23
	v_cvt_pk_bf16_f32 v23, v23, s0
	v_lshlrev_b32_e32 v22, 16, v22
	v_lshlrev_b32_e32 v0, 16, v0
	v_add_f32_e32 v0, v22, v0
	v_lshlrev_b32_e32 v23, 16, v23
	s_waitcnt vmcnt(4)
	v_lshlrev_b32_e32 v29, 16, v29
	v_mul_f32_e32 v29, v7, v29
	v_cvt_pk_bf16_f32 v29, v29, s0
	v_lshlrev_b32_e32 v22, 16, v29
	v_add_f32_e32 v22, v22, v23
	v_add_f32_e32 v0, v22, v0
	s_waitcnt vmcnt(3)
	v_lshlrev_b32_e32 v30, 16, v30
	s_waitcnt vmcnt(2)
	v_lshlrev_b32_e32 v31, 16, v31
	v_mul_f32_e32 v30, v4, v30
	v_mul_f32_e32 v31, v8, v31
	v_cvt_pk_bf16_f32 v30, v30, s0
	v_cvt_pk_bf16_f32 v31, v31, s0
	v_lshlrev_b32_e32 v22, 16, v31
	v_lshlrev_b32_e32 v23, 16, v30
	s_waitcnt vmcnt(1)
	v_lshlrev_b32_e32 v32, 16, v32
	s_waitcnt vmcnt(0)
	v_lshlrev_b32_e32 v33, 16, v33
	v_mul_f32_e32 v32, v5, v32
	v_mul_f32_e32 v33, v9, v33
	v_cvt_pk_bf16_f32 v32, v32, s0
	v_cvt_pk_bf16_f32 v33, v33, s0
	v_add_f32_e32 v22, v22, v23
	v_add_f32_e32 v0, v22, v0
	v_lshlrev_b32_e32 v22, 16, v33
	v_lshlrev_b32_e32 v23, 16, v32
	v_add_f32_e32 v22, v22, v23
	v_add_f32_e32 v0, v22, v0
	v_add_f32_e32 v16, v16, v0
	v_lshlrev_b32_e32 v0, 16, v113
	v_mul_f32_e32 v0, v6, v0
	v_lshlrev_b32_e32 v6, 16, v112
	v_mul_f32_e32 v2, v2, v6
	;; [unrolled: 2-line block ×4, first 2 shown]
	v_cvt_pk_bf16_f32 v7, v3, s0
	v_lshlrev_b32_e32 v3, 16, v109
	v_mul_f32_e32 v3, v8, v3
	v_cvt_pk_bf16_f32 v8, v3, s0
	v_lshlrev_b32_e32 v3, 16, v108
	v_mul_f32_e32 v3, v4, v3
	;; [unrolled: 3-line block ×3, first 2 shown]
	v_cvt_pk_bf16_f32 v9, v3, s0
	v_lshlrev_b32_e32 v3, 16, v26
	v_cvt_pk_bf16_f32 v0, v0, s0
	v_cvt_pk_bf16_f32 v2, v2, s0
	;; [unrolled: 1-line block ×3, first 2 shown]
	v_mul_f32_e32 v3, v5, v3
	v_cvt_pk_bf16_f32 v23, v3, s0
	v_lshlrev_b32_e32 v3, 16, v2
	v_lshlrev_b32_e32 v5, 16, v0
	v_lshlrev_b32_e32 v2, 16, v7
	v_lshlrev_b32_e32 v4, 16, v6
	v_pk_add_f32 v[2:3], v[4:5], v[2:3]
	v_lshlrev_b32_e32 v5, 16, v22
	v_lshlrev_b32_e32 v7, 16, v8
	;; [unrolled: 1-line block ×4, first 2 shown]
	v_pk_add_f32 v[4:5], v[6:7], v[4:5]
	v_add_f32_e32 v0, v2, v3
	v_add_f32_e32 v0, v5, v0
	;; [unrolled: 1-line block ×4, first 2 shown]
.LBB315_49:                             ;   in Loop: Header=BB315_50 Depth=1
	s_or_b64 exec, exec, s[8:9]
	v_add_u32_e32 v1, 2, v1
	v_cmp_le_i32_e32 vcc, s20, v1
	v_lshl_add_u64 v[24:25], v[24:25], 0, 8
	v_add_u32_e32 v28, 64, v28
	s_or_b64 s[6:7], vcc, s[6:7]
	v_add_u32_e32 v35, 0x100, v35
	s_andn2_b64 exec, exec, s[6:7]
	s_cbranch_execz .LBB315_75
.LBB315_50:                             ; =>This Inner Loop Header: Depth=1
	v_mul_hi_u32 v0, v28, s25
	v_mul_lo_u32 v2, v0, s16
	v_sub_u32_e32 v2, v28, v2
	v_add_u32_e32 v3, 1, v0
	v_cmp_le_u32_e32 vcc, s16, v2
	s_nop 1
	v_cndmask_b32_e32 v0, v0, v3, vcc
	v_subrev_u32_e32 v3, s16, v2
	v_cndmask_b32_e32 v2, v2, v3, vcc
	v_add_u32_e32 v3, 1, v0
	v_cmp_le_u32_e32 vcc, s16, v2
	s_nop 1
	v_cndmask_b32_e32 v0, v0, v3, vcc
	v_xor_b32_e32 v0, s23, v0
	v_subrev_u32_e32 v0, s23, v0
	v_add_u32_e32 v2, s36, v0
	v_sub_u32_e32 v4, 0, v2
	v_ashrrev_i32_e32 v3, 31, v2
	v_max_i32_e32 v2, v2, v4
	scratch_load_dword v4, off, off offset:20 ; 4-byte Folded Reload
	v_cmp_lt_i32_e64 s[0:1], s18, v0
	s_waitcnt vmcnt(0)
	v_mul_hi_u32 v4, v2, v4
	v_mul_lo_u32 v4, v4, s19
	v_sub_u32_e32 v2, v2, v4
	v_subrev_u32_e32 v4, s19, v2
	v_cmp_le_u32_e32 vcc, s19, v2
	s_nop 1
	v_cndmask_b32_e32 v2, v2, v4, vcc
	v_subrev_u32_e32 v4, s19, v2
	v_cmp_le_u32_e32 vcc, s19, v2
	s_nop 1
	v_cndmask_b32_e32 v2, v2, v4, vcc
	v_xor_b32_e32 v2, v2, v3
	v_sub_u32_e32 v2, v2, v3
	v_cmp_eq_u32_e32 vcc, 0, v2
	s_or_b64 s[0:1], vcc, s[0:1]
	s_and_saveexec_b64 s[8:9], s[0:1]
	s_cbranch_execz .LBB315_49
; %bb.51:                               ;   in Loop: Header=BB315_50 Depth=1
	global_load_dword v0, v[24:25], off
	scratch_load_dwordx2 v[2:3], off, off offset:28 ; 8-byte Folded Reload
	s_waitcnt vmcnt(0)
	v_mad_i64_i32 v[26:27], s[0:1], v0, s17, v[2:3]
	global_load_dwordx2 v[22:23], v[26:27], off
	scratch_load_dword v0, off, off offset:24 ; 4-byte Folded Reload
	ds_read2_b64 v[6:9], v35 offset1:1
	ds_read2_b64 v[2:5], v35 offset0:2 offset1:3
	s_load_dword s22, s[14:15], 0x0
	v_cmp_eq_u32_e64 s[0:1], s21, v1
	s_waitcnt vmcnt(1)
	v_bfe_u32 v30, v22, 16, 8
	s_waitcnt vmcnt(0)
	v_add_u32_e32 v60, v0, v28
	v_and_b32_e32 v0, 0xff, v22
	v_and_b32_e32 v31, 0xff, v23
	v_cvt_f32_fp8_e32 v0, v0
	v_cvt_f32_fp8_e32 v30, v30
	v_bfe_u32 v32, v23, 8, 8
	v_cvt_f32_fp8_e32 v31, v31
	v_bfe_u32 v33, v23, 16, 8
	;; [unrolled: 2-line block ×3, first 2 shown]
	v_lshrrev_b32_e32 v22, 24, v22
	v_lshrrev_b32_e32 v23, 24, v23
	v_cvt_f32_fp8_e32 v33, v33
	v_cvt_f32_fp8_e32 v29, v29
	;; [unrolled: 1-line block ×4, first 2 shown]
	s_waitcnt lgkmcnt(0)
	v_mul_f32_e32 v0, s22, v0
	v_mul_f32_e32 v30, s22, v30
	;; [unrolled: 1-line block ×3, first 2 shown]
	v_cvt_pk_bf16_f32 v42, v0, s0
	v_cvt_pk_bf16_f32 v0, v30, s0
	v_mul_f32_e32 v32, s22, v32
	scratch_store_dword off, v0, off offset:16 ; 4-byte Folded Spill
	v_cvt_pk_bf16_f32 v0, v31, s0
	v_mul_f32_e32 v33, s22, v33
	scratch_store_dword off, v0, off offset:8 ; 4-byte Folded Spill
	v_cvt_pk_bf16_f32 v0, v32, s0
	v_mul_f32_e32 v29, s22, v29
	v_mul_f32_e32 v22, s22, v22
	;; [unrolled: 1-line block ×3, first 2 shown]
	scratch_store_dword off, v0, off offset:12 ; 4-byte Folded Spill
	v_cvt_pk_bf16_f32 v0, v33, s0
	v_add_u32_e32 v69, 1, v60
	v_add_u32_e32 v66, 2, v60
	;; [unrolled: 1-line block ×6, first 2 shown]
	v_cvt_pk_bf16_f32 v43, v29, s0
	v_cvt_pk_bf16_f32 v41, v22, s0
	scratch_store_dword off, v0, off        ; 4-byte Folded Spill
	v_cvt_pk_bf16_f32 v0, v23, s0
	v_add_u32_e32 v75, 7, v60
	scratch_store_dword off, v0, off offset:4 ; 4-byte Folded Spill
	s_and_saveexec_b64 s[12:13], s[0:1]
	s_cbranch_execz .LBB315_53
; %bb.52:                               ;   in Loop: Header=BB315_50 Depth=1
	scratch_load_dword v0, off, off offset:16 ; 4-byte Folded Reload
	v_cmp_gt_i32_e32 vcc, s33, v60
	s_nop 1
	v_cndmask_b32_e32 v42, 0, v42, vcc
	v_cmp_gt_i32_e32 vcc, s33, v69
	s_nop 1
	v_cndmask_b32_e32 v43, 0, v43, vcc
	v_cmp_gt_i32_e32 vcc, s33, v66
	s_waitcnt vmcnt(0)
	s_nop 0
	v_cndmask_b32_e32 v0, 0, v0, vcc
	scratch_store_dword off, v0, off offset:16 ; 4-byte Folded Spill
	scratch_load_dword v0, off, off offset:8 ; 4-byte Folded Reload
	v_cmp_gt_i32_e32 vcc, s33, v65
	s_nop 1
	v_cndmask_b32_e32 v41, 0, v41, vcc
	v_cmp_gt_i32_e32 vcc, s33, v64
	s_waitcnt vmcnt(0)
	s_nop 0
	v_cndmask_b32_e32 v0, 0, v0, vcc
	scratch_store_dword off, v0, off offset:8 ; 4-byte Folded Spill
	scratch_load_dword v0, off, off offset:12 ; 4-byte Folded Reload
	v_cmp_gt_i32_e32 vcc, s33, v63
	s_waitcnt vmcnt(0)
	s_nop 0
	v_cndmask_b32_e32 v0, 0, v0, vcc
	scratch_store_dword off, v0, off offset:12 ; 4-byte Folded Spill
	scratch_load_dword v0, off, off         ; 4-byte Folded Reload
	v_cmp_gt_i32_e32 vcc, s33, v61
	s_waitcnt vmcnt(0)
	s_nop 0
	v_cndmask_b32_e32 v0, 0, v0, vcc
	scratch_store_dword off, v0, off        ; 4-byte Folded Spill
	scratch_load_dword v0, off, off offset:4 ; 4-byte Folded Reload
	v_cmp_gt_i32_e32 vcc, s33, v75
	s_waitcnt vmcnt(0)
	s_nop 0
	v_cndmask_b32_e32 v0, 0, v0, vcc
	scratch_store_dword off, v0, off offset:4 ; 4-byte Folded Spill
.LBB315_53:                             ;   in Loop: Header=BB315_50 Depth=1
	s_or_b64 exec, exec, s[12:13]
	global_load_dwordx2 v[22:23], v[26:27], off offset:512
	s_waitcnt vmcnt(0)
	v_and_b32_e32 v0, 0xff, v22
	v_bfe_u32 v29, v22, 8, 8
	v_bfe_u32 v30, v22, 16, 8
	v_lshrrev_b32_e32 v22, 24, v22
	v_and_b32_e32 v31, 0xff, v23
	v_bfe_u32 v32, v23, 8, 8
	v_bfe_u32 v33, v23, 16, 8
	v_lshrrev_b32_e32 v23, 24, v23
	v_cvt_f32_fp8_e32 v0, v0
	v_cvt_f32_fp8_e32 v29, v29
	v_cvt_f32_fp8_e32 v30, v30
	v_cvt_f32_fp8_e32 v22, v22
	v_cvt_f32_fp8_e32 v31, v31
	v_cvt_f32_fp8_e32 v32, v32
	v_cvt_f32_fp8_e32 v33, v33
	v_cvt_f32_fp8_e32 v23, v23
	v_mul_f32_e32 v0, s22, v0
	v_mul_f32_e32 v29, s22, v29
	v_mul_f32_e32 v30, s22, v30
	v_mul_f32_e32 v22, s22, v22
	v_mul_f32_e32 v31, s22, v31
	v_mul_f32_e32 v32, s22, v32
	v_mul_f32_e32 v33, s22, v33
	v_mul_f32_e32 v23, s22, v23
	v_cvt_pk_bf16_f32 v50, v0, s0
	v_cvt_pk_bf16_f32 v51, v29, s0
	v_cvt_pk_bf16_f32 v48, v30, s0
	v_cvt_pk_bf16_f32 v49, v22, s0
	v_cvt_pk_bf16_f32 v46, v31, s0
	v_cvt_pk_bf16_f32 v47, v32, s0
	v_cvt_pk_bf16_f32 v44, v33, s0
	v_cvt_pk_bf16_f32 v45, v23, s0
	s_and_saveexec_b64 s[12:13], s[0:1]
	s_cbranch_execz .LBB315_55
; %bb.54:                               ;   in Loop: Header=BB315_50 Depth=1
	v_cmp_gt_i32_e32 vcc, s33, v60
	s_nop 1
	v_cndmask_b32_e32 v50, 0, v50, vcc
	v_cmp_gt_i32_e32 vcc, s33, v69
	s_nop 1
	v_cndmask_b32_e32 v51, 0, v51, vcc
	v_cmp_gt_i32_e32 vcc, s33, v66
	s_nop 1
	v_cndmask_b32_e32 v48, 0, v48, vcc
	v_cmp_gt_i32_e32 vcc, s33, v65
	s_nop 1
	v_cndmask_b32_e32 v49, 0, v49, vcc
	v_cmp_gt_i32_e32 vcc, s33, v64
	s_nop 1
	v_cndmask_b32_e32 v46, 0, v46, vcc
	v_cmp_gt_i32_e32 vcc, s33, v63
	s_nop 1
	v_cndmask_b32_e32 v47, 0, v47, vcc
	v_cmp_gt_i32_e32 vcc, s33, v61
	s_nop 1
	v_cndmask_b32_e32 v44, 0, v44, vcc
	v_cmp_gt_i32_e32 vcc, s33, v75
	s_nop 1
	v_cndmask_b32_e32 v45, 0, v45, vcc
.LBB315_55:                             ;   in Loop: Header=BB315_50 Depth=1
	s_or_b64 exec, exec, s[12:13]
	global_load_dwordx2 v[22:23], v[26:27], off offset:1024
	s_waitcnt vmcnt(0)
	v_and_b32_e32 v0, 0xff, v22
	v_bfe_u32 v29, v22, 8, 8
	v_bfe_u32 v30, v22, 16, 8
	v_lshrrev_b32_e32 v22, 24, v22
	v_and_b32_e32 v31, 0xff, v23
	v_bfe_u32 v32, v23, 8, 8
	v_bfe_u32 v33, v23, 16, 8
	v_lshrrev_b32_e32 v23, 24, v23
	v_cvt_f32_fp8_e32 v0, v0
	v_cvt_f32_fp8_e32 v29, v29
	v_cvt_f32_fp8_e32 v30, v30
	v_cvt_f32_fp8_e32 v22, v22
	v_cvt_f32_fp8_e32 v31, v31
	v_cvt_f32_fp8_e32 v32, v32
	v_cvt_f32_fp8_e32 v33, v33
	v_cvt_f32_fp8_e32 v23, v23
	v_mul_f32_e32 v0, s22, v0
	v_mul_f32_e32 v29, s22, v29
	v_mul_f32_e32 v30, s22, v30
	v_mul_f32_e32 v22, s22, v22
	v_mul_f32_e32 v31, s22, v31
	v_mul_f32_e32 v32, s22, v32
	v_mul_f32_e32 v33, s22, v33
	v_mul_f32_e32 v23, s22, v23
	v_cvt_pk_bf16_f32 v58, v0, s0
	v_cvt_pk_bf16_f32 v59, v29, s0
	v_cvt_pk_bf16_f32 v56, v30, s0
	v_cvt_pk_bf16_f32 v57, v22, s0
	v_cvt_pk_bf16_f32 v54, v31, s0
	v_cvt_pk_bf16_f32 v55, v32, s0
	v_cvt_pk_bf16_f32 v52, v33, s0
	v_cvt_pk_bf16_f32 v53, v23, s0
	s_and_saveexec_b64 s[12:13], s[0:1]
	s_cbranch_execz .LBB315_57
; %bb.56:                               ;   in Loop: Header=BB315_50 Depth=1
	v_cmp_gt_i32_e32 vcc, s33, v60
	s_nop 1
	v_cndmask_b32_e32 v58, 0, v58, vcc
	v_cmp_gt_i32_e32 vcc, s33, v69
	s_nop 1
	v_cndmask_b32_e32 v59, 0, v59, vcc
	v_cmp_gt_i32_e32 vcc, s33, v66
	s_nop 1
	v_cndmask_b32_e32 v56, 0, v56, vcc
	v_cmp_gt_i32_e32 vcc, s33, v65
	s_nop 1
	v_cndmask_b32_e32 v57, 0, v57, vcc
	v_cmp_gt_i32_e32 vcc, s33, v64
	s_nop 1
	v_cndmask_b32_e32 v54, 0, v54, vcc
	v_cmp_gt_i32_e32 vcc, s33, v63
	s_nop 1
	v_cndmask_b32_e32 v55, 0, v55, vcc
	v_cmp_gt_i32_e32 vcc, s33, v61
	s_nop 1
	v_cndmask_b32_e32 v52, 0, v52, vcc
	v_cmp_gt_i32_e32 vcc, s33, v75
	s_nop 1
	v_cndmask_b32_e32 v53, 0, v53, vcc
.LBB315_57:                             ;   in Loop: Header=BB315_50 Depth=1
	;; [unrolled: 63-line block ×7, first 2 shown]
	s_or_b64 exec, exec, s[12:13]
	v_add_co_u32_e32 v22, vcc, 0x1000, v26
	s_nop 1
	v_addc_co_u32_e32 v23, vcc, 0, v27, vcc
	global_load_dwordx2 v[22:23], v[22:23], off
	s_waitcnt vmcnt(0)
	v_and_b32_e32 v0, 0xff, v22
	v_bfe_u32 v29, v22, 8, 8
	v_bfe_u32 v30, v22, 16, 8
	v_lshrrev_b32_e32 v22, 24, v22
	v_and_b32_e32 v31, 0xff, v23
	v_bfe_u32 v32, v23, 8, 8
	v_bfe_u32 v33, v23, 16, 8
	v_lshrrev_b32_e32 v23, 24, v23
	v_cvt_f32_fp8_e32 v0, v0
	v_cvt_f32_fp8_e32 v29, v29
	;; [unrolled: 1-line block ×8, first 2 shown]
	v_mul_f32_e32 v0, s22, v0
	v_mul_f32_e32 v29, s22, v29
	;; [unrolled: 1-line block ×8, first 2 shown]
	v_cvt_pk_bf16_f32 v120, v0, s0
	v_cvt_pk_bf16_f32 v121, v29, s0
	;; [unrolled: 1-line block ×8, first 2 shown]
	s_and_saveexec_b64 s[12:13], s[0:1]
	s_cbranch_execz .LBB315_69
; %bb.68:                               ;   in Loop: Header=BB315_50 Depth=1
	v_cmp_gt_i32_e32 vcc, s33, v60
	s_nop 1
	v_cndmask_b32_e32 v120, 0, v120, vcc
	v_cmp_gt_i32_e32 vcc, s33, v69
	s_nop 1
	v_cndmask_b32_e32 v121, 0, v121, vcc
	;; [unrolled: 3-line block ×8, first 2 shown]
.LBB315_69:                             ;   in Loop: Header=BB315_50 Depth=1
	s_or_b64 exec, exec, s[12:13]
	v_add_co_u32_e32 v22, vcc, 0x1000, v26
	s_nop 1
	v_addc_co_u32_e32 v23, vcc, 0, v27, vcc
	global_load_dwordx2 v[22:23], v[22:23], off offset:512
	s_waitcnt vmcnt(0)
	v_and_b32_e32 v0, 0xff, v22
	v_bfe_u32 v29, v22, 8, 8
	v_bfe_u32 v30, v22, 16, 8
	v_lshrrev_b32_e32 v22, 24, v22
	v_and_b32_e32 v31, 0xff, v23
	v_bfe_u32 v32, v23, 8, 8
	v_bfe_u32 v33, v23, 16, 8
	v_lshrrev_b32_e32 v23, 24, v23
	v_cvt_f32_fp8_e32 v0, v0
	v_cvt_f32_fp8_e32 v29, v29
	;; [unrolled: 1-line block ×8, first 2 shown]
	v_mul_f32_e32 v0, s22, v0
	v_mul_f32_e32 v29, s22, v29
	;; [unrolled: 1-line block ×8, first 2 shown]
	v_cvt_pk_bf16_f32 v32, v0, s0
	v_cvt_pk_bf16_f32 v29, v29, s0
	;; [unrolled: 1-line block ×8, first 2 shown]
	s_and_saveexec_b64 s[12:13], s[0:1]
	s_cbranch_execz .LBB315_71
; %bb.70:                               ;   in Loop: Header=BB315_50 Depth=1
	v_cmp_gt_i32_e32 vcc, s33, v60
	s_nop 1
	v_cndmask_b32_e32 v32, 0, v32, vcc
	v_cmp_gt_i32_e32 vcc, s33, v69
	s_nop 1
	v_cndmask_b32_e32 v29, 0, v29, vcc
	;; [unrolled: 3-line block ×8, first 2 shown]
.LBB315_71:                             ;   in Loop: Header=BB315_50 Depth=1
	s_or_b64 exec, exec, s[12:13]
	v_add_co_u32_e32 v22, vcc, 0x1000, v26
	s_nop 1
	v_addc_co_u32_e32 v23, vcc, 0, v27, vcc
	global_load_dwordx2 v[22:23], v[22:23], off offset:1024
	s_waitcnt vmcnt(0)
	v_and_b32_e32 v0, 0xff, v22
	v_bfe_u32 v30, v22, 8, 8
	v_bfe_u32 v31, v22, 16, 8
	v_lshrrev_b32_e32 v22, 24, v22
	v_and_b32_e32 v33, 0xff, v23
	v_bfe_u32 v34, v23, 8, 8
	v_bfe_u32 v36, v23, 16, 8
	v_lshrrev_b32_e32 v23, 24, v23
	v_cvt_f32_fp8_e32 v0, v0
	v_cvt_f32_fp8_e32 v30, v30
	;; [unrolled: 1-line block ×8, first 2 shown]
	v_mul_f32_e32 v0, s22, v0
	v_mul_f32_e32 v30, s22, v30
	;; [unrolled: 1-line block ×8, first 2 shown]
	v_cvt_pk_bf16_f32 v34, v0, s0
	v_cvt_pk_bf16_f32 v36, v30, s0
	;; [unrolled: 1-line block ×8, first 2 shown]
	s_and_saveexec_b64 s[12:13], s[0:1]
	s_cbranch_execz .LBB315_73
; %bb.72:                               ;   in Loop: Header=BB315_50 Depth=1
	v_cmp_gt_i32_e32 vcc, s33, v60
	s_nop 1
	v_cndmask_b32_e32 v34, 0, v34, vcc
	v_cmp_gt_i32_e32 vcc, s33, v69
	s_nop 1
	v_cndmask_b32_e32 v36, 0, v36, vcc
	;; [unrolled: 3-line block ×8, first 2 shown]
.LBB315_73:                             ;   in Loop: Header=BB315_50 Depth=1
	s_or_b64 exec, exec, s[12:13]
	v_add_co_u32_e32 v26, vcc, 0x1000, v26
	s_nop 1
	v_addc_co_u32_e32 v27, vcc, 0, v27, vcc
	global_load_dwordx2 v[26:27], v[26:27], off offset:1536
	s_waitcnt vmcnt(0)
	v_and_b32_e32 v108, 0xff, v26
	v_bfe_u32 v109, v26, 8, 8
	v_bfe_u32 v110, v26, 16, 8
	v_lshrrev_b32_e32 v26, 24, v26
	v_and_b32_e32 v111, 0xff, v27
	v_bfe_u32 v112, v27, 8, 8
	v_bfe_u32 v113, v27, 16, 8
	v_lshrrev_b32_e32 v27, 24, v27
	v_cvt_f32_fp8_e32 v108, v108
	v_cvt_f32_fp8_e32 v109, v109
	;; [unrolled: 1-line block ×8, first 2 shown]
	v_mul_f32_e32 v108, s22, v108
	v_mul_f32_e32 v109, s22, v109
	;; [unrolled: 1-line block ×8, first 2 shown]
	v_cvt_pk_bf16_f32 v113, v108, s0
	v_cvt_pk_bf16_f32 v112, v109, s0
	;; [unrolled: 1-line block ×8, first 2 shown]
	s_and_saveexec_b64 s[12:13], s[0:1]
	s_cbranch_execz .LBB315_48
; %bb.74:                               ;   in Loop: Header=BB315_50 Depth=1
	v_cmp_gt_i32_e32 vcc, s33, v60
	s_nop 1
	v_cndmask_b32_e32 v113, 0, v113, vcc
	v_cmp_gt_i32_e32 vcc, s33, v69
	s_nop 1
	v_cndmask_b32_e32 v112, 0, v112, vcc
	;; [unrolled: 3-line block ×8, first 2 shown]
	s_branch .LBB315_48
.LBB315_75:
	s_or_b64 exec, exec, s[6:7]
	scratch_load_dword v25, off, off offset:36 ; 4-byte Folded Reload
	scratch_load_dword v26, off, off offset:40 ; 4-byte Folded Reload
	;; [unrolled: 1-line block ×5, first 2 shown]
.LBB315_76:
	s_or_b64 exec, exec, s[2:3]
	s_waitcnt vmcnt(2)
	ds_bpermute_b32 v0, v23, v16
	ds_bpermute_b32 v1, v23, v17
	;; [unrolled: 1-line block ×6, first 2 shown]
	s_waitcnt lgkmcnt(4)
	v_pk_add_f32 v[0:1], v[16:17], v[0:1]
	s_waitcnt vmcnt(1)
	ds_bpermute_b32 v4, v27, v0
	ds_bpermute_b32 v5, v27, v1
	s_waitcnt lgkmcnt(4)
	v_pk_add_f32 v[8:9], v[20:21], v[2:3]
	ds_bpermute_b32 v22, v23, v10
	ds_bpermute_b32 v16, v27, v8
	;; [unrolled: 1-line block ×3, first 2 shown]
	s_waitcnt lgkmcnt(3)
	v_pk_add_f32 v[2:3], v[0:1], v[4:5]
	ds_bpermute_b32 v4, v23, v14
	ds_bpermute_b32 v5, v23, v15
	v_pk_add_f32 v[0:1], v[18:19], v[6:7]
	ds_bpermute_b32 v18, v23, v12
	ds_bpermute_b32 v19, v23, v13
	;; [unrolled: 1-line block ×3, first 2 shown]
	s_waitcnt lgkmcnt(3)
	v_pk_add_f32 v[4:5], v[14:15], v[4:5]
	ds_bpermute_b32 v6, v27, v0
	ds_bpermute_b32 v7, v27, v1
	;; [unrolled: 1-line block ×4, first 2 shown]
	s_waitcnt lgkmcnt(5)
	v_pk_add_f32 v[18:19], v[12:13], v[18:19]
	ds_bpermute_b32 v20, v27, v18
	ds_bpermute_b32 v21, v27, v19
	s_waitcnt lgkmcnt(6)
	v_pk_add_f32 v[10:11], v[10:11], v[22:23]
	v_pk_add_f32 v[12:13], v[8:9], v[16:17]
	s_waitcnt lgkmcnt(4)
	v_pk_add_f32 v[8:9], v[0:1], v[6:7]
	s_waitcnt lgkmcnt(2)
	v_pk_add_f32 v[6:7], v[4:5], v[14:15]
	ds_bpermute_b32 v14, v27, v10
	ds_bpermute_b32 v15, v27, v11
	v_and_b32_e32 v1, 0x3c3, v25
	s_waitcnt lgkmcnt(2)
	v_pk_add_f32 v[4:5], v[18:19], v[20:21]
	v_cmp_ne_u32_e32 vcc, 64, v1
	s_waitcnt lgkmcnt(0)
	s_barrier
	s_and_saveexec_b64 s[0:1], vcc
	s_xor_b64 s[0:1], exec, s[0:1]
; %bb.77:
                                        ; implicit-def: $vgpr26
; %bb.78:
	s_or_saveexec_b64 s[0:1], s[0:1]
	v_pk_add_f32 v[10:11], v[10:11], v[14:15]
	s_xor_b64 exec, exec, s[0:1]
	s_cbranch_execz .LBB315_80
; %bb.79:
	v_add_u32_e32 v0, 0x190, v26
	ds_write2_b32 v0, v2, v3 offset1:16
	ds_write2_b32 v0, v12, v13 offset0:32 offset1:48
	ds_write2_b32 v0, v8, v9 offset0:64 offset1:80
	;; [unrolled: 1-line block ×5, first 2 shown]
.LBB315_80:
	s_or_b64 exec, exec, s[0:1]
	v_cmp_gt_u32_e32 vcc, 64, v25
	v_lshrrev_b32_e32 v0, 2, v25
	s_waitcnt lgkmcnt(0)
	s_barrier
	s_and_saveexec_b64 s[0:1], vcc
	s_cbranch_execz .LBB315_95
; %bb.81:
	v_mov_b32_e32 v14, 0x190
	s_waitcnt vmcnt(0)
	v_cmp_eq_u32_e32 vcc, 0, v29
	v_lshl_add_u32 v14, v0, 2, v14
	s_and_saveexec_b64 s[2:3], vcc
	s_cbranch_execnz .LBB315_98
; %bb.82:
	s_or_b64 exec, exec, s[2:3]
	s_and_saveexec_b64 s[2:3], vcc
	s_cbranch_execnz .LBB315_99
.LBB315_83:
	s_or_b64 exec, exec, s[2:3]
	s_and_saveexec_b64 s[2:3], vcc
	s_cbranch_execnz .LBB315_100
.LBB315_84:
	s_or_b64 exec, exec, s[2:3]
	s_and_saveexec_b64 s[2:3], vcc
	s_cbranch_execnz .LBB315_101
.LBB315_85:
	s_or_b64 exec, exec, s[2:3]
	s_and_saveexec_b64 s[2:3], vcc
	s_cbranch_execnz .LBB315_102
.LBB315_86:
	s_or_b64 exec, exec, s[2:3]
	s_and_saveexec_b64 s[2:3], vcc
	s_cbranch_execnz .LBB315_103
.LBB315_87:
	s_or_b64 exec, exec, s[2:3]
	s_and_saveexec_b64 s[2:3], vcc
	s_cbranch_execnz .LBB315_104
.LBB315_88:
	s_or_b64 exec, exec, s[2:3]
	s_and_saveexec_b64 s[2:3], vcc
	s_cbranch_execnz .LBB315_105
.LBB315_89:
	s_or_b64 exec, exec, s[2:3]
	s_and_saveexec_b64 s[2:3], vcc
	s_cbranch_execnz .LBB315_106
.LBB315_90:
	s_or_b64 exec, exec, s[2:3]
	s_and_saveexec_b64 s[2:3], vcc
	s_cbranch_execnz .LBB315_107
.LBB315_91:
	s_or_b64 exec, exec, s[2:3]
	s_and_saveexec_b64 s[2:3], vcc
	s_cbranch_execnz .LBB315_108
.LBB315_92:
	s_or_b64 exec, exec, s[2:3]
	s_and_saveexec_b64 s[2:3], vcc
	s_cbranch_execz .LBB315_94
.LBB315_93:
	ds_read_b32 v14, v14 offset:704
	s_waitcnt lgkmcnt(0)
	v_add_f32_e32 v11, v11, v14
.LBB315_94:
	s_or_b64 exec, exec, s[2:3]
.LBB315_95:
	s_or_b64 exec, exec, s[0:1]
	v_cmp_eq_u32_e32 vcc, 0, v1
	s_barrier
	s_and_saveexec_b64 s[0:1], vcc
	s_cbranch_execz .LBB315_97
; %bb.96:
	s_mul_i32 s0, s10, s11
	s_mul_i32 s0, s0, s5
	s_mulk_i32 s0, 0xc0
	s_ashr_i32 s1, s0, 31
	s_lshl_b64 s[0:1], s[0:1], 1
	s_add_u32 s2, s26, s0
	s_mul_i32 s0, s11, s24
	s_addc_u32 s3, s27, s1
	s_ashr_i32 s1, s0, 31
	s_lshl_b64 s[0:1], s[0:1], 1
	s_add_u32 s2, s2, s0
	s_mul_i32 s0, s4, 0xc0
	s_addc_u32 s3, s3, s1
	s_ashr_i32 s1, s0, 31
	s_lshl_b64 s[0:1], s[0:1], 1
	s_add_u32 s0, s2, s0
	s_addc_u32 s1, s3, s1
	v_lshlrev_b32_e32 v0, 1, v0
	v_cvt_pk_bf16_f32 v1, v2, s0
	global_store_short v0, v1, s[0:1]
	v_cvt_pk_bf16_f32 v1, v3, s0
	global_store_short v0, v1, s[0:1] offset:32
	v_cvt_pk_bf16_f32 v1, v12, s0
	global_store_short v0, v1, s[0:1] offset:64
	v_cvt_pk_bf16_f32 v1, v13, s0
	global_store_short v0, v1, s[0:1] offset:96
	v_cvt_pk_bf16_f32 v1, v8, s0
	global_store_short v0, v1, s[0:1] offset:128
	v_cvt_pk_bf16_f32 v1, v9, s0
	global_store_short v0, v1, s[0:1] offset:160
	v_cvt_pk_bf16_f32 v1, v6, s0
	global_store_short v0, v1, s[0:1] offset:192
	v_cvt_pk_bf16_f32 v1, v7, s0
	global_store_short v0, v1, s[0:1] offset:224
	v_cvt_pk_bf16_f32 v1, v4, s0
	global_store_short v0, v1, s[0:1] offset:256
	v_cvt_pk_bf16_f32 v1, v5, s0
	global_store_short v0, v1, s[0:1] offset:288
	v_cvt_pk_bf16_f32 v1, v10, s0
	global_store_short v0, v1, s[0:1] offset:320
	v_cvt_pk_bf16_f32 v1, v11, s0
	global_store_short v0, v1, s[0:1] offset:352
.LBB315_97:
	s_endpgm
.LBB315_98:
	ds_read_b32 v15, v14
	s_waitcnt lgkmcnt(0)
	v_add_f32_e32 v2, v2, v15
	s_or_b64 exec, exec, s[2:3]
	s_and_saveexec_b64 s[2:3], vcc
	s_cbranch_execz .LBB315_83
.LBB315_99:
	ds_read_b32 v15, v14 offset:64
	s_waitcnt lgkmcnt(0)
	v_add_f32_e32 v3, v3, v15
	s_or_b64 exec, exec, s[2:3]
	s_and_saveexec_b64 s[2:3], vcc
	s_cbranch_execz .LBB315_84
.LBB315_100:
	ds_read_b32 v15, v14 offset:128
	s_waitcnt lgkmcnt(0)
	v_add_f32_e32 v12, v12, v15
	s_or_b64 exec, exec, s[2:3]
	s_and_saveexec_b64 s[2:3], vcc
	s_cbranch_execz .LBB315_85
.LBB315_101:
	ds_read_b32 v15, v14 offset:192
	s_waitcnt lgkmcnt(0)
	v_add_f32_e32 v13, v13, v15
	s_or_b64 exec, exec, s[2:3]
	s_and_saveexec_b64 s[2:3], vcc
	s_cbranch_execz .LBB315_86
.LBB315_102:
	ds_read_b32 v15, v14 offset:256
	s_waitcnt lgkmcnt(0)
	v_add_f32_e32 v8, v8, v15
	s_or_b64 exec, exec, s[2:3]
	s_and_saveexec_b64 s[2:3], vcc
	s_cbranch_execz .LBB315_87
.LBB315_103:
	ds_read_b32 v15, v14 offset:320
	s_waitcnt lgkmcnt(0)
	v_add_f32_e32 v9, v9, v15
	s_or_b64 exec, exec, s[2:3]
	s_and_saveexec_b64 s[2:3], vcc
	s_cbranch_execz .LBB315_88
.LBB315_104:
	ds_read_b32 v15, v14 offset:384
	s_waitcnt lgkmcnt(0)
	v_add_f32_e32 v6, v6, v15
	s_or_b64 exec, exec, s[2:3]
	s_and_saveexec_b64 s[2:3], vcc
	s_cbranch_execz .LBB315_89
.LBB315_105:
	ds_read_b32 v15, v14 offset:448
	s_waitcnt lgkmcnt(0)
	v_add_f32_e32 v7, v7, v15
	s_or_b64 exec, exec, s[2:3]
	s_and_saveexec_b64 s[2:3], vcc
	s_cbranch_execz .LBB315_90
.LBB315_106:
	ds_read_b32 v15, v14 offset:512
	s_waitcnt lgkmcnt(0)
	v_add_f32_e32 v4, v4, v15
	s_or_b64 exec, exec, s[2:3]
	s_and_saveexec_b64 s[2:3], vcc
	s_cbranch_execz .LBB315_91
.LBB315_107:
	ds_read_b32 v15, v14 offset:576
	s_waitcnt lgkmcnt(0)
	v_add_f32_e32 v5, v5, v15
	s_or_b64 exec, exec, s[2:3]
	s_and_saveexec_b64 s[2:3], vcc
	s_cbranch_execz .LBB315_92
.LBB315_108:
	ds_read_b32 v15, v14 offset:640
	s_waitcnt lgkmcnt(0)
	v_add_f32_e32 v10, v10, v15
	s_or_b64 exec, exec, s[2:3]
	s_and_saveexec_b64 s[2:3], vcc
	s_cbranch_execnz .LBB315_93
	s_branch .LBB315_94
	.section	.rodata,"a",@progbits
	.p2align	6, 0x0
	.amdhsa_kernel _ZN4vllm25paged_attention_v1_kernelI14__hip_bfloat16hLi192ELi32ELi128ELNS_18Fp8KVCacheDataTypeE1ELb1EEEvPT_PKS3_PKT0_S9_ifPKiSB_iPKfiiiSD_SD_iiiii
		.amdhsa_group_segment_fixed_size 400
		.amdhsa_private_segment_fixed_size 60
		.amdhsa_kernarg_size 384
		.amdhsa_user_sgpr_count 2
		.amdhsa_user_sgpr_dispatch_ptr 0
		.amdhsa_user_sgpr_queue_ptr 0
		.amdhsa_user_sgpr_kernarg_segment_ptr 1
		.amdhsa_user_sgpr_dispatch_id 0
		.amdhsa_user_sgpr_kernarg_preload_length 0
		.amdhsa_user_sgpr_kernarg_preload_offset 0
		.amdhsa_user_sgpr_private_segment_size 0
		.amdhsa_uses_dynamic_stack 0
		.amdhsa_enable_private_segment 1
		.amdhsa_system_sgpr_workgroup_id_x 1
		.amdhsa_system_sgpr_workgroup_id_y 1
		.amdhsa_system_sgpr_workgroup_id_z 1
		.amdhsa_system_sgpr_workgroup_info 0
		.amdhsa_system_vgpr_workitem_id 0
		.amdhsa_next_free_vgpr 128
		.amdhsa_next_free_sgpr 56
		.amdhsa_accum_offset 128
		.amdhsa_reserve_vcc 1
		.amdhsa_float_round_mode_32 0
		.amdhsa_float_round_mode_16_64 0
		.amdhsa_float_denorm_mode_32 3
		.amdhsa_float_denorm_mode_16_64 3
		.amdhsa_dx10_clamp 1
		.amdhsa_ieee_mode 1
		.amdhsa_fp16_overflow 0
		.amdhsa_tg_split 0
		.amdhsa_exception_fp_ieee_invalid_op 0
		.amdhsa_exception_fp_denorm_src 0
		.amdhsa_exception_fp_ieee_div_zero 0
		.amdhsa_exception_fp_ieee_overflow 0
		.amdhsa_exception_fp_ieee_underflow 0
		.amdhsa_exception_fp_ieee_inexact 0
		.amdhsa_exception_int_div_zero 0
	.end_amdhsa_kernel
	.section	.text._ZN4vllm25paged_attention_v1_kernelI14__hip_bfloat16hLi192ELi32ELi128ELNS_18Fp8KVCacheDataTypeE1ELb1EEEvPT_PKS3_PKT0_S9_ifPKiSB_iPKfiiiSD_SD_iiiii,"axG",@progbits,_ZN4vllm25paged_attention_v1_kernelI14__hip_bfloat16hLi192ELi32ELi128ELNS_18Fp8KVCacheDataTypeE1ELb1EEEvPT_PKS3_PKT0_S9_ifPKiSB_iPKfiiiSD_SD_iiiii,comdat
.Lfunc_end315:
	.size	_ZN4vllm25paged_attention_v1_kernelI14__hip_bfloat16hLi192ELi32ELi128ELNS_18Fp8KVCacheDataTypeE1ELb1EEEvPT_PKS3_PKT0_S9_ifPKiSB_iPKfiiiSD_SD_iiiii, .Lfunc_end315-_ZN4vllm25paged_attention_v1_kernelI14__hip_bfloat16hLi192ELi32ELi128ELNS_18Fp8KVCacheDataTypeE1ELb1EEEvPT_PKS3_PKT0_S9_ifPKiSB_iPKfiiiSD_SD_iiiii
                                        ; -- End function
	.set _ZN4vllm25paged_attention_v1_kernelI14__hip_bfloat16hLi192ELi32ELi128ELNS_18Fp8KVCacheDataTypeE1ELb1EEEvPT_PKS3_PKT0_S9_ifPKiSB_iPKfiiiSD_SD_iiiii.num_vgpr, 128
	.set _ZN4vllm25paged_attention_v1_kernelI14__hip_bfloat16hLi192ELi32ELi128ELNS_18Fp8KVCacheDataTypeE1ELb1EEEvPT_PKS3_PKT0_S9_ifPKiSB_iPKfiiiSD_SD_iiiii.num_agpr, 0
	.set _ZN4vllm25paged_attention_v1_kernelI14__hip_bfloat16hLi192ELi32ELi128ELNS_18Fp8KVCacheDataTypeE1ELb1EEEvPT_PKS3_PKT0_S9_ifPKiSB_iPKfiiiSD_SD_iiiii.numbered_sgpr, 56
	.set _ZN4vllm25paged_attention_v1_kernelI14__hip_bfloat16hLi192ELi32ELi128ELNS_18Fp8KVCacheDataTypeE1ELb1EEEvPT_PKS3_PKT0_S9_ifPKiSB_iPKfiiiSD_SD_iiiii.num_named_barrier, 0
	.set _ZN4vllm25paged_attention_v1_kernelI14__hip_bfloat16hLi192ELi32ELi128ELNS_18Fp8KVCacheDataTypeE1ELb1EEEvPT_PKS3_PKT0_S9_ifPKiSB_iPKfiiiSD_SD_iiiii.private_seg_size, 60
	.set _ZN4vllm25paged_attention_v1_kernelI14__hip_bfloat16hLi192ELi32ELi128ELNS_18Fp8KVCacheDataTypeE1ELb1EEEvPT_PKS3_PKT0_S9_ifPKiSB_iPKfiiiSD_SD_iiiii.uses_vcc, 1
	.set _ZN4vllm25paged_attention_v1_kernelI14__hip_bfloat16hLi192ELi32ELi128ELNS_18Fp8KVCacheDataTypeE1ELb1EEEvPT_PKS3_PKT0_S9_ifPKiSB_iPKfiiiSD_SD_iiiii.uses_flat_scratch, 0
	.set _ZN4vllm25paged_attention_v1_kernelI14__hip_bfloat16hLi192ELi32ELi128ELNS_18Fp8KVCacheDataTypeE1ELb1EEEvPT_PKS3_PKT0_S9_ifPKiSB_iPKfiiiSD_SD_iiiii.has_dyn_sized_stack, 0
	.set _ZN4vllm25paged_attention_v1_kernelI14__hip_bfloat16hLi192ELi32ELi128ELNS_18Fp8KVCacheDataTypeE1ELb1EEEvPT_PKS3_PKT0_S9_ifPKiSB_iPKfiiiSD_SD_iiiii.has_recursion, 0
	.set _ZN4vllm25paged_attention_v1_kernelI14__hip_bfloat16hLi192ELi32ELi128ELNS_18Fp8KVCacheDataTypeE1ELb1EEEvPT_PKS3_PKT0_S9_ifPKiSB_iPKfiiiSD_SD_iiiii.has_indirect_call, 0
	.section	.AMDGPU.csdata,"",@progbits
; Kernel info:
; codeLenInByte = 15200
; TotalNumSgprs: 62
; NumVgprs: 128
; NumAgprs: 0
; TotalNumVgprs: 128
; ScratchSize: 60
; MemoryBound: 0
; FloatMode: 240
; IeeeMode: 1
; LDSByteSize: 400 bytes/workgroup (compile time only)
; SGPRBlocks: 7
; VGPRBlocks: 15
; NumSGPRsForWavesPerEU: 62
; NumVGPRsForWavesPerEU: 128
; AccumOffset: 128
; Occupancy: 4
; WaveLimiterHint : 1
; COMPUTE_PGM_RSRC2:SCRATCH_EN: 1
; COMPUTE_PGM_RSRC2:USER_SGPR: 2
; COMPUTE_PGM_RSRC2:TRAP_HANDLER: 0
; COMPUTE_PGM_RSRC2:TGID_X_EN: 1
; COMPUTE_PGM_RSRC2:TGID_Y_EN: 1
; COMPUTE_PGM_RSRC2:TGID_Z_EN: 1
; COMPUTE_PGM_RSRC2:TIDIG_COMP_CNT: 0
; COMPUTE_PGM_RSRC3_GFX90A:ACCUM_OFFSET: 31
; COMPUTE_PGM_RSRC3_GFX90A:TG_SPLIT: 0
	.section	.text._ZN4vllm25paged_attention_v1_kernelI14__hip_bfloat16hLi256ELi32ELi128ELNS_18Fp8KVCacheDataTypeE1ELb1EEEvPT_PKS3_PKT0_S9_ifPKiSB_iPKfiiiSD_SD_iiiii,"axG",@progbits,_ZN4vllm25paged_attention_v1_kernelI14__hip_bfloat16hLi256ELi32ELi128ELNS_18Fp8KVCacheDataTypeE1ELb1EEEvPT_PKS3_PKT0_S9_ifPKiSB_iPKfiiiSD_SD_iiiii,comdat
	.protected	_ZN4vllm25paged_attention_v1_kernelI14__hip_bfloat16hLi256ELi32ELi128ELNS_18Fp8KVCacheDataTypeE1ELb1EEEvPT_PKS3_PKT0_S9_ifPKiSB_iPKfiiiSD_SD_iiiii ; -- Begin function _ZN4vllm25paged_attention_v1_kernelI14__hip_bfloat16hLi256ELi32ELi128ELNS_18Fp8KVCacheDataTypeE1ELb1EEEvPT_PKS3_PKT0_S9_ifPKiSB_iPKfiiiSD_SD_iiiii
	.globl	_ZN4vllm25paged_attention_v1_kernelI14__hip_bfloat16hLi256ELi32ELi128ELNS_18Fp8KVCacheDataTypeE1ELb1EEEvPT_PKS3_PKT0_S9_ifPKiSB_iPKfiiiSD_SD_iiiii
	.p2align	8
	.type	_ZN4vllm25paged_attention_v1_kernelI14__hip_bfloat16hLi256ELi32ELi128ELNS_18Fp8KVCacheDataTypeE1ELb1EEEvPT_PKS3_PKT0_S9_ifPKiSB_iPKfiiiSD_SD_iiiii,@function
_ZN4vllm25paged_attention_v1_kernelI14__hip_bfloat16hLi256ELi32ELi128ELNS_18Fp8KVCacheDataTypeE1ELb1EEEvPT_PKS3_PKT0_S9_ifPKiSB_iPKfiiiSD_SD_iiiii: ; @_ZN4vllm25paged_attention_v1_kernelI14__hip_bfloat16hLi256ELi32ELi128ELNS_18Fp8KVCacheDataTypeE1ELb1EEEvPT_PKS3_PKT0_S9_ifPKiSB_iPKfiiiSD_SD_iiiii
; %bb.0:
	s_load_dword s5, s[0:1], 0x80
	s_load_dwordx2 s[6:7], s[0:1], 0x30
	s_load_dwordx2 s[38:39], s[0:1], 0x20
	s_mov_b32 s24, s3
	s_ashr_i32 s25, s3, 31
	s_lshl_b64 s[8:9], s[24:25], 2
	s_waitcnt lgkmcnt(0)
	s_add_u32 s6, s6, s8
	s_addc_u32 s7, s7, s9
	s_abs_i32 s3, s38
	v_mov_b32_e32 v16, v0
	v_cvt_f32_u32_e32 v0, s3
	s_sub_i32 s10, 0, s3
	s_abs_i32 s9, s5
	s_xor_b32 s8, s5, s38
	v_rcp_iflag_f32_e32 v0, v0
	s_ashr_i32 s8, s8, 31
	s_mov_b32 s62, 0
	v_mul_f32_e32 v0, 0x4f7ffffe, v0
	v_cvt_u32_f32_e32 v0, v0
	s_nop 0
	v_readfirstlane_b32 s11, v0
	s_mul_i32 s10, s10, s11
	s_mul_hi_u32 s10, s11, s10
	s_add_i32 s11, s11, s10
	s_mul_hi_u32 s10, s9, s11
	s_mul_i32 s11, s10, s3
	s_sub_i32 s9, s9, s11
	s_add_i32 s11, s10, 1
	s_sub_i32 s12, s9, s3
	s_cmp_ge_u32 s9, s3
	s_cselect_b32 s10, s11, s10
	s_cselect_b32 s9, s12, s9
	s_add_i32 s11, s10, 1
	s_cmp_ge_u32 s9, s3
	s_cselect_b32 s3, s11, s10
	s_xor_b32 s3, s3, s8
	s_sub_i32 s14, s3, s8
	s_abs_i32 s10, s14
	v_cvt_f32_u32_e32 v0, s10
	s_load_dwordx2 s[8:9], s[0:1], 0x40
	s_sub_i32 s3, 0, s10
	s_abs_i32 s11, s2
	v_rcp_iflag_f32_e32 v0, v0
	s_nop 0
	v_mul_f32_e32 v0, 0x4f7ffffe, v0
	v_cvt_u32_f32_e32 v0, v0
	s_nop 0
	v_readfirstlane_b32 s12, v0
	s_mul_i32 s3, s3, s12
	s_mul_hi_u32 s3, s12, s3
	s_add_i32 s12, s12, s3
	s_waitcnt lgkmcnt(0)
	s_cmp_eq_u64 s[8:9], 0
	s_mul_hi_u32 s12, s11, s12
	s_cbranch_scc1 .LBB316_2
; %bb.1:
	s_ashr_i32 s3, s2, 31
	s_lshl_b64 s[16:17], s[2:3], 2
	s_add_u32 s8, s8, s16
	s_addc_u32 s9, s9, s17
	s_load_dword s62, s[8:9], 0x0
.LBB316_2:
	s_load_dword s25, s[6:7], 0x0
	s_load_dwordx4 s[16:19], s[0:1], 0x48
	s_ashr_i32 s13, s2, 31
	s_ashr_i32 s14, s14, 31
	v_and_b32_e32 v0, 1, v16
	s_lshl_b32 s26, s2, 8
	v_cmp_gt_u32_e64 s[6:7], 64, v16
	v_lshlrev_b32_e32 v28, 3, v16
	s_and_saveexec_b64 s[8:9], s[6:7]
	s_cbranch_execz .LBB316_4
; %bb.3:
	s_load_dwordx2 s[20:21], s[0:1], 0x8
	s_waitcnt lgkmcnt(0)
	s_mul_i32 s22, s16, s24
	s_ashr_i32 s23, s22, 31
	s_lshl_b64 s[22:23], s[22:23], 1
	v_lshlrev_b32_e32 v1, 2, v16
	s_add_u32 s3, s20, s22
	s_addc_u32 s15, s21, s23
	s_ashr_i32 s27, s26, 31
	s_lshl_b64 s[20:21], s[26:27], 1
	s_add_u32 s20, s3, s20
	s_addc_u32 s21, s15, s21
	global_load_dwordx2 v[2:3], v28, s[20:21]
	v_and_b32_e32 v1, 0xff8, v1
	v_lshl_add_u32 v1, v0, 8, v1
	s_waitcnt vmcnt(0)
	ds_write_b64 v1, v[2:3]
.LBB316_4:
	s_or_b64 exec, exec, s[8:9]
	s_mul_i32 s9, s12, s10
	s_sub_i32 s9, s11, s9
	s_xor_b32 s8, s13, s14
	s_add_i32 s11, s12, 1
	s_sub_i32 s13, s9, s10
	s_load_dwordx4 s[20:23], s[0:1], 0x68
	s_load_dword s3, s[0:1], 0x78
	s_cmp_ge_u32 s9, s10
	s_cselect_b32 s11, s11, s12
	s_cselect_b32 s9, s13, s9
	s_add_i32 s12, s11, 1
	s_cmp_ge_u32 s9, s10
	s_cselect_b32 s9, s12, s11
	s_waitcnt lgkmcnt(0)
	s_abs_i32 s27, s23
	v_cvt_f32_u32_e32 v1, s27
	s_xor_b32 s9, s9, s8
	s_sub_i32 s61, s9, s8
	s_sub_i32 s8, 0, s27
	v_rcp_iflag_f32_e32 v1, v1
	s_add_i32 s12, s25, -1
	s_abs_i32 s10, s12
	v_mul_f32_e32 v1, 0x4f7ffffe, v1
	v_cvt_u32_f32_e32 v1, v1
	s_barrier
	v_readfirstlane_b32 s33, v1
	s_mul_i32 s8, s8, s33
	s_mul_hi_u32 s8, s33, s8
	s_add_i32 s33, s33, s8
	s_cmp_lt_i32 s3, 0
	s_mul_hi_u32 s11, s10, s33
	s_cbranch_scc0 .LBB316_6
; %bb.5:
	s_mul_i32 s8, s20, s38
	s_add_i32 s8, s61, s8
	s_mul_i32 s8, s8, s3
	s_sub_i32 s38, 1, s8
	s_mov_b64 s[8:9], 0
	s_branch .LBB316_7
.LBB316_6:
	s_mov_b64 s[8:9], -1
                                        ; implicit-def: $sgpr38
.LBB316_7:
	s_load_dwordx2 s[30:31], s[0:1], 0x28
	s_ashr_i32 s16, s12, 31
	s_andn2_b64 vcc, exec, s[8:9]
	s_ashr_i32 s23, s23, 31
	s_cbranch_vccnz .LBB316_9
; %bb.8:
	s_mul_i32 s8, s5, s20
	s_add_i32 s2, s8, s2
	s_mul_i32 s2, s2, s3
	s_add_i32 s38, s2, 1
.LBB316_9:
	s_load_dword s2, s[0:1], 0x38
	s_load_dwordx2 s[28:29], s[0:1], 0x0
	s_load_dwordx2 s[36:37], s[0:1], 0x18
	s_load_dword s20, s[0:1], 0x88
	s_load_dwordx4 s[12:15], s[0:1], 0x58
	s_mul_i32 s3, s11, s27
	s_waitcnt lgkmcnt(0)
	s_mul_i32 s34, s2, s24
	s_sub_i32 s3, s10, s3
	s_ashr_i32 s35, s34, 31
	s_xor_b32 s2, s16, s23
	s_add_i32 s8, s11, 1
	s_sub_i32 s9, s3, s27
	s_cmp_ge_u32 s3, s27
	s_cselect_b32 s8, s8, s11
	s_cselect_b32 s3, s9, s3
	s_add_i32 s9, s8, 1
	s_cmp_ge_u32 s3, s27
	s_cselect_b32 s3, s9, s8
	s_xor_b32 s3, s3, s2
	s_sub_i32 s16, s3, s2
	s_add_i32 s2, s25, 31
	s_ashr_i32 s3, s2, 31
	s_lshr_b32 s3, s3, 27
	s_add_i32 s2, s2, s3
	s_ashr_i32 s60, s2, 5
	v_lshrrev_b32_e32 v1, 6, v16
	v_cmp_gt_i32_e64 s[2:3], s60, v1
	v_mov_b32_e32 v22, 0xff7fffff
	s_mul_i32 s61, s61, s18
	v_lshrrev_b32_e32 v26, 4, v16
	v_lshlrev_b32_e32 v36, 5, v1
	v_mbcnt_lo_u32_b32 v18, -1, 0
	s_mov_b64 s[18:19], exec
	s_and_b64 s[8:9], s[18:19], s[2:3]
	scratch_store_dword off, v16, off offset:192 ; 4-byte Folded Spill
	s_mov_b64 exec, s[8:9]
	s_cbranch_execz .LBB316_21
; %bb.10:
	s_load_dwordx2 s[0:1], s[0:1], 0x10
	s_sub_i32 s63, s16, s21
	s_ashr_i32 s8, s61, 31
	v_bfe_u32 v19, v16, 1, 5
	v_lshlrev_b32_e32 v6, 4, v19
	s_waitcnt lgkmcnt(0)
	s_add_u32 s0, s0, s61
	s_addc_u32 s1, s1, s8
	s_abs_i32 s65, s22
	v_cvt_f32_u32_e32 v2, s65
	v_mov_b32_e32 v7, 0
	v_cmp_eq_u32_e32 vcc, 0, v0
	v_lshl_add_u64 v[8:9], s[0:1], 0, v[6:7]
	v_rcp_iflag_f32_e32 v2, v2
	v_lshlrev_b32_e32 v6, 2, v0
	v_lshlrev_b32_e32 v20, 8, v0
	s_sub_i32 s8, 0, s65
	v_mul_f32_e32 v0, 0x4f7ffffe, v2
	v_cvt_u32_f32_e32 v0, v0
	scratch_store_dword off, v26, off       ; 4-byte Folded Spill
	v_mov_b32_e32 v3, v7
	s_mov_b32 s64, s17
	v_mul_lo_u32 v2, s8, v0
	v_mul_hi_u32 v2, v0, v2
	v_add_u32_e32 v21, v0, v2
	v_subrev_u32_e32 v0, s25, v19
	s_lshl_b64 s[8:9], s[34:35], 2
	v_add_u32_e32 v24, 1, v0
	v_lshlrev_b32_e32 v0, 2, v19
	v_and_b32_e32 v2, 60, v26
	s_add_u32 s8, s30, s8
	v_lshl_or_b32 v0, v1, 7, v0
	v_mbcnt_hi_u32_b32 v26, -1, v18
	s_addc_u32 s9, s31, s9
	v_add_u32_e32 v25, 0x210, v0
	v_and_b32_e32 v0, 64, v26
	v_cmp_neq_f32_e64 s[0:1], s62, 0
	v_or_b32_e32 v10, 8, v6
	v_mov_b32_e32 v11, v7
	v_lshl_add_u64 v[12:13], s[8:9], 0, v[2:3]
	v_lshlrev_b32_e32 v23, 5, v1
	s_mov_b64 s[40:41], 0
	s_mov_b64 s[42:43], 0x1000
	;; [unrolled: 1-line block ×9, first 2 shown]
	v_xor_b32_e32 v27, 1, v26
	v_add_u32_e32 v29, 64, v0
	v_mov_b32_e32 v22, 0xff7fffff
	v_mov_b32_e32 v31, v1
	s_branch .LBB316_13
.LBB316_11:                             ;   in Loop: Header=BB316_13 Depth=1
	s_or_b64 exec, exec, s[58:59]
.LBB316_12:                             ;   in Loop: Header=BB316_13 Depth=1
	s_or_b64 exec, exec, s[10:11]
	v_add_u32_e32 v31, 2, v31
	v_cmp_le_i32_e64 s[8:9], s60, v31
	v_lshl_add_u64 v[12:13], v[12:13], 0, 8
	v_add_u32_e32 v23, 64, v23
	s_or_b64 s[40:41], s[8:9], s[40:41]
	v_add_u32_e32 v25, 0x100, v25
	s_andn2_b64 exec, exec, s[40:41]
	s_cbranch_execz .LBB316_20
.LBB316_13:                             ; =>This Inner Loop Header: Depth=1
	v_mul_hi_u32 v0, v23, s33
	s_waitcnt lgkmcnt(0)
	v_mul_lo_u32 v2, v0, s27
	v_sub_u32_e32 v2, v23, v2
	v_add_u32_e32 v3, 1, v0
	v_cmp_le_u32_e64 s[8:9], s27, v2
	s_nop 1
	v_cndmask_b32_e64 v0, v0, v3, s[8:9]
	v_subrev_u32_e32 v3, s27, v2
	v_cndmask_b32_e64 v2, v2, v3, s[8:9]
	v_add_u32_e32 v3, 1, v0
	v_cmp_le_u32_e64 s[8:9], s27, v2
	s_nop 1
	v_cndmask_b32_e64 v0, v0, v3, s[8:9]
	v_xor_b32_e32 v0, s23, v0
	v_subrev_u32_e32 v0, s23, v0
	v_add_u32_e32 v2, s38, v0
	v_sub_u32_e32 v4, 0, v2
	v_ashrrev_i32_e32 v3, 31, v2
	v_max_i32_e32 v2, v2, v4
	v_mul_hi_u32 v4, v2, v21
	v_mul_lo_u32 v4, v4, s65
	v_sub_u32_e32 v2, v2, v4
	v_subrev_u32_e32 v4, s65, v2
	v_cmp_le_u32_e64 s[8:9], s65, v2
	v_cmp_ge_i32_e64 s[10:11], s63, v0
	s_nop 0
	v_cndmask_b32_e64 v2, v2, v4, s[8:9]
	v_subrev_u32_e32 v4, s65, v2
	v_cmp_le_u32_e64 s[8:9], s65, v2
	s_nop 1
	v_cndmask_b32_e64 v2, v2, v4, s[8:9]
	v_xor_b32_e32 v2, v2, v3
	v_sub_u32_e32 v2, v2, v3
	v_cmp_ne_u32_e64 s[8:9], 0, v2
	s_and_b64 s[8:9], s[8:9], s[10:11]
	s_and_saveexec_b64 s[10:11], s[8:9]
	s_xor_b64 s[8:9], exec, s[10:11]
	s_cbranch_execz .LBB316_17
; %bb.14:                               ;   in Loop: Header=BB316_13 Depth=1
	s_and_saveexec_b64 s[10:11], vcc
; %bb.15:                               ;   in Loop: Header=BB316_13 Depth=1
	v_mov_b32_e32 v0, 0xff7fffff
	ds_write_b32 v25, v0
; %bb.16:                               ;   in Loop: Header=BB316_13 Depth=1
	s_or_b64 exec, exec, s[10:11]
.LBB316_17:                             ;   in Loop: Header=BB316_13 Depth=1
	s_andn2_saveexec_b64 s[10:11], s[8:9]
	s_cbranch_execz .LBB316_12
; %bb.18:                               ;   in Loop: Header=BB316_13 Depth=1
	ds_read_b128 v[2:5], v20
	ds_read_b128 v[14:17], v20 offset:16
	ds_read_b128 v[32:35], v20 offset:32
	;; [unrolled: 1-line block ×5, first 2 shown]
	s_waitcnt lgkmcnt(5)
	v_lshlrev_b32_e32 v91, 16, v2
	v_lshlrev_b32_e32 v105, 16, v3
	v_lshlrev_b32_e32 v89, 16, v4
	v_lshlrev_b32_e32 v99, 16, v5
	s_waitcnt lgkmcnt(4)
	v_lshlrev_b32_e32 v115, 16, v14
	v_lshlrev_b32_e32 v113, 16, v15
	v_lshlrev_b32_e32 v111, 16, v16
	v_lshlrev_b32_e32 v109, 16, v17
	v_and_b32_e32 v119, 0xffff0000, v2
	v_and_b32_e32 v117, 0xffff0000, v3
	v_and_b32_e32 v120, 0xffff0000, v4
	v_and_b32_e32 v118, 0xffff0000, v5
	v_and_b32_e32 v116, 0xffff0000, v14
	v_and_b32_e32 v114, 0xffff0000, v15
	v_and_b32_e32 v112, 0xffff0000, v16
	v_and_b32_e32 v110, 0xffff0000, v17
	ds_read_b128 v[2:5], v20 offset:96
	ds_read_b128 v[14:17], v20 offset:112
	s_waitcnt lgkmcnt(4)
	v_lshlrev_b32_e32 v90, 16, v41
	s_waitcnt lgkmcnt(3)
	v_lshlrev_b32_e32 v87, 16, v42
	v_lshlrev_b32_e32 v85, 16, v43
	s_waitcnt lgkmcnt(1)
	v_and_b32_e32 v71, 0xffff0000, v2
	v_lshlrev_b32_e32 v72, 16, v2
	v_lshlrev_b32_e32 v70, 16, v3
	v_and_b32_e32 v69, 0xffff0000, v3
	v_lshlrev_b32_e32 v68, 16, v4
	v_and_b32_e32 v67, 0xffff0000, v4
	;; [unrolled: 2-line block ×3, first 2 shown]
	s_waitcnt lgkmcnt(0)
	v_lshlrev_b32_e32 v64, 16, v14
	v_and_b32_e32 v63, 0xffff0000, v14
	v_lshlrev_b32_e32 v62, 16, v15
	v_and_b32_e32 v61, 0xffff0000, v15
	;; [unrolled: 2-line block ×4, first 2 shown]
	ds_read_b128 v[2:5], v20 offset:128
	ds_read_b128 v[14:17], v20 offset:144
	v_lshlrev_b32_e32 v83, 16, v44
	v_lshlrev_b32_e32 v81, 16, v45
	;; [unrolled: 1-line block ×3, first 2 shown]
	v_and_b32_e32 v93, 0xffff0000, v41
	v_and_b32_e32 v88, 0xffff0000, v42
	;; [unrolled: 1-line block ×5, first 2 shown]
	v_lshlrev_b32_e32 v78, 16, v47
	v_lshlrev_b32_e32 v76, 16, v48
	;; [unrolled: 1-line block ×3, first 2 shown]
	v_and_b32_e32 v80, 0xffff0000, v46
	v_and_b32_e32 v77, 0xffff0000, v47
	;; [unrolled: 1-line block ×4, first 2 shown]
	s_waitcnt lgkmcnt(1)
	v_lshlrev_b32_e32 v56, 16, v2
	v_and_b32_e32 v55, 0xffff0000, v2
	v_lshlrev_b32_e32 v54, 16, v3
	v_and_b32_e32 v53, 0xffff0000, v3
	;; [unrolled: 2-line block ×4, first 2 shown]
	s_waitcnt lgkmcnt(0)
	v_lshlrev_b32_e32 v48, 16, v14
	v_and_b32_e32 v47, 0xffff0000, v14
	v_lshlrev_b32_e32 v46, 16, v15
	v_and_b32_e32 v45, 0xffff0000, v15
	;; [unrolled: 2-line block ×4, first 2 shown]
	ds_read_b128 v[14:17], v20 offset:160
	ds_read_b128 v[2:5], v20 offset:176
	global_load_dword v0, v[12:13], off
	v_lshlrev_b32_e32 v96, 16, v38
	v_lshlrev_b32_e32 v94, 16, v39
	;; [unrolled: 1-line block ×3, first 2 shown]
	v_and_b32_e32 v100, 0xffff0000, v38
	v_and_b32_e32 v97, 0xffff0000, v39
	;; [unrolled: 1-line block ×3, first 2 shown]
	s_waitcnt lgkmcnt(1)
	v_lshlrev_b32_e32 v40, 16, v14
	v_and_b32_e32 v39, 0xffff0000, v14
	v_lshlrev_b32_e32 v38, 16, v15
	v_and_b32_e32 v37, 0xffff0000, v15
	v_lshlrev_b32_e32 v107, 16, v32
	v_lshlrev_b32_e32 v104, 16, v33
	v_lshlrev_b32_e32 v101, 16, v34
	v_lshlrev_b32_e32 v98, 16, v35
	v_and_b32_e32 v108, 0xffff0000, v32
	v_and_b32_e32 v106, 0xffff0000, v33
	;; [unrolled: 1-line block ×4, first 2 shown]
	v_lshlrev_b32_e32 v35, 16, v16
	v_and_b32_e32 v34, 0xffff0000, v16
	v_lshlrev_b32_e32 v33, 16, v17
	v_and_b32_e32 v32, 0xffff0000, v17
	s_load_dword s58, s[12:13], 0x0
	s_waitcnt vmcnt(0)
	v_mad_i64_i32 v[14:15], s[8:9], v0, s64, v[8:9]
	v_lshl_add_u64 v[16:17], v[14:15], 0, v[6:7]
	global_load_dword v126, v[16:17], off offset:8
	global_load_dword v125, v[16:17], off offset:512
	;; [unrolled: 1-line block ×7, first 2 shown]
	v_cmp_lt_i32_e64 s[8:9], v27, v29
	s_waitcnt vmcnt(6)
	v_and_b32_e32 v127, 0xff, v126
	v_cvt_f32_fp8_e32 v127, v127
	s_waitcnt lgkmcnt(0)
	v_mul_f32_e32 v127, s58, v127
	v_cvt_pk_bf16_f32 v127, v127, s0
	v_lshlrev_b32_e32 v127, 16, v127
	v_mul_f32_e32 v89, v89, v127
	global_load_dword v127, v[16:17], off
	s_waitcnt vmcnt(0)
	v_and_b32_e32 v30, 0xff, v127
	v_cvt_f32_fp8_e32 v30, v30
	v_mul_f32_e32 v30, s58, v30
	v_cvt_pk_bf16_f32 v30, v30, s0
	v_lshlrev_b32_e32 v30, 16, v30
	v_fmac_f32_e32 v89, v91, v30
	v_bfe_u32 v30, v126, 8, 8
	v_cvt_f32_fp8_e32 v30, v30
	v_mul_f32_e32 v30, s58, v30
	v_cvt_pk_bf16_f32 v30, v30, s0
	v_lshlrev_b32_e32 v30, 16, v30
	v_mul_f32_e32 v91, v120, v30
	v_bfe_u32 v30, v127, 8, 8
	v_cvt_f32_fp8_e32 v30, v30
	v_mul_f32_e32 v30, s58, v30
	v_cvt_pk_bf16_f32 v30, v30, s0
	v_lshlrev_b32_e32 v30, 16, v30
	v_fmac_f32_e32 v91, v119, v30
	v_bfe_u32 v30, v126, 16, 8
	v_cvt_f32_fp8_e32 v30, v30
	v_mul_f32_e32 v30, s58, v30
	v_cvt_pk_bf16_f32 v30, v30, s0
	v_lshlrev_b32_e32 v30, 16, v30
	v_mul_f32_e32 v99, v99, v30
	v_bfe_u32 v30, v127, 16, 8
	v_cvt_f32_fp8_e32 v30, v30
	v_mul_f32_e32 v30, s58, v30
	v_cvt_pk_bf16_f32 v30, v30, s0
	v_lshlrev_b32_e32 v30, 16, v30
	v_fmac_f32_e32 v99, v105, v30
	v_lshrrev_b32_e32 v30, 24, v126
	v_cvt_f32_fp8_e32 v30, v30
	v_mul_f32_e32 v30, s58, v30
	v_cvt_pk_bf16_f32 v30, v30, s0
	v_lshlrev_b32_e32 v30, 16, v30
	v_mul_f32_e32 v105, v118, v30
	v_lshrrev_b32_e32 v30, 24, v127
	v_cvt_f32_fp8_e32 v30, v30
	v_mul_f32_e32 v30, s58, v30
	v_cvt_pk_bf16_f32 v30, v30, s0
	v_lshlrev_b32_e32 v30, 16, v30
	v_fmac_f32_e32 v105, v117, v30
	v_and_b32_e32 v30, 0xff, v125
	v_cvt_f32_fp8_e32 v30, v30
	v_mul_f32_e32 v30, s58, v30
	v_cvt_pk_bf16_f32 v30, v30, s0
	v_lshlrev_b32_e32 v30, 16, v30
	v_fmac_f32_e32 v89, v115, v30
	v_bfe_u32 v30, v125, 8, 8
	v_cvt_f32_fp8_e32 v30, v30
	v_mul_f32_e32 v30, s58, v30
	v_cvt_pk_bf16_f32 v30, v30, s0
	v_lshlrev_b32_e32 v30, 16, v30
	v_fmac_f32_e32 v91, v116, v30
	v_bfe_u32 v30, v125, 16, 8
	v_cvt_f32_fp8_e32 v30, v30
	v_mul_f32_e32 v30, s58, v30
	v_cvt_pk_bf16_f32 v30, v30, s0
	v_lshlrev_b32_e32 v30, 16, v30
	v_fmac_f32_e32 v99, v113, v30
	v_lshrrev_b32_e32 v30, 24, v125
	v_cvt_f32_fp8_e32 v30, v30
	v_mul_f32_e32 v30, s58, v30
	v_cvt_pk_bf16_f32 v30, v30, s0
	v_lshlrev_b32_e32 v30, 16, v30
	v_fmac_f32_e32 v105, v114, v30
	v_and_b32_e32 v30, 0xff, v124
	v_cvt_f32_fp8_e32 v30, v30
	v_mul_f32_e32 v30, s58, v30
	v_cvt_pk_bf16_f32 v30, v30, s0
	v_lshlrev_b32_e32 v30, 16, v30
	v_fmac_f32_e32 v89, v111, v30
	v_bfe_u32 v30, v124, 8, 8
	v_cvt_f32_fp8_e32 v30, v30
	v_mul_f32_e32 v30, s58, v30
	v_cvt_pk_bf16_f32 v30, v30, s0
	v_lshlrev_b32_e32 v30, 16, v30
	v_fmac_f32_e32 v91, v112, v30
	v_bfe_u32 v30, v124, 16, 8
	v_cvt_f32_fp8_e32 v30, v30
	v_mul_f32_e32 v30, s58, v30
	v_cvt_pk_bf16_f32 v30, v30, s0
	v_lshlrev_b32_e32 v30, 16, v30
	v_fmac_f32_e32 v99, v109, v30
	;; [unrolled: 24-line block ×5, first 2 shown]
	v_lshrrev_b32_e32 v30, 24, v121
	v_cvt_f32_fp8_e32 v30, v30
	v_mul_f32_e32 v30, s58, v30
	v_cvt_pk_bf16_f32 v30, v30, s0
	v_lshlrev_b32_e32 v30, 16, v30
	v_fmac_f32_e32 v105, v97, v30
	v_and_b32_e32 v30, 0xff, v0
	v_cvt_f32_fp8_e32 v30, v30
	v_mul_f32_e32 v30, s58, v30
	v_cvt_pk_bf16_f32 v30, v30, s0
	v_lshlrev_b32_e32 v30, 16, v30
	v_fmac_f32_e32 v89, v92, v30
	v_bfe_u32 v30, v0, 8, 8
	v_cvt_f32_fp8_e32 v30, v30
	v_mul_f32_e32 v30, s58, v30
	v_cvt_pk_bf16_f32 v30, v30, s0
	v_lshlrev_b32_e32 v30, 16, v30
	v_fmac_f32_e32 v91, v95, v30
	v_bfe_u32 v30, v0, 16, 8
	v_lshrrev_b32_e32 v0, 24, v0
	v_cvt_f32_fp8_e32 v30, v30
	v_cvt_f32_fp8_e32 v0, v0
	v_mul_f32_e32 v30, s58, v30
	v_mul_f32_e32 v0, s58, v0
	v_cvt_pk_bf16_f32 v30, v30, s0
	v_cvt_pk_bf16_f32 v0, v0, s0
	v_lshlrev_b32_e32 v30, 16, v30
	v_lshlrev_b32_e32 v0, 16, v0
	v_fmac_f32_e32 v99, v90, v30
	v_fmac_f32_e32 v105, v93, v0
	global_load_dword v30, v[16:17], off offset:2048
	global_load_dword v96, v[16:17], off offset:2056
	;; [unrolled: 1-line block ×8, first 2 shown]
	s_waitcnt vmcnt(7)
	v_and_b32_e32 v16, 0xff, v30
	v_cvt_f32_fp8_e32 v16, v16
	v_mul_f32_e32 v16, s58, v16
	v_cvt_pk_bf16_f32 v16, v16, s0
	v_lshlrev_b32_e32 v16, 16, v16
	v_fmac_f32_e32 v89, v87, v16
	v_bfe_u32 v16, v30, 8, 8
	v_cvt_f32_fp8_e32 v16, v16
	s_waitcnt vmcnt(2)
	v_lshrrev_b32_e32 v17, 24, v92
	v_cvt_f32_fp8_e32 v17, v17
	v_mul_f32_e32 v16, s58, v16
	v_cvt_pk_bf16_f32 v16, v16, s0
	v_lshlrev_b32_e32 v16, 16, v16
	v_fmac_f32_e32 v91, v88, v16
	v_bfe_u32 v16, v30, 16, 8
	v_cvt_f32_fp8_e32 v16, v16
	v_mul_f32_e32 v17, s58, v17
	v_mul_f32_e32 v16, s58, v16
	v_cvt_pk_bf16_f32 v16, v16, s0
	v_lshlrev_b32_e32 v16, 16, v16
	v_fmac_f32_e32 v99, v85, v16
	v_lshrrev_b32_e32 v16, 24, v30
	v_cvt_f32_fp8_e32 v16, v16
	v_cvt_pk_bf16_f32 v30, v17, s0
	v_lshlrev_b32_e32 v30, 16, v30
	v_mul_f32_e32 v16, s58, v16
	v_cvt_pk_bf16_f32 v16, v16, s0
	v_lshlrev_b32_e32 v16, 16, v16
	v_fmac_f32_e32 v105, v86, v16
	v_and_b32_e32 v16, 0xff, v96
	v_cvt_f32_fp8_e32 v16, v16
	v_mul_f32_e32 v16, s58, v16
	v_cvt_pk_bf16_f32 v16, v16, s0
	v_lshlrev_b32_e32 v16, 16, v16
	v_fmac_f32_e32 v89, v83, v16
	v_bfe_u32 v16, v96, 8, 8
	v_cvt_f32_fp8_e32 v16, v16
	v_mul_f32_e32 v16, s58, v16
	v_cvt_pk_bf16_f32 v16, v16, s0
	v_lshlrev_b32_e32 v16, 16, v16
	v_fmac_f32_e32 v91, v84, v16
	v_bfe_u32 v16, v96, 16, 8
	v_cvt_f32_fp8_e32 v16, v16
	v_mul_f32_e32 v16, s58, v16
	v_cvt_pk_bf16_f32 v16, v16, s0
	v_lshlrev_b32_e32 v16, 16, v16
	v_fmac_f32_e32 v99, v81, v16
	v_lshrrev_b32_e32 v16, 24, v96
	v_cvt_f32_fp8_e32 v16, v16
	v_mul_f32_e32 v16, s58, v16
	v_cvt_pk_bf16_f32 v16, v16, s0
	v_lshlrev_b32_e32 v16, 16, v16
	v_fmac_f32_e32 v105, v82, v16
	v_and_b32_e32 v16, 0xff, v95
	v_cvt_f32_fp8_e32 v16, v16
	v_mul_f32_e32 v16, s58, v16
	v_cvt_pk_bf16_f32 v16, v16, s0
	v_lshlrev_b32_e32 v16, 16, v16
	v_fmac_f32_e32 v89, v79, v16
	v_bfe_u32 v16, v95, 8, 8
	v_cvt_f32_fp8_e32 v16, v16
	v_mul_f32_e32 v16, s58, v16
	v_cvt_pk_bf16_f32 v16, v16, s0
	v_lshlrev_b32_e32 v16, 16, v16
	v_fmac_f32_e32 v91, v80, v16
	v_bfe_u32 v16, v95, 16, 8
	v_cvt_f32_fp8_e32 v16, v16
	v_mul_f32_e32 v16, s58, v16
	v_cvt_pk_bf16_f32 v16, v16, s0
	v_lshlrev_b32_e32 v16, 16, v16
	v_fmac_f32_e32 v99, v78, v16
	v_lshrrev_b32_e32 v16, 24, v95
	v_cvt_f32_fp8_e32 v16, v16
	;; [unrolled: 24-line block ×4, first 2 shown]
	v_mul_f32_e32 v16, s58, v16
	v_cvt_pk_bf16_f32 v16, v16, s0
	v_lshlrev_b32_e32 v16, 16, v16
	v_fmac_f32_e32 v105, v16, v69
	v_and_b32_e32 v16, 0xff, v92
	v_cvt_f32_fp8_e32 v16, v16
	v_fmac_f32_e32 v105, v30, v65
	s_waitcnt vmcnt(1)
	v_and_b32_e32 v65, 0xff, v90
	v_cvt_f32_fp8_e32 v65, v65
	v_mul_f32_e32 v16, s58, v16
	v_cvt_pk_bf16_f32 v16, v16, s0
	v_lshlrev_b32_e32 v16, 16, v16
	v_fmac_f32_e32 v89, v16, v68
	v_bfe_u32 v16, v92, 8, 8
	v_cvt_f32_fp8_e32 v16, v16
	v_mul_f32_e32 v16, s58, v16
	v_cvt_pk_bf16_f32 v16, v16, s0
	v_lshlrev_b32_e32 v16, 16, v16
	v_fmac_f32_e32 v91, v16, v67
	v_bfe_u32 v16, v92, 16, 8
	v_cvt_f32_fp8_e32 v16, v16
	v_mul_f32_e32 v16, s58, v16
	v_cvt_pk_bf16_f32 v16, v16, s0
	v_lshlrev_b32_e32 v16, 16, v16
	v_fmac_f32_e32 v99, v16, v66
	v_lshl_add_u64 v[16:17], v[14:15], 0, s[42:43]
	v_lshl_add_u64 v[66:67], v[16:17], 0, v[6:7]
	;; [unrolled: 1-line block ×3, first 2 shown]
	global_load_dword v30, v[66:67], off
	s_nop 0
	global_load_dword v66, v[16:17], off
	v_bfe_u32 v16, v90, 8, 8
	v_cvt_f32_fp8_e32 v16, v16
	v_mul_f32_e32 v17, s58, v65
	v_cvt_pk_bf16_f32 v17, v17, s0
	v_mul_f32_e32 v16, s58, v16
	v_cvt_pk_bf16_f32 v65, v16, s0
	v_lshlrev_b32_e32 v16, 16, v17
	v_fmac_f32_e32 v89, v16, v64
	v_lshl_add_u64 v[16:17], v[14:15], 0, s[44:45]
	v_lshlrev_b32_e32 v64, 16, v65
	v_fmac_f32_e32 v91, v64, v63
	v_lshl_add_u64 v[64:65], v[16:17], 0, v[6:7]
	global_load_dword v64, v[64:65], off
	v_bfe_u32 v63, v90, 16, 8
	v_lshl_add_u64 v[16:17], v[16:17], 0, v[10:11]
	v_cvt_f32_fp8_e32 v63, v63
	global_load_dword v67, v[16:17], off
	v_lshrrev_b32_e32 v65, 24, v90
	v_cvt_f32_fp8_e32 v65, v65
	v_mul_f32_e32 v63, s58, v63
	v_cvt_pk_bf16_f32 v63, v63, s0
	s_waitcnt vmcnt(4)
	v_and_b32_e32 v16, 0xff, v0
	v_mul_f32_e32 v65, s58, v65
	v_cvt_pk_bf16_f32 v65, v65, s0
	v_cvt_f32_fp8_e32 v68, v16
	v_lshlrev_b32_e32 v16, 16, v63
	v_fmac_f32_e32 v99, v16, v62
	v_lshl_add_u64 v[16:17], v[14:15], 0, s[46:47]
	v_lshlrev_b32_e32 v62, 16, v65
	v_fmac_f32_e32 v105, v62, v61
	v_lshl_add_u64 v[62:63], v[16:17], 0, v[6:7]
	global_load_dword v62, v[62:63], off
	v_lshl_add_u64 v[16:17], v[16:17], 0, v[10:11]
	v_mul_f32_e32 v63, s58, v68
	global_load_dword v68, v[16:17], off
	v_bfe_u32 v61, v0, 8, 8
	v_cvt_f32_fp8_e32 v61, v61
	v_cvt_pk_bf16_f32 v63, v63, s0
	v_bfe_u32 v16, v0, 16, 8
	v_cvt_f32_fp8_e32 v69, v16
	v_mul_f32_e32 v61, s58, v61
	v_cvt_pk_bf16_f32 v65, v61, s0
	v_lshlrev_b32_e32 v16, 16, v63
	v_fmac_f32_e32 v89, v16, v60
	v_lshl_add_u64 v[60:61], v[14:15], 0, s[48:49]
	v_lshlrev_b32_e32 v16, 16, v65
	v_fmac_f32_e32 v91, v16, v59
	v_lshl_add_u64 v[16:17], v[60:61], 0, v[6:7]
	global_load_dword v17, v[16:17], off
	v_mul_f32_e32 v59, s58, v69
	v_cvt_pk_bf16_f32 v59, v59, s0
	v_lshlrev_b32_e32 v59, 16, v59
	v_fmac_f32_e32 v99, v59, v58
	v_lshrrev_b32_e32 v0, 24, v0
	v_cvt_f32_fp8_e32 v0, v0
	v_lshl_add_u64 v[60:61], v[60:61], 0, v[10:11]
	global_load_dword v60, v[60:61], off
	v_mul_f32_e32 v0, s58, v0
	v_cvt_pk_bf16_f32 v0, v0, s0
	v_lshlrev_b32_e32 v0, 16, v0
	v_fmac_f32_e32 v105, v0, v57
	s_waitcnt vmcnt(7)
	v_bfe_u32 v58, v30, 8, 8
	v_cvt_f32_fp8_e32 v58, v58
	v_bfe_u32 v59, v30, 16, 8
	v_cvt_f32_fp8_e32 v59, v59
	v_and_b32_e32 v61, 0xff, v30
	v_mul_f32_e32 v58, s58, v58
	v_cvt_pk_bf16_f32 v58, v58, s0
	v_lshlrev_b32_e32 v58, 16, v58
	v_fmac_f32_e32 v91, v58, v55
	v_cvt_f32_fp8_e32 v61, v61
	v_mul_f32_e32 v59, s58, v59
	v_lshrrev_b32_e32 v30, 24, v30
	s_waitcnt vmcnt(6)
	v_and_b32_e32 v0, 0xff, v66
	v_cvt_f32_fp8_e32 v30, v30
	v_cvt_f32_fp8_e32 v0, v0
	v_cvt_pk_bf16_f32 v57, v59, s0
	s_waitcnt vmcnt(5)
	v_bfe_u32 v58, v64, 16, 8
	v_and_b32_e32 v63, 0xff, v64
	v_bfe_u32 v55, v64, 8, 8
	v_cvt_f32_fp8_e32 v58, v58
	v_lshrrev_b32_e32 v64, 24, v64
	v_cvt_f32_fp8_e32 v64, v64
	v_lshlrev_b32_e32 v57, 16, v57
	v_mul_f32_e32 v58, s58, v58
	v_fmac_f32_e32 v99, v57, v54
	v_cvt_pk_bf16_f32 v57, v58, s0
	v_mul_f32_e32 v58, s58, v64
	s_waitcnt vmcnt(4)
	v_bfe_u32 v64, v67, 8, 8
	v_mul_f32_e32 v61, s58, v61
	v_cvt_f32_fp8_e32 v64, v64
	v_cvt_pk_bf16_f32 v61, v61, s0
	v_mul_f32_e32 v30, s58, v30
	v_mul_f32_e32 v0, s58, v0
	v_cvt_pk_bf16_f32 v30, v30, s0
	v_lshlrev_b32_e32 v61, 16, v61
	v_cvt_pk_bf16_f32 v0, v0, s0
	v_fmac_f32_e32 v89, v61, v56
	v_lshlrev_b32_e32 v30, 16, v30
	v_lshlrev_b32_e32 v0, 16, v0
	v_bfe_u32 v59, v66, 8, 8
	v_fmac_f32_e32 v105, v30, v53
	v_mul_f32_e32 v53, s58, v64
	v_fmac_f32_e32 v89, v0, v52
	s_waitcnt vmcnt(3)
	v_bfe_u32 v52, v62, 16, 8
	v_cvt_f32_fp8_e32 v59, v59
	v_bfe_u32 v56, v66, 16, 8
	v_cvt_pk_bf16_f32 v64, v53, s0
	v_lshrrev_b32_e32 v53, 24, v67
	v_cvt_f32_fp8_e32 v52, v52
	v_cvt_f32_fp8_e32 v56, v56
	;; [unrolled: 1-line block ×3, first 2 shown]
	v_and_b32_e32 v65, 0xff, v62
	v_cvt_f32_fp8_e32 v65, v65
	v_lshrrev_b32_e32 v61, 24, v66
	v_mul_f32_e32 v59, s58, v59
	v_cvt_f32_fp8_e32 v61, v61
	v_and_b32_e32 v54, 0xff, v67
	v_bfe_u32 v30, v67, 16, 8
	v_mul_f32_e32 v67, s58, v52
	v_lshrrev_b32_e32 v52, 24, v62
	v_cvt_pk_bf16_f32 v59, v59, s0
	v_mul_f32_e32 v56, s58, v56
	v_mul_f32_e32 v53, s58, v53
	v_bfe_u32 v0, v62, 8, 8
	v_cvt_f32_fp8_e32 v62, v52
	v_cvt_pk_bf16_f32 v56, v56, s0
	v_cvt_pk_bf16_f32 v66, v53, s0
	v_mul_f32_e32 v53, s58, v65
	v_lshlrev_b32_e32 v52, 16, v59
	v_cvt_pk_bf16_f32 v65, v53, s0
	v_fmac_f32_e32 v91, v52, v51
	v_lshl_add_u64 v[52:53], v[14:15], 0, s[50:51]
	v_lshlrev_b32_e32 v51, 16, v56
	v_mul_f32_e32 v61, s58, v61
	v_fmac_f32_e32 v99, v51, v50
	v_lshl_add_u64 v[50:51], v[52:53], 0, v[6:7]
	v_cvt_pk_bf16_f32 v61, v61, s0
	global_load_dword v56, v[50:51], off
	v_mul_f32_e32 v51, s58, v62
	s_waitcnt vmcnt(3)
	v_and_b32_e32 v50, 0xff, v68
	v_cvt_pk_bf16_f32 v62, v51, s0
	v_lshlrev_b32_e32 v51, 16, v61
	v_cvt_f32_fp8_e32 v50, v50
	v_fmac_f32_e32 v105, v51, v49
	v_bfe_u32 v49, v68, 8, 8
	v_cvt_f32_fp8_e32 v49, v49
	v_bfe_u32 v51, v68, 16, 8
	v_cvt_f32_fp8_e32 v51, v51
	v_mul_f32_e32 v50, s58, v50
	v_cvt_pk_bf16_f32 v61, v50, s0
	v_mul_f32_e32 v49, s58, v49
	v_lshrrev_b32_e32 v50, 24, v68
	v_cvt_pk_bf16_f32 v59, v67, s0
	v_cvt_pk_bf16_f32 v67, v49, s0
	v_mul_f32_e32 v49, s58, v51
	v_cvt_f32_fp8_e32 v68, v50
	v_lshl_add_u64 v[50:51], v[52:53], 0, v[10:11]
	global_load_dword v52, v[50:51], off
	v_cvt_f32_fp8_e32 v63, v63
	v_cvt_f32_fp8_e32 v55, v55
	v_cvt_pk_bf16_f32 v53, v49, s0
	s_waitcnt vmcnt(3)
	v_and_b32_e32 v49, 0xff, v17
	v_mul_f32_e32 v63, s58, v63
	v_cvt_pk_bf16_f32 v63, v63, s0
	v_mul_f32_e32 v55, s58, v55
	v_cvt_pk_bf16_f32 v55, v55, s0
	v_cvt_f32_fp8_e32 v69, v49
	v_lshlrev_b32_e32 v49, 16, v63
	v_fmac_f32_e32 v89, v49, v48
	v_lshl_add_u64 v[48:49], v[14:15], 0, s[52:53]
	v_lshlrev_b32_e32 v50, 16, v55
	v_fmac_f32_e32 v91, v50, v47
	v_lshl_add_u64 v[50:51], v[48:49], 0, v[6:7]
	global_load_dword v50, v[50:51], off
	v_lshl_add_u64 v[48:49], v[48:49], 0, v[10:11]
	global_load_dword v63, v[48:49], off
	v_bfe_u32 v47, v17, 8, 8
	v_cvt_f32_fp8_e32 v47, v47
	v_bfe_u32 v48, v17, 16, 8
	v_cvt_f32_fp8_e32 v48, v48
	v_mul_f32_e32 v68, s58, v68
	v_mul_f32_e32 v47, s58, v47
	v_cvt_pk_bf16_f32 v51, v68, s0
	v_cvt_pk_bf16_f32 v68, v47, s0
	v_mul_f32_e32 v47, s58, v48
	v_cvt_pk_bf16_f32 v58, v58, s0
	v_mul_f32_e32 v55, s58, v69
	v_cvt_pk_bf16_f32 v69, v47, s0
	v_lshlrev_b32_e32 v47, 16, v57
	v_fmac_f32_e32 v99, v47, v46
	v_lshl_add_u64 v[46:47], v[14:15], 0, s[54:55]
	v_lshlrev_b32_e32 v48, 16, v58
	v_fmac_f32_e32 v105, v48, v45
	v_lshl_add_u64 v[48:49], v[46:47], 0, v[6:7]
	global_load_dword v48, v[48:49], off
	v_lshl_add_u64 v[46:47], v[46:47], 0, v[10:11]
	global_load_dword v46, v[46:47], off
	v_cvt_f32_fp8_e32 v54, v54
	s_waitcnt vmcnt(6)
	v_and_b32_e32 v45, 0xff, v60
	v_cvt_f32_fp8_e32 v45, v45
	v_lshl_add_u64 v[14:15], v[14:15], 0, s[56:57]
	v_mul_f32_e32 v54, s58, v54
	v_cvt_pk_bf16_f32 v54, v54, s0
	v_mul_f32_e32 v45, s58, v45
	v_cvt_pk_bf16_f32 v49, v45, s0
	v_lshlrev_b32_e32 v45, 16, v54
	v_fmac_f32_e32 v89, v45, v44
	v_lshl_add_u64 v[44:45], v[14:15], 0, v[6:7]
	global_load_dword v44, v[44:45], off
	v_lshl_add_u64 v[14:15], v[14:15], 0, v[10:11]
	global_load_dword v14, v[14:15], off
	v_lshlrev_b32_e32 v57, 16, v64
	v_cvt_f32_fp8_e32 v30, v30
	v_fmac_f32_e32 v91, v57, v43
	v_bfe_u32 v47, v60, 8, 8
	v_bfe_u32 v45, v60, 16, 8
	v_mul_f32_e32 v30, s58, v30
	s_waitcnt vmcnt(7)
	v_and_b32_e32 v15, 0xff, v56
	v_cvt_f32_fp8_e32 v15, v15
	v_bfe_u32 v43, v56, 8, 8
	v_cvt_f32_fp8_e32 v43, v43
	v_cvt_pk_bf16_f32 v30, v30, s0
	v_mul_f32_e32 v15, s58, v15
	v_cvt_pk_bf16_f32 v57, v15, s0
	v_mul_f32_e32 v15, s58, v43
	v_bfe_u32 v43, v56, 16, 8
	v_cvt_f32_fp8_e32 v43, v43
	v_lshrrev_b32_e32 v56, 24, v56
	v_lshlrev_b32_e32 v30, 16, v30
	v_cvt_f32_fp8_e32 v56, v56
	v_fmac_f32_e32 v99, v30, v42
	v_cvt_pk_bf16_f32 v58, v15, s0
	v_mul_f32_e32 v15, s58, v43
	v_cvt_pk_bf16_f32 v43, v15, s0
	v_mul_f32_e32 v15, s58, v56
	v_cvt_pk_bf16_f32 v56, v15, s0
	v_lshrrev_b32_e32 v54, 24, v60
	s_waitcnt vmcnt(6)
	v_and_b32_e32 v30, 0xff, v52
	v_cvt_f32_fp8_e32 v30, v30
	v_bfe_u32 v42, v52, 8, 8
	v_cvt_f32_fp8_e32 v42, v42
	v_lshlrev_b32_e32 v60, 16, v65
	v_mul_f32_e32 v15, s58, v30
	v_cvt_pk_bf16_f32 v30, v15, s0
	v_mul_f32_e32 v15, s58, v42
	v_lshlrev_b32_e32 v42, 16, v66
	v_fmac_f32_e32 v105, v42, v41
	v_bfe_u32 v41, v52, 16, 8
	v_cvt_f32_fp8_e32 v41, v41
	v_lshrrev_b32_e32 v42, 24, v52
	v_cvt_f32_fp8_e32 v42, v42
	v_cvt_pk_bf16_f32 v52, v15, s0
	v_mul_f32_e32 v15, s58, v41
	v_cvt_pk_bf16_f32 v41, v15, s0
	v_mul_f32_e32 v15, s58, v42
	s_waitcnt vmcnt(5)
	v_and_b32_e32 v42, 0xff, v50
	v_cvt_f32_fp8_e32 v0, v0
	v_cvt_f32_fp8_e32 v42, v42
	v_fmac_f32_e32 v89, v60, v40
	v_bfe_u32 v40, v50, 8, 8
	v_cvt_f32_fp8_e32 v40, v40
	v_mul_f32_e32 v0, s58, v0
	v_cvt_pk_bf16_f32 v60, v15, s0
	v_mul_f32_e32 v15, s58, v42
	v_cvt_pk_bf16_f32 v0, v0, s0
	v_cvt_pk_bf16_f32 v42, v15, s0
	v_mul_f32_e32 v15, s58, v40
	v_bfe_u32 v40, v50, 16, 8
	v_cvt_f32_fp8_e32 v40, v40
	v_lshrrev_b32_e32 v50, 24, v50
	v_lshlrev_b32_e32 v0, 16, v0
	v_cvt_f32_fp8_e32 v50, v50
	v_fmac_f32_e32 v91, v0, v39
	s_waitcnt vmcnt(4)
	v_bfe_u32 v39, v63, 8, 8
	v_cvt_f32_fp8_e32 v39, v39
	v_cvt_pk_bf16_f32 v64, v15, s0
	v_mul_f32_e32 v15, s58, v40
	v_cvt_pk_bf16_f32 v40, v15, s0
	v_mul_f32_e32 v15, s58, v50
	;; [unrolled: 2-line block ×3, first 2 shown]
	v_lshlrev_b32_e32 v39, 16, v59
	v_fmac_f32_e32 v99, v39, v38
	v_bfe_u32 v38, v63, 16, 8
	v_cvt_f32_fp8_e32 v38, v38
	v_lshrrev_b32_e32 v39, 24, v63
	v_cvt_f32_fp8_e32 v39, v39
	v_cvt_pk_bf16_f32 v59, v15, s0
	v_mul_f32_e32 v15, s58, v38
	v_cvt_pk_bf16_f32 v38, v15, s0
	v_mul_f32_e32 v15, s58, v39
	s_waitcnt vmcnt(3)
	v_and_b32_e32 v39, 0xff, v48
	v_lshlrev_b32_e32 v62, 16, v62
	v_cvt_f32_fp8_e32 v39, v39
	v_fmac_f32_e32 v105, v62, v37
	v_bfe_u32 v37, v48, 8, 8
	v_cvt_f32_fp8_e32 v37, v37
	v_cvt_pk_bf16_f32 v62, v15, s0
	v_mul_f32_e32 v15, s58, v39
	v_cvt_pk_bf16_f32 v39, v15, s0
	v_mul_f32_e32 v15, s58, v37
	v_bfe_u32 v37, v48, 16, 8
	v_cvt_f32_fp8_e32 v37, v37
	v_lshrrev_b32_e32 v48, 24, v48
	v_cvt_f32_fp8_e32 v48, v48
	v_and_b32_e32 v0, 0xff, v63
	v_cvt_pk_bf16_f32 v63, v15, s0
	v_mul_f32_e32 v15, s58, v37
	v_cvt_pk_bf16_f32 v37, v15, s0
	v_mul_f32_e32 v15, s58, v48
	v_lshlrev_b32_e32 v48, 16, v61
	v_fmac_f32_e32 v89, v48, v35
	s_waitcnt vmcnt(2)
	v_and_b32_e32 v35, 0xff, v46
	v_cvt_f32_fp8_e32 v35, v35
	v_bfe_u32 v48, v46, 8, 8
	v_cvt_f32_fp8_e32 v48, v48
	v_cvt_pk_bf16_f32 v61, v15, s0
	v_mul_f32_e32 v15, s58, v35
	v_cvt_pk_bf16_f32 v35, v15, s0
	v_mul_f32_e32 v15, s58, v48
	v_lshlrev_b32_e32 v48, 16, v67
	v_fmac_f32_e32 v91, v48, v34
	v_bfe_u32 v34, v46, 16, 8
	v_cvt_f32_fp8_e32 v34, v34
	v_lshrrev_b32_e32 v46, 24, v46
	v_cvt_f32_fp8_e32 v46, v46
	v_cvt_pk_bf16_f32 v48, v15, s0
	v_mul_f32_e32 v15, s58, v34
	v_cvt_pk_bf16_f32 v34, v15, s0
	v_mul_f32_e32 v15, s58, v46
	s_waitcnt vmcnt(1)
	v_and_b32_e32 v46, 0xff, v44
	v_lshlrev_b32_e32 v53, 16, v53
	v_cvt_f32_fp8_e32 v46, v46
	v_fmac_f32_e32 v99, v53, v33
	v_bfe_u32 v33, v44, 8, 8
	v_cvt_f32_fp8_e32 v33, v33
	v_cvt_pk_bf16_f32 v53, v15, s0
	v_mul_f32_e32 v15, s58, v46
	v_cvt_pk_bf16_f32 v46, v15, s0
	v_mul_f32_e32 v15, s58, v33
	v_bfe_u32 v33, v44, 16, 8
	v_cvt_f32_fp8_e32 v33, v33
	v_lshrrev_b32_e32 v44, 24, v44
	v_cvt_f32_fp8_e32 v44, v44
	v_cvt_pk_bf16_f32 v65, v15, s0
	v_mul_f32_e32 v15, s58, v33
	v_cvt_pk_bf16_f32 v55, v55, s0
	v_cvt_pk_bf16_f32 v33, v15, s0
	v_mul_f32_e32 v15, s58, v44
	v_lshlrev_b32_e32 v44, 16, v51
	v_fmac_f32_e32 v105, v44, v32
	s_waitcnt vmcnt(0)
	v_and_b32_e32 v32, 0xff, v14
	v_lshlrev_b32_e32 v44, 16, v2
	v_lshlrev_b32_e32 v51, 16, v55
	v_cvt_f32_fp8_e32 v32, v32
	v_fmac_f32_e32 v89, v51, v44
	v_bfe_u32 v44, v14, 8, 8
	v_cvt_f32_fp8_e32 v44, v44
	v_cvt_pk_bf16_f32 v51, v15, s0
	v_mul_f32_e32 v15, s58, v32
	v_cvt_pk_bf16_f32 v32, v15, s0
	v_mul_f32_e32 v15, s58, v44
	v_and_b32_e32 v2, 0xffff0000, v2
	v_lshlrev_b32_e32 v44, 16, v68
	v_fmac_f32_e32 v91, v44, v2
	v_bfe_u32 v2, v14, 16, 8
	v_lshrrev_b32_e32 v17, 24, v17
	v_cvt_f32_fp8_e32 v2, v2
	v_lshrrev_b32_e32 v14, 24, v14
	v_cvt_f32_fp8_e32 v17, v17
	v_cvt_f32_fp8_e32 v14, v14
	;; [unrolled: 1-line block ×3, first 2 shown]
	v_mul_f32_e32 v2, s58, v2
	v_mul_f32_e32 v17, s58, v17
	v_cvt_pk_bf16_f32 v55, v2, s0
	v_mul_f32_e32 v2, s58, v14
	v_cvt_pk_bf16_f32 v17, v17, s0
	v_mul_f32_e32 v47, s58, v47
	v_cvt_f32_fp8_e32 v45, v45
	v_cvt_f32_fp8_e32 v54, v54
	v_cvt_pk_bf16_f32 v66, v2, s0
	v_lshlrev_b32_e32 v2, 16, v3
	v_lshlrev_b32_e32 v14, 16, v69
	v_cvt_pk_bf16_f32 v47, v47, s0
	v_fmac_f32_e32 v99, v14, v2
	v_and_b32_e32 v2, 0xffff0000, v3
	v_lshlrev_b32_e32 v3, 16, v17
	v_fmac_f32_e32 v105, v3, v2
	v_lshlrev_b32_e32 v2, 16, v4
	v_and_b32_e32 v3, 0xffff0000, v4
	v_lshlrev_b32_e32 v4, 16, v49
	v_lshlrev_b32_e32 v14, 16, v47
	v_cvt_pk_bf16_f32 v44, v15, s0
	v_fmac_f32_e32 v89, v4, v2
	v_fmac_f32_e32 v91, v14, v3
	v_lshlrev_b32_e32 v14, 16, v5
	v_and_b32_e32 v15, 0xffff0000, v5
	ds_read_b128 v[2:5], v20 offset:192
	v_mul_f32_e32 v45, s58, v45
	v_mul_f32_e32 v54, s58, v54
	v_cndmask_b32_e64 v16, v26, v27, s[8:9]
	v_cvt_pk_bf16_f32 v45, v45, s0
	v_cvt_pk_bf16_f32 v54, v54, s0
	v_lshlrev_b32_e32 v67, 2, v16
	v_lshlrev_b32_e32 v16, 16, v45
	;; [unrolled: 1-line block ×3, first 2 shown]
	v_fmac_f32_e32 v99, v16, v14
	v_fmac_f32_e32 v105, v17, v15
	ds_read_b128 v[14:17], v20 offset:208
	v_cvt_f32_fp8_e32 v0, v0
	s_waitcnt lgkmcnt(1)
	v_lshlrev_b32_e32 v45, 16, v2
	v_and_b32_e32 v2, 0xffff0000, v2
	v_lshlrev_b32_e32 v47, 16, v57
	v_lshlrev_b32_e32 v49, 16, v58
	v_fmac_f32_e32 v89, v47, v45
	v_fmac_f32_e32 v91, v49, v2
	v_lshlrev_b32_e32 v2, 16, v3
	v_and_b32_e32 v3, 0xffff0000, v3
	v_lshlrev_b32_e32 v43, 16, v43
	v_lshlrev_b32_e32 v45, 16, v56
	v_fmac_f32_e32 v99, v43, v2
	v_fmac_f32_e32 v105, v45, v3
	v_lshlrev_b32_e32 v2, 16, v4
	v_and_b32_e32 v3, 0xffff0000, v4
	v_lshlrev_b32_e32 v4, 16, v30
	v_lshlrev_b32_e32 v30, 16, v52
	v_fmac_f32_e32 v89, v4, v2
	v_fmac_f32_e32 v91, v30, v3
	v_lshlrev_b32_e32 v2, 16, v5
	v_and_b32_e32 v3, 0xffff0000, v5
	v_lshlrev_b32_e32 v4, 16, v41
	v_lshlrev_b32_e32 v5, 16, v60
	v_mul_f32_e32 v0, s58, v0
	v_fmac_f32_e32 v99, v4, v2
	v_fmac_f32_e32 v105, v5, v3
	s_waitcnt lgkmcnt(0)
	v_lshlrev_b32_e32 v2, 16, v14
	v_and_b32_e32 v3, 0xffff0000, v14
	v_lshlrev_b32_e32 v4, 16, v42
	v_lshlrev_b32_e32 v5, 16, v64
	v_cvt_pk_bf16_f32 v0, v0, s0
	v_fmac_f32_e32 v89, v4, v2
	v_fmac_f32_e32 v91, v5, v3
	v_lshlrev_b32_e32 v2, 16, v15
	v_and_b32_e32 v3, 0xffff0000, v15
	v_lshlrev_b32_e32 v4, 16, v40
	v_lshlrev_b32_e32 v5, 16, v50
	v_fmac_f32_e32 v99, v4, v2
	v_fmac_f32_e32 v105, v5, v3
	v_lshlrev_b32_e32 v2, 16, v16
	v_and_b32_e32 v3, 0xffff0000, v16
	v_lshlrev_b32_e32 v0, 16, v0
	v_lshlrev_b32_e32 v4, 16, v59
	v_fmac_f32_e32 v89, v0, v2
	v_fmac_f32_e32 v91, v4, v3
	ds_read_b128 v[2:5], v20 offset:224
	v_lshlrev_b32_e32 v0, 16, v17
	v_and_b32_e32 v14, 0xffff0000, v17
	v_lshlrev_b32_e32 v15, 16, v38
	v_lshlrev_b32_e32 v16, 16, v62
	v_fmac_f32_e32 v99, v15, v0
	v_fmac_f32_e32 v105, v16, v14
	ds_read_b128 v[14:17], v20 offset:240
	s_waitcnt lgkmcnt(1)
	v_lshlrev_b32_e32 v0, 16, v2
	v_and_b32_e32 v2, 0xffff0000, v2
	v_lshlrev_b32_e32 v30, 16, v39
	v_lshlrev_b32_e32 v38, 16, v63
	v_fmac_f32_e32 v89, v30, v0
	v_fmac_f32_e32 v91, v38, v2
	v_lshlrev_b32_e32 v0, 16, v3
	v_and_b32_e32 v2, 0xffff0000, v3
	v_lshlrev_b32_e32 v3, 16, v37
	v_lshlrev_b32_e32 v30, 16, v61
	v_fmac_f32_e32 v99, v3, v0
	v_fmac_f32_e32 v105, v30, v2
	;; [unrolled: 6-line block ×4, first 2 shown]
	s_waitcnt lgkmcnt(0)
	v_lshlrev_b32_e32 v0, 16, v14
	v_and_b32_e32 v2, 0xffff0000, v14
	v_lshlrev_b32_e32 v3, 16, v46
	v_lshlrev_b32_e32 v4, 16, v65
	v_fmac_f32_e32 v89, v3, v0
	v_fmac_f32_e32 v91, v4, v2
	v_lshlrev_b32_e32 v0, 16, v15
	v_and_b32_e32 v2, 0xffff0000, v15
	v_lshlrev_b32_e32 v3, 16, v33
	v_lshlrev_b32_e32 v4, 16, v51
	v_fmac_f32_e32 v99, v3, v0
	v_fmac_f32_e32 v105, v4, v2
	;; [unrolled: 6-line block ×3, first 2 shown]
	v_lshlrev_b32_e32 v0, 16, v17
	v_lshlrev_b32_e32 v3, 16, v55
	v_and_b32_e32 v2, 0xffff0000, v17
	v_lshlrev_b32_e32 v4, 16, v66
	v_fmac_f32_e32 v99, v3, v0
	v_add_f32_e32 v0, v89, v91
	v_fmac_f32_e32 v105, v4, v2
	v_add_f32_e32 v0, v0, v99
	v_add_f32_e32 v0, v105, v0
	ds_bpermute_b32 v2, v67, v0
	s_and_saveexec_b64 s[58:59], vcc
	s_cbranch_execz .LBB316_11
; %bb.19:                               ;   in Loop: Header=BB316_13 Depth=1
	v_add_u32_e32 v3, v24, v23
	v_cvt_f32_i32_e32 v3, v3
	s_waitcnt lgkmcnt(0)
	v_add_f32_e32 v0, v0, v2
	v_add_u32_e32 v4, v19, v23
	v_cmp_gt_i32_e64 s[8:9], s25, v4
	v_mul_f32_e32 v2, s62, v3
	v_cndmask_b32_e64 v2, 0, v2, s[0:1]
	v_fmac_f32_e32 v2, s39, v0
	v_cndmask_b32_e64 v0, 0, v2, s[8:9]
	ds_write_b32 v25, v0
	v_max_f32_e32 v0, v22, v22
	v_max_f32_e32 v0, v0, v2
	v_cndmask_b32_e64 v22, v22, v0, s[8:9]
	s_branch .LBB316_11
.LBB316_20:
	s_or_b64 exec, exec, s[40:41]
	scratch_load_dword v16, off, off offset:192 ; 4-byte Folded Reload
	scratch_load_dword v26, off, off        ; 4-byte Folded Reload
.LBB316_21:
	s_or_b64 exec, exec, s[18:19]
	v_mbcnt_hi_u32_b32 v0, -1, v18
	v_and_b32_e32 v8, 64, v0
	v_add_u32_e32 v9, 64, v8
	s_waitcnt lgkmcnt(0)
	v_xor_b32_e32 v2, 32, v0
	v_cmp_lt_i32_e32 vcc, v2, v9
	v_xor_b32_e32 v5, 16, v0
	v_max_f32_e32 v4, v22, v22
	v_cndmask_b32_e32 v2, v0, v2, vcc
	v_lshlrev_b32_e32 v2, 2, v2
	ds_bpermute_b32 v3, v2, v22
	v_cmp_lt_i32_e32 vcc, v5, v9
	v_xor_b32_e32 v6, 8, v0
	v_xor_b32_e32 v7, 4, v0
	v_xor_b32_e32 v10, 2, v0
	s_waitcnt lgkmcnt(0)
	v_max_f32_e32 v3, v3, v3
	v_max_f32_e32 v4, v4, v3
	v_cndmask_b32_e32 v3, v0, v5, vcc
	v_lshlrev_b32_e32 v3, 2, v3
	ds_bpermute_b32 v5, v3, v4
	v_cmp_lt_i32_e32 vcc, v6, v9
	s_waitcnt vmcnt(1)
	v_and_b32_e32 v32, 63, v16
	s_waitcnt lgkmcnt(0)
	v_max_f32_e32 v5, v5, v5
	v_max_f32_e32 v5, v4, v5
	v_cndmask_b32_e32 v4, v0, v6, vcc
	v_lshlrev_b32_e32 v4, 2, v4
	ds_bpermute_b32 v6, v4, v5
	v_cmp_lt_i32_e32 vcc, v7, v9
	s_waitcnt lgkmcnt(0)
	v_max_f32_e32 v6, v6, v6
	v_max_f32_e32 v6, v5, v6
	v_cndmask_b32_e32 v5, v0, v7, vcc
	v_lshlrev_b32_e32 v5, 2, v5
	ds_bpermute_b32 v7, v5, v6
	v_cmp_lt_i32_e32 vcc, v10, v9
	s_waitcnt lgkmcnt(0)
	v_max_f32_e32 v7, v7, v7
	v_max_f32_e32 v7, v6, v7
	v_cndmask_b32_e32 v6, v0, v10, vcc
	v_lshlrev_b32_e32 v31, 2, v6
	ds_bpermute_b32 v10, v31, v7
	v_cmp_eq_u32_e32 vcc, 0, v32
	v_lshlrev_b32_e32 v6, 2, v1
	s_and_saveexec_b64 s[0:1], vcc
	s_cbranch_execz .LBB316_23
; %bb.22:
	s_waitcnt lgkmcnt(0)
	v_max_f32_e32 v10, v10, v10
	v_max_f32_e32 v7, v7, v7
	;; [unrolled: 1-line block ×3, first 2 shown]
	ds_write_b32 v6, v7 offset:512
.LBB316_23:
	s_or_b64 exec, exec, s[0:1]
	v_cmp_gt_u32_e64 s[0:1], 2, v32
	s_waitcnt lgkmcnt(0)
	v_mov_b32_e32 v10, 0xff7fffff
	v_lshlrev_b32_e32 v7, 2, v32
	s_barrier
	s_and_saveexec_b64 s[8:9], s[0:1]
; %bb.24:
	ds_read_b32 v10, v7 offset:512
; %bb.25:
	s_or_b64 exec, exec, s[8:9]
	v_xor_b32_e32 v11, 1, v0
	v_cmp_lt_i32_e64 s[8:9], v11, v9
	v_lshlrev_b32_e32 v8, 2, v8
	s_nop 0
	v_cndmask_b32_e64 v9, v0, v11, s[8:9]
	v_lshlrev_b32_e32 v33, 2, v9
	s_waitcnt lgkmcnt(0)
	ds_bpermute_b32 v9, v33, v10
	v_max_f32_e32 v10, v10, v10
	s_lshl_b32 s8, s60, 5
	s_min_i32 s39, s8, s25
	v_cmp_gt_i32_e64 s[8:9], s39, v16
	s_waitcnt lgkmcnt(0)
	v_max_f32_e32 v9, v9, v9
	v_max_f32_e32 v9, v10, v9
	ds_bpermute_b32 v9, v8, v9
	v_mov_b32_e32 v8, 0
	s_and_saveexec_b64 s[12:13], s[8:9]
	s_cbranch_execz .LBB316_29
; %bb.26:
	v_mov_b32_e32 v8, 0x210
	v_lshl_add_u32 v10, v16, 2, v8
	v_mov_b32_e32 v8, 0
	s_mov_b64 s[18:19], 0
	v_mov_b32_e32 v11, v16
.LBB316_27:                             ; =>This Inner Loop Header: Depth=1
	ds_read_b32 v12, v10
	v_add_u32_e32 v11, 0x80, v11
	v_cmp_le_i32_e64 s[10:11], s39, v11
	s_or_b64 s[18:19], s[10:11], s[18:19]
	s_waitcnt lgkmcnt(0)
	v_sub_f32_e32 v12, v12, v9
	v_mul_f32_e32 v12, 0x3fb8aa3b, v12
	v_exp_f32_e32 v12, v12
	ds_write_b32 v10, v12
	v_add_f32_e32 v8, v8, v12
	v_add_u32_e32 v10, 0x200, v10
	s_andn2_b64 exec, exec, s[18:19]
	s_cbranch_execnz .LBB316_27
; %bb.28:
	s_or_b64 exec, exec, s[18:19]
.LBB316_29:
	s_or_b64 exec, exec, s[12:13]
	ds_bpermute_b32 v2, v2, v8
	s_waitcnt lgkmcnt(0)
	v_add_f32_e32 v2, v8, v2
	ds_bpermute_b32 v3, v3, v2
	s_waitcnt lgkmcnt(0)
	v_add_f32_e32 v2, v2, v3
	;; [unrolled: 3-line block ×6, first 2 shown]
	s_and_saveexec_b64 s[10:11], vcc
; %bb.30:
	ds_write_b32 v6, v2 offset:520
; %bb.31:
	s_or_b64 exec, exec, s[10:11]
	s_waitcnt lgkmcnt(0)
	s_barrier
	s_and_saveexec_b64 s[10:11], s[0:1]
; %bb.32:
	ds_read_b32 v2, v7 offset:520
; %bb.33:
	s_or_b64 exec, exec, s[10:11]
	s_waitcnt lgkmcnt(0)
	ds_bpermute_b32 v3, v33, v2
	v_lshlrev_b32_e32 v0, 2, v0
	v_and_b32_e32 v0, 0x100, v0
	s_waitcnt lgkmcnt(0)
	v_add_f32_e32 v2, v2, v3
	ds_bpermute_b32 v0, v0, v2
	s_and_saveexec_b64 s[0:1], s[8:9]
	s_cbranch_execz .LBB316_46
; %bb.34:
	s_waitcnt lgkmcnt(0)
	v_add_f32_e32 v0, 0x358637bd, v0
	v_div_scale_f32 v2, s[8:9], v0, v0, 1.0
	v_rcp_f32_e32 v3, v2
	v_div_scale_f32 v4, vcc, 1.0, v0, 1.0
	s_movk_i32 s8, 0x7f
	v_fma_f32 v5, -v2, v3, 1.0
	v_fmac_f32_e32 v3, v5, v3
	v_mul_f32_e32 v5, v4, v3
	v_fma_f32 v6, -v2, v5, v4
	v_fmac_f32_e32 v5, v6, v3
	v_fma_f32 v2, -v2, v5, v4
	v_div_fmas_f32 v2, v2, v3, v5
	v_xad_u32 v3, v16, -1, s39
	v_div_fixup_f32 v2, v2, v0, 1.0
	v_cmp_lt_u32_e32 vcc, s8, v3
	s_mov_b64 s[10:11], -1
	v_mov_b32_e32 v0, v16
	s_and_saveexec_b64 s[8:9], vcc
	s_cbranch_execz .LBB316_43
; %bb.35:
	v_lshrrev_b32_e32 v0, 7, v3
	v_add_u32_e32 v5, -1, v0
	v_lshrrev_b32_e32 v4, 1, v5
	v_mov_b32_e32 v3, v2
	v_add_u32_e32 v4, 1, v4
	v_cmp_lt_u32_e32 vcc, 13, v5
	v_mov_b32_e32 v7, 0
	s_and_saveexec_b64 s[10:11], vcc
	s_cbranch_execz .LBB316_39
; %bb.36:
	v_mov_b32_e32 v6, 0x210
	v_and_b32_e32 v5, -8, v4
	v_lshl_add_u32 v6, v16, 2, v6
	s_mov_b32 s18, 0
	s_mov_b64 s[12:13], 0
.LBB316_37:                             ; =>This Inner Loop Header: Depth=1
	ds_read2st64_b32 v[8:9], v6 offset1:2
	ds_read2st64_b32 v[10:11], v6 offset0:4 offset1:6
	ds_read2st64_b32 v[12:13], v6 offset0:8 offset1:10
	;; [unrolled: 1-line block ×3, first 2 shown]
	v_add_u32_e32 v5, -8, v5
	s_waitcnt lgkmcnt(3)
	v_pk_mul_f32 v[8:9], v[2:3], v[8:9]
	s_waitcnt lgkmcnt(2)
	v_pk_mul_f32 v[10:11], v[2:3], v[10:11]
	ds_write2st64_b32 v6, v8, v9 offset1:2
	ds_write2st64_b32 v6, v10, v11 offset0:4 offset1:6
	ds_read2st64_b32 v[10:11], v6 offset0:16 offset1:18
	s_waitcnt lgkmcnt(4)
	v_pk_mul_f32 v[8:9], v[2:3], v[12:13]
	ds_write2st64_b32 v6, v8, v9 offset0:8 offset1:10
	s_waitcnt lgkmcnt(4)
	v_pk_mul_f32 v[8:9], v[2:3], v[14:15]
	ds_write2st64_b32 v6, v8, v9 offset0:12 offset1:14
	ds_read2st64_b32 v[8:9], v6 offset0:20 offset1:22
	s_waitcnt lgkmcnt(3)
	v_pk_mul_f32 v[10:11], v[2:3], v[10:11]
	ds_read2st64_b32 v[12:13], v6 offset0:24 offset1:26
	ds_write2st64_b32 v6, v10, v11 offset0:16 offset1:18
	ds_read2st64_b32 v[10:11], v6 offset0:28 offset1:30
	s_waitcnt lgkmcnt(3)
	v_pk_mul_f32 v[8:9], v[2:3], v[8:9]
	ds_write2st64_b32 v6, v8, v9 offset0:20 offset1:22
	s_waitcnt lgkmcnt(3)
	v_pk_mul_f32 v[8:9], v[2:3], v[12:13]
	ds_write2st64_b32 v6, v8, v9 offset0:24 offset1:26
	s_waitcnt lgkmcnt(2)
	v_pk_mul_f32 v[8:9], v[2:3], v[10:11]
	s_add_i32 s18, s18, 16
	v_cmp_eq_u32_e32 vcc, 0, v5
	ds_write2st64_b32 v6, v8, v9 offset0:28 offset1:30
	v_add_u32_e32 v6, 0x2000, v6
	s_or_b64 s[12:13], vcc, s[12:13]
	v_mov_b32_e32 v7, s18
	s_andn2_b64 exec, exec, s[12:13]
	s_cbranch_execnz .LBB316_37
; %bb.38:
	s_or_b64 exec, exec, s[12:13]
.LBB316_39:
	s_or_b64 exec, exec, s[10:11]
	v_and_b32_e32 v4, 7, v4
	v_cmp_ne_u32_e32 vcc, 0, v4
	s_and_saveexec_b64 s[10:11], vcc
	s_cbranch_execz .LBB316_42
; %bb.40:
	v_lshlrev_b32_e32 v5, 9, v7
	v_lshlrev_b32_e32 v6, 2, v16
	s_movk_i32 s12, 0x210
	v_add3_u32 v5, v5, v6, s12
	s_mov_b64 s[12:13], 0
.LBB316_41:                             ; =>This Inner Loop Header: Depth=1
	ds_read2st64_b32 v[6:7], v5 offset1:2
	v_add_u32_e32 v4, -1, v4
	v_cmp_eq_u32_e32 vcc, 0, v4
	s_or_b64 s[12:13], vcc, s[12:13]
	s_waitcnt lgkmcnt(0)
	v_pk_mul_f32 v[6:7], v[2:3], v[6:7]
	ds_write2st64_b32 v5, v6, v7 offset1:2
	v_add_u32_e32 v5, 0x400, v5
	s_andn2_b64 exec, exec, s[12:13]
	s_cbranch_execnz .LBB316_41
.LBB316_42:
	s_or_b64 exec, exec, s[10:11]
	v_add_u32_e32 v3, 1, v0
	v_and_b32_e32 v4, 0x3fffffe, v3
	v_cmp_ne_u32_e32 vcc, v3, v4
	v_lshl_add_u32 v0, v4, 7, v16
	s_orn2_b64 s[10:11], vcc, exec
.LBB316_43:
	s_or_b64 exec, exec, s[8:9]
	s_and_b64 exec, exec, s[10:11]
	s_cbranch_execz .LBB316_46
; %bb.44:
	v_mov_b32_e32 v3, 0x210
	v_lshl_add_u32 v3, v0, 2, v3
	s_mov_b64 s[8:9], 0
.LBB316_45:                             ; =>This Inner Loop Header: Depth=1
	ds_read_b32 v4, v3
	v_add_u32_e32 v0, 0x80, v0
	v_cmp_le_i32_e32 vcc, s39, v0
	s_or_b64 s[8:9], vcc, s[8:9]
	s_waitcnt lgkmcnt(0)
	v_mul_f32_e32 v4, v2, v4
	ds_write_b32 v3, v4
	v_add_u32_e32 v3, 0x200, v3
	s_andn2_b64 exec, exec, s[8:9]
	s_cbranch_execnz .LBB316_45
.LBB316_46:
	s_or_b64 exec, exec, s[0:1]
	v_mov_b32_e32 v11, 0
	v_and_b32_e32 v34, 3, v16
	v_mov_b32_e32 v10, 0
	v_mov_b32_e32 v13, 0
	;; [unrolled: 1-line block ×15, first 2 shown]
	s_waitcnt lgkmcnt(0)
	s_barrier
	s_and_saveexec_b64 s[8:9], s[2:3]
	s_cbranch_execz .LBB316_84
; %bb.47:
	s_sub_i32 s18, s16, s21
	s_ashr_i32 s0, s61, 31
	s_add_u32 s10, s36, s61
	s_addc_u32 s11, s37, s0
	s_abs_i32 s19, s22
	v_cvt_f32_u32_e32 v0, s19
	v_and_b32_e32 v2, 24, v28
	v_mov_b32_e32 v5, 0
	scratch_store_dword off, v33, off offset:204 ; 4-byte Folded Spill
	scratch_store_dword off, v31, off offset:200 ; 4-byte Folded Spill
	;; [unrolled: 1-line block ×3, first 2 shown]
	v_rcp_iflag_f32_e32 v0, v0
	scratch_store_dword off, v2, off offset:172 ; 4-byte Folded Spill
	v_or_b32_e32 v2, 0x1e00, v28
	v_mov_b32_e32 v3, v5
	v_mul_f32_e32 v0, 0x4f7ffffe, v0
	v_cvt_u32_f32_e32 v0, v0
	s_sub_i32 s0, 0, s19
	scratch_store_dwordx2 off, v[2:3], off offset:184 ; 8-byte Folded Spill
	s_add_i32 s22, s60, -1
	v_mul_lo_u32 v2, s0, v0
	v_mul_hi_u32 v2, v0, v2
	v_add_u32_e32 v0, v0, v2
	s_lshl_b64 s[0:1], s[34:35], 2
	scratch_store_dword off, v0, off offset:168 ; 4-byte Folded Spill
	s_add_u32 s0, s30, s0
	v_lshlrev_b32_e32 v0, 5, v34
	s_waitcnt vmcnt(6)
	v_and_b32_e32 v2, 60, v26
	s_addc_u32 s1, s31, s1
	v_lshl_or_b32 v0, v1, 7, v0
	s_mov_b32 s21, s17
	v_and_b32_e32 v4, 0x1f8, v28
	v_lshl_add_u64 v[30:31], s[0:1], 0, v[2:3]
	v_add_u32_e32 v43, 0x210, v0
	s_mov_b64 s[12:13], 0
	v_mov_b32_e32 v24, v5
	v_mov_b32_e32 v25, v5
	;; [unrolled: 1-line block ×14, first 2 shown]
	scratch_store_dword off, v34, off offset:208 ; 4-byte Folded Spill
	v_mov_b32_e32 v2, v5
	scratch_store_dwordx2 off, v[4:5], off offset:176 ; 8-byte Folded Spill
	scratch_store_dwordx2 off, v[2:3], off offset:160 ; 8-byte Folded Spill
	s_branch .LBB316_50
.LBB316_48:                             ;   in Loop: Header=BB316_50 Depth=1
	s_or_b64 exec, exec, s[16:17]
	v_cvt_pk_bf16_f32 v7, v7, s0
	v_cvt_pk_bf16_f32 v10, v2, s0
	;; [unrolled: 1-line block ×3, first 2 shown]
	v_lshlrev_b32_e32 v2, 16, v7
	v_lshlrev_b32_e32 v3, 16, v80
	v_cvt_pk_bf16_f32 v6, v6, s0
	v_mul_f32_e32 v3, v2, v3
	v_cvt_pk_bf16_f32 v81, v4, s0
	v_cvt_pk_bf16_f32 v82, v5, s0
	;; [unrolled: 1-line block ×3, first 2 shown]
	v_lshlrev_b32_e32 v3, 16, v6
	v_lshlrev_b32_e32 v5, 16, v79
	v_mul_f32_e32 v5, v3, v5
	v_cvt_pk_bf16_f32 v5, v5, s0
	v_cvt_pk_bf16_f32 v9, v9, s0
	v_lshlrev_b32_e32 v5, 16, v5
	v_lshlrev_b32_e32 v4, 16, v4
	v_add_f32_e32 v5, v5, v4
	v_lshlrev_b32_e32 v4, 16, v9
	v_lshlrev_b32_e32 v6, 16, v78
	v_cvt_pk_bf16_f32 v8, v8, s0
	v_mul_f32_e32 v6, v4, v6
	v_cvt_pk_bf16_f32 v7, v6, s0
	v_lshlrev_b32_e32 v6, 16, v8
	v_lshlrev_b32_e32 v8, 16, v77
	v_mul_f32_e32 v8, v6, v8
	v_cvt_pk_bf16_f32 v8, v8, s0
	v_lshlrev_b32_e32 v8, 16, v8
	v_lshlrev_b32_e32 v7, 16, v7
	v_add_f32_e32 v7, v8, v7
	v_add_f32_e32 v7, v7, v5
	v_lshlrev_b32_e32 v5, 16, v11
	v_lshlrev_b32_e32 v8, 16, v76
	v_mul_f32_e32 v8, v5, v8
	v_cvt_pk_bf16_f32 v9, v8, s0
	v_lshlrev_b32_e32 v8, 16, v10
	v_lshlrev_b32_e32 v10, 16, v75
	v_mul_f32_e32 v10, v8, v10
	v_cvt_pk_bf16_f32 v10, v10, s0
	v_lshlrev_b32_e32 v10, 16, v10
	v_lshlrev_b32_e32 v9, 16, v9
	v_add_f32_e32 v9, v10, v9
	v_add_f32_e32 v10, v9, v7
	v_lshlrev_b32_e32 v9, 16, v74
	scratch_load_dwordx2 v[74:75], off, off offset:160 ; 8-byte Folded Reload
	v_lshlrev_b32_e32 v7, 16, v82
	v_mul_f32_e32 v9, v7, v9
	v_cvt_pk_bf16_f32 v11, v9, s0
	v_lshlrev_b32_e32 v9, 16, v81
	v_lshlrev_b32_e32 v73, 16, v73
	v_mul_f32_e32 v73, v9, v73
	v_cvt_pk_bf16_f32 v73, v73, s0
	v_lshlrev_b32_e32 v73, 16, v73
	v_lshlrev_b32_e32 v11, 16, v11
	v_add_f32_e32 v11, v73, v11
	v_add_f32_e32 v10, v11, v10
	v_lshlrev_b32_e32 v11, 16, v71
	v_mul_f32_e32 v11, v3, v11
	v_cvt_pk_bf16_f32 v11, v11, s0
	v_lshlrev_b32_e32 v11, 16, v11
	v_lshlrev_b32_e32 v69, 16, v69
	v_mul_f32_e32 v69, v6, v69
	v_cvt_pk_bf16_f32 v69, v69, s0
	v_lshlrev_b32_e32 v69, 16, v69
	;; [unrolled: 4-line block ×9, first 2 shown]
	v_lshlrev_b32_e32 v49, 16, v49
	v_lshlrev_b32_e32 v51, 16, v51
	v_mul_f32_e32 v50, v7, v50
	v_mul_f32_e32 v49, v9, v49
	v_cvt_pk_bf16_f32 v50, v50, s0
	v_cvt_pk_bf16_f32 v49, v49, s0
	v_lshlrev_b32_e32 v26, 16, v26
	v_mul_f32_e32 v26, v4, v26
	v_cvt_pk_bf16_f32 v26, v26, s0
	v_lshlrev_b32_e32 v38, 16, v38
	v_mul_f32_e32 v38, v8, v38
	v_lshlrev_b32_e32 v26, 16, v26
	v_cvt_pk_bf16_f32 v38, v38, s0
	v_lshlrev_b32_e32 v29, 16, v29
	v_lshlrev_b32_e32 v28, 16, v28
	v_mul_f32_e32 v29, v7, v29
	v_mul_f32_e32 v28, v9, v28
	v_cvt_pk_bf16_f32 v29, v29, s0
	v_cvt_pk_bf16_f32 v28, v28, s0
	v_lshlrev_b32_e32 v0, 16, v0
	v_mul_f32_e32 v0, v2, v0
	v_cvt_pk_bf16_f32 v0, v0, s0
	v_lshlrev_b32_e32 v0, 16, v0
	s_waitcnt vmcnt(0)
	v_add_f32_e32 v74, v74, v10
	v_lshlrev_b32_e32 v10, 16, v72
	v_mul_f32_e32 v10, v2, v10
	v_cvt_pk_bf16_f32 v10, v10, s0
	v_lshlrev_b32_e32 v10, 16, v10
	v_add_f32_e32 v10, v11, v10
	v_lshlrev_b32_e32 v11, 16, v70
	v_mul_f32_e32 v11, v4, v11
	v_cvt_pk_bf16_f32 v11, v11, s0
	v_lshlrev_b32_e32 v11, 16, v11
	v_add_f32_e32 v11, v69, v11
	v_add_f32_e32 v10, v11, v10
	v_lshlrev_b32_e32 v11, 16, v68
	v_mul_f32_e32 v11, v5, v11
	v_cvt_pk_bf16_f32 v11, v11, s0
	v_lshlrev_b32_e32 v11, 16, v11
	v_add_f32_e32 v11, v67, v11
	;; [unrolled: 6-line block ×3, first 2 shown]
	v_add_f32_e32 v10, v11, v10
	v_add_f32_e32 v13, v13, v10
	v_lshlrev_b32_e32 v10, 16, v64
	v_lshlrev_b32_e32 v11, 16, v63
	v_mul_f32_e32 v10, v2, v10
	v_mul_f32_e32 v11, v3, v11
	v_cvt_pk_bf16_f32 v10, v10, s0
	v_cvt_pk_bf16_f32 v11, v11, s0
	v_lshlrev_b32_e32 v11, 16, v11
	v_lshlrev_b32_e32 v10, 16, v10
	v_add_f32_e32 v10, v11, v10
	v_lshlrev_b32_e32 v11, 16, v62
	v_mul_f32_e32 v11, v4, v11
	v_cvt_pk_bf16_f32 v11, v11, s0
	v_lshlrev_b32_e32 v11, 16, v11
	v_add_f32_e32 v11, v61, v11
	v_add_f32_e32 v10, v11, v10
	v_lshlrev_b32_e32 v11, 16, v60
	v_mul_f32_e32 v11, v5, v11
	v_cvt_pk_bf16_f32 v11, v11, s0
	v_lshlrev_b32_e32 v11, 16, v11
	v_add_f32_e32 v11, v59, v11
	v_add_f32_e32 v10, v11, v10
	v_lshlrev_b32_e32 v11, 16, v58
	v_mul_f32_e32 v11, v7, v11
	v_cvt_pk_bf16_f32 v11, v11, s0
	v_lshlrev_b32_e32 v11, 16, v11
	v_add_f32_e32 v11, v57, v11
	v_add_f32_e32 v10, v11, v10
	v_add_f32_e32 v12, v12, v10
	v_lshlrev_b32_e32 v10, 16, v56
	v_lshlrev_b32_e32 v11, 16, v55
	v_mul_f32_e32 v10, v2, v10
	v_mul_f32_e32 v11, v3, v11
	v_cvt_pk_bf16_f32 v10, v10, s0
	v_cvt_pk_bf16_f32 v11, v11, s0
	v_lshlrev_b32_e32 v11, 16, v11
	v_lshlrev_b32_e32 v10, 16, v10
	v_add_f32_e32 v10, v11, v10
	v_lshlrev_b32_e32 v11, 16, v54
	v_mul_f32_e32 v11, v4, v11
	v_cvt_pk_bf16_f32 v11, v11, s0
	v_lshlrev_b32_e32 v11, 16, v11
	v_add_f32_e32 v11, v53, v11
	v_add_f32_e32 v10, v11, v10
	v_lshlrev_b32_e32 v11, 16, v52
	v_mul_f32_e32 v11, v5, v11
	v_cvt_pk_bf16_f32 v11, v11, s0
	v_lshlrev_b32_e32 v11, 16, v11
	v_add_f32_e32 v11, v51, v11
	v_add_f32_e32 v10, v11, v10
	v_lshlrev_b32_e32 v11, 16, v49
	v_lshlrev_b32_e32 v49, 16, v50
	v_add_f32_e32 v11, v11, v49
	v_add_f32_e32 v10, v11, v10
	;; [unrolled: 1-line block ×3, first 2 shown]
	v_lshlrev_b32_e32 v10, 16, v44
	v_lshlrev_b32_e32 v11, 16, v27
	v_mul_f32_e32 v10, v2, v10
	v_mul_f32_e32 v11, v3, v11
	v_lshlrev_b32_e32 v27, 16, v39
	v_cvt_pk_bf16_f32 v10, v10, s0
	v_cvt_pk_bf16_f32 v11, v11, s0
	v_mul_f32_e32 v27, v6, v27
	v_cvt_pk_bf16_f32 v27, v27, s0
	v_lshlrev_b32_e32 v39, 16, v42
	v_lshlrev_b32_e32 v11, 16, v11
	;; [unrolled: 1-line block ×3, first 2 shown]
	v_mul_f32_e32 v39, v5, v39
	v_add_f32_e32 v10, v11, v10
	v_lshlrev_b32_e32 v11, 16, v27
	v_cvt_pk_bf16_f32 v39, v39, s0
	v_add_f32_e32 v11, v11, v26
	v_add_f32_e32 v10, v11, v10
	v_lshlrev_b32_e32 v11, 16, v38
	v_lshlrev_b32_e32 v26, 16, v39
	v_add_f32_e32 v11, v11, v26
	v_add_f32_e32 v10, v11, v10
	v_lshlrev_b32_e32 v11, 16, v28
	v_lshlrev_b32_e32 v26, 16, v29
	v_add_f32_e32 v11, v11, v26
	v_add_f32_e32 v10, v11, v10
	;; [unrolled: 1-line block ×3, first 2 shown]
	v_lshlrev_b32_e32 v10, 16, v41
	v_mul_f32_e32 v10, v3, v10
	v_lshlrev_b32_e32 v11, 16, v37
	v_lshlrev_b32_e32 v26, 16, v40
	v_cvt_pk_bf16_f32 v10, v10, s0
	v_mul_f32_e32 v11, v4, v11
	v_mul_f32_e32 v26, v6, v26
	v_cvt_pk_bf16_f32 v11, v11, s0
	v_cvt_pk_bf16_f32 v26, v26, s0
	v_lshlrev_b32_e32 v27, 16, v127
	v_lshlrev_b32_e32 v28, 16, v126
	v_lshlrev_b32_e32 v10, 16, v10
	v_mul_f32_e32 v27, v5, v27
	v_mul_f32_e32 v28, v8, v28
	v_add_f32_e32 v0, v10, v0
	v_lshlrev_b32_e32 v10, 16, v26
	v_lshlrev_b32_e32 v11, 16, v11
	v_cvt_pk_bf16_f32 v27, v27, s0
	v_cvt_pk_bf16_f32 v28, v28, s0
	v_lshlrev_b32_e32 v29, 16, v125
	v_lshlrev_b32_e32 v37, 16, v124
	v_add_f32_e32 v10, v10, v11
	v_mul_f32_e32 v29, v7, v29
	v_mul_f32_e32 v37, v9, v37
	v_add_f32_e32 v0, v10, v0
	v_lshlrev_b32_e32 v10, 16, v28
	v_lshlrev_b32_e32 v11, 16, v27
	v_cvt_pk_bf16_f32 v29, v29, s0
	v_cvt_pk_bf16_f32 v37, v37, s0
	v_add_f32_e32 v10, v10, v11
	v_add_f32_e32 v0, v10, v0
	v_lshlrev_b32_e32 v10, 16, v37
	v_lshlrev_b32_e32 v11, 16, v29
	v_add_f32_e32 v10, v10, v11
	v_add_f32_e32 v0, v10, v0
	v_add_f32_e32 v17, v17, v0
	v_lshlrev_b32_e32 v0, 16, v123
	v_lshlrev_b32_e32 v10, 16, v122
	v_mul_f32_e32 v0, v2, v0
	v_mul_f32_e32 v10, v3, v10
	v_lshlrev_b32_e32 v11, 16, v121
	v_lshlrev_b32_e32 v26, 16, v120
	v_cvt_pk_bf16_f32 v0, v0, s0
	v_cvt_pk_bf16_f32 v10, v10, s0
	v_mul_f32_e32 v11, v4, v11
	v_mul_f32_e32 v26, v6, v26
	v_cvt_pk_bf16_f32 v11, v11, s0
	v_cvt_pk_bf16_f32 v26, v26, s0
	v_lshlrev_b32_e32 v27, 16, v119
	v_lshlrev_b32_e32 v28, 16, v118
	v_lshlrev_b32_e32 v10, 16, v10
	v_lshlrev_b32_e32 v0, 16, v0
	v_mul_f32_e32 v27, v5, v27
	v_mul_f32_e32 v28, v8, v28
	v_add_f32_e32 v0, v10, v0
	v_lshlrev_b32_e32 v10, 16, v26
	v_lshlrev_b32_e32 v11, 16, v11
	v_cvt_pk_bf16_f32 v27, v27, s0
	v_cvt_pk_bf16_f32 v28, v28, s0
	v_lshlrev_b32_e32 v29, 16, v117
	v_lshlrev_b32_e32 v37, 16, v116
	v_add_f32_e32 v10, v10, v11
	v_mul_f32_e32 v29, v7, v29
	v_mul_f32_e32 v37, v9, v37
	v_add_f32_e32 v0, v10, v0
	v_lshlrev_b32_e32 v10, 16, v28
	v_lshlrev_b32_e32 v11, 16, v27
	v_cvt_pk_bf16_f32 v29, v29, s0
	v_cvt_pk_bf16_f32 v37, v37, s0
	v_add_f32_e32 v10, v10, v11
	v_add_f32_e32 v0, v10, v0
	v_lshlrev_b32_e32 v10, 16, v37
	v_lshlrev_b32_e32 v11, 16, v29
	v_add_f32_e32 v10, v10, v11
	v_add_f32_e32 v0, v10, v0
	v_add_f32_e32 v16, v16, v0
	v_lshlrev_b32_e32 v0, 16, v115
	v_lshlrev_b32_e32 v10, 16, v114
	v_mul_f32_e32 v0, v2, v0
	v_mul_f32_e32 v10, v3, v10
	v_lshlrev_b32_e32 v11, 16, v113
	v_lshlrev_b32_e32 v26, 16, v112
	v_cvt_pk_bf16_f32 v0, v0, s0
	v_cvt_pk_bf16_f32 v10, v10, s0
	v_mul_f32_e32 v11, v4, v11
	v_mul_f32_e32 v26, v6, v26
	v_cvt_pk_bf16_f32 v11, v11, s0
	v_cvt_pk_bf16_f32 v26, v26, s0
	v_lshlrev_b32_e32 v27, 16, v111
	;; [unrolled: 40-line block ×4, first 2 shown]
	v_lshlrev_b32_e32 v28, 16, v90
	v_lshlrev_b32_e32 v10, 16, v10
	;; [unrolled: 1-line block ×3, first 2 shown]
	v_mul_f32_e32 v27, v5, v27
	v_mul_f32_e32 v28, v8, v28
	v_add_f32_e32 v0, v10, v0
	v_lshlrev_b32_e32 v10, 16, v26
	v_lshlrev_b32_e32 v11, 16, v11
	v_cvt_pk_bf16_f32 v27, v27, s0
	v_cvt_pk_bf16_f32 v28, v28, s0
	v_lshlrev_b32_e32 v29, 16, v89
	v_lshlrev_b32_e32 v37, 16, v85
	v_add_f32_e32 v10, v10, v11
	v_mul_f32_e32 v29, v7, v29
	v_mul_f32_e32 v37, v9, v37
	v_add_f32_e32 v0, v10, v0
	v_lshlrev_b32_e32 v10, 16, v28
	v_lshlrev_b32_e32 v11, 16, v27
	v_cvt_pk_bf16_f32 v29, v29, s0
	v_cvt_pk_bf16_f32 v37, v37, s0
	v_add_f32_e32 v10, v10, v11
	v_add_f32_e32 v0, v10, v0
	v_lshlrev_b32_e32 v10, 16, v37
	v_lshlrev_b32_e32 v11, 16, v29
	v_add_f32_e32 v10, v10, v11
	v_add_f32_e32 v0, v10, v0
	v_add_f32_e32 v21, v21, v0
	scratch_load_dword v0, off, off offset:156 ; 4-byte Folded Reload
	scratch_load_dword v10, off, off offset:152 ; 4-byte Folded Reload
	scratch_load_dword v11, off, off offset:148 ; 4-byte Folded Reload
	scratch_load_dword v26, off, off offset:144 ; 4-byte Folded Reload
	scratch_load_dword v27, off, off offset:140 ; 4-byte Folded Reload
	scratch_load_dword v28, off, off offset:136 ; 4-byte Folded Reload
	scratch_load_dword v29, off, off offset:132 ; 4-byte Folded Reload
	scratch_load_dword v37, off, off offset:128 ; 4-byte Folded Reload
	s_waitcnt vmcnt(7)
	v_lshlrev_b32_e32 v0, 16, v0
	s_waitcnt vmcnt(6)
	v_lshlrev_b32_e32 v10, 16, v10
	v_mul_f32_e32 v0, v2, v0
	v_mul_f32_e32 v10, v3, v10
	s_waitcnt vmcnt(5)
	v_lshlrev_b32_e32 v11, 16, v11
	s_waitcnt vmcnt(4)
	v_lshlrev_b32_e32 v26, 16, v26
	v_cvt_pk_bf16_f32 v0, v0, s0
	v_cvt_pk_bf16_f32 v10, v10, s0
	v_mul_f32_e32 v11, v4, v11
	v_mul_f32_e32 v26, v6, v26
	v_cvt_pk_bf16_f32 v11, v11, s0
	v_cvt_pk_bf16_f32 v26, v26, s0
	s_waitcnt vmcnt(3)
	v_lshlrev_b32_e32 v27, 16, v27
	s_waitcnt vmcnt(2)
	v_lshlrev_b32_e32 v28, 16, v28
	v_lshlrev_b32_e32 v10, 16, v10
	v_lshlrev_b32_e32 v0, 16, v0
	v_mul_f32_e32 v27, v5, v27
	v_mul_f32_e32 v28, v8, v28
	v_add_f32_e32 v0, v10, v0
	v_lshlrev_b32_e32 v10, 16, v26
	v_lshlrev_b32_e32 v11, 16, v11
	v_cvt_pk_bf16_f32 v27, v27, s0
	v_cvt_pk_bf16_f32 v28, v28, s0
	s_waitcnt vmcnt(1)
	v_lshlrev_b32_e32 v29, 16, v29
	s_waitcnt vmcnt(0)
	v_lshlrev_b32_e32 v37, 16, v37
	v_add_f32_e32 v10, v10, v11
	v_mul_f32_e32 v29, v7, v29
	v_mul_f32_e32 v37, v9, v37
	v_add_f32_e32 v0, v10, v0
	v_lshlrev_b32_e32 v10, 16, v28
	v_lshlrev_b32_e32 v11, 16, v27
	v_cvt_pk_bf16_f32 v29, v29, s0
	v_cvt_pk_bf16_f32 v37, v37, s0
	v_add_f32_e32 v10, v10, v11
	v_add_f32_e32 v0, v10, v0
	v_lshlrev_b32_e32 v10, 16, v37
	v_lshlrev_b32_e32 v11, 16, v29
	v_add_f32_e32 v10, v10, v11
	v_add_f32_e32 v0, v10, v0
	v_add_f32_e32 v20, v20, v0
	scratch_load_dword v0, off, off offset:124 ; 4-byte Folded Reload
	scratch_load_dword v10, off, off offset:120 ; 4-byte Folded Reload
	scratch_load_dword v11, off, off offset:116 ; 4-byte Folded Reload
	scratch_load_dword v26, off, off offset:112 ; 4-byte Folded Reload
	scratch_load_dword v27, off, off offset:108 ; 4-byte Folded Reload
	scratch_load_dword v28, off, off offset:104 ; 4-byte Folded Reload
	scratch_load_dword v29, off, off offset:100 ; 4-byte Folded Reload
	scratch_load_dword v37, off, off offset:96 ; 4-byte Folded Reload
	s_waitcnt vmcnt(7)
	v_lshlrev_b32_e32 v0, 16, v0
	s_waitcnt vmcnt(6)
	v_lshlrev_b32_e32 v10, 16, v10
	v_mul_f32_e32 v0, v2, v0
	v_mul_f32_e32 v10, v3, v10
	s_waitcnt vmcnt(5)
	v_lshlrev_b32_e32 v11, 16, v11
	s_waitcnt vmcnt(4)
	v_lshlrev_b32_e32 v26, 16, v26
	v_cvt_pk_bf16_f32 v0, v0, s0
	v_cvt_pk_bf16_f32 v10, v10, s0
	v_mul_f32_e32 v11, v4, v11
	v_mul_f32_e32 v26, v6, v26
	v_cvt_pk_bf16_f32 v11, v11, s0
	v_cvt_pk_bf16_f32 v26, v26, s0
	s_waitcnt vmcnt(3)
	v_lshlrev_b32_e32 v27, 16, v27
	s_waitcnt vmcnt(2)
	v_lshlrev_b32_e32 v28, 16, v28
	v_lshlrev_b32_e32 v10, 16, v10
	v_lshlrev_b32_e32 v0, 16, v0
	v_mul_f32_e32 v27, v5, v27
	v_mul_f32_e32 v28, v8, v28
	v_add_f32_e32 v0, v10, v0
	v_lshlrev_b32_e32 v10, 16, v26
	v_lshlrev_b32_e32 v11, 16, v11
	v_cvt_pk_bf16_f32 v27, v27, s0
	v_cvt_pk_bf16_f32 v28, v28, s0
	s_waitcnt vmcnt(1)
	v_lshlrev_b32_e32 v29, 16, v29
	s_waitcnt vmcnt(0)
	;; [unrolled: 56-line block ×4, first 2 shown]
	v_lshlrev_b32_e32 v37, 16, v37
	v_add_f32_e32 v10, v10, v11
	v_mul_f32_e32 v29, v7, v29
	v_mul_f32_e32 v37, v9, v37
	v_add_f32_e32 v0, v10, v0
	v_lshlrev_b32_e32 v10, 16, v28
	v_lshlrev_b32_e32 v11, 16, v27
	v_cvt_pk_bf16_f32 v29, v29, s0
	v_cvt_pk_bf16_f32 v37, v37, s0
	v_add_f32_e32 v10, v10, v11
	v_add_f32_e32 v0, v10, v0
	v_lshlrev_b32_e32 v10, 16, v37
	v_lshlrev_b32_e32 v11, 16, v29
	v_add_f32_e32 v10, v10, v11
	v_add_f32_e32 v0, v10, v0
	;; [unrolled: 1-line block ×3, first 2 shown]
	scratch_load_dword v0, off, off offset:28 ; 4-byte Folded Reload
	scratch_load_dword v10, off, off offset:24 ; 4-byte Folded Reload
	;; [unrolled: 1-line block ×7, first 2 shown]
	scratch_load_dword v37, off, off        ; 4-byte Folded Reload
	s_waitcnt vmcnt(7)
	v_lshlrev_b32_e32 v0, 16, v0
	s_waitcnt vmcnt(6)
	v_lshlrev_b32_e32 v10, 16, v10
	v_mul_f32_e32 v0, v2, v0
	v_mul_f32_e32 v10, v3, v10
	s_waitcnt vmcnt(5)
	v_lshlrev_b32_e32 v11, 16, v11
	s_waitcnt vmcnt(4)
	v_lshlrev_b32_e32 v26, 16, v26
	v_cvt_pk_bf16_f32 v0, v0, s0
	v_cvt_pk_bf16_f32 v10, v10, s0
	v_mul_f32_e32 v11, v4, v11
	v_mul_f32_e32 v26, v6, v26
	v_cvt_pk_bf16_f32 v11, v11, s0
	v_cvt_pk_bf16_f32 v26, v26, s0
	s_waitcnt vmcnt(3)
	v_lshlrev_b32_e32 v27, 16, v27
	s_waitcnt vmcnt(2)
	v_lshlrev_b32_e32 v28, 16, v28
	v_lshlrev_b32_e32 v10, 16, v10
	;; [unrolled: 1-line block ×3, first 2 shown]
	v_mul_f32_e32 v27, v5, v27
	v_mul_f32_e32 v28, v8, v28
	v_add_f32_e32 v0, v10, v0
	v_lshlrev_b32_e32 v10, 16, v26
	v_lshlrev_b32_e32 v11, 16, v11
	v_cvt_pk_bf16_f32 v27, v27, s0
	v_cvt_pk_bf16_f32 v28, v28, s0
	s_waitcnt vmcnt(1)
	v_lshlrev_b32_e32 v29, 16, v29
	s_waitcnt vmcnt(0)
	v_lshlrev_b32_e32 v37, 16, v37
	v_add_f32_e32 v10, v10, v11
	v_mul_f32_e32 v29, v7, v29
	v_mul_f32_e32 v37, v9, v37
	v_add_f32_e32 v0, v10, v0
	v_lshlrev_b32_e32 v10, 16, v28
	v_lshlrev_b32_e32 v11, 16, v27
	v_cvt_pk_bf16_f32 v29, v29, s0
	v_cvt_pk_bf16_f32 v37, v37, s0
	v_add_f32_e32 v10, v10, v11
	v_add_f32_e32 v0, v10, v0
	v_lshlrev_b32_e32 v10, 16, v37
	v_lshlrev_b32_e32 v11, 16, v29
	v_add_f32_e32 v10, v10, v11
	v_add_f32_e32 v0, v10, v0
	;; [unrolled: 1-line block ×3, first 2 shown]
	v_lshlrev_b32_e32 v0, 16, v48
	v_mul_f32_e32 v0, v3, v0
	v_lshlrev_b32_e32 v3, 16, v47
	v_mul_f32_e32 v2, v2, v3
	;; [unrolled: 2-line block ×3, first 2 shown]
	v_cvt_pk_bf16_f32 v6, v3, s0
	v_lshlrev_b32_e32 v3, 16, v45
	v_mul_f32_e32 v3, v4, v3
	v_cvt_pk_bf16_f32 v4, v3, s0
	v_lshlrev_b32_e32 v3, 16, v35
	v_mul_f32_e32 v3, v8, v3
	;; [unrolled: 3-line block ×4, first 2 shown]
	v_cvt_pk_bf16_f32 v9, v3, s0
	v_lshlrev_b32_e32 v3, 16, v32
	v_cvt_pk_bf16_f32 v0, v0, s0
	v_cvt_pk_bf16_f32 v2, v2, s0
	v_mul_f32_e32 v3, v7, v3
	v_cvt_pk_bf16_f32 v11, v3, s0
	v_lshlrev_b32_e32 v3, 16, v2
	v_lshlrev_b32_e32 v5, 16, v0
	;; [unrolled: 1-line block ×4, first 2 shown]
	v_pk_add_f32 v[2:3], v[4:5], v[2:3]
	v_lshlrev_b32_e32 v5, 16, v10
	v_lshlrev_b32_e32 v7, 16, v8
	;; [unrolled: 1-line block ×4, first 2 shown]
	v_pk_add_f32 v[4:5], v[6:7], v[4:5]
	v_add_f32_e32 v0, v2, v3
	v_add_f32_e32 v0, v5, v0
	v_add_f32_e32 v0, v4, v0
	v_add_f32_e32 v75, v75, v0
	scratch_store_dwordx2 off, v[74:75], off offset:160 ; 8-byte Folded Spill
.LBB316_49:                             ;   in Loop: Header=BB316_50 Depth=1
	s_or_b64 exec, exec, s[0:1]
	v_add_u32_e32 v1, 2, v1
	v_cmp_le_i32_e32 vcc, s60, v1
	v_lshl_add_u64 v[30:31], v[30:31], 0, 8
	v_add_u32_e32 v36, 64, v36
	s_or_b64 s[12:13], vcc, s[12:13]
	v_add_u32_e32 v43, 0x100, v43
	s_andn2_b64 exec, exec, s[12:13]
	s_cbranch_execz .LBB316_83
.LBB316_50:                             ; =>This Inner Loop Header: Depth=1
	v_mul_hi_u32 v0, v36, s33
	v_mul_lo_u32 v2, v0, s27
	v_sub_u32_e32 v2, v36, v2
	v_add_u32_e32 v3, 1, v0
	v_cmp_le_u32_e32 vcc, s27, v2
	s_nop 1
	v_cndmask_b32_e32 v0, v0, v3, vcc
	v_subrev_u32_e32 v3, s27, v2
	v_cndmask_b32_e32 v2, v2, v3, vcc
	v_add_u32_e32 v3, 1, v0
	v_cmp_le_u32_e32 vcc, s27, v2
	s_nop 1
	v_cndmask_b32_e32 v0, v0, v3, vcc
	v_xor_b32_e32 v0, s23, v0
	v_subrev_u32_e32 v0, s23, v0
	v_add_u32_e32 v2, s38, v0
	v_sub_u32_e32 v4, 0, v2
	v_ashrrev_i32_e32 v3, 31, v2
	v_max_i32_e32 v2, v2, v4
	scratch_load_dword v4, off, off offset:168 ; 4-byte Folded Reload
	v_cmp_lt_i32_e64 s[0:1], s18, v0
	s_waitcnt vmcnt(0)
	v_mul_hi_u32 v4, v2, v4
	v_mul_lo_u32 v4, v4, s19
	v_sub_u32_e32 v2, v2, v4
	v_subrev_u32_e32 v4, s19, v2
	v_cmp_le_u32_e32 vcc, s19, v2
	s_nop 1
	v_cndmask_b32_e32 v2, v2, v4, vcc
	v_subrev_u32_e32 v4, s19, v2
	v_cmp_le_u32_e32 vcc, s19, v2
	s_nop 1
	v_cndmask_b32_e32 v2, v2, v4, vcc
	v_xor_b32_e32 v2, v2, v3
	v_sub_u32_e32 v2, v2, v3
	v_cmp_eq_u32_e32 vcc, 0, v2
	s_or_b64 s[2:3], vcc, s[0:1]
	s_and_saveexec_b64 s[0:1], s[2:3]
	s_cbranch_execz .LBB316_49
; %bb.51:                               ;   in Loop: Header=BB316_50 Depth=1
	global_load_dword v0, v[30:31], off
	v_mov_b64_e32 v[2:3], s[10:11]
	s_waitcnt vmcnt(0)
	v_mad_i64_i32 v[32:33], s[2:3], v0, s21, v[2:3]
	scratch_load_dwordx2 v[2:3], off, off offset:176 ; 8-byte Folded Reload
	v_cmp_eq_u32_e64 s[2:3], s22, v1
	s_waitcnt vmcnt(0)
	v_lshl_add_u64 v[34:35], v[32:33], 0, v[2:3]
	global_load_dwordx2 v[26:27], v[34:35], off
	scratch_load_dword v0, off, off offset:172 ; 4-byte Folded Reload
	ds_read2_b64 v[6:9], v43 offset1:1
	ds_read2_b64 v[2:5], v43 offset0:2 offset1:3
	s_load_dword s30, s[14:15], 0x0
	s_waitcnt vmcnt(1)
	v_bfe_u32 v28, v26, 8, 8
	s_waitcnt vmcnt(0)
	v_add_u32_e32 v84, v0, v36
	v_and_b32_e32 v0, 0xff, v26
	v_cvt_f32_fp8_e32 v0, v0
	v_bfe_u32 v29, v26, 16, 8
	v_cvt_f32_fp8_e32 v28, v28
	v_lshrrev_b32_e32 v26, 24, v26
	v_cvt_f32_fp8_e32 v29, v29
	v_and_b32_e32 v37, 0xff, v27
	v_cvt_f32_fp8_e32 v26, v26
	v_bfe_u32 v38, v27, 8, 8
	v_cvt_f32_fp8_e32 v37, v37
	s_waitcnt lgkmcnt(0)
	v_mul_f32_e32 v0, s30, v0
	v_bfe_u32 v39, v27, 16, 8
	v_cvt_f32_fp8_e32 v38, v38
	v_mul_f32_e32 v28, s30, v28
	v_cvt_pk_bf16_f32 v0, v0, s0
	v_lshrrev_b32_e32 v27, 24, v27
	v_cvt_f32_fp8_e32 v39, v39
	v_mul_f32_e32 v29, s30, v29
	scratch_store_dword off, v0, off offset:24 ; 4-byte Folded Spill
	v_cvt_pk_bf16_f32 v0, v28, s0
	v_cvt_f32_fp8_e32 v27, v27
	v_mul_f32_e32 v26, s30, v26
	scratch_store_dword off, v0, off offset:28 ; 4-byte Folded Spill
	v_cvt_pk_bf16_f32 v0, v29, s0
	v_mul_f32_e32 v37, s30, v37
	scratch_store_dword off, v0, off offset:16 ; 4-byte Folded Spill
	v_cvt_pk_bf16_f32 v0, v26, s0
	;; [unrolled: 3-line block ×5, first 2 shown]
	v_add_u32_e32 v93, 1, v84
	v_add_u32_e32 v92, 2, v84
	;; [unrolled: 1-line block ×6, first 2 shown]
	scratch_store_dword off, v0, off        ; 4-byte Folded Spill
	v_cvt_pk_bf16_f32 v0, v27, s0
	v_add_u32_e32 v99, 7, v84
	scratch_store_dword off, v0, off offset:4 ; 4-byte Folded Spill
	s_and_saveexec_b64 s[16:17], s[2:3]
	s_cbranch_execz .LBB316_53
; %bb.52:                               ;   in Loop: Header=BB316_50 Depth=1
	scratch_load_dword v0, off, off offset:24 ; 4-byte Folded Reload
	v_cmp_gt_i32_e32 vcc, s25, v84
	s_waitcnt vmcnt(0)
	s_nop 0
	v_cndmask_b32_e32 v0, 0, v0, vcc
	scratch_store_dword off, v0, off offset:24 ; 4-byte Folded Spill
	scratch_load_dword v0, off, off offset:28 ; 4-byte Folded Reload
	v_cmp_gt_i32_e32 vcc, s25, v93
	s_waitcnt vmcnt(0)
	s_nop 0
	v_cndmask_b32_e32 v0, 0, v0, vcc
	scratch_store_dword off, v0, off offset:28 ; 4-byte Folded Spill
	;; [unrolled: 6-line block ×6, first 2 shown]
	scratch_load_dword v0, off, off         ; 4-byte Folded Reload
	v_cmp_gt_i32_e32 vcc, s25, v86
	s_waitcnt vmcnt(0)
	s_nop 0
	v_cndmask_b32_e32 v0, 0, v0, vcc
	scratch_store_dword off, v0, off        ; 4-byte Folded Spill
	scratch_load_dword v0, off, off offset:4 ; 4-byte Folded Reload
	v_cmp_gt_i32_e32 vcc, s25, v99
	s_waitcnt vmcnt(0)
	s_nop 0
	v_cndmask_b32_e32 v0, 0, v0, vcc
	scratch_store_dword off, v0, off offset:4 ; 4-byte Folded Spill
.LBB316_53:                             ;   in Loop: Header=BB316_50 Depth=1
	s_or_b64 exec, exec, s[16:17]
	global_load_dwordx2 v[26:27], v[34:35], off offset:512
	s_waitcnt vmcnt(0)
	v_and_b32_e32 v0, 0xff, v26
	v_bfe_u32 v28, v26, 8, 8
	v_cvt_f32_fp8_e32 v0, v0
	v_bfe_u32 v29, v26, 16, 8
	v_cvt_f32_fp8_e32 v28, v28
	v_lshrrev_b32_e32 v26, 24, v26
	v_cvt_f32_fp8_e32 v29, v29
	v_and_b32_e32 v37, 0xff, v27
	v_cvt_f32_fp8_e32 v26, v26
	v_bfe_u32 v38, v27, 8, 8
	v_cvt_f32_fp8_e32 v37, v37
	v_mul_f32_e32 v0, s30, v0
	v_bfe_u32 v39, v27, 16, 8
	v_cvt_f32_fp8_e32 v38, v38
	v_mul_f32_e32 v28, s30, v28
	v_cvt_pk_bf16_f32 v0, v0, s0
	v_lshrrev_b32_e32 v27, 24, v27
	v_cvt_f32_fp8_e32 v39, v39
	v_mul_f32_e32 v29, s30, v29
	scratch_store_dword off, v0, off offset:56 ; 4-byte Folded Spill
	v_cvt_pk_bf16_f32 v0, v28, s0
	v_cvt_f32_fp8_e32 v27, v27
	v_mul_f32_e32 v26, s30, v26
	scratch_store_dword off, v0, off offset:60 ; 4-byte Folded Spill
	v_cvt_pk_bf16_f32 v0, v29, s0
	v_mul_f32_e32 v37, s30, v37
	scratch_store_dword off, v0, off offset:48 ; 4-byte Folded Spill
	v_cvt_pk_bf16_f32 v0, v26, s0
	;; [unrolled: 3-line block ×5, first 2 shown]
	scratch_store_dword off, v0, off offset:32 ; 4-byte Folded Spill
	v_cvt_pk_bf16_f32 v0, v27, s0
	scratch_store_dword off, v0, off offset:36 ; 4-byte Folded Spill
	s_and_saveexec_b64 s[16:17], s[2:3]
	s_cbranch_execz .LBB316_55
; %bb.54:                               ;   in Loop: Header=BB316_50 Depth=1
	scratch_load_dword v0, off, off offset:56 ; 4-byte Folded Reload
	v_cmp_gt_i32_e32 vcc, s25, v84
	s_waitcnt vmcnt(0)
	s_nop 0
	v_cndmask_b32_e32 v0, 0, v0, vcc
	scratch_store_dword off, v0, off offset:56 ; 4-byte Folded Spill
	scratch_load_dword v0, off, off offset:60 ; 4-byte Folded Reload
	v_cmp_gt_i32_e32 vcc, s25, v93
	s_waitcnt vmcnt(0)
	s_nop 0
	v_cndmask_b32_e32 v0, 0, v0, vcc
	scratch_store_dword off, v0, off offset:60 ; 4-byte Folded Spill
	;; [unrolled: 6-line block ×8, first 2 shown]
.LBB316_55:                             ;   in Loop: Header=BB316_50 Depth=1
	s_or_b64 exec, exec, s[16:17]
	global_load_dwordx2 v[26:27], v[34:35], off offset:1024
	s_waitcnt vmcnt(0)
	v_and_b32_e32 v0, 0xff, v26
	v_bfe_u32 v28, v26, 8, 8
	v_cvt_f32_fp8_e32 v0, v0
	v_bfe_u32 v29, v26, 16, 8
	v_cvt_f32_fp8_e32 v28, v28
	v_lshrrev_b32_e32 v26, 24, v26
	v_cvt_f32_fp8_e32 v29, v29
	v_and_b32_e32 v37, 0xff, v27
	v_cvt_f32_fp8_e32 v26, v26
	v_bfe_u32 v38, v27, 8, 8
	v_cvt_f32_fp8_e32 v37, v37
	v_mul_f32_e32 v0, s30, v0
	v_bfe_u32 v39, v27, 16, 8
	v_cvt_f32_fp8_e32 v38, v38
	v_mul_f32_e32 v28, s30, v28
	v_cvt_pk_bf16_f32 v0, v0, s0
	v_lshrrev_b32_e32 v27, 24, v27
	v_cvt_f32_fp8_e32 v39, v39
	v_mul_f32_e32 v29, s30, v29
	scratch_store_dword off, v0, off offset:88 ; 4-byte Folded Spill
	v_cvt_pk_bf16_f32 v0, v28, s0
	v_cvt_f32_fp8_e32 v27, v27
	v_mul_f32_e32 v26, s30, v26
	scratch_store_dword off, v0, off offset:92 ; 4-byte Folded Spill
	v_cvt_pk_bf16_f32 v0, v29, s0
	v_mul_f32_e32 v37, s30, v37
	scratch_store_dword off, v0, off offset:80 ; 4-byte Folded Spill
	v_cvt_pk_bf16_f32 v0, v26, s0
	;; [unrolled: 3-line block ×5, first 2 shown]
	scratch_store_dword off, v0, off offset:64 ; 4-byte Folded Spill
	v_cvt_pk_bf16_f32 v0, v27, s0
	scratch_store_dword off, v0, off offset:68 ; 4-byte Folded Spill
	s_and_saveexec_b64 s[16:17], s[2:3]
	s_cbranch_execz .LBB316_57
; %bb.56:                               ;   in Loop: Header=BB316_50 Depth=1
	scratch_load_dword v0, off, off offset:88 ; 4-byte Folded Reload
	v_cmp_gt_i32_e32 vcc, s25, v84
	s_waitcnt vmcnt(0)
	s_nop 0
	v_cndmask_b32_e32 v0, 0, v0, vcc
	scratch_store_dword off, v0, off offset:88 ; 4-byte Folded Spill
	scratch_load_dword v0, off, off offset:92 ; 4-byte Folded Reload
	v_cmp_gt_i32_e32 vcc, s25, v93
	s_waitcnt vmcnt(0)
	s_nop 0
	v_cndmask_b32_e32 v0, 0, v0, vcc
	scratch_store_dword off, v0, off offset:92 ; 4-byte Folded Spill
	;; [unrolled: 6-line block ×8, first 2 shown]
.LBB316_57:                             ;   in Loop: Header=BB316_50 Depth=1
	s_or_b64 exec, exec, s[16:17]
	global_load_dwordx2 v[26:27], v[34:35], off offset:1536
	s_waitcnt vmcnt(0)
	v_and_b32_e32 v0, 0xff, v26
	v_bfe_u32 v28, v26, 8, 8
	v_cvt_f32_fp8_e32 v0, v0
	v_bfe_u32 v29, v26, 16, 8
	v_cvt_f32_fp8_e32 v28, v28
	v_lshrrev_b32_e32 v26, 24, v26
	v_cvt_f32_fp8_e32 v29, v29
	v_and_b32_e32 v37, 0xff, v27
	v_cvt_f32_fp8_e32 v26, v26
	v_bfe_u32 v38, v27, 8, 8
	v_cvt_f32_fp8_e32 v37, v37
	v_mul_f32_e32 v0, s30, v0
	v_bfe_u32 v39, v27, 16, 8
	v_cvt_f32_fp8_e32 v38, v38
	v_mul_f32_e32 v28, s30, v28
	v_cvt_pk_bf16_f32 v0, v0, s0
	v_lshrrev_b32_e32 v27, 24, v27
	v_cvt_f32_fp8_e32 v39, v39
	v_mul_f32_e32 v29, s30, v29
	scratch_store_dword off, v0, off offset:120 ; 4-byte Folded Spill
	v_cvt_pk_bf16_f32 v0, v28, s0
	v_cvt_f32_fp8_e32 v27, v27
	v_mul_f32_e32 v26, s30, v26
	scratch_store_dword off, v0, off offset:124 ; 4-byte Folded Spill
	v_cvt_pk_bf16_f32 v0, v29, s0
	v_mul_f32_e32 v37, s30, v37
	scratch_store_dword off, v0, off offset:112 ; 4-byte Folded Spill
	v_cvt_pk_bf16_f32 v0, v26, s0
	;; [unrolled: 3-line block ×5, first 2 shown]
	scratch_store_dword off, v0, off offset:96 ; 4-byte Folded Spill
	v_cvt_pk_bf16_f32 v0, v27, s0
	scratch_store_dword off, v0, off offset:100 ; 4-byte Folded Spill
	s_and_saveexec_b64 s[16:17], s[2:3]
	s_cbranch_execz .LBB316_59
; %bb.58:                               ;   in Loop: Header=BB316_50 Depth=1
	scratch_load_dword v0, off, off offset:120 ; 4-byte Folded Reload
	v_cmp_gt_i32_e32 vcc, s25, v84
	s_waitcnt vmcnt(0)
	s_nop 0
	v_cndmask_b32_e32 v0, 0, v0, vcc
	scratch_store_dword off, v0, off offset:120 ; 4-byte Folded Spill
	scratch_load_dword v0, off, off offset:124 ; 4-byte Folded Reload
	v_cmp_gt_i32_e32 vcc, s25, v93
	s_waitcnt vmcnt(0)
	s_nop 0
	v_cndmask_b32_e32 v0, 0, v0, vcc
	scratch_store_dword off, v0, off offset:124 ; 4-byte Folded Spill
	;; [unrolled: 6-line block ×8, first 2 shown]
.LBB316_59:                             ;   in Loop: Header=BB316_50 Depth=1
	s_or_b64 exec, exec, s[16:17]
	global_load_dwordx2 v[26:27], v[34:35], off offset:2048
	s_waitcnt vmcnt(0)
	v_and_b32_e32 v0, 0xff, v26
	v_bfe_u32 v28, v26, 8, 8
	v_cvt_f32_fp8_e32 v0, v0
	v_bfe_u32 v29, v26, 16, 8
	v_cvt_f32_fp8_e32 v28, v28
	v_lshrrev_b32_e32 v26, 24, v26
	v_cvt_f32_fp8_e32 v29, v29
	v_and_b32_e32 v37, 0xff, v27
	v_cvt_f32_fp8_e32 v26, v26
	v_bfe_u32 v38, v27, 8, 8
	v_cvt_f32_fp8_e32 v37, v37
	v_mul_f32_e32 v0, s30, v0
	v_bfe_u32 v39, v27, 16, 8
	v_cvt_f32_fp8_e32 v38, v38
	v_mul_f32_e32 v28, s30, v28
	v_cvt_pk_bf16_f32 v0, v0, s0
	v_lshrrev_b32_e32 v27, 24, v27
	v_cvt_f32_fp8_e32 v39, v39
	v_mul_f32_e32 v29, s30, v29
	scratch_store_dword off, v0, off offset:152 ; 4-byte Folded Spill
	v_cvt_pk_bf16_f32 v0, v28, s0
	v_cvt_f32_fp8_e32 v27, v27
	v_mul_f32_e32 v26, s30, v26
	scratch_store_dword off, v0, off offset:156 ; 4-byte Folded Spill
	v_cvt_pk_bf16_f32 v0, v29, s0
	v_mul_f32_e32 v37, s30, v37
	scratch_store_dword off, v0, off offset:144 ; 4-byte Folded Spill
	v_cvt_pk_bf16_f32 v0, v26, s0
	;; [unrolled: 3-line block ×5, first 2 shown]
	scratch_store_dword off, v0, off offset:128 ; 4-byte Folded Spill
	v_cvt_pk_bf16_f32 v0, v27, s0
	scratch_store_dword off, v0, off offset:132 ; 4-byte Folded Spill
	s_and_saveexec_b64 s[16:17], s[2:3]
	s_cbranch_execz .LBB316_61
; %bb.60:                               ;   in Loop: Header=BB316_50 Depth=1
	scratch_load_dword v0, off, off offset:152 ; 4-byte Folded Reload
	v_cmp_gt_i32_e32 vcc, s25, v84
	s_waitcnt vmcnt(0)
	s_nop 0
	v_cndmask_b32_e32 v0, 0, v0, vcc
	scratch_store_dword off, v0, off offset:152 ; 4-byte Folded Spill
	scratch_load_dword v0, off, off offset:156 ; 4-byte Folded Reload
	v_cmp_gt_i32_e32 vcc, s25, v93
	s_waitcnt vmcnt(0)
	s_nop 0
	v_cndmask_b32_e32 v0, 0, v0, vcc
	scratch_store_dword off, v0, off offset:156 ; 4-byte Folded Spill
	;; [unrolled: 6-line block ×8, first 2 shown]
.LBB316_61:                             ;   in Loop: Header=BB316_50 Depth=1
	s_or_b64 exec, exec, s[16:17]
	global_load_dwordx2 v[26:27], v[34:35], off offset:2560
	s_waitcnt vmcnt(0)
	v_and_b32_e32 v0, 0xff, v26
	v_bfe_u32 v28, v26, 8, 8
	v_bfe_u32 v29, v26, 16, 8
	v_lshrrev_b32_e32 v26, 24, v26
	v_and_b32_e32 v37, 0xff, v27
	v_bfe_u32 v38, v27, 8, 8
	v_bfe_u32 v39, v27, 16, 8
	v_lshrrev_b32_e32 v27, 24, v27
	v_cvt_f32_fp8_e32 v0, v0
	v_cvt_f32_fp8_e32 v28, v28
	v_cvt_f32_fp8_e32 v29, v29
	v_cvt_f32_fp8_e32 v26, v26
	v_cvt_f32_fp8_e32 v37, v37
	v_cvt_f32_fp8_e32 v38, v38
	v_cvt_f32_fp8_e32 v39, v39
	v_cvt_f32_fp8_e32 v27, v27
	v_mul_f32_e32 v0, s30, v0
	v_mul_f32_e32 v28, s30, v28
	v_mul_f32_e32 v29, s30, v29
	v_mul_f32_e32 v26, s30, v26
	v_mul_f32_e32 v37, s30, v37
	v_mul_f32_e32 v38, s30, v38
	v_mul_f32_e32 v39, s30, v39
	v_mul_f32_e32 v27, s30, v27
	v_cvt_pk_bf16_f32 v97, v0, s0
	v_cvt_pk_bf16_f32 v98, v28, s0
	v_cvt_pk_bf16_f32 v95, v29, s0
	v_cvt_pk_bf16_f32 v96, v26, s0
	v_cvt_pk_bf16_f32 v90, v37, s0
	v_cvt_pk_bf16_f32 v94, v38, s0
	v_cvt_pk_bf16_f32 v85, v39, s0
	v_cvt_pk_bf16_f32 v89, v27, s0
	s_and_saveexec_b64 s[16:17], s[2:3]
	s_cbranch_execz .LBB316_63
; %bb.62:                               ;   in Loop: Header=BB316_50 Depth=1
	v_cmp_gt_i32_e32 vcc, s25, v84
	s_nop 1
	v_cndmask_b32_e32 v97, 0, v97, vcc
	v_cmp_gt_i32_e32 vcc, s25, v93
	s_nop 1
	v_cndmask_b32_e32 v98, 0, v98, vcc
	v_cmp_gt_i32_e32 vcc, s25, v92
	s_nop 1
	v_cndmask_b32_e32 v95, 0, v95, vcc
	v_cmp_gt_i32_e32 vcc, s25, v91
	s_nop 1
	v_cndmask_b32_e32 v96, 0, v96, vcc
	v_cmp_gt_i32_e32 vcc, s25, v88
	s_nop 1
	v_cndmask_b32_e32 v90, 0, v90, vcc
	v_cmp_gt_i32_e32 vcc, s25, v87
	s_nop 1
	v_cndmask_b32_e32 v94, 0, v94, vcc
	v_cmp_gt_i32_e32 vcc, s25, v86
	s_nop 1
	v_cndmask_b32_e32 v85, 0, v85, vcc
	v_cmp_gt_i32_e32 vcc, s25, v99
	s_nop 1
	v_cndmask_b32_e32 v89, 0, v89, vcc
.LBB316_63:                             ;   in Loop: Header=BB316_50 Depth=1
	s_or_b64 exec, exec, s[16:17]
	global_load_dwordx2 v[26:27], v[34:35], off offset:3072
	s_waitcnt vmcnt(0)
	v_and_b32_e32 v0, 0xff, v26
	v_bfe_u32 v28, v26, 8, 8
	v_bfe_u32 v29, v26, 16, 8
	v_lshrrev_b32_e32 v26, 24, v26
	v_and_b32_e32 v37, 0xff, v27
	v_bfe_u32 v38, v27, 8, 8
	v_bfe_u32 v39, v27, 16, 8
	v_lshrrev_b32_e32 v27, 24, v27
	v_cvt_f32_fp8_e32 v0, v0
	v_cvt_f32_fp8_e32 v28, v28
	v_cvt_f32_fp8_e32 v29, v29
	v_cvt_f32_fp8_e32 v26, v26
	v_cvt_f32_fp8_e32 v37, v37
	v_cvt_f32_fp8_e32 v38, v38
	v_cvt_f32_fp8_e32 v39, v39
	v_cvt_f32_fp8_e32 v27, v27
	v_mul_f32_e32 v0, s30, v0
	v_mul_f32_e32 v28, s30, v28
	v_mul_f32_e32 v29, s30, v29
	v_mul_f32_e32 v26, s30, v26
	v_mul_f32_e32 v37, s30, v37
	v_mul_f32_e32 v38, s30, v38
	v_mul_f32_e32 v39, s30, v39
	v_mul_f32_e32 v27, s30, v27
	v_cvt_pk_bf16_f32 v106, v0, s0
	v_cvt_pk_bf16_f32 v107, v28, s0
	v_cvt_pk_bf16_f32 v104, v29, s0
	v_cvt_pk_bf16_f32 v105, v26, s0
	v_cvt_pk_bf16_f32 v102, v37, s0
	v_cvt_pk_bf16_f32 v103, v38, s0
	v_cvt_pk_bf16_f32 v100, v39, s0
	v_cvt_pk_bf16_f32 v101, v27, s0
	s_and_saveexec_b64 s[16:17], s[2:3]
	s_cbranch_execz .LBB316_65
; %bb.64:                               ;   in Loop: Header=BB316_50 Depth=1
	v_cmp_gt_i32_e32 vcc, s25, v84
	s_nop 1
	v_cndmask_b32_e32 v106, 0, v106, vcc
	v_cmp_gt_i32_e32 vcc, s25, v93
	s_nop 1
	v_cndmask_b32_e32 v107, 0, v107, vcc
	v_cmp_gt_i32_e32 vcc, s25, v92
	s_nop 1
	v_cndmask_b32_e32 v104, 0, v104, vcc
	v_cmp_gt_i32_e32 vcc, s25, v91
	s_nop 1
	v_cndmask_b32_e32 v105, 0, v105, vcc
	v_cmp_gt_i32_e32 vcc, s25, v88
	s_nop 1
	v_cndmask_b32_e32 v102, 0, v102, vcc
	v_cmp_gt_i32_e32 vcc, s25, v87
	s_nop 1
	v_cndmask_b32_e32 v103, 0, v103, vcc
	v_cmp_gt_i32_e32 vcc, s25, v86
	s_nop 1
	v_cndmask_b32_e32 v100, 0, v100, vcc
	v_cmp_gt_i32_e32 vcc, s25, v99
	s_nop 1
	v_cndmask_b32_e32 v101, 0, v101, vcc
.LBB316_65:                             ;   in Loop: Header=BB316_50 Depth=1
	s_or_b64 exec, exec, s[16:17]
	global_load_dwordx2 v[26:27], v[34:35], off offset:3584
	s_waitcnt vmcnt(0)
	v_and_b32_e32 v0, 0xff, v26
	v_bfe_u32 v28, v26, 8, 8
	v_bfe_u32 v29, v26, 16, 8
	v_lshrrev_b32_e32 v26, 24, v26
	v_and_b32_e32 v37, 0xff, v27
	v_bfe_u32 v38, v27, 8, 8
	v_bfe_u32 v39, v27, 16, 8
	v_lshrrev_b32_e32 v27, 24, v27
	v_cvt_f32_fp8_e32 v0, v0
	v_cvt_f32_fp8_e32 v28, v28
	v_cvt_f32_fp8_e32 v29, v29
	v_cvt_f32_fp8_e32 v26, v26
	v_cvt_f32_fp8_e32 v37, v37
	v_cvt_f32_fp8_e32 v38, v38
	v_cvt_f32_fp8_e32 v39, v39
	v_cvt_f32_fp8_e32 v27, v27
	v_mul_f32_e32 v0, s30, v0
	v_mul_f32_e32 v28, s30, v28
	v_mul_f32_e32 v29, s30, v29
	v_mul_f32_e32 v26, s30, v26
	v_mul_f32_e32 v37, s30, v37
	v_mul_f32_e32 v38, s30, v38
	v_mul_f32_e32 v39, s30, v39
	v_mul_f32_e32 v27, s30, v27
	v_cvt_pk_bf16_f32 v114, v0, s0
	v_cvt_pk_bf16_f32 v115, v28, s0
	v_cvt_pk_bf16_f32 v112, v29, s0
	v_cvt_pk_bf16_f32 v113, v26, s0
	v_cvt_pk_bf16_f32 v110, v37, s0
	v_cvt_pk_bf16_f32 v111, v38, s0
	v_cvt_pk_bf16_f32 v108, v39, s0
	v_cvt_pk_bf16_f32 v109, v27, s0
	s_and_saveexec_b64 s[16:17], s[2:3]
	s_cbranch_execz .LBB316_67
; %bb.66:                               ;   in Loop: Header=BB316_50 Depth=1
	v_cmp_gt_i32_e32 vcc, s25, v84
	s_nop 1
	v_cndmask_b32_e32 v114, 0, v114, vcc
	v_cmp_gt_i32_e32 vcc, s25, v93
	s_nop 1
	v_cndmask_b32_e32 v115, 0, v115, vcc
	v_cmp_gt_i32_e32 vcc, s25, v92
	s_nop 1
	v_cndmask_b32_e32 v112, 0, v112, vcc
	v_cmp_gt_i32_e32 vcc, s25, v91
	s_nop 1
	v_cndmask_b32_e32 v113, 0, v113, vcc
	v_cmp_gt_i32_e32 vcc, s25, v88
	s_nop 1
	v_cndmask_b32_e32 v110, 0, v110, vcc
	v_cmp_gt_i32_e32 vcc, s25, v87
	s_nop 1
	v_cndmask_b32_e32 v111, 0, v111, vcc
	v_cmp_gt_i32_e32 vcc, s25, v86
	s_nop 1
	v_cndmask_b32_e32 v108, 0, v108, vcc
	v_cmp_gt_i32_e32 vcc, s25, v99
	s_nop 1
	v_cndmask_b32_e32 v109, 0, v109, vcc
.LBB316_67:                             ;   in Loop: Header=BB316_50 Depth=1
	s_or_b64 exec, exec, s[16:17]
	v_add_co_u32_e32 v26, vcc, 0x1000, v34
	s_nop 1
	v_addc_co_u32_e32 v27, vcc, 0, v35, vcc
	global_load_dwordx2 v[26:27], v[26:27], off
	s_waitcnt vmcnt(0)
	v_and_b32_e32 v0, 0xff, v26
	v_bfe_u32 v28, v26, 8, 8
	v_bfe_u32 v29, v26, 16, 8
	v_lshrrev_b32_e32 v26, 24, v26
	v_and_b32_e32 v37, 0xff, v27
	v_bfe_u32 v38, v27, 8, 8
	v_bfe_u32 v39, v27, 16, 8
	v_lshrrev_b32_e32 v27, 24, v27
	v_cvt_f32_fp8_e32 v0, v0
	v_cvt_f32_fp8_e32 v28, v28
	;; [unrolled: 1-line block ×8, first 2 shown]
	v_mul_f32_e32 v0, s30, v0
	v_mul_f32_e32 v28, s30, v28
	;; [unrolled: 1-line block ×8, first 2 shown]
	v_cvt_pk_bf16_f32 v122, v0, s0
	v_cvt_pk_bf16_f32 v123, v28, s0
	v_cvt_pk_bf16_f32 v120, v29, s0
	v_cvt_pk_bf16_f32 v121, v26, s0
	v_cvt_pk_bf16_f32 v118, v37, s0
	v_cvt_pk_bf16_f32 v119, v38, s0
	v_cvt_pk_bf16_f32 v116, v39, s0
	v_cvt_pk_bf16_f32 v117, v27, s0
	s_and_saveexec_b64 s[16:17], s[2:3]
	s_cbranch_execz .LBB316_69
; %bb.68:                               ;   in Loop: Header=BB316_50 Depth=1
	v_cmp_gt_i32_e32 vcc, s25, v84
	s_nop 1
	v_cndmask_b32_e32 v122, 0, v122, vcc
	v_cmp_gt_i32_e32 vcc, s25, v93
	s_nop 1
	v_cndmask_b32_e32 v123, 0, v123, vcc
	;; [unrolled: 3-line block ×8, first 2 shown]
.LBB316_69:                             ;   in Loop: Header=BB316_50 Depth=1
	s_or_b64 exec, exec, s[16:17]
	v_add_co_u32_e32 v26, vcc, 0x1000, v34
	s_nop 1
	v_addc_co_u32_e32 v27, vcc, 0, v35, vcc
	global_load_dwordx2 v[26:27], v[26:27], off offset:512
	s_waitcnt vmcnt(0)
	v_and_b32_e32 v0, 0xff, v26
	v_bfe_u32 v28, v26, 8, 8
	v_bfe_u32 v29, v26, 16, 8
	v_lshrrev_b32_e32 v26, 24, v26
	v_and_b32_e32 v37, 0xff, v27
	v_bfe_u32 v38, v27, 8, 8
	v_bfe_u32 v39, v27, 16, 8
	v_lshrrev_b32_e32 v27, 24, v27
	v_cvt_f32_fp8_e32 v0, v0
	v_cvt_f32_fp8_e32 v28, v28
	;; [unrolled: 1-line block ×8, first 2 shown]
	v_mul_f32_e32 v0, s30, v0
	v_mul_f32_e32 v28, s30, v28
	;; [unrolled: 1-line block ×8, first 2 shown]
	v_cvt_pk_bf16_f32 v41, v0, s0
	v_cvt_pk_bf16_f32 v0, v28, s0
	;; [unrolled: 1-line block ×8, first 2 shown]
	s_and_saveexec_b64 s[16:17], s[2:3]
	s_cbranch_execz .LBB316_71
; %bb.70:                               ;   in Loop: Header=BB316_50 Depth=1
	v_cmp_gt_i32_e32 vcc, s25, v84
	s_nop 1
	v_cndmask_b32_e32 v41, 0, v41, vcc
	v_cmp_gt_i32_e32 vcc, s25, v93
	s_nop 1
	v_cndmask_b32_e32 v0, 0, v0, vcc
	;; [unrolled: 3-line block ×8, first 2 shown]
.LBB316_71:                             ;   in Loop: Header=BB316_50 Depth=1
	s_or_b64 exec, exec, s[16:17]
	v_add_co_u32_e32 v26, vcc, 0x1000, v34
	s_nop 1
	v_addc_co_u32_e32 v27, vcc, 0, v35, vcc
	global_load_dwordx2 v[26:27], v[26:27], off offset:1024
	s_waitcnt vmcnt(0)
	v_and_b32_e32 v28, 0xff, v26
	v_bfe_u32 v29, v26, 8, 8
	v_bfe_u32 v38, v26, 16, 8
	v_lshrrev_b32_e32 v26, 24, v26
	v_and_b32_e32 v39, 0xff, v27
	v_bfe_u32 v42, v27, 8, 8
	v_bfe_u32 v44, v27, 16, 8
	v_lshrrev_b32_e32 v27, 24, v27
	v_cvt_f32_fp8_e32 v28, v28
	v_cvt_f32_fp8_e32 v29, v29
	;; [unrolled: 1-line block ×8, first 2 shown]
	v_mul_f32_e32 v28, s30, v28
	v_mul_f32_e32 v29, s30, v29
	;; [unrolled: 1-line block ×8, first 2 shown]
	v_cvt_pk_bf16_f32 v27, v28, s0
	v_cvt_pk_bf16_f32 v44, v29, s0
	;; [unrolled: 1-line block ×8, first 2 shown]
	s_and_saveexec_b64 s[16:17], s[2:3]
	s_cbranch_execz .LBB316_73
; %bb.72:                               ;   in Loop: Header=BB316_50 Depth=1
	v_cmp_gt_i32_e32 vcc, s25, v84
	s_nop 1
	v_cndmask_b32_e32 v27, 0, v27, vcc
	v_cmp_gt_i32_e32 vcc, s25, v93
	s_nop 1
	v_cndmask_b32_e32 v44, 0, v44, vcc
	v_cmp_gt_i32_e32 vcc, s25, v92
	s_nop 1
	v_cndmask_b32_e32 v39, 0, v39, vcc
	v_cmp_gt_i32_e32 vcc, s25, v91
	s_nop 1
	v_cndmask_b32_e32 v26, 0, v26, vcc
	v_cmp_gt_i32_e32 vcc, s25, v88
	s_nop 1
	v_cndmask_b32_e32 v38, 0, v38, vcc
	v_cmp_gt_i32_e32 vcc, s25, v87
	s_nop 1
	v_cndmask_b32_e32 v42, 0, v42, vcc
	v_cmp_gt_i32_e32 vcc, s25, v86
	s_nop 1
	v_cndmask_b32_e32 v28, 0, v28, vcc
	v_cmp_gt_i32_e32 vcc, s25, v99
	s_nop 1
	v_cndmask_b32_e32 v29, 0, v29, vcc
.LBB316_73:                             ;   in Loop: Header=BB316_50 Depth=1
	s_or_b64 exec, exec, s[16:17]
	v_add_co_u32_e32 v46, vcc, 0x1000, v34
	s_nop 1
	v_addc_co_u32_e32 v47, vcc, 0, v35, vcc
	global_load_dwordx2 v[46:47], v[46:47], off offset:1536
	s_waitcnt vmcnt(0)
	v_and_b32_e32 v45, 0xff, v46
	v_bfe_u32 v48, v46, 8, 8
	v_bfe_u32 v49, v46, 16, 8
	v_lshrrev_b32_e32 v46, 24, v46
	v_and_b32_e32 v50, 0xff, v47
	v_bfe_u32 v51, v47, 8, 8
	v_bfe_u32 v52, v47, 16, 8
	v_lshrrev_b32_e32 v47, 24, v47
	v_cvt_f32_fp8_e32 v45, v45
	v_cvt_f32_fp8_e32 v48, v48
	;; [unrolled: 1-line block ×8, first 2 shown]
	v_mul_f32_e32 v45, s30, v45
	v_mul_f32_e32 v48, s30, v48
	v_mul_f32_e32 v49, s30, v49
	v_mul_f32_e32 v46, s30, v46
	v_mul_f32_e32 v50, s30, v50
	v_mul_f32_e32 v57, s30, v51
	v_mul_f32_e32 v58, s30, v52
	v_mul_f32_e32 v47, s30, v47
	v_cvt_pk_bf16_f32 v55, v45, s0
	v_cvt_pk_bf16_f32 v56, v48, s0
	;; [unrolled: 1-line block ×8, first 2 shown]
	s_and_saveexec_b64 s[16:17], s[2:3]
	s_cbranch_execz .LBB316_75
; %bb.74:                               ;   in Loop: Header=BB316_50 Depth=1
	v_cmp_gt_i32_e32 vcc, s25, v84
	s_nop 1
	v_cndmask_b32_e32 v55, 0, v55, vcc
	v_cmp_gt_i32_e32 vcc, s25, v93
	s_nop 1
	v_cndmask_b32_e32 v56, 0, v56, vcc
	;; [unrolled: 3-line block ×8, first 2 shown]
.LBB316_75:                             ;   in Loop: Header=BB316_50 Depth=1
	s_or_b64 exec, exec, s[16:17]
	v_add_co_u32_e32 v46, vcc, 0x1000, v34
	s_nop 1
	v_addc_co_u32_e32 v47, vcc, 0, v35, vcc
	global_load_dwordx2 v[46:47], v[46:47], off offset:2048
	s_waitcnt vmcnt(0)
	v_and_b32_e32 v45, 0xff, v46
	v_bfe_u32 v48, v46, 8, 8
	v_bfe_u32 v57, v46, 16, 8
	v_lshrrev_b32_e32 v46, 24, v46
	v_and_b32_e32 v58, 0xff, v47
	v_bfe_u32 v59, v47, 8, 8
	v_bfe_u32 v60, v47, 16, 8
	v_lshrrev_b32_e32 v47, 24, v47
	v_cvt_f32_fp8_e32 v45, v45
	v_cvt_f32_fp8_e32 v48, v48
	;; [unrolled: 1-line block ×8, first 2 shown]
	v_mul_f32_e32 v45, s30, v45
	v_mul_f32_e32 v48, s30, v48
	;; [unrolled: 1-line block ×8, first 2 shown]
	v_cvt_pk_bf16_f32 v63, v45, s0
	v_cvt_pk_bf16_f32 v64, v48, s0
	;; [unrolled: 1-line block ×8, first 2 shown]
	s_and_saveexec_b64 s[16:17], s[2:3]
	s_cbranch_execz .LBB316_77
; %bb.76:                               ;   in Loop: Header=BB316_50 Depth=1
	v_cmp_gt_i32_e32 vcc, s25, v84
	s_nop 1
	v_cndmask_b32_e32 v63, 0, v63, vcc
	v_cmp_gt_i32_e32 vcc, s25, v93
	s_nop 1
	v_cndmask_b32_e32 v64, 0, v64, vcc
	;; [unrolled: 3-line block ×8, first 2 shown]
.LBB316_77:                             ;   in Loop: Header=BB316_50 Depth=1
	s_or_b64 exec, exec, s[16:17]
	v_add_co_u32_e32 v46, vcc, 0x1000, v34
	s_nop 1
	v_addc_co_u32_e32 v47, vcc, 0, v35, vcc
	global_load_dwordx2 v[46:47], v[46:47], off offset:2560
	s_waitcnt vmcnt(0)
	v_and_b32_e32 v45, 0xff, v46
	v_bfe_u32 v48, v46, 8, 8
	v_bfe_u32 v65, v46, 16, 8
	v_lshrrev_b32_e32 v46, 24, v46
	v_and_b32_e32 v66, 0xff, v47
	v_bfe_u32 v67, v47, 8, 8
	v_bfe_u32 v68, v47, 16, 8
	v_lshrrev_b32_e32 v47, 24, v47
	v_cvt_f32_fp8_e32 v45, v45
	v_cvt_f32_fp8_e32 v48, v48
	;; [unrolled: 1-line block ×8, first 2 shown]
	v_mul_f32_e32 v45, s30, v45
	v_mul_f32_e32 v48, s30, v48
	v_mul_f32_e32 v65, s30, v65
	v_mul_f32_e32 v46, s30, v46
	v_mul_f32_e32 v66, s30, v66
	v_mul_f32_e32 v73, s30, v67
	v_mul_f32_e32 v74, s30, v68
	v_mul_f32_e32 v47, s30, v47
	v_cvt_pk_bf16_f32 v71, v45, s0
	v_cvt_pk_bf16_f32 v72, v48, s0
	;; [unrolled: 1-line block ×8, first 2 shown]
	s_and_saveexec_b64 s[16:17], s[2:3]
	s_cbranch_execz .LBB316_79
; %bb.78:                               ;   in Loop: Header=BB316_50 Depth=1
	v_cmp_gt_i32_e32 vcc, s25, v84
	s_nop 1
	v_cndmask_b32_e32 v71, 0, v71, vcc
	v_cmp_gt_i32_e32 vcc, s25, v93
	s_nop 1
	v_cndmask_b32_e32 v72, 0, v72, vcc
	;; [unrolled: 3-line block ×8, first 2 shown]
.LBB316_79:                             ;   in Loop: Header=BB316_50 Depth=1
	s_or_b64 exec, exec, s[16:17]
	v_add_co_u32_e32 v34, vcc, 0x1000, v34
	s_nop 1
	v_addc_co_u32_e32 v35, vcc, 0, v35, vcc
	global_load_dwordx2 v[34:35], v[34:35], off offset:3072
	s_waitcnt vmcnt(0)
	v_and_b32_e32 v45, 0xff, v34
	v_bfe_u32 v46, v34, 8, 8
	v_bfe_u32 v47, v34, 16, 8
	v_lshrrev_b32_e32 v34, 24, v34
	v_and_b32_e32 v48, 0xff, v35
	v_bfe_u32 v73, v35, 8, 8
	v_bfe_u32 v74, v35, 16, 8
	v_lshrrev_b32_e32 v35, 24, v35
	v_cvt_f32_fp8_e32 v45, v45
	v_cvt_f32_fp8_e32 v46, v46
	;; [unrolled: 1-line block ×8, first 2 shown]
	v_mul_f32_e32 v45, s30, v45
	v_mul_f32_e32 v46, s30, v46
	;; [unrolled: 1-line block ×8, first 2 shown]
	v_cvt_pk_bf16_f32 v79, v45, s0
	v_cvt_pk_bf16_f32 v80, v46, s0
	v_cvt_pk_bf16_f32 v77, v47, s0
	v_cvt_pk_bf16_f32 v78, v34, s0
	v_cvt_pk_bf16_f32 v75, v48, s0
	v_cvt_pk_bf16_f32 v76, v73, s0
	v_cvt_pk_bf16_f32 v73, v74, s0
	v_cvt_pk_bf16_f32 v74, v35, s0
	s_and_saveexec_b64 s[16:17], s[2:3]
	s_cbranch_execz .LBB316_81
; %bb.80:                               ;   in Loop: Header=BB316_50 Depth=1
	v_cmp_gt_i32_e32 vcc, s25, v84
	s_nop 1
	v_cndmask_b32_e32 v79, 0, v79, vcc
	v_cmp_gt_i32_e32 vcc, s25, v93
	s_nop 1
	v_cndmask_b32_e32 v80, 0, v80, vcc
	;; [unrolled: 3-line block ×8, first 2 shown]
.LBB316_81:                             ;   in Loop: Header=BB316_50 Depth=1
	s_or_b64 exec, exec, s[16:17]
	scratch_load_dwordx2 v[10:11], off, off offset:184 ; 8-byte Folded Reload
	s_waitcnt vmcnt(0)
	v_lshl_add_u64 v[32:33], v[32:33], 0, v[10:11]
	global_load_dwordx2 v[32:33], v[32:33], off
	s_waitcnt vmcnt(0)
	v_and_b32_e32 v34, 0xff, v32
	v_bfe_u32 v35, v32, 8, 8
	v_bfe_u32 v45, v32, 16, 8
	v_lshrrev_b32_e32 v32, 24, v32
	v_and_b32_e32 v46, 0xff, v33
	v_bfe_u32 v47, v33, 8, 8
	v_bfe_u32 v48, v33, 16, 8
	v_lshrrev_b32_e32 v33, 24, v33
	v_cvt_f32_fp8_e32 v34, v34
	v_cvt_f32_fp8_e32 v35, v35
	;; [unrolled: 1-line block ×8, first 2 shown]
	v_mul_f32_e32 v34, s30, v34
	v_mul_f32_e32 v35, s30, v35
	;; [unrolled: 1-line block ×8, first 2 shown]
	v_cvt_pk_bf16_f32 v48, v34, s0
	v_cvt_pk_bf16_f32 v47, v35, s0
	;; [unrolled: 1-line block ×8, first 2 shown]
	s_and_saveexec_b64 s[16:17], s[2:3]
	s_cbranch_execz .LBB316_48
; %bb.82:                               ;   in Loop: Header=BB316_50 Depth=1
	v_cmp_gt_i32_e32 vcc, s25, v84
	s_nop 1
	v_cndmask_b32_e32 v48, 0, v48, vcc
	v_cmp_gt_i32_e32 vcc, s25, v93
	s_nop 1
	v_cndmask_b32_e32 v47, 0, v47, vcc
	;; [unrolled: 3-line block ×8, first 2 shown]
	s_branch .LBB316_48
.LBB316_83:
	s_or_b64 exec, exec, s[12:13]
	scratch_load_dword v32, off, off offset:196 ; 4-byte Folded Reload
	scratch_load_dword v31, off, off offset:200 ; 4-byte Folded Reload
	;; [unrolled: 1-line block ×4, first 2 shown]
	scratch_load_dwordx2 v[10:11], off, off offset:160 ; 8-byte Folded Reload
.LBB316_84:
	s_or_b64 exec, exec, s[8:9]
	s_waitcnt vmcnt(3)
	ds_bpermute_b32 v0, v31, v24
	ds_bpermute_b32 v1, v31, v25
	;; [unrolled: 1-line block ×6, first 2 shown]
	s_waitcnt lgkmcnt(4)
	v_pk_add_f32 v[0:1], v[24:25], v[0:1]
	s_waitcnt vmcnt(2)
	ds_bpermute_b32 v4, v33, v0
	s_waitcnt lgkmcnt(3)
	v_pk_add_f32 v[8:9], v[22:23], v[2:3]
	ds_bpermute_b32 v5, v33, v1
	ds_bpermute_b32 v22, v33, v8
	ds_bpermute_b32 v23, v33, v9
	s_waitcnt lgkmcnt(0)
	s_barrier
	v_pk_add_f32 v[2:3], v[0:1], v[4:5]
	v_pk_add_f32 v[0:1], v[20:21], v[6:7]
	;; [unrolled: 1-line block ×3, first 2 shown]
	ds_bpermute_b32 v8, v31, v16
	ds_bpermute_b32 v9, v31, v17
	;; [unrolled: 1-line block ×6, first 2 shown]
	s_waitcnt lgkmcnt(4)
	v_pk_add_f32 v[8:9], v[16:17], v[8:9]
	ds_bpermute_b32 v16, v31, v14
	s_waitcnt lgkmcnt(3)
	v_pk_add_f32 v[6:7], v[0:1], v[6:7]
	ds_bpermute_b32 v17, v31, v15
	;; [unrolled: 3-line block ×3, first 2 shown]
	ds_bpermute_b32 v21, v33, v9
	s_waitcnt lgkmcnt(0)
	v_pk_add_f32 v[24:25], v[14:15], v[16:17]
	ds_bpermute_b32 v22, v31, v12
	ds_bpermute_b32 v23, v31, v13
	v_pk_add_f32 v[14:15], v[8:9], v[20:21]
	scratch_load_dword v20, off, off offset:192 ; 4-byte Folded Reload
	s_waitcnt vmcnt(1)
	ds_bpermute_b32 v30, v31, v10
	ds_bpermute_b32 v31, v31, v11
	;; [unrolled: 1-line block ×4, first 2 shown]
	s_waitcnt lgkmcnt(4)
	v_pk_add_f32 v[22:23], v[12:13], v[22:23]
	ds_bpermute_b32 v26, v33, v24
	ds_bpermute_b32 v27, v33, v25
	;; [unrolled: 1-line block ×4, first 2 shown]
	s_waitcnt lgkmcnt(6)
	v_pk_add_f32 v[10:11], v[10:11], v[30:31]
	s_waitcnt lgkmcnt(4)
	v_pk_add_f32 v[16:17], v[0:1], v[18:19]
	ds_bpermute_b32 v18, v33, v10
	ds_bpermute_b32 v19, v33, v11
	s_waitcnt lgkmcnt(4)
	v_pk_add_f32 v[12:13], v[24:25], v[26:27]
	s_waitcnt lgkmcnt(2)
	v_pk_add_f32 v[8:9], v[22:23], v[28:29]
	s_waitcnt vmcnt(0)
	v_and_b32_e32 v0, 0x3c3, v20
	v_cmp_ne_u32_e32 vcc, 64, v0
	s_and_saveexec_b64 s[0:1], vcc
	s_xor_b64 s[0:1], exec, s[0:1]
; %bb.85:
                                        ; implicit-def: $vgpr32
; %bb.86:
	s_or_saveexec_b64 s[0:1], s[0:1]
	s_waitcnt lgkmcnt(0)
	v_pk_add_f32 v[10:11], v[10:11], v[18:19]
	s_xor_b64 exec, exec, s[0:1]
	s_cbranch_execz .LBB316_88
; %bb.87:
	v_add_u32_e32 v1, 0x210, v32
	ds_write2_b32 v1, v2, v3 offset1:16
	ds_write2_b32 v1, v4, v5 offset0:32 offset1:48
	ds_write2_b32 v1, v6, v7 offset0:64 offset1:80
	;; [unrolled: 1-line block ×7, first 2 shown]
.LBB316_88:
	s_or_b64 exec, exec, s[0:1]
	v_lshrrev_b32_e32 v1, 2, v20
	s_waitcnt lgkmcnt(0)
	s_barrier
	s_and_saveexec_b64 s[0:1], s[6:7]
	s_cbranch_execz .LBB316_107
; %bb.89:
	v_mov_b32_e32 v18, 0x210
	v_cmp_eq_u32_e32 vcc, 0, v34
	v_lshl_add_u32 v18, v1, 2, v18
	s_and_saveexec_b64 s[2:3], vcc
	s_cbranch_execnz .LBB316_110
; %bb.90:
	s_or_b64 exec, exec, s[2:3]
	s_and_saveexec_b64 s[2:3], vcc
	s_cbranch_execnz .LBB316_111
.LBB316_91:
	s_or_b64 exec, exec, s[2:3]
	s_and_saveexec_b64 s[2:3], vcc
	s_cbranch_execnz .LBB316_112
.LBB316_92:
	s_or_b64 exec, exec, s[2:3]
	s_and_saveexec_b64 s[2:3], vcc
	s_cbranch_execnz .LBB316_113
.LBB316_93:
	s_or_b64 exec, exec, s[2:3]
	s_and_saveexec_b64 s[2:3], vcc
	s_cbranch_execnz .LBB316_114
.LBB316_94:
	s_or_b64 exec, exec, s[2:3]
	s_and_saveexec_b64 s[2:3], vcc
	s_cbranch_execnz .LBB316_115
.LBB316_95:
	s_or_b64 exec, exec, s[2:3]
	s_and_saveexec_b64 s[2:3], vcc
	s_cbranch_execnz .LBB316_116
.LBB316_96:
	s_or_b64 exec, exec, s[2:3]
	s_and_saveexec_b64 s[2:3], vcc
	s_cbranch_execnz .LBB316_117
.LBB316_97:
	s_or_b64 exec, exec, s[2:3]
	s_and_saveexec_b64 s[2:3], vcc
	s_cbranch_execnz .LBB316_118
.LBB316_98:
	s_or_b64 exec, exec, s[2:3]
	s_and_saveexec_b64 s[2:3], vcc
	s_cbranch_execnz .LBB316_119
.LBB316_99:
	s_or_b64 exec, exec, s[2:3]
	s_and_saveexec_b64 s[2:3], vcc
	s_cbranch_execnz .LBB316_120
.LBB316_100:
	s_or_b64 exec, exec, s[2:3]
	s_and_saveexec_b64 s[2:3], vcc
	s_cbranch_execnz .LBB316_121
.LBB316_101:
	s_or_b64 exec, exec, s[2:3]
	s_and_saveexec_b64 s[2:3], vcc
	s_cbranch_execnz .LBB316_122
.LBB316_102:
	s_or_b64 exec, exec, s[2:3]
	s_and_saveexec_b64 s[2:3], vcc
	s_cbranch_execnz .LBB316_123
.LBB316_103:
	s_or_b64 exec, exec, s[2:3]
	s_and_saveexec_b64 s[2:3], vcc
	s_cbranch_execnz .LBB316_124
.LBB316_104:
	s_or_b64 exec, exec, s[2:3]
	s_and_saveexec_b64 s[2:3], vcc
	s_cbranch_execz .LBB316_106
.LBB316_105:
	ds_read_b32 v18, v18 offset:960
	s_waitcnt lgkmcnt(0)
	v_add_f32_e32 v11, v11, v18
.LBB316_106:
	s_or_b64 exec, exec, s[2:3]
.LBB316_107:
	s_or_b64 exec, exec, s[0:1]
	v_cmp_eq_u32_e32 vcc, 0, v0
	s_barrier
	s_and_saveexec_b64 s[0:1], vcc
	s_cbranch_execz .LBB316_109
; %bb.108:
	s_mul_i32 s0, s24, s20
	s_mul_i32 s0, s0, s5
	s_lshl_b32 s0, s0, 8
	s_ashr_i32 s1, s0, 31
	s_lshl_b64 s[0:1], s[0:1], 1
	s_add_u32 s2, s28, s0
	s_mul_i32 s0, s20, s26
	s_addc_u32 s3, s29, s1
	s_ashr_i32 s1, s0, 31
	s_lshl_b64 s[0:1], s[0:1], 1
	s_add_u32 s2, s2, s0
	s_addc_u32 s3, s3, s1
	s_lshl_b32 s0, s4, 8
	s_ashr_i32 s1, s0, 31
	s_lshl_b64 s[0:1], s[0:1], 1
	s_add_u32 s0, s2, s0
	s_addc_u32 s1, s3, s1
	v_lshlrev_b32_e32 v0, 1, v1
	v_cvt_pk_bf16_f32 v1, v2, s0
	global_store_short v0, v1, s[0:1]
	v_cvt_pk_bf16_f32 v1, v3, s0
	global_store_short v0, v1, s[0:1] offset:32
	v_cvt_pk_bf16_f32 v1, v4, s0
	global_store_short v0, v1, s[0:1] offset:64
	;; [unrolled: 2-line block ×15, first 2 shown]
.LBB316_109:
	s_endpgm
.LBB316_110:
	ds_read_b32 v19, v18
	s_waitcnt lgkmcnt(0)
	v_add_f32_e32 v2, v2, v19
	s_or_b64 exec, exec, s[2:3]
	s_and_saveexec_b64 s[2:3], vcc
	s_cbranch_execz .LBB316_91
.LBB316_111:
	ds_read_b32 v19, v18 offset:64
	s_waitcnt lgkmcnt(0)
	v_add_f32_e32 v3, v3, v19
	s_or_b64 exec, exec, s[2:3]
	s_and_saveexec_b64 s[2:3], vcc
	s_cbranch_execz .LBB316_92
.LBB316_112:
	ds_read_b32 v19, v18 offset:128
	s_waitcnt lgkmcnt(0)
	v_add_f32_e32 v4, v4, v19
	s_or_b64 exec, exec, s[2:3]
	s_and_saveexec_b64 s[2:3], vcc
	s_cbranch_execz .LBB316_93
.LBB316_113:
	ds_read_b32 v19, v18 offset:192
	s_waitcnt lgkmcnt(0)
	v_add_f32_e32 v5, v5, v19
	s_or_b64 exec, exec, s[2:3]
	s_and_saveexec_b64 s[2:3], vcc
	s_cbranch_execz .LBB316_94
.LBB316_114:
	ds_read_b32 v19, v18 offset:256
	s_waitcnt lgkmcnt(0)
	v_add_f32_e32 v6, v6, v19
	s_or_b64 exec, exec, s[2:3]
	s_and_saveexec_b64 s[2:3], vcc
	s_cbranch_execz .LBB316_95
.LBB316_115:
	ds_read_b32 v19, v18 offset:320
	s_waitcnt lgkmcnt(0)
	v_add_f32_e32 v7, v7, v19
	s_or_b64 exec, exec, s[2:3]
	s_and_saveexec_b64 s[2:3], vcc
	s_cbranch_execz .LBB316_96
.LBB316_116:
	ds_read_b32 v19, v18 offset:384
	s_waitcnt lgkmcnt(0)
	v_add_f32_e32 v16, v16, v19
	s_or_b64 exec, exec, s[2:3]
	s_and_saveexec_b64 s[2:3], vcc
	s_cbranch_execz .LBB316_97
.LBB316_117:
	ds_read_b32 v19, v18 offset:448
	s_waitcnt lgkmcnt(0)
	v_add_f32_e32 v17, v17, v19
	s_or_b64 exec, exec, s[2:3]
	s_and_saveexec_b64 s[2:3], vcc
	s_cbranch_execz .LBB316_98
.LBB316_118:
	ds_read_b32 v19, v18 offset:512
	s_waitcnt lgkmcnt(0)
	v_add_f32_e32 v14, v14, v19
	s_or_b64 exec, exec, s[2:3]
	s_and_saveexec_b64 s[2:3], vcc
	s_cbranch_execz .LBB316_99
.LBB316_119:
	ds_read_b32 v19, v18 offset:576
	s_waitcnt lgkmcnt(0)
	v_add_f32_e32 v15, v15, v19
	s_or_b64 exec, exec, s[2:3]
	s_and_saveexec_b64 s[2:3], vcc
	s_cbranch_execz .LBB316_100
.LBB316_120:
	ds_read_b32 v19, v18 offset:640
	s_waitcnt lgkmcnt(0)
	v_add_f32_e32 v12, v12, v19
	s_or_b64 exec, exec, s[2:3]
	s_and_saveexec_b64 s[2:3], vcc
	s_cbranch_execz .LBB316_101
.LBB316_121:
	ds_read_b32 v19, v18 offset:704
	s_waitcnt lgkmcnt(0)
	v_add_f32_e32 v13, v13, v19
	s_or_b64 exec, exec, s[2:3]
	s_and_saveexec_b64 s[2:3], vcc
	s_cbranch_execz .LBB316_102
.LBB316_122:
	ds_read_b32 v19, v18 offset:768
	s_waitcnt lgkmcnt(0)
	v_add_f32_e32 v8, v8, v19
	s_or_b64 exec, exec, s[2:3]
	s_and_saveexec_b64 s[2:3], vcc
	s_cbranch_execz .LBB316_103
.LBB316_123:
	ds_read_b32 v19, v18 offset:832
	s_waitcnt lgkmcnt(0)
	v_add_f32_e32 v9, v9, v19
	s_or_b64 exec, exec, s[2:3]
	s_and_saveexec_b64 s[2:3], vcc
	s_cbranch_execz .LBB316_104
.LBB316_124:
	ds_read_b32 v19, v18 offset:896
	s_waitcnt lgkmcnt(0)
	v_add_f32_e32 v10, v10, v19
	s_or_b64 exec, exec, s[2:3]
	s_and_saveexec_b64 s[2:3], vcc
	s_cbranch_execnz .LBB316_105
	s_branch .LBB316_106
	.section	.rodata,"a",@progbits
	.p2align	6, 0x0
	.amdhsa_kernel _ZN4vllm25paged_attention_v1_kernelI14__hip_bfloat16hLi256ELi32ELi128ELNS_18Fp8KVCacheDataTypeE1ELb1EEEvPT_PKS3_PKT0_S9_ifPKiSB_iPKfiiiSD_SD_iiiii
		.amdhsa_group_segment_fixed_size 528
		.amdhsa_private_segment_fixed_size 216
		.amdhsa_kernarg_size 384
		.amdhsa_user_sgpr_count 2
		.amdhsa_user_sgpr_dispatch_ptr 0
		.amdhsa_user_sgpr_queue_ptr 0
		.amdhsa_user_sgpr_kernarg_segment_ptr 1
		.amdhsa_user_sgpr_dispatch_id 0
		.amdhsa_user_sgpr_kernarg_preload_length 0
		.amdhsa_user_sgpr_kernarg_preload_offset 0
		.amdhsa_user_sgpr_private_segment_size 0
		.amdhsa_uses_dynamic_stack 0
		.amdhsa_enable_private_segment 1
		.amdhsa_system_sgpr_workgroup_id_x 1
		.amdhsa_system_sgpr_workgroup_id_y 1
		.amdhsa_system_sgpr_workgroup_id_z 1
		.amdhsa_system_sgpr_workgroup_info 0
		.amdhsa_system_vgpr_workitem_id 0
		.amdhsa_next_free_vgpr 128
		.amdhsa_next_free_sgpr 66
		.amdhsa_accum_offset 128
		.amdhsa_reserve_vcc 1
		.amdhsa_float_round_mode_32 0
		.amdhsa_float_round_mode_16_64 0
		.amdhsa_float_denorm_mode_32 3
		.amdhsa_float_denorm_mode_16_64 3
		.amdhsa_dx10_clamp 1
		.amdhsa_ieee_mode 1
		.amdhsa_fp16_overflow 0
		.amdhsa_tg_split 0
		.amdhsa_exception_fp_ieee_invalid_op 0
		.amdhsa_exception_fp_denorm_src 0
		.amdhsa_exception_fp_ieee_div_zero 0
		.amdhsa_exception_fp_ieee_overflow 0
		.amdhsa_exception_fp_ieee_underflow 0
		.amdhsa_exception_fp_ieee_inexact 0
		.amdhsa_exception_int_div_zero 0
	.end_amdhsa_kernel
	.section	.text._ZN4vllm25paged_attention_v1_kernelI14__hip_bfloat16hLi256ELi32ELi128ELNS_18Fp8KVCacheDataTypeE1ELb1EEEvPT_PKS3_PKT0_S9_ifPKiSB_iPKfiiiSD_SD_iiiii,"axG",@progbits,_ZN4vllm25paged_attention_v1_kernelI14__hip_bfloat16hLi256ELi32ELi128ELNS_18Fp8KVCacheDataTypeE1ELb1EEEvPT_PKS3_PKT0_S9_ifPKiSB_iPKfiiiSD_SD_iiiii,comdat
.Lfunc_end316:
	.size	_ZN4vllm25paged_attention_v1_kernelI14__hip_bfloat16hLi256ELi32ELi128ELNS_18Fp8KVCacheDataTypeE1ELb1EEEvPT_PKS3_PKT0_S9_ifPKiSB_iPKfiiiSD_SD_iiiii, .Lfunc_end316-_ZN4vllm25paged_attention_v1_kernelI14__hip_bfloat16hLi256ELi32ELi128ELNS_18Fp8KVCacheDataTypeE1ELb1EEEvPT_PKS3_PKT0_S9_ifPKiSB_iPKfiiiSD_SD_iiiii
                                        ; -- End function
	.set _ZN4vllm25paged_attention_v1_kernelI14__hip_bfloat16hLi256ELi32ELi128ELNS_18Fp8KVCacheDataTypeE1ELb1EEEvPT_PKS3_PKT0_S9_ifPKiSB_iPKfiiiSD_SD_iiiii.num_vgpr, 128
	.set _ZN4vllm25paged_attention_v1_kernelI14__hip_bfloat16hLi256ELi32ELi128ELNS_18Fp8KVCacheDataTypeE1ELb1EEEvPT_PKS3_PKT0_S9_ifPKiSB_iPKfiiiSD_SD_iiiii.num_agpr, 0
	.set _ZN4vllm25paged_attention_v1_kernelI14__hip_bfloat16hLi256ELi32ELi128ELNS_18Fp8KVCacheDataTypeE1ELb1EEEvPT_PKS3_PKT0_S9_ifPKiSB_iPKfiiiSD_SD_iiiii.numbered_sgpr, 66
	.set _ZN4vllm25paged_attention_v1_kernelI14__hip_bfloat16hLi256ELi32ELi128ELNS_18Fp8KVCacheDataTypeE1ELb1EEEvPT_PKS3_PKT0_S9_ifPKiSB_iPKfiiiSD_SD_iiiii.num_named_barrier, 0
	.set _ZN4vllm25paged_attention_v1_kernelI14__hip_bfloat16hLi256ELi32ELi128ELNS_18Fp8KVCacheDataTypeE1ELb1EEEvPT_PKS3_PKT0_S9_ifPKiSB_iPKfiiiSD_SD_iiiii.private_seg_size, 216
	.set _ZN4vllm25paged_attention_v1_kernelI14__hip_bfloat16hLi256ELi32ELi128ELNS_18Fp8KVCacheDataTypeE1ELb1EEEvPT_PKS3_PKT0_S9_ifPKiSB_iPKfiiiSD_SD_iiiii.uses_vcc, 1
	.set _ZN4vllm25paged_attention_v1_kernelI14__hip_bfloat16hLi256ELi32ELi128ELNS_18Fp8KVCacheDataTypeE1ELb1EEEvPT_PKS3_PKT0_S9_ifPKiSB_iPKfiiiSD_SD_iiiii.uses_flat_scratch, 0
	.set _ZN4vllm25paged_attention_v1_kernelI14__hip_bfloat16hLi256ELi32ELi128ELNS_18Fp8KVCacheDataTypeE1ELb1EEEvPT_PKS3_PKT0_S9_ifPKiSB_iPKfiiiSD_SD_iiiii.has_dyn_sized_stack, 0
	.set _ZN4vllm25paged_attention_v1_kernelI14__hip_bfloat16hLi256ELi32ELi128ELNS_18Fp8KVCacheDataTypeE1ELb1EEEvPT_PKS3_PKT0_S9_ifPKiSB_iPKfiiiSD_SD_iiiii.has_recursion, 0
	.set _ZN4vllm25paged_attention_v1_kernelI14__hip_bfloat16hLi256ELi32ELi128ELNS_18Fp8KVCacheDataTypeE1ELb1EEEvPT_PKS3_PKT0_S9_ifPKiSB_iPKfiiiSD_SD_iiiii.has_indirect_call, 0
	.section	.AMDGPU.csdata,"",@progbits
; Kernel info:
; codeLenInByte = 20564
; TotalNumSgprs: 72
; NumVgprs: 128
; NumAgprs: 0
; TotalNumVgprs: 128
; ScratchSize: 216
; MemoryBound: 0
; FloatMode: 240
; IeeeMode: 1
; LDSByteSize: 528 bytes/workgroup (compile time only)
; SGPRBlocks: 8
; VGPRBlocks: 15
; NumSGPRsForWavesPerEU: 72
; NumVGPRsForWavesPerEU: 128
; AccumOffset: 128
; Occupancy: 4
; WaveLimiterHint : 1
; COMPUTE_PGM_RSRC2:SCRATCH_EN: 1
; COMPUTE_PGM_RSRC2:USER_SGPR: 2
; COMPUTE_PGM_RSRC2:TRAP_HANDLER: 0
; COMPUTE_PGM_RSRC2:TGID_X_EN: 1
; COMPUTE_PGM_RSRC2:TGID_Y_EN: 1
; COMPUTE_PGM_RSRC2:TGID_Z_EN: 1
; COMPUTE_PGM_RSRC2:TIDIG_COMP_CNT: 0
; COMPUTE_PGM_RSRC3_GFX90A:ACCUM_OFFSET: 31
; COMPUTE_PGM_RSRC3_GFX90A:TG_SPLIT: 0
	.section	.text._ZN4vllm25paged_attention_v1_kernelI14__hip_bfloat16hLi32ELi32ELi128ELNS_18Fp8KVCacheDataTypeE1ELb0EEEvPT_PKS3_PKT0_S9_ifPKiSB_iPKfiiiSD_SD_iiiii,"axG",@progbits,_ZN4vllm25paged_attention_v1_kernelI14__hip_bfloat16hLi32ELi32ELi128ELNS_18Fp8KVCacheDataTypeE1ELb0EEEvPT_PKS3_PKT0_S9_ifPKiSB_iPKfiiiSD_SD_iiiii,comdat
	.protected	_ZN4vllm25paged_attention_v1_kernelI14__hip_bfloat16hLi32ELi32ELi128ELNS_18Fp8KVCacheDataTypeE1ELb0EEEvPT_PKS3_PKT0_S9_ifPKiSB_iPKfiiiSD_SD_iiiii ; -- Begin function _ZN4vllm25paged_attention_v1_kernelI14__hip_bfloat16hLi32ELi32ELi128ELNS_18Fp8KVCacheDataTypeE1ELb0EEEvPT_PKS3_PKT0_S9_ifPKiSB_iPKfiiiSD_SD_iiiii
	.globl	_ZN4vllm25paged_attention_v1_kernelI14__hip_bfloat16hLi32ELi32ELi128ELNS_18Fp8KVCacheDataTypeE1ELb0EEEvPT_PKS3_PKT0_S9_ifPKiSB_iPKfiiiSD_SD_iiiii
	.p2align	8
	.type	_ZN4vllm25paged_attention_v1_kernelI14__hip_bfloat16hLi32ELi32ELi128ELNS_18Fp8KVCacheDataTypeE1ELb0EEEvPT_PKS3_PKT0_S9_ifPKiSB_iPKfiiiSD_SD_iiiii,@function
_ZN4vllm25paged_attention_v1_kernelI14__hip_bfloat16hLi32ELi32ELi128ELNS_18Fp8KVCacheDataTypeE1ELb0EEEvPT_PKS3_PKT0_S9_ifPKiSB_iPKfiiiSD_SD_iiiii: ; @_ZN4vllm25paged_attention_v1_kernelI14__hip_bfloat16hLi32ELi32ELi128ELNS_18Fp8KVCacheDataTypeE1ELb0EEEvPT_PKS3_PKT0_S9_ifPKiSB_iPKfiiiSD_SD_iiiii
; %bb.0:
	s_load_dword s5, s[0:1], 0x80
	s_load_dwordx2 s[6:7], s[0:1], 0x30
	s_load_dwordx2 s[28:29], s[0:1], 0x20
	s_mov_b32 s16, s3
	s_ashr_i32 s17, s3, 31
	s_lshl_b64 s[8:9], s[16:17], 2
	s_waitcnt lgkmcnt(0)
	s_add_u32 s6, s6, s8
	s_addc_u32 s7, s7, s9
	s_abs_i32 s3, s28
	v_cvt_f32_u32_e32 v1, s3
	s_sub_i32 s10, 0, s3
	s_abs_i32 s9, s5
	s_xor_b32 s8, s5, s28
	v_rcp_iflag_f32_e32 v1, v1
	s_ashr_i32 s8, s8, 31
	s_mov_b32 s28, 0
	v_mul_f32_e32 v1, 0x4f7ffffe, v1
	v_cvt_u32_f32_e32 v1, v1
	s_nop 0
	v_readfirstlane_b32 s11, v1
	s_mul_i32 s10, s10, s11
	s_mul_hi_u32 s10, s11, s10
	s_add_i32 s11, s11, s10
	s_mul_hi_u32 s10, s9, s11
	s_mul_i32 s11, s10, s3
	s_sub_i32 s9, s9, s11
	s_add_i32 s11, s10, 1
	s_sub_i32 s12, s9, s3
	s_cmp_ge_u32 s9, s3
	s_cselect_b32 s10, s11, s10
	s_cselect_b32 s9, s12, s9
	s_add_i32 s11, s10, 1
	s_cmp_ge_u32 s9, s3
	s_cselect_b32 s3, s11, s10
	s_xor_b32 s3, s3, s8
	s_sub_i32 s12, s3, s8
	s_abs_i32 s10, s12
	v_cvt_f32_u32_e32 v1, s10
	s_load_dwordx2 s[8:9], s[0:1], 0x40
	s_sub_i32 s3, 0, s10
	s_abs_i32 s11, s2
	v_rcp_iflag_f32_e32 v1, v1
	s_nop 0
	v_mul_f32_e32 v1, 0x4f7ffffe, v1
	v_cvt_u32_f32_e32 v1, v1
	s_nop 0
	v_readfirstlane_b32 s13, v1
	s_mul_i32 s3, s3, s13
	s_mul_hi_u32 s3, s13, s3
	s_add_i32 s13, s13, s3
	s_waitcnt lgkmcnt(0)
	s_cmp_eq_u64 s[8:9], 0
	s_mul_hi_u32 s20, s11, s13
	s_cbranch_scc1 .LBB317_2
; %bb.1:
	s_ashr_i32 s3, s2, 31
	s_lshl_b64 s[14:15], s[2:3], 2
	s_add_u32 s8, s8, s14
	s_addc_u32 s9, s9, s15
	s_load_dword s28, s[8:9], 0x0
.LBB317_2:
	s_load_dword s17, s[6:7], 0x0
	s_ashr_i32 s7, s12, 31
	s_load_dwordx4 s[12:15], s[0:1], 0x48
	s_ashr_i32 s6, s2, 31
	v_and_b32_e32 v2, 1, v0
	s_lshl_b32 s18, s2, 5
	v_cmp_gt_u32_e32 vcc, 8, v0
	v_lshlrev_b32_e32 v6, 3, v0
	s_and_saveexec_b64 s[2:3], vcc
	s_cbranch_execz .LBB317_4
; %bb.3:
	s_load_dwordx2 s[8:9], s[0:1], 0x8
	s_waitcnt lgkmcnt(0)
	s_mul_i32 s22, s12, s16
	s_ashr_i32 s23, s22, 31
	s_lshl_b64 s[22:23], s[22:23], 1
	v_lshlrev_b32_e32 v1, 2, v0
	s_add_u32 s12, s8, s22
	s_addc_u32 s15, s9, s23
	s_ashr_i32 s19, s18, 31
	s_lshl_b64 s[8:9], s[18:19], 1
	s_add_u32 s8, s12, s8
	s_addc_u32 s9, s15, s9
	global_load_dwordx2 v[4:5], v6, s[8:9]
	v_and_b32_e32 v1, 0xff8, v1
	v_lshl_add_u32 v1, v2, 5, v1
	s_waitcnt vmcnt(0)
	ds_write_b64 v1, v[4:5]
.LBB317_4:
	s_or_b64 exec, exec, s[2:3]
	s_waitcnt lgkmcnt(0)
	s_add_i32 s3, s17, 31
	s_ashr_i32 s8, s3, 31
	s_lshr_b32 s8, s8, 27
	s_add_i32 s3, s3, s8
	s_ashr_i32 s19, s3, 5
	s_xor_b32 s3, s6, s7
	s_mul_i32 s6, s20, s10
	s_sub_i32 s6, s11, s6
	s_add_i32 s7, s20, 1
	s_sub_i32 s8, s6, s10
	s_load_dwordx2 s[22:23], s[0:1], 0x28
	s_load_dword s2, s[0:1], 0x38
	s_cmp_ge_u32 s6, s10
	s_cselect_b32 s7, s7, s20
	s_cselect_b32 s6, s8, s6
	s_add_i32 s8, s7, 1
	s_cmp_ge_u32 s6, s10
	s_cselect_b32 s6, s8, s7
	v_lshrrev_b32_e32 v1, 6, v0
	s_xor_b32 s6, s6, s3
	s_waitcnt lgkmcnt(0)
	s_mul_i32 s24, s2, s16
	s_sub_i32 s33, s6, s3
	s_ashr_i32 s25, s24, 31
	v_cmp_gt_i32_e64 s[6:7], s19, v1
	v_cmp_le_i32_e32 vcc, s19, v1
	v_mbcnt_lo_u32_b32 v3, -1, 0
	s_barrier
                                        ; implicit-def: $vgpr8
                                        ; implicit-def: $vgpr9
                                        ; implicit-def: $vgpr10
	s_and_saveexec_b64 s[2:3], vcc
	s_xor_b64 s[2:3], exec, s[2:3]
; %bb.5:
	v_mbcnt_hi_u32_b32 v8, -1, v3
	v_and_b32_e32 v9, 64, v8
	v_add_u32_e32 v10, 64, v9
                                        ; implicit-def: $vgpr2
                                        ; implicit-def: $vgpr3
; %bb.6:
	s_or_saveexec_b64 s[30:31], s[2:3]
	s_load_dwordx2 s[20:21], s[0:1], 0x0
	s_load_dwordx2 s[26:27], s[0:1], 0x18
	s_load_dword s12, s[0:1], 0x88
	s_load_dwordx4 s[8:11], s[0:1], 0x58
	v_mov_b32_e32 v20, 0xff7fffff
	s_mul_i32 s33, s33, s14
	v_lshrrev_b32_e32 v7, 4, v0
	s_xor_b64 exec, exec, s[30:31]
	s_cbranch_execz .LBB317_12
; %bb.7:
	s_load_dwordx2 s[0:1], s[0:1], 0x10
	v_lshlrev_b32_e32 v8, 5, v2
	ds_read_b128 v[16:19], v8
	ds_read_b128 v[24:27], v8 offset:16
	v_mbcnt_hi_u32_b32 v8, -1, v3
	s_ashr_i32 s2, s33, 31
	v_and_b32_e32 v9, 64, v8
	v_bfe_u32 v20, v0, 1, 5
	s_waitcnt lgkmcnt(0)
	s_add_u32 s0, s0, s33
	v_xor_b32_e32 v3, 1, v8
	v_add_u32_e32 v10, 64, v9
	v_lshlrev_b32_e32 v4, 4, v20
	s_addc_u32 s1, s1, s2
	v_mov_b32_e32 v5, 0
	v_cmp_lt_i32_e32 vcc, v3, v10
	v_lshl_add_u64 v[30:31], s[0:1], 0, v[4:5]
	v_lshlrev_b32_e32 v4, 2, v2
	v_cndmask_b32_e32 v3, v8, v3, vcc
	s_load_dword s35, s[8:9], 0x0
	v_lshlrev_b32_e32 v28, 2, v3
	v_cmp_eq_u32_e32 vcc, 0, v2
	v_lshl_add_u64 v[2:3], v[30:31], 0, v[4:5]
	s_sub_i32 s36, 1, s17
	v_lshlrev_b32_e32 v4, 2, v20
	s_lshl_b64 s[0:1], s[24:25], 2
	v_lshl_or_b32 v4, v1, 7, v4
	s_add_u32 s0, s22, s0
	v_add_u32_e32 v30, 0x50, v4
	v_and_b32_e32 v4, 60, v7
	s_addc_u32 s1, s23, s1
	s_mov_b32 s34, s13
	v_lshlrev_b32_e32 v11, 16, v16
	v_and_b32_e32 v12, 0xffff0000, v16
	v_lshlrev_b32_e32 v13, 16, v17
	v_and_b32_e32 v14, 0xffff0000, v17
	;; [unrolled: 2-line block ×8, first 2 shown]
	v_cmp_neq_f32_e64 s[2:3], s28, 0
	v_lshl_or_b32 v29, v1, 5, v20
	v_lshl_add_u64 v[4:5], s[0:1], 0, v[4:5]
	v_mov_b32_e32 v20, 0xff7fffff
	s_mov_b64 s[8:9], 0
	v_mov_b32_e32 v31, v1
	s_branch .LBB317_9
.LBB317_8:                              ;   in Loop: Header=BB317_9 Depth=1
	s_or_b64 exec, exec, s[14:15]
	v_add_u32_e32 v31, 2, v31
	v_cmp_le_i32_e64 s[0:1], s19, v31
	v_add_u32_e32 v29, 64, v29
	v_add_u32_e32 v30, 0x100, v30
	s_or_b64 s[8:9], s[0:1], s[8:9]
	v_lshl_add_u64 v[4:5], v[4:5], 0, 8
	s_andn2_b64 exec, exec, s[8:9]
	s_cbranch_execz .LBB317_11
.LBB317_9:                              ; =>This Inner Loop Header: Depth=1
	global_load_dword v32, v[4:5], off
	s_waitcnt vmcnt(0) lgkmcnt(0)
	v_mad_i64_i32 v[32:33], s[0:1], v32, s34, v[2:3]
	global_load_dword v34, v[32:33], off
	global_load_dword v35, v[32:33], off offset:8
	global_load_dword v36, v[32:33], off offset:512
	;; [unrolled: 1-line block ×3, first 2 shown]
	s_waitcnt vmcnt(3)
	v_and_b32_e32 v32, 0xff, v34
	s_waitcnt vmcnt(2)
	v_and_b32_e32 v39, 0xff, v35
	v_bfe_u32 v40, v35, 8, 8
	v_bfe_u32 v33, v34, 8, 8
	;; [unrolled: 1-line block ×3, first 2 shown]
	v_cvt_f32_fp8_e32 v39, v39
	v_cvt_f32_fp8_e32 v40, v40
	v_bfe_u32 v38, v34, 16, 8
	v_lshrrev_b32_e32 v35, 24, v35
	s_waitcnt vmcnt(1)
	v_and_b32_e32 v42, 0xff, v36
	v_bfe_u32 v43, v36, 8, 8
	v_cvt_f32_fp8_e32 v32, v32
	v_cvt_f32_fp8_e32 v33, v33
	;; [unrolled: 1-line block ×3, first 2 shown]
	v_lshrrev_b32_e32 v34, 24, v34
	v_bfe_u32 v44, v36, 16, 8
	s_waitcnt vmcnt(0)
	v_and_b32_e32 v45, 0xff, v37
	v_bfe_u32 v46, v37, 8, 8
	v_cvt_f32_fp8_e32 v38, v38
	v_cvt_f32_fp8_e32 v35, v35
	;; [unrolled: 1-line block ×4, first 2 shown]
	v_lshrrev_b32_e32 v36, 24, v36
	v_bfe_u32 v47, v37, 16, 8
	v_cvt_f32_fp8_e32 v34, v34
	v_cvt_f32_fp8_e32 v44, v44
	;; [unrolled: 1-line block ×4, first 2 shown]
	v_lshrrev_b32_e32 v37, 24, v37
	v_cvt_f32_fp8_e32 v36, v36
	v_cvt_f32_fp8_e32 v47, v47
	s_waitcnt lgkmcnt(0)
	v_mul_f32_e32 v39, s35, v39
	v_mul_f32_e32 v40, s35, v40
	v_cvt_f32_fp8_e32 v37, v37
	v_mul_f32_e32 v32, s35, v32
	v_mul_f32_e32 v33, s35, v33
	;; [unrolled: 1-line block ×3, first 2 shown]
	v_cvt_pk_bf16_f32 v39, v39, s0
	v_cvt_pk_bf16_f32 v40, v40, s0
	v_mul_f32_e32 v38, s35, v38
	v_mul_f32_e32 v35, s35, v35
	;; [unrolled: 1-line block ×4, first 2 shown]
	v_cvt_pk_bf16_f32 v32, v32, s0
	v_cvt_pk_bf16_f32 v33, v33, s0
	;; [unrolled: 1-line block ×3, first 2 shown]
	v_lshlrev_b32_e32 v39, 16, v39
	v_lshlrev_b32_e32 v40, 16, v40
	v_mul_f32_e32 v34, s35, v34
	v_mul_f32_e32 v44, s35, v44
	;; [unrolled: 1-line block ×4, first 2 shown]
	v_cvt_pk_bf16_f32 v38, v38, s0
	v_cvt_pk_bf16_f32 v35, v35, s0
	;; [unrolled: 1-line block ×4, first 2 shown]
	v_lshlrev_b32_e32 v32, 16, v32
	v_lshlrev_b32_e32 v33, 16, v33
	;; [unrolled: 1-line block ×3, first 2 shown]
	v_mul_f32_e32 v39, v15, v39
	v_mul_f32_e32 v40, v16, v40
	;; [unrolled: 1-line block ×4, first 2 shown]
	v_cvt_pk_bf16_f32 v34, v34, s0
	v_cvt_pk_bf16_f32 v44, v44, s0
	;; [unrolled: 1-line block ×4, first 2 shown]
	v_lshlrev_b32_e32 v38, 16, v38
	v_lshlrev_b32_e32 v35, 16, v35
	;; [unrolled: 1-line block ×4, first 2 shown]
	v_mul_f32_e32 v41, v17, v41
	v_fmac_f32_e32 v39, v11, v32
	v_fmac_f32_e32 v40, v12, v33
	v_mul_f32_e32 v37, s35, v37
	v_cvt_pk_bf16_f32 v36, v36, s0
	v_cvt_pk_bf16_f32 v47, v47, s0
	v_lshlrev_b32_e32 v34, 16, v34
	v_lshlrev_b32_e32 v44, 16, v44
	v_lshlrev_b32_e32 v45, 16, v45
	v_lshlrev_b32_e32 v46, 16, v46
	v_mul_f32_e32 v35, v18, v35
	v_fmac_f32_e32 v41, v13, v38
	v_fmac_f32_e32 v39, v19, v42
	v_fmac_f32_e32 v40, v21, v43
	v_cvt_pk_bf16_f32 v37, v37, s0
	v_lshlrev_b32_e32 v36, 16, v36
	v_lshlrev_b32_e32 v47, 16, v47
	v_fmac_f32_e32 v35, v14, v34
	v_fmac_f32_e32 v41, v22, v44
	;; [unrolled: 1-line block ×4, first 2 shown]
	v_lshlrev_b32_e32 v37, 16, v37
	v_fmac_f32_e32 v35, v23, v36
	v_fmac_f32_e32 v41, v26, v47
	v_add_f32_e32 v32, v39, v40
	v_fmac_f32_e32 v35, v27, v37
	v_add_f32_e32 v32, v32, v41
	v_add_f32_e32 v32, v35, v32
	ds_bpermute_b32 v33, v28, v32
	s_and_saveexec_b64 s[14:15], vcc
	s_cbranch_execz .LBB317_8
; %bb.10:                               ;   in Loop: Header=BB317_9 Depth=1
	v_add_u32_e32 v34, s36, v29
	v_cvt_f32_i32_e32 v34, v34
	s_waitcnt lgkmcnt(0)
	v_add_f32_e32 v32, v32, v33
	v_cmp_gt_i32_e64 s[0:1], s17, v29
	v_max_f32_e32 v33, v20, v20
	v_mul_f32_e32 v34, s28, v34
	v_cndmask_b32_e64 v34, 0, v34, s[2:3]
	v_fmac_f32_e32 v34, s29, v32
	v_cndmask_b32_e64 v32, 0, v34, s[0:1]
	ds_write_b32 v30, v32
	v_max_f32_e32 v32, v33, v34
	v_cndmask_b32_e64 v20, v20, v32, s[0:1]
	s_branch .LBB317_8
.LBB317_11:
	s_or_b64 exec, exec, s[8:9]
.LBB317_12:
	s_or_b64 exec, exec, s[30:31]
	v_xor_b32_e32 v2, 32, v8
	v_cmp_lt_i32_e32 vcc, v2, v10
	v_xor_b32_e32 v5, 16, v8
	v_max_f32_e32 v4, v20, v20
	v_cndmask_b32_e32 v2, v8, v2, vcc
	v_lshlrev_b32_e32 v2, 2, v2
	ds_bpermute_b32 v3, v2, v20
	v_cmp_lt_i32_e32 vcc, v5, v10
	v_xor_b32_e32 v11, 8, v8
	v_xor_b32_e32 v12, 4, v8
	;; [unrolled: 1-line block ×3, first 2 shown]
	s_waitcnt lgkmcnt(0)
	v_max_f32_e32 v3, v3, v3
	v_max_f32_e32 v4, v4, v3
	v_cndmask_b32_e32 v3, v8, v5, vcc
	v_lshlrev_b32_e32 v3, 2, v3
	ds_bpermute_b32 v5, v3, v4
	v_cmp_lt_i32_e32 vcc, v11, v10
	v_and_b32_e32 v18, 63, v0
	s_waitcnt lgkmcnt(0)
	v_max_f32_e32 v5, v5, v5
	v_max_f32_e32 v5, v4, v5
	v_cndmask_b32_e32 v4, v8, v11, vcc
	v_lshlrev_b32_e32 v4, 2, v4
	ds_bpermute_b32 v11, v4, v5
	v_cmp_lt_i32_e32 vcc, v12, v10
	s_waitcnt lgkmcnt(0)
	v_max_f32_e32 v11, v11, v11
	v_max_f32_e32 v11, v5, v11
	v_cndmask_b32_e32 v5, v8, v12, vcc
	v_lshlrev_b32_e32 v5, 2, v5
	ds_bpermute_b32 v12, v5, v11
	v_cmp_lt_i32_e32 vcc, v13, v10
	s_waitcnt lgkmcnt(0)
	v_max_f32_e32 v12, v12, v12
	v_max_f32_e32 v12, v11, v12
	v_cndmask_b32_e32 v11, v8, v13, vcc
	v_lshlrev_b32_e32 v19, 2, v11
	ds_bpermute_b32 v13, v19, v12
	v_cmp_eq_u32_e32 vcc, 0, v18
	v_lshlrev_b32_e32 v11, 2, v1
	s_and_saveexec_b64 s[0:1], vcc
	s_cbranch_execz .LBB317_14
; %bb.13:
	s_waitcnt lgkmcnt(0)
	v_max_f32_e32 v13, v13, v13
	v_max_f32_e32 v12, v12, v12
	v_max_f32_e32 v12, v12, v13
	ds_write_b32 v11, v12 offset:64
.LBB317_14:
	s_or_b64 exec, exec, s[0:1]
	v_cmp_gt_u32_e64 s[0:1], 2, v18
	s_waitcnt lgkmcnt(0)
	v_mov_b32_e32 v13, 0xff7fffff
	v_lshlrev_b32_e32 v12, 2, v18
	s_barrier
	s_and_saveexec_b64 s[2:3], s[0:1]
; %bb.15:
	ds_read_b32 v13, v12 offset:64
; %bb.16:
	s_or_b64 exec, exec, s[2:3]
	v_xor_b32_e32 v14, 1, v8
	v_cmp_lt_i32_e64 s[2:3], v14, v10
	v_lshlrev_b32_e32 v9, 2, v9
	s_nop 0
	v_cndmask_b32_e64 v10, v8, v14, s[2:3]
	v_lshlrev_b32_e32 v20, 2, v10
	s_waitcnt lgkmcnt(0)
	ds_bpermute_b32 v10, v20, v13
	v_max_f32_e32 v13, v13, v13
	s_lshl_b32 s2, s19, 5
	s_min_i32 s30, s2, s17
	v_cmp_gt_i32_e64 s[2:3], s30, v0
	s_waitcnt lgkmcnt(0)
	v_max_f32_e32 v10, v10, v10
	v_max_f32_e32 v10, v13, v10
	ds_bpermute_b32 v10, v9, v10
	v_mov_b32_e32 v9, 0
	s_and_saveexec_b64 s[14:15], s[2:3]
	s_cbranch_execz .LBB317_20
; %bb.17:
	v_mov_b32_e32 v9, 0x50
	v_lshl_add_u32 v13, v0, 2, v9
	v_mov_b32_e32 v9, 0
	s_mov_b64 s[28:29], 0
	v_mov_b32_e32 v14, v0
.LBB317_18:                             ; =>This Inner Loop Header: Depth=1
	ds_read_b32 v15, v13
	v_add_u32_e32 v14, 0x80, v14
	v_cmp_le_i32_e64 s[8:9], s30, v14
	s_or_b64 s[28:29], s[8:9], s[28:29]
	s_waitcnt lgkmcnt(0)
	v_sub_f32_e32 v15, v15, v10
	v_mul_f32_e32 v15, 0x3fb8aa3b, v15
	v_exp_f32_e32 v15, v15
	ds_write_b32 v13, v15
	v_add_f32_e32 v9, v9, v15
	v_add_u32_e32 v13, 0x200, v13
	s_andn2_b64 exec, exec, s[28:29]
	s_cbranch_execnz .LBB317_18
; %bb.19:
	s_or_b64 exec, exec, s[28:29]
.LBB317_20:
	s_or_b64 exec, exec, s[14:15]
	ds_bpermute_b32 v2, v2, v9
	s_waitcnt lgkmcnt(0)
	v_add_f32_e32 v2, v9, v2
	ds_bpermute_b32 v3, v3, v2
	s_waitcnt lgkmcnt(0)
	v_add_f32_e32 v2, v2, v3
	ds_bpermute_b32 v3, v4, v2
	s_waitcnt lgkmcnt(0)
	v_add_f32_e32 v2, v2, v3
	ds_bpermute_b32 v3, v5, v2
	s_waitcnt lgkmcnt(0)
	v_add_f32_e32 v2, v2, v3
	ds_bpermute_b32 v3, v19, v2
	s_waitcnt lgkmcnt(0)
	v_add_f32_e32 v2, v2, v3
	ds_bpermute_b32 v3, v20, v2
	s_waitcnt lgkmcnt(0)
	v_add_f32_e32 v2, v2, v3
	s_and_saveexec_b64 s[8:9], vcc
; %bb.21:
	ds_write_b32 v11, v2 offset:72
; %bb.22:
	s_or_b64 exec, exec, s[8:9]
	s_waitcnt lgkmcnt(0)
	s_barrier
	s_and_saveexec_b64 s[8:9], s[0:1]
; %bb.23:
	ds_read_b32 v2, v12 offset:72
; %bb.24:
	s_or_b64 exec, exec, s[8:9]
	s_waitcnt lgkmcnt(0)
	ds_bpermute_b32 v3, v20, v2
	v_lshlrev_b32_e32 v4, 2, v8
	s_waitcnt lgkmcnt(0)
	v_add_f32_e32 v2, v2, v3
	v_and_b32_e32 v3, 0xffffff00, v4
	ds_bpermute_b32 v2, v3, v2
	s_and_saveexec_b64 s[0:1], s[2:3]
	s_cbranch_execz .LBB317_37
; %bb.25:
	s_waitcnt lgkmcnt(0)
	v_add_f32_e32 v2, 0x358637bd, v2
	v_div_scale_f32 v3, s[2:3], v2, v2, 1.0
	v_rcp_f32_e32 v4, v3
	v_div_scale_f32 v5, vcc, 1.0, v2, 1.0
	s_movk_i32 s2, 0x7f
	v_fma_f32 v8, -v3, v4, 1.0
	v_fmac_f32_e32 v4, v8, v4
	v_mul_f32_e32 v8, v5, v4
	v_fma_f32 v9, -v3, v8, v5
	v_fmac_f32_e32 v8, v9, v4
	v_fma_f32 v3, -v3, v8, v5
	v_div_fmas_f32 v3, v3, v4, v8
	v_xad_u32 v4, v0, -1, s30
	v_div_fixup_f32 v2, v3, v2, 1.0
	v_cmp_lt_u32_e32 vcc, s2, v4
	s_mov_b64 s[8:9], -1
	v_mov_b32_e32 v3, v0
	s_and_saveexec_b64 s[2:3], vcc
	s_cbranch_execz .LBB317_34
; %bb.26:
	v_lshrrev_b32_e32 v4, 7, v4
	v_add_u32_e32 v8, -1, v4
	v_lshrrev_b32_e32 v5, 1, v8
	v_mov_b32_e32 v3, v2
	v_add_u32_e32 v5, 1, v5
	v_cmp_lt_u32_e32 vcc, 13, v8
	v_mov_b32_e32 v10, 0
	s_and_saveexec_b64 s[8:9], vcc
	s_cbranch_execz .LBB317_30
; %bb.27:
	v_mov_b32_e32 v9, 0x50
	v_and_b32_e32 v8, -8, v5
	v_lshl_add_u32 v9, v0, 2, v9
	s_mov_b32 s28, 0
	s_mov_b64 s[14:15], 0
.LBB317_28:                             ; =>This Inner Loop Header: Depth=1
	ds_read2st64_b32 v[10:11], v9 offset1:2
	ds_read2st64_b32 v[12:13], v9 offset0:4 offset1:6
	ds_read2st64_b32 v[14:15], v9 offset0:8 offset1:10
	;; [unrolled: 1-line block ×3, first 2 shown]
	v_add_u32_e32 v8, -8, v8
	s_waitcnt lgkmcnt(3)
	v_pk_mul_f32 v[10:11], v[2:3], v[10:11]
	s_waitcnt lgkmcnt(2)
	v_pk_mul_f32 v[12:13], v[2:3], v[12:13]
	ds_write2st64_b32 v9, v10, v11 offset1:2
	ds_write2st64_b32 v9, v12, v13 offset0:4 offset1:6
	ds_read2st64_b32 v[12:13], v9 offset0:16 offset1:18
	s_waitcnt lgkmcnt(4)
	v_pk_mul_f32 v[10:11], v[2:3], v[14:15]
	ds_write2st64_b32 v9, v10, v11 offset0:8 offset1:10
	s_waitcnt lgkmcnt(4)
	v_pk_mul_f32 v[10:11], v[2:3], v[16:17]
	ds_write2st64_b32 v9, v10, v11 offset0:12 offset1:14
	ds_read2st64_b32 v[10:11], v9 offset0:20 offset1:22
	s_waitcnt lgkmcnt(3)
	v_pk_mul_f32 v[12:13], v[2:3], v[12:13]
	ds_read2st64_b32 v[14:15], v9 offset0:24 offset1:26
	ds_write2st64_b32 v9, v12, v13 offset0:16 offset1:18
	ds_read2st64_b32 v[12:13], v9 offset0:28 offset1:30
	s_waitcnt lgkmcnt(3)
	v_pk_mul_f32 v[10:11], v[2:3], v[10:11]
	ds_write2st64_b32 v9, v10, v11 offset0:20 offset1:22
	s_waitcnt lgkmcnt(3)
	v_pk_mul_f32 v[10:11], v[2:3], v[14:15]
	ds_write2st64_b32 v9, v10, v11 offset0:24 offset1:26
	s_waitcnt lgkmcnt(2)
	v_pk_mul_f32 v[10:11], v[2:3], v[12:13]
	s_add_i32 s28, s28, 16
	v_cmp_eq_u32_e32 vcc, 0, v8
	ds_write2st64_b32 v9, v10, v11 offset0:28 offset1:30
	v_add_u32_e32 v9, 0x2000, v9
	s_or_b64 s[14:15], vcc, s[14:15]
	v_mov_b32_e32 v10, s28
	s_andn2_b64 exec, exec, s[14:15]
	s_cbranch_execnz .LBB317_28
; %bb.29:
	s_or_b64 exec, exec, s[14:15]
.LBB317_30:
	s_or_b64 exec, exec, s[8:9]
	v_and_b32_e32 v5, 7, v5
	v_cmp_ne_u32_e32 vcc, 0, v5
	s_and_saveexec_b64 s[8:9], vcc
	s_cbranch_execz .LBB317_33
; %bb.31:
	v_lshlrev_b32_e32 v8, 9, v10
	v_lshlrev_b32_e32 v9, 2, v0
	s_movk_i32 s14, 0x50
	v_add3_u32 v8, v8, v9, s14
	s_mov_b64 s[14:15], 0
.LBB317_32:                             ; =>This Inner Loop Header: Depth=1
	ds_read2st64_b32 v[10:11], v8 offset1:2
	v_add_u32_e32 v5, -1, v5
	v_cmp_eq_u32_e32 vcc, 0, v5
	s_or_b64 s[14:15], vcc, s[14:15]
	s_waitcnt lgkmcnt(0)
	v_pk_mul_f32 v[10:11], v[2:3], v[10:11]
	ds_write2st64_b32 v8, v10, v11 offset1:2
	v_add_u32_e32 v8, 0x400, v8
	s_andn2_b64 exec, exec, s[14:15]
	s_cbranch_execnz .LBB317_32
.LBB317_33:
	s_or_b64 exec, exec, s[8:9]
	v_add_u32_e32 v4, 1, v4
	v_and_b32_e32 v5, 0x3fffffe, v4
	v_cmp_ne_u32_e32 vcc, v4, v5
	v_lshl_add_u32 v3, v5, 7, v0
	s_orn2_b64 s[8:9], vcc, exec
.LBB317_34:
	s_or_b64 exec, exec, s[2:3]
	s_and_b64 exec, exec, s[8:9]
	s_cbranch_execz .LBB317_37
; %bb.35:
	v_mov_b32_e32 v4, 0x50
	v_lshl_add_u32 v4, v3, 2, v4
	s_mov_b64 s[2:3], 0
.LBB317_36:                             ; =>This Inner Loop Header: Depth=1
	ds_read_b32 v5, v4
	v_add_u32_e32 v3, 0x80, v3
	v_cmp_le_i32_e32 vcc, s30, v3
	s_or_b64 s[2:3], vcc, s[2:3]
	s_waitcnt lgkmcnt(0)
	v_mul_f32_e32 v5, v2, v5
	ds_write_b32 v4, v5
	v_add_u32_e32 v4, 0x200, v4
	s_andn2_b64 exec, exec, s[2:3]
	s_cbranch_execnz .LBB317_36
.LBB317_37:
	s_or_b64 exec, exec, s[0:1]
	v_mov_b32_e32 v11, 0
	v_and_b32_e32 v21, 3, v0
	v_mov_b32_e32 v10, v11
	s_waitcnt lgkmcnt(0)
	s_barrier
	s_and_saveexec_b64 s[2:3], s[6:7]
	s_cbranch_execz .LBB317_45
; %bb.38:
	s_ashr_i32 s1, s33, 31
	s_add_u32 s0, s26, s33
	s_addc_u32 s1, s27, s1
	v_and_b32_e32 v10, 0x1f8, v6
	s_load_dword s10, s[10:11], 0x0
	v_mov_b32_e32 v11, 0
	v_and_b32_e32 v2, 24, v6
	s_add_i32 s11, s19, -1
	v_lshl_add_u64 v[12:13], s[0:1], 0, v[10:11]
	v_lshlrev_b32_e32 v3, 5, v1
	s_lshl_b64 s[0:1], s[24:25], 2
	v_or3_b32 v22, v3, v2, 7
	v_lshlrev_b32_e32 v2, 5, v21
	s_add_u32 s0, s22, s0
	v_lshl_or_b32 v2, v1, 7, v2
	v_and_b32_e32 v10, 60, v7
	s_addc_u32 s1, s23, s1
	v_add_u32_e32 v23, 0x50, v2
	v_lshl_add_u64 v[14:15], s[0:1], 0, v[10:11]
	s_mov_b64 s[6:7], 0
	v_mov_b32_e32 v10, v11
	s_branch .LBB317_40
.LBB317_39:                             ;   in Loop: Header=BB317_40 Depth=1
	s_or_b64 exec, exec, s[0:1]
	v_cvt_pk_bf16_f32 v6, v6, s0
	v_cvt_pk_bf16_f32 v8, v8, s0
	;; [unrolled: 1-line block ×3, first 2 shown]
	v_lshlrev_b32_e32 v24, 16, v32
	v_lshlrev_b32_e32 v32, 16, v6
	;; [unrolled: 1-line block ×7, first 2 shown]
	v_cvt_pk_bf16_f32 v5, v5, s0
	v_mul_f32_e32 v2, v29, v2
	v_cvt_pk_bf16_f32 v7, v7, s0
	v_cvt_pk_bf16_f32 v27, v2, s0
	v_lshlrev_b32_e32 v5, 16, v5
	v_lshlrev_b32_e32 v2, 16, v26
	v_cvt_pk_bf16_f32 v9, v9, s0
	v_cvt_pk_bf16_f32 v4, v4, s0
	v_lshlrev_b32_e32 v7, 16, v7
	v_mul_f32_e32 v2, v5, v2
	v_cvt_pk_bf16_f32 v3, v3, s0
	v_mul_f32_e32 v24, v7, v24
	v_mul_f32_e32 v6, v32, v6
	v_lshlrev_b32_e32 v9, 16, v9
	v_lshlrev_b32_e32 v30, 16, v30
	v_cvt_pk_bf16_f32 v26, v2, s0
	v_lshlrev_b32_e32 v33, 16, v4
	v_lshlrev_b32_e32 v2, 16, v25
	v_cvt_pk_bf16_f32 v24, v24, s0
	v_cvt_pk_bf16_f32 v6, v6, s0
	v_mul_f32_e32 v30, v9, v30
	v_mul_f32_e32 v8, v31, v8
	v_lshlrev_b32_e32 v3, 16, v3
	v_lshlrev_b32_e32 v28, 16, v28
	v_mul_f32_e32 v2, v33, v2
	v_cvt_pk_bf16_f32 v30, v30, s0
	v_cvt_pk_bf16_f32 v8, v8, s0
	v_mul_f32_e32 v28, v3, v28
	v_cvt_pk_bf16_f32 v25, v2, s0
	v_lshlrev_b32_e32 v2, 16, v6
	v_lshlrev_b32_e32 v4, 16, v24
	v_cvt_pk_bf16_f32 v28, v28, s0
	v_add_f32_e32 v2, v4, v2
	v_lshlrev_b32_e32 v4, 16, v8
	v_lshlrev_b32_e32 v6, 16, v30
	v_add_f32_e32 v4, v6, v4
	v_lshlrev_b32_e32 v6, 16, v27
	v_lshlrev_b32_e32 v8, 16, v28
	;; [unrolled: 3-line block ×3, first 2 shown]
	v_mul_f32_e32 v7, v7, v25
	v_lshlrev_b32_e32 v25, 16, v42
	v_mul_f32_e32 v25, v31, v25
	v_lshlrev_b32_e32 v24, 16, v26
	v_cvt_pk_bf16_f32 v26, v25, s0
	v_lshlrev_b32_e32 v25, 16, v41
	v_mul_f32_e32 v9, v9, v25
	v_lshlrev_b32_e32 v25, 16, v40
	v_add_f32_e32 v8, v24, v8
	v_lshlrev_b32_e32 v24, 16, v44
	v_mul_f32_e32 v25, v29, v25
	v_mul_f32_e32 v24, v32, v24
	v_cvt_pk_bf16_f32 v27, v25, s0
	v_lshlrev_b32_e32 v25, 16, v39
	v_lshlrev_b32_e32 v17, 16, v17
	;; [unrolled: 1-line block ×3, first 2 shown]
	v_cvt_pk_bf16_f32 v24, v24, s0
	v_cvt_pk_bf16_f32 v7, v7, s0
	;; [unrolled: 1-line block ×3, first 2 shown]
	v_mul_f32_e32 v3, v3, v25
	v_mul_f32_e32 v17, v33, v17
	;; [unrolled: 1-line block ×3, first 2 shown]
	v_cvt_pk_bf16_f32 v3, v3, s0
	v_cvt_pk_bf16_f32 v28, v17, s0
	;; [unrolled: 1-line block ×3, first 2 shown]
	v_lshlrev_b32_e32 v17, 16, v7
	v_lshlrev_b32_e32 v25, 16, v24
	;; [unrolled: 1-line block ×4, first 2 shown]
	v_pk_add_f32 v[16:17], v[24:25], v[16:17]
	v_lshlrev_b32_e32 v25, 16, v3
	v_lshlrev_b32_e32 v27, 16, v27
	;; [unrolled: 1-line block ×4, first 2 shown]
	v_pk_add_f32 v[24:25], v[26:27], v[24:25]
	v_mov_b32_e32 v5, v16
	v_mov_b32_e32 v3, v17
	;; [unrolled: 1-line block ×3, first 2 shown]
	v_pk_add_f32 v[2:3], v[4:5], v[2:3]
	v_mov_b32_e32 v9, v24
	v_pk_add_f32 v[2:3], v[6:7], v[2:3]
	v_add_u32_e32 v1, 2, v1
	v_pk_add_f32 v[2:3], v[8:9], v[2:3]
	v_cmp_le_i32_e32 vcc, s19, v1
	v_pk_add_f32 v[10:11], v[10:11], v[2:3]
	v_add_u32_e32 v22, 64, v22
	v_add_u32_e32 v23, 0x100, v23
	s_or_b64 s[6:7], vcc, s[6:7]
	v_lshl_add_u64 v[14:15], v[14:15], 0, 8
	s_andn2_b64 exec, exec, s[6:7]
	s_cbranch_execz .LBB317_44
.LBB317_40:                             ; =>This Inner Loop Header: Depth=1
	global_load_dword v2, v[14:15], off
	v_add_u32_e32 v24, -7, v22
	v_cmp_eq_u32_e32 vcc, s11, v1
	v_add_u32_e32 v37, -6, v22
	v_add_u32_e32 v36, -5, v22
	;; [unrolled: 1-line block ×5, first 2 shown]
	s_waitcnt vmcnt(0)
	v_mad_i64_i32 v[16:17], s[0:1], v2, s13, v[12:13]
	global_load_dwordx2 v[26:27], v[16:17], off
	ds_read2_b64 v[6:9], v23 offset1:1
	ds_read2_b64 v[2:5], v23 offset0:2 offset1:3
	s_waitcnt vmcnt(0)
	v_and_b32_e32 v25, 0xff, v26
	v_bfe_u32 v28, v26, 8, 8
	v_bfe_u32 v29, v26, 16, 8
	v_lshrrev_b32_e32 v26, 24, v26
	v_and_b32_e32 v30, 0xff, v27
	v_bfe_u32 v31, v27, 8, 8
	v_bfe_u32 v32, v27, 16, 8
	v_lshrrev_b32_e32 v27, 24, v27
	v_cvt_f32_fp8_e32 v25, v25
	v_cvt_f32_fp8_e32 v28, v28
	;; [unrolled: 1-line block ×8, first 2 shown]
	s_waitcnt lgkmcnt(0)
	v_mul_f32_e32 v25, s10, v25
	v_mul_f32_e32 v28, s10, v28
	v_mul_f32_e32 v29, s10, v29
	v_mul_f32_e32 v26, s10, v26
	v_mul_f32_e32 v38, s10, v30
	v_mul_f32_e32 v39, s10, v31
	v_mul_f32_e32 v40, s10, v32
	v_mul_f32_e32 v41, s10, v27
	v_cvt_pk_bf16_f32 v31, v25, s0
	v_cvt_pk_bf16_f32 v32, v28, s0
	;; [unrolled: 1-line block ×8, first 2 shown]
	v_add_u32_e32 v38, -1, v22
	s_and_saveexec_b64 s[8:9], vcc
	s_cbranch_execz .LBB317_42
; %bb.41:                               ;   in Loop: Header=BB317_40 Depth=1
	v_cmp_gt_i32_e64 s[0:1], s17, v24
	s_nop 1
	v_cndmask_b32_e64 v31, 0, v31, s[0:1]
	v_cmp_gt_i32_e64 s[0:1], s17, v37
	s_nop 1
	v_cndmask_b32_e64 v32, 0, v32, s[0:1]
	v_cmp_gt_i32_e64 s[0:1], s17, v36
	s_nop 1
	v_cndmask_b32_e64 v29, 0, v29, s[0:1]
	v_cmp_gt_i32_e64 s[0:1], s17, v35
	s_nop 1
	v_cndmask_b32_e64 v30, 0, v30, s[0:1]
	v_cmp_gt_i32_e64 s[0:1], s17, v34
	s_nop 1
	v_cndmask_b32_e64 v27, 0, v27, s[0:1]
	v_cmp_gt_i32_e64 s[0:1], s17, v33
	s_nop 1
	v_cndmask_b32_e64 v28, 0, v28, s[0:1]
	v_cmp_gt_i32_e64 s[0:1], s17, v38
	s_nop 1
	v_cndmask_b32_e64 v25, 0, v25, s[0:1]
	v_cmp_gt_i32_e64 s[0:1], s17, v22
	s_nop 1
	v_cndmask_b32_e64 v26, 0, v26, s[0:1]
.LBB317_42:                             ;   in Loop: Header=BB317_40 Depth=1
	s_or_b64 exec, exec, s[8:9]
	global_load_dwordx2 v[16:17], v[16:17], off offset:512
	s_waitcnt vmcnt(0)
	v_and_b32_e32 v39, 0xff, v16
	v_bfe_u32 v40, v16, 8, 8
	v_bfe_u32 v41, v16, 16, 8
	v_lshrrev_b32_e32 v16, 24, v16
	v_and_b32_e32 v42, 0xff, v17
	v_bfe_u32 v43, v17, 8, 8
	v_bfe_u32 v44, v17, 16, 8
	v_lshrrev_b32_e32 v17, 24, v17
	v_cvt_f32_fp8_e32 v39, v39
	v_cvt_f32_fp8_e32 v40, v40
	;; [unrolled: 1-line block ×8, first 2 shown]
	v_mul_f32_e32 v39, s10, v39
	v_mul_f32_e32 v40, s10, v40
	;; [unrolled: 1-line block ×8, first 2 shown]
	v_cvt_pk_bf16_f32 v44, v39, s0
	v_cvt_pk_bf16_f32 v43, v40, s0
	v_cvt_pk_bf16_f32 v42, v41, s0
	v_cvt_pk_bf16_f32 v41, v16, s0
	v_cvt_pk_bf16_f32 v40, v45, s0
	v_cvt_pk_bf16_f32 v39, v46, s0
	v_cvt_pk_bf16_f32 v17, v47, s0
	v_cvt_pk_bf16_f32 v16, v48, s0
	s_and_saveexec_b64 s[0:1], vcc
	s_cbranch_execz .LBB317_39
; %bb.43:                               ;   in Loop: Header=BB317_40 Depth=1
	v_cmp_gt_i32_e32 vcc, s17, v24
	s_nop 1
	v_cndmask_b32_e32 v44, 0, v44, vcc
	v_cmp_gt_i32_e32 vcc, s17, v37
	s_nop 1
	v_cndmask_b32_e32 v43, 0, v43, vcc
	;; [unrolled: 3-line block ×8, first 2 shown]
	s_branch .LBB317_39
.LBB317_44:
	s_or_b64 exec, exec, s[6:7]
.LBB317_45:
	s_or_b64 exec, exec, s[2:3]
	ds_bpermute_b32 v2, v19, v10
	ds_bpermute_b32 v3, v19, v11
	v_and_b32_e32 v1, 0x3c3, v0
	v_cmp_eq_u32_e32 vcc, 64, v1
	s_waitcnt lgkmcnt(0)
	s_barrier
	v_pk_add_f32 v[2:3], v[10:11], v[2:3]
	ds_bpermute_b32 v4, v20, v2
	ds_bpermute_b32 v5, v20, v3
	s_waitcnt lgkmcnt(0)
	v_pk_add_f32 v[2:3], v[2:3], v[4:5]
	s_and_saveexec_b64 s[0:1], vcc
; %bb.46:
	v_add_u32_e32 v4, 0x50, v18
	ds_write2_b32 v4, v2, v3 offset1:16
; %bb.47:
	s_or_b64 exec, exec, s[0:1]
	v_cmp_gt_u32_e32 vcc, 64, v0
	v_lshrrev_b32_e32 v0, 2, v0
	s_waitcnt lgkmcnt(0)
	s_barrier
	s_and_saveexec_b64 s[0:1], vcc
	s_cbranch_execz .LBB317_53
; %bb.48:
	v_mov_b32_e32 v4, 0x50
	v_cmp_eq_u32_e32 vcc, 0, v21
	v_lshl_add_u32 v4, v0, 2, v4
	s_and_saveexec_b64 s[2:3], vcc
	s_cbranch_execz .LBB317_50
; %bb.49:
	ds_read_b32 v5, v4
	s_waitcnt lgkmcnt(0)
	v_add_f32_e32 v2, v2, v5
.LBB317_50:
	s_or_b64 exec, exec, s[2:3]
	s_and_saveexec_b64 s[2:3], vcc
	s_cbranch_execz .LBB317_52
; %bb.51:
	ds_read_b32 v4, v4 offset:64
	s_waitcnt lgkmcnt(0)
	v_add_f32_e32 v3, v3, v4
.LBB317_52:
	s_or_b64 exec, exec, s[2:3]
.LBB317_53:
	s_or_b64 exec, exec, s[0:1]
	v_cmp_eq_u32_e32 vcc, 0, v1
	s_barrier
	s_and_saveexec_b64 s[0:1], vcc
	s_cbranch_execz .LBB317_55
; %bb.54:
	s_mul_i32 s0, s16, s12
	s_mul_i32 s0, s0, s5
	s_lshl_b32 s0, s0, 5
	s_ashr_i32 s1, s0, 31
	s_lshl_b64 s[0:1], s[0:1], 1
	s_add_u32 s2, s20, s0
	s_mul_i32 s0, s12, s18
	s_addc_u32 s3, s21, s1
	s_ashr_i32 s1, s0, 31
	s_lshl_b64 s[0:1], s[0:1], 1
	s_add_u32 s2, s2, s0
	s_addc_u32 s3, s3, s1
	s_lshl_b32 s0, s4, 5
	s_ashr_i32 s1, s0, 31
	s_lshl_b64 s[0:1], s[0:1], 1
	s_add_u32 s0, s2, s0
	s_addc_u32 s1, s3, s1
	v_cvt_pk_bf16_f32 v1, v2, s0
	v_lshlrev_b32_e32 v0, 1, v0
	global_store_short v0, v1, s[0:1]
	v_cvt_pk_bf16_f32 v1, v3, s0
	global_store_short v0, v1, s[0:1] offset:32
.LBB317_55:
	s_endpgm
	.section	.rodata,"a",@progbits
	.p2align	6, 0x0
	.amdhsa_kernel _ZN4vllm25paged_attention_v1_kernelI14__hip_bfloat16hLi32ELi32ELi128ELNS_18Fp8KVCacheDataTypeE1ELb0EEEvPT_PKS3_PKT0_S9_ifPKiSB_iPKfiiiSD_SD_iiiii
		.amdhsa_group_segment_fixed_size 80
		.amdhsa_private_segment_fixed_size 0
		.amdhsa_kernarg_size 384
		.amdhsa_user_sgpr_count 2
		.amdhsa_user_sgpr_dispatch_ptr 0
		.amdhsa_user_sgpr_queue_ptr 0
		.amdhsa_user_sgpr_kernarg_segment_ptr 1
		.amdhsa_user_sgpr_dispatch_id 0
		.amdhsa_user_sgpr_kernarg_preload_length 0
		.amdhsa_user_sgpr_kernarg_preload_offset 0
		.amdhsa_user_sgpr_private_segment_size 0
		.amdhsa_uses_dynamic_stack 0
		.amdhsa_enable_private_segment 0
		.amdhsa_system_sgpr_workgroup_id_x 1
		.amdhsa_system_sgpr_workgroup_id_y 1
		.amdhsa_system_sgpr_workgroup_id_z 1
		.amdhsa_system_sgpr_workgroup_info 0
		.amdhsa_system_vgpr_workitem_id 0
		.amdhsa_next_free_vgpr 49
		.amdhsa_next_free_sgpr 37
		.amdhsa_accum_offset 52
		.amdhsa_reserve_vcc 1
		.amdhsa_float_round_mode_32 0
		.amdhsa_float_round_mode_16_64 0
		.amdhsa_float_denorm_mode_32 3
		.amdhsa_float_denorm_mode_16_64 3
		.amdhsa_dx10_clamp 1
		.amdhsa_ieee_mode 1
		.amdhsa_fp16_overflow 0
		.amdhsa_tg_split 0
		.amdhsa_exception_fp_ieee_invalid_op 0
		.amdhsa_exception_fp_denorm_src 0
		.amdhsa_exception_fp_ieee_div_zero 0
		.amdhsa_exception_fp_ieee_overflow 0
		.amdhsa_exception_fp_ieee_underflow 0
		.amdhsa_exception_fp_ieee_inexact 0
		.amdhsa_exception_int_div_zero 0
	.end_amdhsa_kernel
	.section	.text._ZN4vllm25paged_attention_v1_kernelI14__hip_bfloat16hLi32ELi32ELi128ELNS_18Fp8KVCacheDataTypeE1ELb0EEEvPT_PKS3_PKT0_S9_ifPKiSB_iPKfiiiSD_SD_iiiii,"axG",@progbits,_ZN4vllm25paged_attention_v1_kernelI14__hip_bfloat16hLi32ELi32ELi128ELNS_18Fp8KVCacheDataTypeE1ELb0EEEvPT_PKS3_PKT0_S9_ifPKiSB_iPKfiiiSD_SD_iiiii,comdat
.Lfunc_end317:
	.size	_ZN4vllm25paged_attention_v1_kernelI14__hip_bfloat16hLi32ELi32ELi128ELNS_18Fp8KVCacheDataTypeE1ELb0EEEvPT_PKS3_PKT0_S9_ifPKiSB_iPKfiiiSD_SD_iiiii, .Lfunc_end317-_ZN4vllm25paged_attention_v1_kernelI14__hip_bfloat16hLi32ELi32ELi128ELNS_18Fp8KVCacheDataTypeE1ELb0EEEvPT_PKS3_PKT0_S9_ifPKiSB_iPKfiiiSD_SD_iiiii
                                        ; -- End function
	.set _ZN4vllm25paged_attention_v1_kernelI14__hip_bfloat16hLi32ELi32ELi128ELNS_18Fp8KVCacheDataTypeE1ELb0EEEvPT_PKS3_PKT0_S9_ifPKiSB_iPKfiiiSD_SD_iiiii.num_vgpr, 49
	.set _ZN4vllm25paged_attention_v1_kernelI14__hip_bfloat16hLi32ELi32ELi128ELNS_18Fp8KVCacheDataTypeE1ELb0EEEvPT_PKS3_PKT0_S9_ifPKiSB_iPKfiiiSD_SD_iiiii.num_agpr, 0
	.set _ZN4vllm25paged_attention_v1_kernelI14__hip_bfloat16hLi32ELi32ELi128ELNS_18Fp8KVCacheDataTypeE1ELb0EEEvPT_PKS3_PKT0_S9_ifPKiSB_iPKfiiiSD_SD_iiiii.numbered_sgpr, 37
	.set _ZN4vllm25paged_attention_v1_kernelI14__hip_bfloat16hLi32ELi32ELi128ELNS_18Fp8KVCacheDataTypeE1ELb0EEEvPT_PKS3_PKT0_S9_ifPKiSB_iPKfiiiSD_SD_iiiii.num_named_barrier, 0
	.set _ZN4vllm25paged_attention_v1_kernelI14__hip_bfloat16hLi32ELi32ELi128ELNS_18Fp8KVCacheDataTypeE1ELb0EEEvPT_PKS3_PKT0_S9_ifPKiSB_iPKfiiiSD_SD_iiiii.private_seg_size, 0
	.set _ZN4vllm25paged_attention_v1_kernelI14__hip_bfloat16hLi32ELi32ELi128ELNS_18Fp8KVCacheDataTypeE1ELb0EEEvPT_PKS3_PKT0_S9_ifPKiSB_iPKfiiiSD_SD_iiiii.uses_vcc, 1
	.set _ZN4vllm25paged_attention_v1_kernelI14__hip_bfloat16hLi32ELi32ELi128ELNS_18Fp8KVCacheDataTypeE1ELb0EEEvPT_PKS3_PKT0_S9_ifPKiSB_iPKfiiiSD_SD_iiiii.uses_flat_scratch, 0
	.set _ZN4vllm25paged_attention_v1_kernelI14__hip_bfloat16hLi32ELi32ELi128ELNS_18Fp8KVCacheDataTypeE1ELb0EEEvPT_PKS3_PKT0_S9_ifPKiSB_iPKfiiiSD_SD_iiiii.has_dyn_sized_stack, 0
	.set _ZN4vllm25paged_attention_v1_kernelI14__hip_bfloat16hLi32ELi32ELi128ELNS_18Fp8KVCacheDataTypeE1ELb0EEEvPT_PKS3_PKT0_S9_ifPKiSB_iPKfiiiSD_SD_iiiii.has_recursion, 0
	.set _ZN4vllm25paged_attention_v1_kernelI14__hip_bfloat16hLi32ELi32ELi128ELNS_18Fp8KVCacheDataTypeE1ELb0EEEvPT_PKS3_PKT0_S9_ifPKiSB_iPKfiiiSD_SD_iiiii.has_indirect_call, 0
	.section	.AMDGPU.csdata,"",@progbits
; Kernel info:
; codeLenInByte = 4744
; TotalNumSgprs: 43
; NumVgprs: 49
; NumAgprs: 0
; TotalNumVgprs: 49
; ScratchSize: 0
; MemoryBound: 0
; FloatMode: 240
; IeeeMode: 1
; LDSByteSize: 80 bytes/workgroup (compile time only)
; SGPRBlocks: 5
; VGPRBlocks: 6
; NumSGPRsForWavesPerEU: 43
; NumVGPRsForWavesPerEU: 49
; AccumOffset: 52
; Occupancy: 8
; WaveLimiterHint : 1
; COMPUTE_PGM_RSRC2:SCRATCH_EN: 0
; COMPUTE_PGM_RSRC2:USER_SGPR: 2
; COMPUTE_PGM_RSRC2:TRAP_HANDLER: 0
; COMPUTE_PGM_RSRC2:TGID_X_EN: 1
; COMPUTE_PGM_RSRC2:TGID_Y_EN: 1
; COMPUTE_PGM_RSRC2:TGID_Z_EN: 1
; COMPUTE_PGM_RSRC2:TIDIG_COMP_CNT: 0
; COMPUTE_PGM_RSRC3_GFX90A:ACCUM_OFFSET: 12
; COMPUTE_PGM_RSRC3_GFX90A:TG_SPLIT: 0
	.section	.text._ZN4vllm25paged_attention_v1_kernelI14__hip_bfloat16hLi64ELi32ELi128ELNS_18Fp8KVCacheDataTypeE1ELb0EEEvPT_PKS3_PKT0_S9_ifPKiSB_iPKfiiiSD_SD_iiiii,"axG",@progbits,_ZN4vllm25paged_attention_v1_kernelI14__hip_bfloat16hLi64ELi32ELi128ELNS_18Fp8KVCacheDataTypeE1ELb0EEEvPT_PKS3_PKT0_S9_ifPKiSB_iPKfiiiSD_SD_iiiii,comdat
	.protected	_ZN4vllm25paged_attention_v1_kernelI14__hip_bfloat16hLi64ELi32ELi128ELNS_18Fp8KVCacheDataTypeE1ELb0EEEvPT_PKS3_PKT0_S9_ifPKiSB_iPKfiiiSD_SD_iiiii ; -- Begin function _ZN4vllm25paged_attention_v1_kernelI14__hip_bfloat16hLi64ELi32ELi128ELNS_18Fp8KVCacheDataTypeE1ELb0EEEvPT_PKS3_PKT0_S9_ifPKiSB_iPKfiiiSD_SD_iiiii
	.globl	_ZN4vllm25paged_attention_v1_kernelI14__hip_bfloat16hLi64ELi32ELi128ELNS_18Fp8KVCacheDataTypeE1ELb0EEEvPT_PKS3_PKT0_S9_ifPKiSB_iPKfiiiSD_SD_iiiii
	.p2align	8
	.type	_ZN4vllm25paged_attention_v1_kernelI14__hip_bfloat16hLi64ELi32ELi128ELNS_18Fp8KVCacheDataTypeE1ELb0EEEvPT_PKS3_PKT0_S9_ifPKiSB_iPKfiiiSD_SD_iiiii,@function
_ZN4vllm25paged_attention_v1_kernelI14__hip_bfloat16hLi64ELi32ELi128ELNS_18Fp8KVCacheDataTypeE1ELb0EEEvPT_PKS3_PKT0_S9_ifPKiSB_iPKfiiiSD_SD_iiiii: ; @_ZN4vllm25paged_attention_v1_kernelI14__hip_bfloat16hLi64ELi32ELi128ELNS_18Fp8KVCacheDataTypeE1ELb0EEEvPT_PKS3_PKT0_S9_ifPKiSB_iPKfiiiSD_SD_iiiii
; %bb.0:
	s_load_dword s5, s[0:1], 0x80
	s_load_dwordx2 s[6:7], s[0:1], 0x30
	s_load_dwordx2 s[28:29], s[0:1], 0x20
	s_mov_b32 s16, s3
	s_ashr_i32 s17, s3, 31
	s_lshl_b64 s[8:9], s[16:17], 2
	s_waitcnt lgkmcnt(0)
	s_add_u32 s6, s6, s8
	s_addc_u32 s7, s7, s9
	s_abs_i32 s3, s28
	v_cvt_f32_u32_e32 v1, s3
	s_sub_i32 s10, 0, s3
	s_abs_i32 s9, s5
	s_xor_b32 s8, s5, s28
	v_rcp_iflag_f32_e32 v1, v1
	s_ashr_i32 s8, s8, 31
	s_mov_b32 s28, 0
	v_mul_f32_e32 v1, 0x4f7ffffe, v1
	v_cvt_u32_f32_e32 v1, v1
	s_nop 0
	v_readfirstlane_b32 s11, v1
	s_mul_i32 s10, s10, s11
	s_mul_hi_u32 s10, s11, s10
	s_add_i32 s11, s11, s10
	s_mul_hi_u32 s10, s9, s11
	s_mul_i32 s11, s10, s3
	s_sub_i32 s9, s9, s11
	s_add_i32 s11, s10, 1
	s_sub_i32 s12, s9, s3
	s_cmp_ge_u32 s9, s3
	s_cselect_b32 s10, s11, s10
	s_cselect_b32 s9, s12, s9
	s_add_i32 s11, s10, 1
	s_cmp_ge_u32 s9, s3
	s_cselect_b32 s3, s11, s10
	s_xor_b32 s3, s3, s8
	s_sub_i32 s12, s3, s8
	s_abs_i32 s10, s12
	v_cvt_f32_u32_e32 v1, s10
	s_load_dwordx2 s[8:9], s[0:1], 0x40
	s_sub_i32 s3, 0, s10
	s_abs_i32 s11, s2
	v_rcp_iflag_f32_e32 v1, v1
	s_nop 0
	v_mul_f32_e32 v1, 0x4f7ffffe, v1
	v_cvt_u32_f32_e32 v1, v1
	s_nop 0
	v_readfirstlane_b32 s13, v1
	s_mul_i32 s3, s3, s13
	s_mul_hi_u32 s3, s13, s3
	s_add_i32 s13, s13, s3
	s_waitcnt lgkmcnt(0)
	s_cmp_eq_u64 s[8:9], 0
	s_mul_hi_u32 s20, s11, s13
	s_cbranch_scc1 .LBB318_2
; %bb.1:
	s_ashr_i32 s3, s2, 31
	s_lshl_b64 s[14:15], s[2:3], 2
	s_add_u32 s8, s8, s14
	s_addc_u32 s9, s9, s15
	s_load_dword s28, s[8:9], 0x0
.LBB318_2:
	s_load_dword s17, s[6:7], 0x0
	s_ashr_i32 s7, s12, 31
	s_load_dwordx4 s[12:15], s[0:1], 0x48
	s_ashr_i32 s6, s2, 31
	v_and_b32_e32 v2, 1, v0
	s_lshl_b32 s18, s2, 6
	v_cmp_gt_u32_e32 vcc, 16, v0
	v_lshlrev_b32_e32 v6, 3, v0
	s_and_saveexec_b64 s[2:3], vcc
	s_cbranch_execz .LBB318_4
; %bb.3:
	s_load_dwordx2 s[8:9], s[0:1], 0x8
	s_waitcnt lgkmcnt(0)
	s_mul_i32 s22, s12, s16
	s_ashr_i32 s23, s22, 31
	s_lshl_b64 s[22:23], s[22:23], 1
	v_lshlrev_b32_e32 v1, 2, v0
	s_add_u32 s12, s8, s22
	s_addc_u32 s15, s9, s23
	s_ashr_i32 s19, s18, 31
	s_lshl_b64 s[8:9], s[18:19], 1
	s_add_u32 s8, s12, s8
	s_addc_u32 s9, s15, s9
	global_load_dwordx2 v[4:5], v6, s[8:9]
	v_and_b32_e32 v1, 0xff8, v1
	v_lshl_add_u32 v1, v2, 6, v1
	s_waitcnt vmcnt(0)
	ds_write_b64 v1, v[4:5]
.LBB318_4:
	s_or_b64 exec, exec, s[2:3]
	s_waitcnt lgkmcnt(0)
	s_add_i32 s3, s17, 31
	s_ashr_i32 s8, s3, 31
	s_lshr_b32 s8, s8, 27
	s_add_i32 s3, s3, s8
	s_ashr_i32 s19, s3, 5
	s_xor_b32 s3, s6, s7
	s_mul_i32 s6, s20, s10
	s_sub_i32 s6, s11, s6
	s_add_i32 s7, s20, 1
	s_sub_i32 s8, s6, s10
	s_load_dwordx2 s[22:23], s[0:1], 0x28
	s_load_dword s2, s[0:1], 0x38
	s_cmp_ge_u32 s6, s10
	s_cselect_b32 s7, s7, s20
	s_cselect_b32 s6, s8, s6
	s_add_i32 s8, s7, 1
	s_cmp_ge_u32 s6, s10
	s_cselect_b32 s6, s8, s7
	v_lshrrev_b32_e32 v1, 6, v0
	s_xor_b32 s6, s6, s3
	s_waitcnt lgkmcnt(0)
	s_mul_i32 s24, s2, s16
	s_sub_i32 s33, s6, s3
	s_ashr_i32 s25, s24, 31
	v_cmp_gt_i32_e64 s[6:7], s19, v1
	v_cmp_le_i32_e32 vcc, s19, v1
	v_mbcnt_lo_u32_b32 v3, -1, 0
	s_barrier
                                        ; implicit-def: $vgpr8
                                        ; implicit-def: $vgpr9
                                        ; implicit-def: $vgpr10
	s_and_saveexec_b64 s[2:3], vcc
	s_xor_b64 s[2:3], exec, s[2:3]
; %bb.5:
	v_mbcnt_hi_u32_b32 v8, -1, v3
	v_and_b32_e32 v9, 64, v8
	v_add_u32_e32 v10, 64, v9
                                        ; implicit-def: $vgpr2
                                        ; implicit-def: $vgpr3
; %bb.6:
	s_or_saveexec_b64 s[30:31], s[2:3]
	s_load_dwordx2 s[20:21], s[0:1], 0x0
	s_load_dwordx2 s[26:27], s[0:1], 0x18
	s_load_dword s12, s[0:1], 0x88
	s_load_dwordx4 s[8:11], s[0:1], 0x58
	v_mov_b32_e32 v36, 0xff7fffff
	s_mul_i32 s33, s33, s14
	v_lshrrev_b32_e32 v7, 4, v0
	s_xor_b64 exec, exec, s[30:31]
	s_cbranch_execz .LBB318_12
; %bb.7:
	s_load_dwordx2 s[0:1], s[0:1], 0x10
	v_lshlrev_b32_e32 v8, 6, v2
	ds_read_b128 v[16:19], v8
	ds_read_b128 v[24:27], v8 offset:16
	ds_read_b128 v[32:35], v8 offset:32
	;; [unrolled: 1-line block ×3, first 2 shown]
	v_mbcnt_hi_u32_b32 v8, -1, v3
	s_ashr_i32 s2, s33, 31
	v_and_b32_e32 v9, 64, v8
	v_bfe_u32 v36, v0, 1, 5
	s_waitcnt lgkmcnt(0)
	s_add_u32 s0, s0, s33
	v_xor_b32_e32 v3, 1, v8
	v_add_u32_e32 v10, 64, v9
	v_lshlrev_b32_e32 v4, 4, v36
	s_addc_u32 s1, s1, s2
	v_mov_b32_e32 v5, 0
	v_cmp_lt_i32_e32 vcc, v3, v10
	v_lshl_add_u64 v[46:47], s[0:1], 0, v[4:5]
	v_lshlrev_b32_e32 v4, 2, v2
	v_cndmask_b32_e32 v3, v8, v3, vcc
	s_load_dword s35, s[8:9], 0x0
	v_lshlrev_b32_e32 v44, 2, v3
	v_cmp_eq_u32_e32 vcc, 0, v2
	v_lshl_add_u64 v[2:3], v[46:47], 0, v[4:5]
	s_sub_i32 s36, 1, s17
	v_lshlrev_b32_e32 v4, 2, v36
	s_lshl_b64 s[0:1], s[24:25], 2
	v_lshl_or_b32 v4, v1, 7, v4
	s_add_u32 s0, s22, s0
	v_add_u32_e32 v46, 0x90, v4
	v_and_b32_e32 v4, 60, v7
	s_addc_u32 s1, s23, s1
	s_mov_b32 s34, s13
	v_lshlrev_b32_e32 v11, 16, v16
	v_and_b32_e32 v12, 0xffff0000, v16
	v_lshlrev_b32_e32 v13, 16, v17
	v_and_b32_e32 v14, 0xffff0000, v17
	;; [unrolled: 2-line block ×16, first 2 shown]
	v_cmp_neq_f32_e64 s[2:3], s28, 0
	v_lshl_or_b32 v45, v1, 5, v36
	v_lshl_add_u64 v[4:5], s[0:1], 0, v[4:5]
	v_mov_b32_e32 v36, 0xff7fffff
	s_mov_b64 s[8:9], 0
	v_mov_b32_e32 v47, v1
	s_branch .LBB318_9
.LBB318_8:                              ;   in Loop: Header=BB318_9 Depth=1
	s_or_b64 exec, exec, s[14:15]
	v_add_u32_e32 v47, 2, v47
	v_cmp_le_i32_e64 s[0:1], s19, v47
	v_add_u32_e32 v45, 64, v45
	v_add_u32_e32 v46, 0x100, v46
	s_or_b64 s[8:9], s[0:1], s[8:9]
	v_lshl_add_u64 v[4:5], v[4:5], 0, 8
	s_andn2_b64 exec, exec, s[8:9]
	s_cbranch_execz .LBB318_11
.LBB318_9:                              ; =>This Inner Loop Header: Depth=1
	global_load_dword v48, v[4:5], off
	s_waitcnt vmcnt(0)
	v_mad_i64_i32 v[50:51], s[0:1], v48, s34, v[2:3]
	global_load_dword v48, v[50:51], off
	global_load_dword v52, v[50:51], off offset:8
	global_load_dword v59, v[50:51], off offset:512
	;; [unrolled: 1-line block ×6, first 2 shown]
	s_waitcnt lgkmcnt(0)
	global_load_dword v49, v[50:51], off offset:1544
	s_waitcnt vmcnt(7)
	v_and_b32_e32 v62, 0xff, v48
	s_waitcnt vmcnt(6)
	v_and_b32_e32 v63, 0xff, v52
	v_bfe_u32 v56, v52, 8, 8
	v_bfe_u32 v51, v48, 8, 8
	;; [unrolled: 1-line block ×3, first 2 shown]
	v_lshrrev_b32_e32 v52, 24, v52
	v_cvt_f32_fp8_e32 v63, v63
	v_cvt_f32_fp8_e32 v56, v56
	v_bfe_u32 v50, v48, 16, 8
	v_lshrrev_b32_e32 v48, 24, v48
	s_waitcnt vmcnt(5)
	v_and_b32_e32 v53, 0xff, v59
	v_bfe_u32 v54, v59, 8, 8
	v_cvt_f32_fp8_e32 v62, v62
	v_cvt_f32_fp8_e32 v51, v51
	v_cvt_f32_fp8_e32 v55, v55
	v_cvt_f32_fp8_e32 v52, v52
	v_bfe_u32 v64, v59, 16, 8
	v_lshrrev_b32_e32 v59, 24, v59
	s_waitcnt vmcnt(4)
	v_and_b32_e32 v65, 0xff, v60
	v_bfe_u32 v66, v60, 8, 8
	v_cvt_f32_fp8_e32 v50, v50
	v_cvt_f32_fp8_e32 v48, v48
	;; [unrolled: 9-line block ×3, first 2 shown]
	v_cvt_f32_fp8_e32 v65, v65
	v_cvt_f32_fp8_e32 v66, v66
	v_bfe_u32 v70, v61, 16, 8
	v_lshrrev_b32_e32 v61, 24, v61
	s_waitcnt vmcnt(2)
	v_and_b32_e32 v71, 0xff, v58
	v_bfe_u32 v72, v58, 8, 8
	s_waitcnt lgkmcnt(0)
	v_mul_f32_e32 v63, s35, v63
	v_cvt_f32_fp8_e32 v67, v67
	v_cvt_f32_fp8_e32 v60, v60
	;; [unrolled: 1-line block ×4, first 2 shown]
	v_mul_f32_e32 v56, s35, v56
	v_bfe_u32 v73, v58, 16, 8
	v_lshrrev_b32_e32 v58, 24, v58
	s_waitcnt vmcnt(1)
	v_and_b32_e32 v74, 0xff, v57
	v_bfe_u32 v75, v57, 8, 8
	v_bfe_u32 v76, v57, 16, 8
	v_lshrrev_b32_e32 v57, 24, v57
	v_mul_f32_e32 v62, s35, v62
	v_cvt_pk_bf16_f32 v63, v63, s0
	v_cvt_f32_fp8_e32 v70, v70
	v_cvt_f32_fp8_e32 v61, v61
	;; [unrolled: 1-line block ×4, first 2 shown]
	v_mul_f32_e32 v51, s35, v51
	v_mul_f32_e32 v55, s35, v55
	;; [unrolled: 1-line block ×3, first 2 shown]
	v_cvt_pk_bf16_f32 v56, v56, s0
	v_cvt_pk_bf16_f32 v62, v62, s0
	v_lshlrev_b32_e32 v63, 16, v63
	v_cvt_f32_fp8_e32 v73, v73
	v_cvt_f32_fp8_e32 v58, v58
	;; [unrolled: 1-line block ×3, first 2 shown]
	v_mul_f32_e32 v50, s35, v50
	v_mul_f32_e32 v48, s35, v48
	;; [unrolled: 1-line block ×4, first 2 shown]
	v_cvt_pk_bf16_f32 v51, v51, s0
	v_cvt_pk_bf16_f32 v55, v55, s0
	;; [unrolled: 1-line block ×3, first 2 shown]
	v_lshlrev_b32_e32 v56, 16, v56
	s_waitcnt vmcnt(0)
	v_and_b32_e32 v77, 0xff, v49
	v_bfe_u32 v78, v49, 8, 8
	v_lshlrev_b32_e32 v62, 16, v62
	v_mul_f32_e32 v63, v15, v63
	v_cvt_f32_fp8_e32 v74, v74
	v_cvt_f32_fp8_e32 v75, v75
	v_mul_f32_e32 v64, s35, v64
	v_mul_f32_e32 v59, s35, v59
	;; [unrolled: 1-line block ×4, first 2 shown]
	v_cvt_pk_bf16_f32 v50, v50, s0
	v_cvt_pk_bf16_f32 v48, v48, s0
	v_cvt_pk_bf16_f32 v53, v53, s0
	v_cvt_pk_bf16_f32 v54, v54, s0
	v_lshlrev_b32_e32 v51, 16, v51
	v_lshlrev_b32_e32 v55, 16, v55
	;; [unrolled: 1-line block ×3, first 2 shown]
	v_mul_f32_e32 v56, v16, v56
	v_fmac_f32_e32 v63, v11, v62
	v_bfe_u32 v62, v49, 16, 8
	v_cvt_f32_fp8_e32 v76, v76
	v_cvt_f32_fp8_e32 v77, v77
	;; [unrolled: 1-line block ×3, first 2 shown]
	v_mul_f32_e32 v67, s35, v67
	v_mul_f32_e32 v60, s35, v60
	;; [unrolled: 1-line block ×4, first 2 shown]
	v_cvt_pk_bf16_f32 v64, v64, s0
	v_cvt_pk_bf16_f32 v59, v59, s0
	;; [unrolled: 1-line block ×4, first 2 shown]
	v_lshlrev_b32_e32 v50, 16, v50
	v_lshlrev_b32_e32 v48, 16, v48
	;; [unrolled: 1-line block ×4, first 2 shown]
	v_mul_f32_e32 v55, v17, v55
	v_mul_f32_e32 v52, v18, v52
	v_fmac_f32_e32 v56, v12, v51
	v_lshrrev_b32_e32 v49, 24, v49
	v_cvt_f32_fp8_e32 v62, v62
	v_mul_f32_e32 v70, s35, v70
	v_mul_f32_e32 v61, s35, v61
	;; [unrolled: 1-line block ×4, first 2 shown]
	v_cvt_pk_bf16_f32 v67, v67, s0
	v_cvt_pk_bf16_f32 v60, v60, s0
	v_cvt_pk_bf16_f32 v68, v68, s0
	v_cvt_pk_bf16_f32 v69, v69, s0
	v_lshlrev_b32_e32 v64, 16, v64
	v_lshlrev_b32_e32 v59, 16, v59
	;; [unrolled: 1-line block ×4, first 2 shown]
	v_fmac_f32_e32 v55, v13, v50
	v_fmac_f32_e32 v52, v14, v48
	;; [unrolled: 1-line block ×4, first 2 shown]
	v_cvt_f32_fp8_e32 v49, v49
	v_mul_f32_e32 v73, s35, v73
	v_mul_f32_e32 v58, s35, v58
	;; [unrolled: 1-line block ×3, first 2 shown]
	v_cvt_pk_bf16_f32 v70, v70, s0
	v_cvt_pk_bf16_f32 v61, v61, s0
	;; [unrolled: 1-line block ×4, first 2 shown]
	v_lshlrev_b32_e32 v67, 16, v67
	v_lshlrev_b32_e32 v60, 16, v60
	;; [unrolled: 1-line block ×4, first 2 shown]
	v_fmac_f32_e32 v55, v21, v64
	v_fmac_f32_e32 v52, v22, v59
	;; [unrolled: 1-line block ×4, first 2 shown]
	v_mul_f32_e32 v74, s35, v74
	v_mul_f32_e32 v75, s35, v75
	v_cvt_pk_bf16_f32 v73, v73, s0
	v_cvt_pk_bf16_f32 v58, v58, s0
	v_lshlrev_b32_e32 v70, 16, v70
	v_lshlrev_b32_e32 v61, 16, v61
	v_fmac_f32_e32 v55, v25, v67
	v_fmac_f32_e32 v52, v26, v60
	v_fmac_f32_e32 v63, v27, v68
	v_fmac_f32_e32 v56, v28, v69
	v_cvt_pk_bf16_f32 v48, v57, s0
	v_lshlrev_b32_e32 v54, 16, v71
	v_lshlrev_b32_e32 v57, 16, v72
	v_mul_f32_e32 v76, s35, v76
	v_mul_f32_e32 v77, s35, v77
	;; [unrolled: 1-line block ×3, first 2 shown]
	v_cvt_pk_bf16_f32 v74, v74, s0
	v_cvt_pk_bf16_f32 v75, v75, s0
	v_fmac_f32_e32 v55, v29, v70
	v_fmac_f32_e32 v52, v30, v61
	;; [unrolled: 1-line block ×4, first 2 shown]
	v_lshlrev_b32_e32 v54, 16, v73
	v_lshlrev_b32_e32 v57, 16, v58
	v_mul_f32_e32 v62, s35, v62
	v_cvt_pk_bf16_f32 v76, v76, s0
	v_cvt_pk_bf16_f32 v50, v77, s0
	;; [unrolled: 1-line block ×3, first 2 shown]
	v_fmac_f32_e32 v55, v33, v54
	v_fmac_f32_e32 v52, v34, v57
	v_lshlrev_b32_e32 v54, 16, v74
	v_lshlrev_b32_e32 v57, 16, v75
	;; [unrolled: 1-line block ×3, first 2 shown]
	v_mul_f32_e32 v49, s35, v49
	v_cvt_pk_bf16_f32 v53, v62, s0
	v_fmac_f32_e32 v63, v35, v54
	v_fmac_f32_e32 v56, v37, v57
	v_lshlrev_b32_e32 v54, 16, v76
	v_fmac_f32_e32 v52, v39, v48
	v_lshlrev_b32_e32 v48, 16, v50
	v_lshlrev_b32_e32 v50, 16, v51
	v_cvt_pk_bf16_f32 v49, v49, s0
	v_fmac_f32_e32 v55, v38, v54
	v_fmac_f32_e32 v63, v40, v48
	;; [unrolled: 1-line block ×3, first 2 shown]
	v_lshlrev_b32_e32 v48, 16, v53
	v_lshlrev_b32_e32 v49, 16, v49
	v_fmac_f32_e32 v55, v42, v48
	v_add_f32_e32 v48, v63, v56
	v_fmac_f32_e32 v52, v43, v49
	v_add_f32_e32 v48, v48, v55
	v_add_f32_e32 v48, v52, v48
	ds_bpermute_b32 v49, v44, v48
	s_and_saveexec_b64 s[14:15], vcc
	s_cbranch_execz .LBB318_8
; %bb.10:                               ;   in Loop: Header=BB318_9 Depth=1
	v_add_u32_e32 v50, s36, v45
	v_cvt_f32_i32_e32 v50, v50
	s_waitcnt lgkmcnt(0)
	v_add_f32_e32 v48, v48, v49
	v_cmp_gt_i32_e64 s[0:1], s17, v45
	v_max_f32_e32 v49, v36, v36
	v_mul_f32_e32 v50, s28, v50
	v_cndmask_b32_e64 v50, 0, v50, s[2:3]
	v_fmac_f32_e32 v50, s29, v48
	v_cndmask_b32_e64 v48, 0, v50, s[0:1]
	ds_write_b32 v46, v48
	v_max_f32_e32 v48, v49, v50
	v_cndmask_b32_e64 v36, v36, v48, s[0:1]
	s_branch .LBB318_8
.LBB318_11:
	s_or_b64 exec, exec, s[8:9]
.LBB318_12:
	s_or_b64 exec, exec, s[30:31]
	v_xor_b32_e32 v2, 32, v8
	v_cmp_lt_i32_e32 vcc, v2, v10
	v_xor_b32_e32 v5, 16, v8
	v_max_f32_e32 v4, v36, v36
	v_cndmask_b32_e32 v2, v8, v2, vcc
	v_lshlrev_b32_e32 v2, 2, v2
	ds_bpermute_b32 v3, v2, v36
	v_cmp_lt_i32_e32 vcc, v5, v10
	v_xor_b32_e32 v11, 8, v8
	v_xor_b32_e32 v12, 4, v8
	v_xor_b32_e32 v13, 2, v8
	s_waitcnt lgkmcnt(0)
	v_max_f32_e32 v3, v3, v3
	v_max_f32_e32 v4, v4, v3
	v_cndmask_b32_e32 v3, v8, v5, vcc
	v_lshlrev_b32_e32 v3, 2, v3
	ds_bpermute_b32 v5, v3, v4
	v_cmp_lt_i32_e32 vcc, v11, v10
	v_and_b32_e32 v20, 63, v0
	s_waitcnt lgkmcnt(0)
	v_max_f32_e32 v5, v5, v5
	v_max_f32_e32 v5, v4, v5
	v_cndmask_b32_e32 v4, v8, v11, vcc
	v_lshlrev_b32_e32 v4, 2, v4
	ds_bpermute_b32 v11, v4, v5
	v_cmp_lt_i32_e32 vcc, v12, v10
	s_waitcnt lgkmcnt(0)
	v_max_f32_e32 v11, v11, v11
	v_max_f32_e32 v11, v5, v11
	v_cndmask_b32_e32 v5, v8, v12, vcc
	v_lshlrev_b32_e32 v5, 2, v5
	ds_bpermute_b32 v12, v5, v11
	v_cmp_lt_i32_e32 vcc, v13, v10
	s_waitcnt lgkmcnt(0)
	v_max_f32_e32 v12, v12, v12
	v_max_f32_e32 v12, v11, v12
	v_cndmask_b32_e32 v11, v8, v13, vcc
	v_lshlrev_b32_e32 v21, 2, v11
	ds_bpermute_b32 v13, v21, v12
	v_cmp_eq_u32_e32 vcc, 0, v20
	v_lshlrev_b32_e32 v11, 2, v1
	s_and_saveexec_b64 s[0:1], vcc
	s_cbranch_execz .LBB318_14
; %bb.13:
	s_waitcnt lgkmcnt(0)
	v_max_f32_e32 v13, v13, v13
	v_max_f32_e32 v12, v12, v12
	;; [unrolled: 1-line block ×3, first 2 shown]
	ds_write_b32 v11, v12 offset:128
.LBB318_14:
	s_or_b64 exec, exec, s[0:1]
	v_cmp_gt_u32_e64 s[0:1], 2, v20
	s_waitcnt lgkmcnt(0)
	v_mov_b32_e32 v13, 0xff7fffff
	v_lshlrev_b32_e32 v12, 2, v20
	s_barrier
	s_and_saveexec_b64 s[2:3], s[0:1]
; %bb.15:
	ds_read_b32 v13, v12 offset:128
; %bb.16:
	s_or_b64 exec, exec, s[2:3]
	v_xor_b32_e32 v14, 1, v8
	v_cmp_lt_i32_e64 s[2:3], v14, v10
	v_lshlrev_b32_e32 v9, 2, v9
	s_nop 0
	v_cndmask_b32_e64 v10, v8, v14, s[2:3]
	v_lshlrev_b32_e32 v22, 2, v10
	s_waitcnt lgkmcnt(0)
	ds_bpermute_b32 v10, v22, v13
	v_max_f32_e32 v13, v13, v13
	s_lshl_b32 s2, s19, 5
	s_min_i32 s30, s2, s17
	v_cmp_gt_i32_e64 s[2:3], s30, v0
	s_waitcnt lgkmcnt(0)
	v_max_f32_e32 v10, v10, v10
	v_max_f32_e32 v10, v13, v10
	ds_bpermute_b32 v10, v9, v10
	v_mov_b32_e32 v9, 0
	s_and_saveexec_b64 s[14:15], s[2:3]
	s_cbranch_execz .LBB318_20
; %bb.17:
	v_mov_b32_e32 v9, 0x90
	v_lshl_add_u32 v13, v0, 2, v9
	v_mov_b32_e32 v9, 0
	s_mov_b64 s[28:29], 0
	v_mov_b32_e32 v14, v0
.LBB318_18:                             ; =>This Inner Loop Header: Depth=1
	ds_read_b32 v15, v13
	v_add_u32_e32 v14, 0x80, v14
	v_cmp_le_i32_e64 s[8:9], s30, v14
	s_or_b64 s[28:29], s[8:9], s[28:29]
	s_waitcnt lgkmcnt(0)
	v_sub_f32_e32 v15, v15, v10
	v_mul_f32_e32 v15, 0x3fb8aa3b, v15
	v_exp_f32_e32 v15, v15
	ds_write_b32 v13, v15
	v_add_f32_e32 v9, v9, v15
	v_add_u32_e32 v13, 0x200, v13
	s_andn2_b64 exec, exec, s[28:29]
	s_cbranch_execnz .LBB318_18
; %bb.19:
	s_or_b64 exec, exec, s[28:29]
.LBB318_20:
	s_or_b64 exec, exec, s[14:15]
	ds_bpermute_b32 v2, v2, v9
	s_waitcnt lgkmcnt(0)
	v_add_f32_e32 v2, v9, v2
	ds_bpermute_b32 v3, v3, v2
	s_waitcnt lgkmcnt(0)
	v_add_f32_e32 v2, v2, v3
	;; [unrolled: 3-line block ×6, first 2 shown]
	s_and_saveexec_b64 s[8:9], vcc
; %bb.21:
	ds_write_b32 v11, v2 offset:136
; %bb.22:
	s_or_b64 exec, exec, s[8:9]
	s_waitcnt lgkmcnt(0)
	s_barrier
	s_and_saveexec_b64 s[8:9], s[0:1]
; %bb.23:
	ds_read_b32 v2, v12 offset:136
; %bb.24:
	s_or_b64 exec, exec, s[8:9]
	s_waitcnt lgkmcnt(0)
	ds_bpermute_b32 v3, v22, v2
	v_lshlrev_b32_e32 v4, 2, v8
	s_waitcnt lgkmcnt(0)
	v_add_f32_e32 v2, v2, v3
	v_and_b32_e32 v3, 0xffffff00, v4
	ds_bpermute_b32 v2, v3, v2
	s_and_saveexec_b64 s[0:1], s[2:3]
	s_cbranch_execz .LBB318_37
; %bb.25:
	s_waitcnt lgkmcnt(0)
	v_add_f32_e32 v2, 0x358637bd, v2
	v_div_scale_f32 v3, s[2:3], v2, v2, 1.0
	v_rcp_f32_e32 v4, v3
	v_div_scale_f32 v5, vcc, 1.0, v2, 1.0
	s_movk_i32 s2, 0x7f
	v_fma_f32 v8, -v3, v4, 1.0
	v_fmac_f32_e32 v4, v8, v4
	v_mul_f32_e32 v8, v5, v4
	v_fma_f32 v9, -v3, v8, v5
	v_fmac_f32_e32 v8, v9, v4
	v_fma_f32 v3, -v3, v8, v5
	v_div_fmas_f32 v3, v3, v4, v8
	v_xad_u32 v4, v0, -1, s30
	v_div_fixup_f32 v2, v3, v2, 1.0
	v_cmp_lt_u32_e32 vcc, s2, v4
	s_mov_b64 s[8:9], -1
	v_mov_b32_e32 v3, v0
	s_and_saveexec_b64 s[2:3], vcc
	s_cbranch_execz .LBB318_34
; %bb.26:
	v_lshrrev_b32_e32 v4, 7, v4
	v_add_u32_e32 v8, -1, v4
	v_lshrrev_b32_e32 v5, 1, v8
	v_mov_b32_e32 v3, v2
	v_add_u32_e32 v5, 1, v5
	v_cmp_lt_u32_e32 vcc, 13, v8
	v_mov_b32_e32 v10, 0
	s_and_saveexec_b64 s[8:9], vcc
	s_cbranch_execz .LBB318_30
; %bb.27:
	v_mov_b32_e32 v9, 0x90
	v_and_b32_e32 v8, -8, v5
	v_lshl_add_u32 v9, v0, 2, v9
	s_mov_b32 s28, 0
	s_mov_b64 s[14:15], 0
.LBB318_28:                             ; =>This Inner Loop Header: Depth=1
	ds_read2st64_b32 v[10:11], v9 offset1:2
	ds_read2st64_b32 v[12:13], v9 offset0:4 offset1:6
	ds_read2st64_b32 v[14:15], v9 offset0:8 offset1:10
	;; [unrolled: 1-line block ×3, first 2 shown]
	v_add_u32_e32 v8, -8, v8
	s_waitcnt lgkmcnt(3)
	v_pk_mul_f32 v[10:11], v[2:3], v[10:11]
	s_waitcnt lgkmcnt(2)
	v_pk_mul_f32 v[12:13], v[2:3], v[12:13]
	ds_write2st64_b32 v9, v10, v11 offset1:2
	ds_write2st64_b32 v9, v12, v13 offset0:4 offset1:6
	ds_read2st64_b32 v[12:13], v9 offset0:16 offset1:18
	s_waitcnt lgkmcnt(4)
	v_pk_mul_f32 v[10:11], v[2:3], v[14:15]
	ds_write2st64_b32 v9, v10, v11 offset0:8 offset1:10
	s_waitcnt lgkmcnt(4)
	v_pk_mul_f32 v[10:11], v[2:3], v[16:17]
	ds_write2st64_b32 v9, v10, v11 offset0:12 offset1:14
	ds_read2st64_b32 v[10:11], v9 offset0:20 offset1:22
	s_waitcnt lgkmcnt(3)
	v_pk_mul_f32 v[12:13], v[2:3], v[12:13]
	ds_read2st64_b32 v[14:15], v9 offset0:24 offset1:26
	ds_write2st64_b32 v9, v12, v13 offset0:16 offset1:18
	ds_read2st64_b32 v[12:13], v9 offset0:28 offset1:30
	s_waitcnt lgkmcnt(3)
	v_pk_mul_f32 v[10:11], v[2:3], v[10:11]
	ds_write2st64_b32 v9, v10, v11 offset0:20 offset1:22
	s_waitcnt lgkmcnt(3)
	v_pk_mul_f32 v[10:11], v[2:3], v[14:15]
	ds_write2st64_b32 v9, v10, v11 offset0:24 offset1:26
	s_waitcnt lgkmcnt(2)
	v_pk_mul_f32 v[10:11], v[2:3], v[12:13]
	s_add_i32 s28, s28, 16
	v_cmp_eq_u32_e32 vcc, 0, v8
	ds_write2st64_b32 v9, v10, v11 offset0:28 offset1:30
	v_add_u32_e32 v9, 0x2000, v9
	s_or_b64 s[14:15], vcc, s[14:15]
	v_mov_b32_e32 v10, s28
	s_andn2_b64 exec, exec, s[14:15]
	s_cbranch_execnz .LBB318_28
; %bb.29:
	s_or_b64 exec, exec, s[14:15]
.LBB318_30:
	s_or_b64 exec, exec, s[8:9]
	v_and_b32_e32 v5, 7, v5
	v_cmp_ne_u32_e32 vcc, 0, v5
	s_and_saveexec_b64 s[8:9], vcc
	s_cbranch_execz .LBB318_33
; %bb.31:
	v_lshlrev_b32_e32 v8, 9, v10
	v_lshlrev_b32_e32 v9, 2, v0
	s_movk_i32 s14, 0x90
	v_add3_u32 v8, v8, v9, s14
	s_mov_b64 s[14:15], 0
.LBB318_32:                             ; =>This Inner Loop Header: Depth=1
	ds_read2st64_b32 v[10:11], v8 offset1:2
	v_add_u32_e32 v5, -1, v5
	v_cmp_eq_u32_e32 vcc, 0, v5
	s_or_b64 s[14:15], vcc, s[14:15]
	s_waitcnt lgkmcnt(0)
	v_pk_mul_f32 v[10:11], v[2:3], v[10:11]
	ds_write2st64_b32 v8, v10, v11 offset1:2
	v_add_u32_e32 v8, 0x400, v8
	s_andn2_b64 exec, exec, s[14:15]
	s_cbranch_execnz .LBB318_32
.LBB318_33:
	s_or_b64 exec, exec, s[8:9]
	v_add_u32_e32 v4, 1, v4
	v_and_b32_e32 v5, 0x3fffffe, v4
	v_cmp_ne_u32_e32 vcc, v4, v5
	v_lshl_add_u32 v3, v5, 7, v0
	s_orn2_b64 s[8:9], vcc, exec
.LBB318_34:
	s_or_b64 exec, exec, s[2:3]
	s_and_b64 exec, exec, s[8:9]
	s_cbranch_execz .LBB318_37
; %bb.35:
	v_mov_b32_e32 v4, 0x90
	v_lshl_add_u32 v4, v3, 2, v4
	s_mov_b64 s[2:3], 0
.LBB318_36:                             ; =>This Inner Loop Header: Depth=1
	ds_read_b32 v5, v4
	v_add_u32_e32 v3, 0x80, v3
	v_cmp_le_i32_e32 vcc, s30, v3
	s_or_b64 s[2:3], vcc, s[2:3]
	s_waitcnt lgkmcnt(0)
	v_mul_f32_e32 v5, v2, v5
	ds_write_b32 v4, v5
	v_add_u32_e32 v4, 0x200, v4
	s_andn2_b64 exec, exec, s[2:3]
	s_cbranch_execnz .LBB318_36
.LBB318_37:
	s_or_b64 exec, exec, s[0:1]
	v_mov_b32_e32 v11, 0
	v_and_b32_e32 v23, 3, v0
	v_mov_b32_e32 v10, 0
	v_mov_b32_e32 v13, 0
	;; [unrolled: 1-line block ×3, first 2 shown]
	s_waitcnt lgkmcnt(0)
	s_barrier
	s_and_saveexec_b64 s[2:3], s[6:7]
	s_cbranch_execz .LBB318_49
; %bb.38:
	s_ashr_i32 s1, s33, 31
	s_add_u32 s0, s26, s33
	s_addc_u32 s1, s27, s1
	v_and_b32_e32 v10, 0x1f8, v6
	s_load_dword s10, s[10:11], 0x0
	v_mov_b32_e32 v11, 0
	v_and_b32_e32 v2, 24, v6
	s_add_i32 s11, s19, -1
	v_lshl_add_u64 v[14:15], s[0:1], 0, v[10:11]
	v_lshlrev_b32_e32 v3, 5, v1
	s_lshl_b64 s[0:1], s[24:25], 2
	v_or3_b32 v24, v3, v2, 7
	v_lshlrev_b32_e32 v2, 5, v23
	s_add_u32 s0, s22, s0
	v_lshl_or_b32 v2, v1, 7, v2
	v_and_b32_e32 v10, 60, v7
	s_addc_u32 s1, s23, s1
	v_add_u32_e32 v25, 0x90, v2
	v_lshl_add_u64 v[16:17], s[0:1], 0, v[10:11]
	s_mov_b64 s[6:7], 0
	v_mov_b32_e32 v10, v11
	v_mov_b32_e32 v13, v11
	;; [unrolled: 1-line block ×3, first 2 shown]
	s_branch .LBB318_40
.LBB318_39:                             ;   in Loop: Header=BB318_40 Depth=1
	s_or_b64 exec, exec, s[0:1]
	v_cvt_pk_bf16_f32 v6, v6, s0
	v_cvt_pk_bf16_f32 v7, v7, s0
	;; [unrolled: 1-line block ×4, first 2 shown]
	v_lshlrev_b32_e32 v7, 16, v7
	v_lshlrev_b32_e32 v34, 16, v62
	v_lshlrev_b32_e32 v6, 16, v6
	v_lshlrev_b32_e32 v35, 16, v61
	v_mul_f32_e32 v34, v7, v34
	v_mul_f32_e32 v35, v6, v35
	v_lshlrev_b32_e32 v9, 16, v9
	v_lshlrev_b32_e32 v36, 16, v60
	;; [unrolled: 1-line block ×4, first 2 shown]
	v_cvt_pk_bf16_f32 v2, v2, s0
	v_cvt_pk_bf16_f32 v3, v3, s0
	;; [unrolled: 1-line block ×4, first 2 shown]
	v_mul_f32_e32 v36, v9, v36
	v_mul_f32_e32 v37, v8, v37
	v_lshlrev_b32_e32 v33, 16, v33
	v_lshlrev_b32_e32 v32, 16, v32
	;; [unrolled: 1-line block ×4, first 2 shown]
	v_cvt_pk_bf16_f32 v4, v4, s0
	v_cvt_pk_bf16_f32 v5, v5, s0
	;; [unrolled: 1-line block ×4, first 2 shown]
	v_lshlrev_b32_e32 v3, 16, v3
	v_lshlrev_b32_e32 v38, 16, v58
	;; [unrolled: 1-line block ×6, first 2 shown]
	v_mul_f32_e32 v33, v7, v33
	v_mul_f32_e32 v32, v6, v32
	;; [unrolled: 1-line block ×4, first 2 shown]
	v_lshlrev_b32_e32 v29, 16, v29
	v_lshlrev_b32_e32 v28, 16, v28
	v_mul_f32_e32 v38, v3, v38
	v_mul_f32_e32 v39, v2, v39
	v_lshlrev_b32_e32 v5, 16, v5
	v_lshlrev_b32_e32 v4, 16, v4
	v_add_f32_e32 v34, v35, v34
	v_lshlrev_b32_e32 v35, 16, v37
	v_lshlrev_b32_e32 v36, 16, v36
	v_cvt_pk_bf16_f32 v33, v33, s0
	v_cvt_pk_bf16_f32 v32, v32, s0
	;; [unrolled: 1-line block ×4, first 2 shown]
	v_mul_f32_e32 v29, v3, v29
	v_mul_f32_e32 v28, v2, v28
	v_lshlrev_b32_e32 v27, 16, v27
	v_lshlrev_b32_e32 v26, 16, v26
	v_cvt_pk_bf16_f32 v38, v38, s0
	v_cvt_pk_bf16_f32 v39, v39, s0
	v_lshlrev_b32_e32 v40, 16, v56
	v_lshlrev_b32_e32 v55, 16, v55
	v_add_f32_e32 v35, v35, v36
	v_cvt_pk_bf16_f32 v29, v29, s0
	v_cvt_pk_bf16_f32 v28, v28, s0
	v_mul_f32_e32 v27, v5, v27
	v_mul_f32_e32 v26, v4, v26
	v_lshlrev_b32_e32 v32, 16, v32
	v_lshlrev_b32_e32 v33, 16, v33
	;; [unrolled: 1-line block ×4, first 2 shown]
	v_mul_f32_e32 v40, v5, v40
	v_mul_f32_e32 v55, v4, v55
	v_add_f32_e32 v34, v35, v34
	v_lshlrev_b32_e32 v35, 16, v39
	v_lshlrev_b32_e32 v36, 16, v38
	v_cvt_pk_bf16_f32 v27, v27, s0
	v_cvt_pk_bf16_f32 v26, v26, s0
	v_add_f32_e32 v32, v32, v33
	v_add_f32_e32 v30, v30, v31
	v_lshlrev_b32_e32 v28, 16, v28
	v_lshlrev_b32_e32 v29, 16, v29
	v_cvt_pk_bf16_f32 v40, v40, s0
	v_cvt_pk_bf16_f32 v55, v55, s0
	v_add_f32_e32 v35, v35, v36
	v_add_f32_e32 v30, v30, v32
	v_add_f32_e32 v28, v28, v29
	v_lshlrev_b32_e32 v26, 16, v26
	v_lshlrev_b32_e32 v27, 16, v27
	v_add_f32_e32 v34, v35, v34
	v_lshlrev_b32_e32 v35, 16, v55
	v_lshlrev_b32_e32 v36, 16, v40
	v_add_f32_e32 v28, v28, v30
	v_add_f32_e32 v26, v26, v27
	;; [unrolled: 1-line block ×5, first 2 shown]
	v_lshlrev_b32_e32 v35, 16, v47
	v_add_f32_e32 v12, v12, v26
	v_lshlrev_b32_e32 v26, 16, v54
	v_add_f32_e32 v10, v10, v34
	v_lshlrev_b32_e32 v34, 16, v48
	v_mul_f32_e32 v35, v6, v35
	v_mul_f32_e32 v6, v6, v26
	v_lshlrev_b32_e32 v26, 16, v53
	v_mul_f32_e32 v34, v7, v34
	v_lshlrev_b32_e32 v37, 16, v45
	;; [unrolled: 2-line block ×3, first 2 shown]
	v_lshlrev_b32_e32 v36, 16, v46
	v_mul_f32_e32 v37, v8, v37
	v_mul_f32_e32 v8, v8, v26
	v_lshlrev_b32_e32 v26, 16, v51
	v_mul_f32_e32 v36, v9, v36
	v_lshlrev_b32_e32 v39, 16, v43
	;; [unrolled: 2-line block ×3, first 2 shown]
	v_mul_f32_e32 v39, v2, v39
	v_mul_f32_e32 v2, v2, v26
	v_cvt_pk_bf16_f32 v26, v2, s0
	v_lshlrev_b32_e32 v2, 16, v49
	v_mul_f32_e32 v2, v3, v2
	v_cvt_pk_bf16_f32 v34, v34, s0
	v_cvt_pk_bf16_f32 v35, v35, s0
	;; [unrolled: 1-line block ×3, first 2 shown]
	v_lshlrev_b32_e32 v2, 16, v19
	v_cvt_pk_bf16_f32 v36, v36, s0
	v_cvt_pk_bf16_f32 v37, v37, s0
	v_lshlrev_b32_e32 v38, 16, v44
	v_lshlrev_b32_e32 v35, 16, v35
	;; [unrolled: 1-line block ×3, first 2 shown]
	v_mul_f32_e32 v2, v4, v2
	v_mul_f32_e32 v38, v3, v38
	v_add_f32_e32 v34, v35, v34
	v_lshlrev_b32_e32 v35, 16, v37
	v_lshlrev_b32_e32 v36, 16, v36
	v_cvt_pk_bf16_f32 v19, v2, s0
	v_lshlrev_b32_e32 v2, 16, v18
	v_cvt_pk_bf16_f32 v38, v38, s0
	v_cvt_pk_bf16_f32 v39, v39, s0
	v_lshlrev_b32_e32 v40, 16, v42
	v_lshlrev_b32_e32 v41, 16, v41
	v_add_f32_e32 v35, v35, v36
	v_cvt_pk_bf16_f32 v6, v6, s0
	v_cvt_pk_bf16_f32 v7, v7, s0
	;; [unrolled: 1-line block ×4, first 2 shown]
	v_mul_f32_e32 v2, v5, v2
	v_mul_f32_e32 v40, v5, v40
	;; [unrolled: 1-line block ×3, first 2 shown]
	v_add_f32_e32 v34, v35, v34
	v_lshlrev_b32_e32 v35, 16, v39
	v_lshlrev_b32_e32 v36, 16, v38
	v_cvt_pk_bf16_f32 v18, v2, s0
	v_lshlrev_b32_e32 v3, 16, v7
	v_lshlrev_b32_e32 v5, 16, v6
	;; [unrolled: 1-line block ×4, first 2 shown]
	v_cvt_pk_bf16_f32 v40, v40, s0
	v_cvt_pk_bf16_f32 v41, v41, s0
	v_add_f32_e32 v35, v35, v36
	v_pk_add_f32 v[2:3], v[4:5], v[2:3]
	v_lshlrev_b32_e32 v5, 16, v27
	v_lshlrev_b32_e32 v7, 16, v26
	;; [unrolled: 1-line block ×4, first 2 shown]
	v_add_f32_e32 v34, v35, v34
	v_lshlrev_b32_e32 v35, 16, v41
	v_lshlrev_b32_e32 v36, 16, v40
	v_pk_add_f32 v[4:5], v[6:7], v[4:5]
	v_add_f32_e32 v2, v2, v3
	v_add_f32_e32 v35, v35, v36
	;; [unrolled: 1-line block ×3, first 2 shown]
	v_add_u32_e32 v1, 2, v1
	v_add_f32_e32 v34, v35, v34
	v_add_f32_e32 v2, v4, v2
	v_cmp_le_i32_e32 vcc, s19, v1
	v_add_f32_e32 v13, v13, v34
	v_add_f32_e32 v11, v11, v2
	v_add_u32_e32 v24, 64, v24
	v_add_u32_e32 v25, 0x100, v25
	s_or_b64 s[6:7], vcc, s[6:7]
	v_lshl_add_u64 v[16:17], v[16:17], 0, 8
	s_andn2_b64 exec, exec, s[6:7]
	s_cbranch_execz .LBB318_48
.LBB318_40:                             ; =>This Inner Loop Header: Depth=1
	global_load_dword v2, v[16:17], off
	v_add_u32_e32 v34, -7, v24
	v_cmp_eq_u32_e32 vcc, s11, v1
	v_add_u32_e32 v39, -6, v24
	v_add_u32_e32 v38, -5, v24
	;; [unrolled: 1-line block ×5, first 2 shown]
	s_waitcnt vmcnt(0)
	v_mad_i64_i32 v[18:19], s[0:1], v2, s13, v[14:15]
	global_load_dwordx2 v[26:27], v[18:19], off
	ds_read2_b64 v[6:9], v25 offset1:1
	ds_read2_b64 v[2:5], v25 offset0:2 offset1:3
	s_waitcnt vmcnt(0)
	v_and_b32_e32 v28, 0xff, v26
	v_bfe_u32 v29, v26, 8, 8
	v_bfe_u32 v30, v26, 16, 8
	v_lshrrev_b32_e32 v26, 24, v26
	v_and_b32_e32 v31, 0xff, v27
	v_bfe_u32 v32, v27, 8, 8
	v_bfe_u32 v33, v27, 16, 8
	v_lshrrev_b32_e32 v27, 24, v27
	v_cvt_f32_fp8_e32 v28, v28
	v_cvt_f32_fp8_e32 v29, v29
	;; [unrolled: 1-line block ×8, first 2 shown]
	s_waitcnt lgkmcnt(0)
	v_mul_f32_e32 v28, s10, v28
	v_mul_f32_e32 v29, s10, v29
	;; [unrolled: 1-line block ×8, first 2 shown]
	v_cvt_pk_bf16_f32 v32, v28, s0
	v_cvt_pk_bf16_f32 v33, v29, s0
	;; [unrolled: 1-line block ×8, first 2 shown]
	v_add_u32_e32 v40, -1, v24
	s_and_saveexec_b64 s[8:9], vcc
	s_cbranch_execz .LBB318_42
; %bb.41:                               ;   in Loop: Header=BB318_40 Depth=1
	v_cmp_gt_i32_e64 s[0:1], s17, v34
	s_nop 1
	v_cndmask_b32_e64 v32, 0, v32, s[0:1]
	v_cmp_gt_i32_e64 s[0:1], s17, v39
	s_nop 1
	v_cndmask_b32_e64 v33, 0, v33, s[0:1]
	v_cmp_gt_i32_e64 s[0:1], s17, v38
	s_nop 1
	v_cndmask_b32_e64 v30, 0, v30, s[0:1]
	v_cmp_gt_i32_e64 s[0:1], s17, v37
	s_nop 1
	v_cndmask_b32_e64 v31, 0, v31, s[0:1]
	v_cmp_gt_i32_e64 s[0:1], s17, v36
	s_nop 1
	v_cndmask_b32_e64 v28, 0, v28, s[0:1]
	v_cmp_gt_i32_e64 s[0:1], s17, v35
	s_nop 1
	v_cndmask_b32_e64 v29, 0, v29, s[0:1]
	v_cmp_gt_i32_e64 s[0:1], s17, v40
	s_nop 1
	v_cndmask_b32_e64 v26, 0, v26, s[0:1]
	v_cmp_gt_i32_e64 s[0:1], s17, v24
	s_nop 1
	v_cndmask_b32_e64 v27, 0, v27, s[0:1]
.LBB318_42:                             ;   in Loop: Header=BB318_40 Depth=1
	s_or_b64 exec, exec, s[8:9]
	global_load_dwordx2 v[42:43], v[18:19], off offset:512
	s_waitcnt vmcnt(0)
	v_and_b32_e32 v41, 0xff, v42
	v_bfe_u32 v44, v42, 8, 8
	v_bfe_u32 v45, v42, 16, 8
	v_lshrrev_b32_e32 v42, 24, v42
	v_and_b32_e32 v46, 0xff, v43
	v_bfe_u32 v47, v43, 8, 8
	v_bfe_u32 v48, v43, 16, 8
	v_lshrrev_b32_e32 v43, 24, v43
	v_cvt_f32_fp8_e32 v41, v41
	v_cvt_f32_fp8_e32 v44, v44
	v_cvt_f32_fp8_e32 v45, v45
	v_cvt_f32_fp8_e32 v42, v42
	v_cvt_f32_fp8_e32 v46, v46
	v_cvt_f32_fp8_e32 v47, v47
	v_cvt_f32_fp8_e32 v48, v48
	v_cvt_f32_fp8_e32 v43, v43
	v_mul_f32_e32 v41, s10, v41
	v_mul_f32_e32 v44, s10, v44
	v_mul_f32_e32 v45, s10, v45
	v_mul_f32_e32 v42, s10, v42
	v_mul_f32_e32 v49, s10, v46
	v_mul_f32_e32 v50, s10, v47
	v_mul_f32_e32 v51, s10, v48
	v_mul_f32_e32 v52, s10, v43
	v_cvt_pk_bf16_f32 v47, v41, s0
	v_cvt_pk_bf16_f32 v48, v44, s0
	v_cvt_pk_bf16_f32 v45, v45, s0
	v_cvt_pk_bf16_f32 v46, v42, s0
	v_cvt_pk_bf16_f32 v43, v49, s0
	v_cvt_pk_bf16_f32 v44, v50, s0
	v_cvt_pk_bf16_f32 v41, v51, s0
	v_cvt_pk_bf16_f32 v42, v52, s0
	s_and_saveexec_b64 s[8:9], vcc
	s_cbranch_execz .LBB318_44
; %bb.43:                               ;   in Loop: Header=BB318_40 Depth=1
	v_cmp_gt_i32_e64 s[0:1], s17, v34
	s_nop 1
	v_cndmask_b32_e64 v47, 0, v47, s[0:1]
	v_cmp_gt_i32_e64 s[0:1], s17, v39
	s_nop 1
	v_cndmask_b32_e64 v48, 0, v48, s[0:1]
	v_cmp_gt_i32_e64 s[0:1], s17, v38
	s_nop 1
	v_cndmask_b32_e64 v45, 0, v45, s[0:1]
	v_cmp_gt_i32_e64 s[0:1], s17, v37
	s_nop 1
	v_cndmask_b32_e64 v46, 0, v46, s[0:1]
	v_cmp_gt_i32_e64 s[0:1], s17, v36
	s_nop 1
	v_cndmask_b32_e64 v43, 0, v43, s[0:1]
	v_cmp_gt_i32_e64 s[0:1], s17, v35
	s_nop 1
	v_cndmask_b32_e64 v44, 0, v44, s[0:1]
	v_cmp_gt_i32_e64 s[0:1], s17, v40
	s_nop 1
	v_cndmask_b32_e64 v41, 0, v41, s[0:1]
	v_cmp_gt_i32_e64 s[0:1], s17, v24
	s_nop 1
	v_cndmask_b32_e64 v42, 0, v42, s[0:1]
.LBB318_44:                             ;   in Loop: Header=BB318_40 Depth=1
	s_or_b64 exec, exec, s[8:9]
	global_load_dwordx2 v[50:51], v[18:19], off offset:1024
	s_waitcnt vmcnt(0)
	v_and_b32_e32 v49, 0xff, v50
	v_bfe_u32 v52, v50, 8, 8
	v_bfe_u32 v53, v50, 16, 8
	v_lshrrev_b32_e32 v50, 24, v50
	v_and_b32_e32 v54, 0xff, v51
	v_bfe_u32 v55, v51, 8, 8
	v_bfe_u32 v56, v51, 16, 8
	v_lshrrev_b32_e32 v51, 24, v51
	v_cvt_f32_fp8_e32 v49, v49
	v_cvt_f32_fp8_e32 v52, v52
	v_cvt_f32_fp8_e32 v53, v53
	v_cvt_f32_fp8_e32 v50, v50
	v_cvt_f32_fp8_e32 v54, v54
	v_cvt_f32_fp8_e32 v55, v55
	v_cvt_f32_fp8_e32 v56, v56
	v_cvt_f32_fp8_e32 v51, v51
	v_mul_f32_e32 v49, s10, v49
	v_mul_f32_e32 v52, s10, v52
	v_mul_f32_e32 v53, s10, v53
	v_mul_f32_e32 v50, s10, v50
	v_mul_f32_e32 v54, s10, v54
	v_mul_f32_e32 v55, s10, v55
	v_mul_f32_e32 v56, s10, v56
	v_mul_f32_e32 v51, s10, v51
	v_cvt_pk_bf16_f32 v61, v49, s0
	v_cvt_pk_bf16_f32 v62, v52, s0
	v_cvt_pk_bf16_f32 v59, v53, s0
	v_cvt_pk_bf16_f32 v60, v50, s0
	v_cvt_pk_bf16_f32 v57, v54, s0
	v_cvt_pk_bf16_f32 v58, v55, s0
	v_cvt_pk_bf16_f32 v55, v56, s0
	v_cvt_pk_bf16_f32 v56, v51, s0
	;; [unrolled: 63-line block ×3, first 2 shown]
	s_and_saveexec_b64 s[0:1], vcc
	s_cbranch_execz .LBB318_39
; %bb.47:                               ;   in Loop: Header=BB318_40 Depth=1
	v_cmp_gt_i32_e32 vcc, s17, v34
	s_nop 1
	v_cndmask_b32_e32 v54, 0, v54, vcc
	v_cmp_gt_i32_e32 vcc, s17, v39
	s_nop 1
	v_cndmask_b32_e32 v53, 0, v53, vcc
	;; [unrolled: 3-line block ×8, first 2 shown]
	s_branch .LBB318_39
.LBB318_48:
	s_or_b64 exec, exec, s[6:7]
.LBB318_49:
	s_or_b64 exec, exec, s[2:3]
	ds_bpermute_b32 v2, v21, v12
	ds_bpermute_b32 v3, v21, v13
	;; [unrolled: 1-line block ×4, first 2 shown]
	v_and_b32_e32 v1, 0x3c3, v0
	v_cmp_ne_u32_e32 vcc, 64, v1
	s_waitcnt lgkmcnt(2)
	v_pk_add_f32 v[2:3], v[12:13], v[2:3]
	ds_bpermute_b32 v8, v22, v2
	ds_bpermute_b32 v9, v22, v3
	s_waitcnt lgkmcnt(2)
	v_pk_add_f32 v[4:5], v[10:11], v[4:5]
	ds_bpermute_b32 v6, v22, v4
	ds_bpermute_b32 v7, v22, v5
	s_waitcnt lgkmcnt(0)
	v_pk_add_f32 v[2:3], v[2:3], v[8:9]
	s_barrier
	s_and_saveexec_b64 s[0:1], vcc
	s_xor_b64 s[0:1], exec, s[0:1]
; %bb.50:
                                        ; implicit-def: $vgpr20
; %bb.51:
	s_or_saveexec_b64 s[0:1], s[0:1]
	v_pk_add_f32 v[4:5], v[4:5], v[6:7]
	s_xor_b64 exec, exec, s[0:1]
	s_cbranch_execz .LBB318_53
; %bb.52:
	v_add_u32_e32 v6, 0x90, v20
	ds_write2_b32 v6, v2, v3 offset1:16
	ds_write2_b32 v6, v4, v5 offset0:32 offset1:48
.LBB318_53:
	s_or_b64 exec, exec, s[0:1]
	v_cmp_gt_u32_e32 vcc, 64, v0
	v_lshrrev_b32_e32 v0, 2, v0
	s_waitcnt lgkmcnt(0)
	s_barrier
	s_and_saveexec_b64 s[0:1], vcc
	s_cbranch_execz .LBB318_60
; %bb.54:
	v_mov_b32_e32 v6, 0x90
	v_cmp_eq_u32_e32 vcc, 0, v23
	v_lshl_add_u32 v6, v0, 2, v6
	s_and_saveexec_b64 s[2:3], vcc
	s_cbranch_execnz .LBB318_63
; %bb.55:
	s_or_b64 exec, exec, s[2:3]
	s_and_saveexec_b64 s[2:3], vcc
	s_cbranch_execnz .LBB318_64
.LBB318_56:
	s_or_b64 exec, exec, s[2:3]
	s_and_saveexec_b64 s[2:3], vcc
	s_cbranch_execnz .LBB318_65
.LBB318_57:
	s_or_b64 exec, exec, s[2:3]
	s_and_saveexec_b64 s[2:3], vcc
	s_cbranch_execz .LBB318_59
.LBB318_58:
	ds_read_b32 v6, v6 offset:192
	s_waitcnt lgkmcnt(0)
	v_add_f32_e32 v5, v5, v6
.LBB318_59:
	s_or_b64 exec, exec, s[2:3]
.LBB318_60:
	s_or_b64 exec, exec, s[0:1]
	v_cmp_eq_u32_e32 vcc, 0, v1
	s_barrier
	s_and_saveexec_b64 s[0:1], vcc
	s_cbranch_execz .LBB318_62
; %bb.61:
	s_mul_i32 s0, s16, s12
	s_mul_i32 s0, s0, s5
	s_lshl_b32 s0, s0, 6
	s_ashr_i32 s1, s0, 31
	s_lshl_b64 s[0:1], s[0:1], 1
	s_add_u32 s2, s20, s0
	s_mul_i32 s0, s12, s18
	s_addc_u32 s3, s21, s1
	s_ashr_i32 s1, s0, 31
	s_lshl_b64 s[0:1], s[0:1], 1
	s_add_u32 s2, s2, s0
	s_addc_u32 s3, s3, s1
	s_lshl_b32 s0, s4, 6
	s_ashr_i32 s1, s0, 31
	s_lshl_b64 s[0:1], s[0:1], 1
	s_add_u32 s0, s2, s0
	s_addc_u32 s1, s3, s1
	v_lshlrev_b32_e32 v0, 1, v0
	v_cvt_pk_bf16_f32 v1, v2, s0
	global_store_short v0, v1, s[0:1]
	v_cvt_pk_bf16_f32 v1, v3, s0
	global_store_short v0, v1, s[0:1] offset:32
	v_cvt_pk_bf16_f32 v1, v4, s0
	global_store_short v0, v1, s[0:1] offset:64
	v_cvt_pk_bf16_f32 v1, v5, s0
	global_store_short v0, v1, s[0:1] offset:96
.LBB318_62:
	s_endpgm
.LBB318_63:
	ds_read_b32 v7, v6
	s_waitcnt lgkmcnt(0)
	v_add_f32_e32 v2, v2, v7
	s_or_b64 exec, exec, s[2:3]
	s_and_saveexec_b64 s[2:3], vcc
	s_cbranch_execz .LBB318_56
.LBB318_64:
	ds_read_b32 v7, v6 offset:64
	s_waitcnt lgkmcnt(0)
	v_add_f32_e32 v3, v3, v7
	s_or_b64 exec, exec, s[2:3]
	s_and_saveexec_b64 s[2:3], vcc
	s_cbranch_execz .LBB318_57
.LBB318_65:
	ds_read_b32 v7, v6 offset:128
	s_waitcnt lgkmcnt(0)
	v_add_f32_e32 v4, v4, v7
	s_or_b64 exec, exec, s[2:3]
	s_and_saveexec_b64 s[2:3], vcc
	s_cbranch_execnz .LBB318_58
	s_branch .LBB318_59
	.section	.rodata,"a",@progbits
	.p2align	6, 0x0
	.amdhsa_kernel _ZN4vllm25paged_attention_v1_kernelI14__hip_bfloat16hLi64ELi32ELi128ELNS_18Fp8KVCacheDataTypeE1ELb0EEEvPT_PKS3_PKT0_S9_ifPKiSB_iPKfiiiSD_SD_iiiii
		.amdhsa_group_segment_fixed_size 144
		.amdhsa_private_segment_fixed_size 0
		.amdhsa_kernarg_size 384
		.amdhsa_user_sgpr_count 2
		.amdhsa_user_sgpr_dispatch_ptr 0
		.amdhsa_user_sgpr_queue_ptr 0
		.amdhsa_user_sgpr_kernarg_segment_ptr 1
		.amdhsa_user_sgpr_dispatch_id 0
		.amdhsa_user_sgpr_kernarg_preload_length 0
		.amdhsa_user_sgpr_kernarg_preload_offset 0
		.amdhsa_user_sgpr_private_segment_size 0
		.amdhsa_uses_dynamic_stack 0
		.amdhsa_enable_private_segment 0
		.amdhsa_system_sgpr_workgroup_id_x 1
		.amdhsa_system_sgpr_workgroup_id_y 1
		.amdhsa_system_sgpr_workgroup_id_z 1
		.amdhsa_system_sgpr_workgroup_info 0
		.amdhsa_system_vgpr_workitem_id 0
		.amdhsa_next_free_vgpr 79
		.amdhsa_next_free_sgpr 37
		.amdhsa_accum_offset 80
		.amdhsa_reserve_vcc 1
		.amdhsa_float_round_mode_32 0
		.amdhsa_float_round_mode_16_64 0
		.amdhsa_float_denorm_mode_32 3
		.amdhsa_float_denorm_mode_16_64 3
		.amdhsa_dx10_clamp 1
		.amdhsa_ieee_mode 1
		.amdhsa_fp16_overflow 0
		.amdhsa_tg_split 0
		.amdhsa_exception_fp_ieee_invalid_op 0
		.amdhsa_exception_fp_denorm_src 0
		.amdhsa_exception_fp_ieee_div_zero 0
		.amdhsa_exception_fp_ieee_overflow 0
		.amdhsa_exception_fp_ieee_underflow 0
		.amdhsa_exception_fp_ieee_inexact 0
		.amdhsa_exception_int_div_zero 0
	.end_amdhsa_kernel
	.section	.text._ZN4vllm25paged_attention_v1_kernelI14__hip_bfloat16hLi64ELi32ELi128ELNS_18Fp8KVCacheDataTypeE1ELb0EEEvPT_PKS3_PKT0_S9_ifPKiSB_iPKfiiiSD_SD_iiiii,"axG",@progbits,_ZN4vllm25paged_attention_v1_kernelI14__hip_bfloat16hLi64ELi32ELi128ELNS_18Fp8KVCacheDataTypeE1ELb0EEEvPT_PKS3_PKT0_S9_ifPKiSB_iPKfiiiSD_SD_iiiii,comdat
.Lfunc_end318:
	.size	_ZN4vllm25paged_attention_v1_kernelI14__hip_bfloat16hLi64ELi32ELi128ELNS_18Fp8KVCacheDataTypeE1ELb0EEEvPT_PKS3_PKT0_S9_ifPKiSB_iPKfiiiSD_SD_iiiii, .Lfunc_end318-_ZN4vllm25paged_attention_v1_kernelI14__hip_bfloat16hLi64ELi32ELi128ELNS_18Fp8KVCacheDataTypeE1ELb0EEEvPT_PKS3_PKT0_S9_ifPKiSB_iPKfiiiSD_SD_iiiii
                                        ; -- End function
	.set _ZN4vllm25paged_attention_v1_kernelI14__hip_bfloat16hLi64ELi32ELi128ELNS_18Fp8KVCacheDataTypeE1ELb0EEEvPT_PKS3_PKT0_S9_ifPKiSB_iPKfiiiSD_SD_iiiii.num_vgpr, 79
	.set _ZN4vllm25paged_attention_v1_kernelI14__hip_bfloat16hLi64ELi32ELi128ELNS_18Fp8KVCacheDataTypeE1ELb0EEEvPT_PKS3_PKT0_S9_ifPKiSB_iPKfiiiSD_SD_iiiii.num_agpr, 0
	.set _ZN4vllm25paged_attention_v1_kernelI14__hip_bfloat16hLi64ELi32ELi128ELNS_18Fp8KVCacheDataTypeE1ELb0EEEvPT_PKS3_PKT0_S9_ifPKiSB_iPKfiiiSD_SD_iiiii.numbered_sgpr, 37
	.set _ZN4vllm25paged_attention_v1_kernelI14__hip_bfloat16hLi64ELi32ELi128ELNS_18Fp8KVCacheDataTypeE1ELb0EEEvPT_PKS3_PKT0_S9_ifPKiSB_iPKfiiiSD_SD_iiiii.num_named_barrier, 0
	.set _ZN4vllm25paged_attention_v1_kernelI14__hip_bfloat16hLi64ELi32ELi128ELNS_18Fp8KVCacheDataTypeE1ELb0EEEvPT_PKS3_PKT0_S9_ifPKiSB_iPKfiiiSD_SD_iiiii.private_seg_size, 0
	.set _ZN4vllm25paged_attention_v1_kernelI14__hip_bfloat16hLi64ELi32ELi128ELNS_18Fp8KVCacheDataTypeE1ELb0EEEvPT_PKS3_PKT0_S9_ifPKiSB_iPKfiiiSD_SD_iiiii.uses_vcc, 1
	.set _ZN4vllm25paged_attention_v1_kernelI14__hip_bfloat16hLi64ELi32ELi128ELNS_18Fp8KVCacheDataTypeE1ELb0EEEvPT_PKS3_PKT0_S9_ifPKiSB_iPKfiiiSD_SD_iiiii.uses_flat_scratch, 0
	.set _ZN4vllm25paged_attention_v1_kernelI14__hip_bfloat16hLi64ELi32ELi128ELNS_18Fp8KVCacheDataTypeE1ELb0EEEvPT_PKS3_PKT0_S9_ifPKiSB_iPKfiiiSD_SD_iiiii.has_dyn_sized_stack, 0
	.set _ZN4vllm25paged_attention_v1_kernelI14__hip_bfloat16hLi64ELi32ELi128ELNS_18Fp8KVCacheDataTypeE1ELb0EEEvPT_PKS3_PKT0_S9_ifPKiSB_iPKfiiiSD_SD_iiiii.has_recursion, 0
	.set _ZN4vllm25paged_attention_v1_kernelI14__hip_bfloat16hLi64ELi32ELi128ELNS_18Fp8KVCacheDataTypeE1ELb0EEEvPT_PKS3_PKT0_S9_ifPKiSB_iPKfiiiSD_SD_iiiii.has_indirect_call, 0
	.section	.AMDGPU.csdata,"",@progbits
; Kernel info:
; codeLenInByte = 6728
; TotalNumSgprs: 43
; NumVgprs: 79
; NumAgprs: 0
; TotalNumVgprs: 79
; ScratchSize: 0
; MemoryBound: 0
; FloatMode: 240
; IeeeMode: 1
; LDSByteSize: 144 bytes/workgroup (compile time only)
; SGPRBlocks: 5
; VGPRBlocks: 9
; NumSGPRsForWavesPerEU: 43
; NumVGPRsForWavesPerEU: 79
; AccumOffset: 80
; Occupancy: 6
; WaveLimiterHint : 1
; COMPUTE_PGM_RSRC2:SCRATCH_EN: 0
; COMPUTE_PGM_RSRC2:USER_SGPR: 2
; COMPUTE_PGM_RSRC2:TRAP_HANDLER: 0
; COMPUTE_PGM_RSRC2:TGID_X_EN: 1
; COMPUTE_PGM_RSRC2:TGID_Y_EN: 1
; COMPUTE_PGM_RSRC2:TGID_Z_EN: 1
; COMPUTE_PGM_RSRC2:TIDIG_COMP_CNT: 0
; COMPUTE_PGM_RSRC3_GFX90A:ACCUM_OFFSET: 19
; COMPUTE_PGM_RSRC3_GFX90A:TG_SPLIT: 0
	.section	.text._ZN4vllm25paged_attention_v1_kernelI14__hip_bfloat16hLi80ELi32ELi128ELNS_18Fp8KVCacheDataTypeE1ELb0EEEvPT_PKS3_PKT0_S9_ifPKiSB_iPKfiiiSD_SD_iiiii,"axG",@progbits,_ZN4vllm25paged_attention_v1_kernelI14__hip_bfloat16hLi80ELi32ELi128ELNS_18Fp8KVCacheDataTypeE1ELb0EEEvPT_PKS3_PKT0_S9_ifPKiSB_iPKfiiiSD_SD_iiiii,comdat
	.protected	_ZN4vllm25paged_attention_v1_kernelI14__hip_bfloat16hLi80ELi32ELi128ELNS_18Fp8KVCacheDataTypeE1ELb0EEEvPT_PKS3_PKT0_S9_ifPKiSB_iPKfiiiSD_SD_iiiii ; -- Begin function _ZN4vllm25paged_attention_v1_kernelI14__hip_bfloat16hLi80ELi32ELi128ELNS_18Fp8KVCacheDataTypeE1ELb0EEEvPT_PKS3_PKT0_S9_ifPKiSB_iPKfiiiSD_SD_iiiii
	.globl	_ZN4vllm25paged_attention_v1_kernelI14__hip_bfloat16hLi80ELi32ELi128ELNS_18Fp8KVCacheDataTypeE1ELb0EEEvPT_PKS3_PKT0_S9_ifPKiSB_iPKfiiiSD_SD_iiiii
	.p2align	8
	.type	_ZN4vllm25paged_attention_v1_kernelI14__hip_bfloat16hLi80ELi32ELi128ELNS_18Fp8KVCacheDataTypeE1ELb0EEEvPT_PKS3_PKT0_S9_ifPKiSB_iPKfiiiSD_SD_iiiii,@function
_ZN4vllm25paged_attention_v1_kernelI14__hip_bfloat16hLi80ELi32ELi128ELNS_18Fp8KVCacheDataTypeE1ELb0EEEvPT_PKS3_PKT0_S9_ifPKiSB_iPKfiiiSD_SD_iiiii: ; @_ZN4vllm25paged_attention_v1_kernelI14__hip_bfloat16hLi80ELi32ELi128ELNS_18Fp8KVCacheDataTypeE1ELb0EEEvPT_PKS3_PKT0_S9_ifPKiSB_iPKfiiiSD_SD_iiiii
; %bb.0:
	s_load_dword s5, s[0:1], 0x80
	s_load_dwordx2 s[6:7], s[0:1], 0x30
	s_load_dwordx2 s[28:29], s[0:1], 0x20
	s_mov_b32 s16, s3
	s_ashr_i32 s17, s3, 31
	s_lshl_b64 s[8:9], s[16:17], 2
	s_waitcnt lgkmcnt(0)
	s_add_u32 s6, s6, s8
	s_addc_u32 s7, s7, s9
	s_abs_i32 s3, s28
	v_cvt_f32_u32_e32 v1, s3
	s_sub_i32 s10, 0, s3
	s_abs_i32 s9, s5
	s_xor_b32 s8, s5, s28
	v_rcp_iflag_f32_e32 v1, v1
	s_ashr_i32 s8, s8, 31
	s_mov_b32 s28, 0
	v_mul_f32_e32 v1, 0x4f7ffffe, v1
	v_cvt_u32_f32_e32 v1, v1
	s_nop 0
	v_readfirstlane_b32 s11, v1
	s_mul_i32 s10, s10, s11
	s_mul_hi_u32 s10, s11, s10
	s_add_i32 s11, s11, s10
	s_mul_hi_u32 s10, s9, s11
	s_mul_i32 s11, s10, s3
	s_sub_i32 s9, s9, s11
	s_add_i32 s11, s10, 1
	s_sub_i32 s12, s9, s3
	s_cmp_ge_u32 s9, s3
	s_cselect_b32 s10, s11, s10
	s_cselect_b32 s9, s12, s9
	s_add_i32 s11, s10, 1
	s_cmp_ge_u32 s9, s3
	s_cselect_b32 s3, s11, s10
	s_xor_b32 s3, s3, s8
	s_sub_i32 s12, s3, s8
	s_abs_i32 s10, s12
	v_cvt_f32_u32_e32 v1, s10
	s_load_dwordx2 s[8:9], s[0:1], 0x40
	s_sub_i32 s3, 0, s10
	s_abs_i32 s11, s2
	v_rcp_iflag_f32_e32 v1, v1
	s_nop 0
	v_mul_f32_e32 v1, 0x4f7ffffe, v1
	v_cvt_u32_f32_e32 v1, v1
	s_nop 0
	v_readfirstlane_b32 s13, v1
	s_mul_i32 s3, s3, s13
	s_mul_hi_u32 s3, s13, s3
	s_add_i32 s13, s13, s3
	s_waitcnt lgkmcnt(0)
	s_cmp_eq_u64 s[8:9], 0
	s_mul_hi_u32 s20, s11, s13
	s_cbranch_scc1 .LBB319_2
; %bb.1:
	s_ashr_i32 s3, s2, 31
	s_lshl_b64 s[14:15], s[2:3], 2
	s_add_u32 s8, s8, s14
	s_addc_u32 s9, s9, s15
	s_load_dword s28, s[8:9], 0x0
.LBB319_2:
	s_load_dword s17, s[6:7], 0x0
	s_ashr_i32 s7, s12, 31
	s_load_dwordx4 s[12:15], s[0:1], 0x48
	s_ashr_i32 s6, s2, 31
	v_and_b32_e32 v2, 1, v0
	s_movk_i32 s8, 0x50
	s_mul_i32 s18, s2, 0x50
	v_cmp_gt_u32_e32 vcc, 20, v0
	v_lshlrev_b32_e32 v8, 3, v0
	s_and_saveexec_b64 s[2:3], vcc
	s_cbranch_execz .LBB319_4
; %bb.3:
	s_load_dwordx2 s[22:23], s[0:1], 0x8
	s_waitcnt lgkmcnt(0)
	s_mul_i32 s24, s12, s16
	s_ashr_i32 s25, s24, 31
	s_lshl_b64 s[24:25], s[24:25], 1
	v_lshlrev_b32_e32 v1, 2, v0
	s_add_u32 s9, s22, s24
	s_addc_u32 s12, s23, s25
	s_ashr_i32 s19, s18, 31
	s_lshl_b64 s[22:23], s[18:19], 1
	s_add_u32 s22, s9, s22
	s_addc_u32 s23, s12, s23
	global_load_dwordx2 v[4:5], v8, s[22:23]
	v_and_b32_e32 v1, 0xff8, v1
	v_mad_u32_u24 v1, v2, s8, v1
	s_waitcnt vmcnt(0)
	ds_write_b64 v1, v[4:5]
.LBB319_4:
	s_or_b64 exec, exec, s[2:3]
	s_waitcnt lgkmcnt(0)
	s_add_i32 s3, s17, 31
	s_ashr_i32 s8, s3, 31
	s_lshr_b32 s8, s8, 27
	s_add_i32 s3, s3, s8
	s_ashr_i32 s19, s3, 5
	s_xor_b32 s3, s6, s7
	s_mul_i32 s6, s20, s10
	s_sub_i32 s6, s11, s6
	s_add_i32 s7, s20, 1
	s_sub_i32 s8, s6, s10
	s_load_dwordx2 s[22:23], s[0:1], 0x28
	s_load_dword s2, s[0:1], 0x38
	s_cmp_ge_u32 s6, s10
	s_cselect_b32 s7, s7, s20
	s_cselect_b32 s6, s8, s6
	s_add_i32 s8, s7, 1
	s_cmp_ge_u32 s6, s10
	s_cselect_b32 s6, s8, s7
	v_lshrrev_b32_e32 v1, 6, v0
	s_xor_b32 s6, s6, s3
	s_waitcnt lgkmcnt(0)
	s_mul_i32 s24, s2, s16
	s_sub_i32 s33, s6, s3
	s_ashr_i32 s25, s24, 31
	v_cmp_gt_i32_e64 s[6:7], s19, v1
	v_cmp_le_i32_e32 vcc, s19, v1
	v_mbcnt_lo_u32_b32 v3, -1, 0
	s_barrier
                                        ; implicit-def: $vgpr10
                                        ; implicit-def: $vgpr11
                                        ; implicit-def: $vgpr12
	s_and_saveexec_b64 s[2:3], vcc
	s_xor_b64 s[2:3], exec, s[2:3]
; %bb.5:
	v_mbcnt_hi_u32_b32 v10, -1, v3
	v_and_b32_e32 v11, 64, v10
	v_add_u32_e32 v12, 64, v11
                                        ; implicit-def: $vgpr2
                                        ; implicit-def: $vgpr3
; %bb.6:
	s_or_saveexec_b64 s[30:31], s[2:3]
	s_load_dwordx2 s[20:21], s[0:1], 0x0
	s_load_dwordx2 s[26:27], s[0:1], 0x18
	s_load_dword s12, s[0:1], 0x88
	s_load_dwordx4 s[8:11], s[0:1], 0x58
	v_mov_b32_e32 v46, 0xff7fffff
	s_mul_i32 s33, s33, s14
	v_lshrrev_b32_e32 v9, 4, v0
	s_xor_b64 exec, exec, s[30:31]
	s_cbranch_execz .LBB319_12
; %bb.7:
	v_mul_u32_u24_e32 v10, 0x50, v2
	ds_read_b128 v[4:7], v10
	s_load_dwordx2 s[0:1], s[0:1], 0x10
	ds_read_b128 v[26:29], v10 offset:16
	ds_read_b128 v[34:37], v10 offset:32
	;; [unrolled: 1-line block ×3, first 2 shown]
	s_ashr_i32 s2, s33, 31
	v_bfe_u32 v46, v0, 1, 5
	s_waitcnt lgkmcnt(0)
	v_lshlrev_b32_e32 v13, 16, v4
	v_and_b32_e32 v14, 0xffff0000, v4
	v_lshlrev_b32_e32 v15, 16, v5
	v_and_b32_e32 v16, 0xffff0000, v5
	;; [unrolled: 2-line block ×4, first 2 shown]
	ds_read_b128 v[4:7], v10 offset:64
	v_mbcnt_hi_u32_b32 v10, -1, v3
	s_add_u32 s0, s0, s33
	v_and_b32_e32 v11, 64, v10
	v_lshlrev_b32_e32 v58, 4, v46
	s_addc_u32 s1, s1, s2
	v_mov_b32_e32 v59, 0
	v_xor_b32_e32 v3, 1, v10
	v_add_u32_e32 v12, 64, v11
	s_load_dword s35, s[8:9], 0x0
	v_lshl_add_u64 v[56:57], s[0:1], 0, v[58:59]
	v_cmp_lt_i32_e32 vcc, v3, v12
	s_sub_i32 s36, 1, s17
	s_lshl_b64 s[0:1], s[24:25], 2
	v_lshlrev_b32_e32 v58, 2, v2
	v_lshlrev_b32_e32 v21, 16, v26
	v_and_b32_e32 v22, 0xffff0000, v26
	v_lshlrev_b32_e32 v23, 16, v27
	v_and_b32_e32 v24, 0xffff0000, v27
	;; [unrolled: 2-line block ×12, first 2 shown]
	s_waitcnt lgkmcnt(0)
	v_lshlrev_b32_e32 v45, 16, v4
	v_and_b32_e32 v47, 0xffff0000, v4
	v_cndmask_b32_e32 v3, v10, v3, vcc
	v_lshlrev_b32_e32 v4, 2, v46
	s_add_u32 s0, s22, s0
	v_lshlrev_b32_e32 v54, 2, v3
	v_cmp_eq_u32_e32 vcc, 0, v2
	v_lshl_add_u64 v[2:3], v[56:57], 0, v[58:59]
	v_lshl_or_b32 v4, v1, 7, v4
	v_and_b32_e32 v58, 60, v9
	s_addc_u32 s1, s23, s1
	s_mov_b32 s34, s13
	v_lshlrev_b32_e32 v48, 16, v5
	v_and_b32_e32 v49, 0xffff0000, v5
	v_lshlrev_b32_e32 v50, 16, v6
	v_and_b32_e32 v51, 0xffff0000, v6
	;; [unrolled: 2-line block ×3, first 2 shown]
	v_cmp_neq_f32_e64 s[2:3], s28, 0
	v_lshl_or_b32 v55, v1, 5, v46
	v_add_u32_e32 v56, 0xb0, v4
	v_lshl_add_u64 v[4:5], s[0:1], 0, v[58:59]
	v_mov_b32_e32 v46, 0xff7fffff
	s_mov_b64 s[8:9], 0
	v_mov_b32_e32 v57, v1
	s_branch .LBB319_9
.LBB319_8:                              ;   in Loop: Header=BB319_9 Depth=1
	s_or_b64 exec, exec, s[14:15]
	v_add_u32_e32 v57, 2, v57
	v_cmp_le_i32_e64 s[0:1], s19, v57
	v_add_u32_e32 v55, 64, v55
	v_add_u32_e32 v56, 0x100, v56
	s_or_b64 s[8:9], s[0:1], s[8:9]
	v_lshl_add_u64 v[4:5], v[4:5], 0, 8
	s_andn2_b64 exec, exec, s[8:9]
	s_cbranch_execz .LBB319_11
.LBB319_9:                              ; =>This Inner Loop Header: Depth=1
	global_load_dword v6, v[4:5], off
	s_waitcnt vmcnt(0) lgkmcnt(0)
	v_mad_i64_i32 v[6:7], s[0:1], v6, s34, v[2:3]
	global_load_dword v60, v[6:7], off
	global_load_dword v61, v[6:7], off offset:8
	global_load_dword v62, v[6:7], off offset:512
	global_load_dword v63, v[6:7], off offset:520
	global_load_dword v64, v[6:7], off offset:1024
	global_load_dword v65, v[6:7], off offset:1032
	global_load_dword v66, v[6:7], off offset:1536
	global_load_dword v59, v[6:7], off offset:1544
	global_load_dword v58, v[6:7], off offset:2048
	s_nop 0
	global_load_dword v6, v[6:7], off offset:2056
	s_waitcnt vmcnt(9)
	v_and_b32_e32 v7, 0xff, v60
	s_waitcnt vmcnt(8)
	v_and_b32_e32 v69, 0xff, v61
	v_bfe_u32 v71, v61, 16, 8
	v_bfe_u32 v68, v60, 16, 8
	;; [unrolled: 1-line block ×3, first 2 shown]
	v_lshrrev_b32_e32 v61, 24, v61
	v_cvt_f32_fp8_e32 v69, v69
	v_cvt_f32_fp8_e32 v71, v71
	v_bfe_u32 v67, v60, 8, 8
	v_lshrrev_b32_e32 v60, 24, v60
	s_waitcnt vmcnt(7)
	v_bfe_u32 v74, v62, 16, 8
	v_cvt_f32_fp8_e32 v7, v7
	v_cvt_f32_fp8_e32 v70, v70
	;; [unrolled: 1-line block ×4, first 2 shown]
	v_and_b32_e32 v72, 0xff, v62
	v_bfe_u32 v73, v62, 8, 8
	v_lshrrev_b32_e32 v62, 24, v62
	s_waitcnt vmcnt(6)
	v_bfe_u32 v77, v63, 16, 8
	v_cvt_f32_fp8_e32 v67, v67
	v_cvt_f32_fp8_e32 v60, v60
	;; [unrolled: 1-line block ×3, first 2 shown]
	v_and_b32_e32 v75, 0xff, v63
	v_bfe_u32 v76, v63, 8, 8
	v_lshrrev_b32_e32 v63, 24, v63
	s_waitcnt vmcnt(5)
	v_bfe_u32 v80, v64, 16, 8
	v_cvt_f32_fp8_e32 v72, v72
	v_cvt_f32_fp8_e32 v73, v73
	;; [unrolled: 1-line block ×4, first 2 shown]
	v_and_b32_e32 v78, 0xff, v64
	v_bfe_u32 v79, v64, 8, 8
	v_lshrrev_b32_e32 v64, 24, v64
	s_waitcnt vmcnt(4)
	v_bfe_u32 v83, v65, 16, 8
	v_mul_f32_e32 v69, s35, v69
	v_cvt_f32_fp8_e32 v75, v75
	v_cvt_f32_fp8_e32 v76, v76
	;; [unrolled: 1-line block ×4, first 2 shown]
	v_mul_f32_e32 v71, s35, v71
	v_and_b32_e32 v81, 0xff, v65
	v_bfe_u32 v82, v65, 8, 8
	v_lshrrev_b32_e32 v65, 24, v65
	v_mul_f32_e32 v7, s35, v7
	v_cvt_pk_bf16_f32 v69, v69, s0
	v_mul_f32_e32 v70, s35, v70
	v_cvt_f32_fp8_e32 v78, v78
	v_cvt_f32_fp8_e32 v79, v79
	;; [unrolled: 1-line block ×4, first 2 shown]
	v_mul_f32_e32 v68, s35, v68
	v_mul_f32_e32 v61, s35, v61
	v_cvt_pk_bf16_f32 v71, v71, s0
	s_waitcnt vmcnt(3)
	v_and_b32_e32 v84, 0xff, v66
	v_bfe_u32 v85, v66, 8, 8
	v_cvt_pk_bf16_f32 v7, v7, s0
	v_lshlrev_b32_e32 v69, 16, v69
	v_mul_f32_e32 v67, s35, v67
	v_cvt_pk_bf16_f32 v70, v70, s0
	v_cvt_f32_fp8_e32 v81, v81
	v_cvt_f32_fp8_e32 v82, v82
	;; [unrolled: 1-line block ×3, first 2 shown]
	v_mul_f32_e32 v60, s35, v60
	v_mul_f32_e32 v74, s35, v74
	v_cvt_pk_bf16_f32 v68, v68, s0
	v_cvt_pk_bf16_f32 v61, v61, s0
	v_lshlrev_b32_e32 v71, 16, v71
	v_bfe_u32 v86, v66, 16, 8
	v_lshrrev_b32_e32 v66, 24, v66
	v_lshlrev_b32_e32 v7, 16, v7
	v_mul_f32_e32 v69, v17, v69
	v_cvt_pk_bf16_f32 v67, v67, s0
	v_lshlrev_b32_e32 v70, 16, v70
	v_cvt_f32_fp8_e32 v84, v84
	v_cvt_f32_fp8_e32 v85, v85
	v_mul_f32_e32 v72, s35, v72
	v_mul_f32_e32 v73, s35, v73
	;; [unrolled: 1-line block ×4, first 2 shown]
	v_cvt_pk_bf16_f32 v60, v60, s0
	v_cvt_pk_bf16_f32 v74, v74, s0
	v_lshlrev_b32_e32 v68, 16, v68
	v_lshlrev_b32_e32 v61, 16, v61
	v_mul_f32_e32 v71, v19, v71
	v_fmac_f32_e32 v69, v13, v7
	s_waitcnt vmcnt(2)
	v_and_b32_e32 v7, 0xff, v59
	v_lshlrev_b32_e32 v67, 16, v67
	v_mul_f32_e32 v70, v18, v70
	v_cvt_f32_fp8_e32 v86, v86
	v_cvt_f32_fp8_e32 v66, v66
	v_mul_f32_e32 v75, s35, v75
	v_mul_f32_e32 v76, s35, v76
	;; [unrolled: 1-line block ×4, first 2 shown]
	v_cvt_pk_bf16_f32 v72, v72, s0
	v_cvt_pk_bf16_f32 v73, v73, s0
	;; [unrolled: 1-line block ×4, first 2 shown]
	v_lshlrev_b32_e32 v60, 16, v60
	v_lshlrev_b32_e32 v74, 16, v74
	v_mul_f32_e32 v61, v20, v61
	v_fmac_f32_e32 v71, v15, v68
	v_fmac_f32_e32 v70, v14, v67
	v_bfe_u32 v67, v59, 8, 8
	v_cvt_f32_fp8_e32 v7, v7
	v_mul_f32_e32 v78, s35, v78
	v_mul_f32_e32 v79, s35, v79
	;; [unrolled: 1-line block ×4, first 2 shown]
	v_cvt_pk_bf16_f32 v75, v75, s0
	v_cvt_pk_bf16_f32 v76, v76, s0
	;; [unrolled: 1-line block ×4, first 2 shown]
	v_lshlrev_b32_e32 v72, 16, v72
	v_lshlrev_b32_e32 v73, 16, v73
	;; [unrolled: 1-line block ×4, first 2 shown]
	v_fmac_f32_e32 v61, v16, v60
	v_fmac_f32_e32 v71, v23, v74
	v_cvt_f32_fp8_e32 v67, v67
	v_mul_f32_e32 v81, s35, v81
	v_mul_f32_e32 v82, s35, v82
	;; [unrolled: 1-line block ×3, first 2 shown]
	v_cvt_pk_bf16_f32 v78, v78, s0
	v_cvt_pk_bf16_f32 v79, v79, s0
	;; [unrolled: 1-line block ×4, first 2 shown]
	v_lshlrev_b32_e32 v75, 16, v75
	v_lshlrev_b32_e32 v76, 16, v76
	;; [unrolled: 1-line block ×4, first 2 shown]
	v_fmac_f32_e32 v69, v21, v72
	v_fmac_f32_e32 v70, v22, v73
	;; [unrolled: 1-line block ×4, first 2 shown]
	v_mul_f32_e32 v84, s35, v84
	v_mul_f32_e32 v85, s35, v85
	v_cvt_pk_bf16_f32 v81, v81, s0
	v_cvt_pk_bf16_f32 v82, v82, s0
	;; [unrolled: 1-line block ×3, first 2 shown]
	v_lshlrev_b32_e32 v78, 16, v78
	v_lshlrev_b32_e32 v79, 16, v79
	;; [unrolled: 1-line block ×3, first 2 shown]
	v_fmac_f32_e32 v69, v25, v75
	v_fmac_f32_e32 v70, v26, v76
	;; [unrolled: 1-line block ×4, first 2 shown]
	v_lshlrev_b32_e32 v62, 16, v83
	v_mul_f32_e32 v86, s35, v86
	v_mul_f32_e32 v66, s35, v66
	v_cvt_pk_bf16_f32 v84, v84, s0
	v_cvt_pk_bf16_f32 v85, v85, s0
	v_lshlrev_b32_e32 v81, 16, v81
	v_lshlrev_b32_e32 v82, 16, v82
	v_fmac_f32_e32 v69, v29, v78
	v_fmac_f32_e32 v70, v30, v79
	;; [unrolled: 1-line block ×4, first 2 shown]
	v_bfe_u32 v62, v59, 16, 8
	v_lshrrev_b32_e32 v59, 24, v59
	v_lshlrev_b32_e32 v63, 16, v65
	v_mul_f32_e32 v7, s35, v7
	v_cvt_pk_bf16_f32 v86, v86, s0
	v_cvt_pk_bf16_f32 v66, v66, s0
	v_fmac_f32_e32 v69, v33, v81
	v_fmac_f32_e32 v70, v34, v82
	v_cvt_f32_fp8_e32 v59, v59
	v_fmac_f32_e32 v61, v36, v63
	s_waitcnt vmcnt(1)
	v_and_b32_e32 v63, 0xff, v58
	v_lshlrev_b32_e32 v64, 16, v84
	v_lshlrev_b32_e32 v65, 16, v85
	v_cvt_pk_bf16_f32 v7, v7, s0
	v_mul_f32_e32 v60, s35, v67
	v_cvt_f32_fp8_e32 v62, v62
	v_cvt_f32_fp8_e32 v63, v63
	v_fmac_f32_e32 v69, v37, v64
	v_bfe_u32 v64, v58, 8, 8
	v_fmac_f32_e32 v70, v38, v65
	v_bfe_u32 v65, v58, 16, 8
	v_lshrrev_b32_e32 v58, 24, v58
	v_lshlrev_b32_e32 v67, 16, v86
	v_lshlrev_b32_e32 v66, 16, v66
	v_cvt_f32_fp8_e32 v64, v64
	v_cvt_f32_fp8_e32 v65, v65
	;; [unrolled: 1-line block ×3, first 2 shown]
	v_fmac_f32_e32 v71, v39, v67
	s_waitcnt vmcnt(0)
	v_and_b32_e32 v67, 0xff, v6
	v_fmac_f32_e32 v61, v40, v66
	v_bfe_u32 v66, v6, 8, 8
	v_lshlrev_b32_e32 v7, 16, v7
	v_cvt_f32_fp8_e32 v67, v67
	v_cvt_f32_fp8_e32 v66, v66
	v_fmac_f32_e32 v69, v41, v7
	v_bfe_u32 v7, v6, 16, 8
	v_lshrrev_b32_e32 v6, 24, v6
	v_mul_f32_e32 v59, s35, v59
	v_cvt_f32_fp8_e32 v7, v7
	v_cvt_f32_fp8_e32 v6, v6
	v_cvt_pk_bf16_f32 v60, v60, s0
	v_mul_f32_e32 v62, s35, v62
	v_cvt_pk_bf16_f32 v59, v59, s0
	v_mul_f32_e32 v63, s35, v63
	v_cvt_pk_bf16_f32 v62, v62, s0
	v_cvt_pk_bf16_f32 v63, v63, s0
	v_mul_f32_e32 v64, s35, v64
	v_mul_f32_e32 v65, s35, v65
	;; [unrolled: 1-line block ×3, first 2 shown]
	v_lshlrev_b32_e32 v60, 16, v60
	v_lshlrev_b32_e32 v59, 16, v59
	v_cvt_pk_bf16_f32 v64, v64, s0
	v_cvt_pk_bf16_f32 v65, v65, s0
	;; [unrolled: 1-line block ×3, first 2 shown]
	v_mul_f32_e32 v67, s35, v67
	v_mul_f32_e32 v66, s35, v66
	v_fmac_f32_e32 v70, v42, v60
	v_lshlrev_b32_e32 v60, 16, v62
	v_fmac_f32_e32 v61, v44, v59
	v_lshlrev_b32_e32 v59, 16, v63
	v_cvt_pk_bf16_f32 v67, v67, s0
	v_cvt_pk_bf16_f32 v66, v66, s0
	v_mul_f32_e32 v7, s35, v7
	v_mul_f32_e32 v6, s35, v6
	v_fmac_f32_e32 v71, v43, v60
	v_lshlrev_b32_e32 v60, 16, v64
	v_fmac_f32_e32 v69, v45, v59
	v_lshlrev_b32_e32 v59, 16, v65
	v_lshlrev_b32_e32 v58, 16, v58
	v_cvt_pk_bf16_f32 v7, v7, s0
	v_cvt_pk_bf16_f32 v6, v6, s0
	v_fmac_f32_e32 v70, v47, v60
	v_fmac_f32_e32 v71, v48, v59
	;; [unrolled: 1-line block ×3, first 2 shown]
	v_lshlrev_b32_e32 v58, 16, v67
	v_lshlrev_b32_e32 v59, 16, v66
	v_fmac_f32_e32 v69, v50, v58
	v_fmac_f32_e32 v70, v51, v59
	v_lshlrev_b32_e32 v7, 16, v7
	v_lshlrev_b32_e32 v6, 16, v6
	v_fmac_f32_e32 v71, v52, v7
	v_fmac_f32_e32 v61, v53, v6
	v_add_f32_e32 v6, v69, v70
	v_add_f32_e32 v6, v6, v71
	;; [unrolled: 1-line block ×3, first 2 shown]
	ds_bpermute_b32 v7, v54, v6
	s_and_saveexec_b64 s[14:15], vcc
	s_cbranch_execz .LBB319_8
; %bb.10:                               ;   in Loop: Header=BB319_9 Depth=1
	v_add_u32_e32 v58, s36, v55
	v_cvt_f32_i32_e32 v58, v58
	s_waitcnt lgkmcnt(0)
	v_add_f32_e32 v6, v6, v7
	v_cmp_gt_i32_e64 s[0:1], s17, v55
	v_max_f32_e32 v7, v46, v46
	v_mul_f32_e32 v58, s28, v58
	v_cndmask_b32_e64 v58, 0, v58, s[2:3]
	v_fmac_f32_e32 v58, s29, v6
	v_cndmask_b32_e64 v6, 0, v58, s[0:1]
	ds_write_b32 v56, v6
	v_max_f32_e32 v6, v7, v58
	v_cndmask_b32_e64 v46, v46, v6, s[0:1]
	s_branch .LBB319_8
.LBB319_11:
	s_or_b64 exec, exec, s[8:9]
.LBB319_12:
	s_or_b64 exec, exec, s[30:31]
	v_xor_b32_e32 v2, 32, v10
	v_cmp_lt_i32_e32 vcc, v2, v12
	v_xor_b32_e32 v5, 16, v10
	v_max_f32_e32 v4, v46, v46
	v_cndmask_b32_e32 v2, v10, v2, vcc
	v_lshlrev_b32_e32 v2, 2, v2
	ds_bpermute_b32 v3, v2, v46
	v_cmp_lt_i32_e32 vcc, v5, v12
	v_xor_b32_e32 v6, 8, v10
	s_waitcnt lgkmcnt(0)
	v_xor_b32_e32 v7, 4, v10
	v_xor_b32_e32 v13, 2, v10
	v_max_f32_e32 v3, v3, v3
	v_max_f32_e32 v4, v4, v3
	v_cndmask_b32_e32 v3, v10, v5, vcc
	v_lshlrev_b32_e32 v3, 2, v3
	ds_bpermute_b32 v5, v3, v4
	v_cmp_lt_i32_e32 vcc, v6, v12
	v_and_b32_e32 v22, 63, v0
	s_waitcnt lgkmcnt(0)
	v_max_f32_e32 v5, v5, v5
	v_max_f32_e32 v5, v4, v5
	v_cndmask_b32_e32 v4, v10, v6, vcc
	v_lshlrev_b32_e32 v4, 2, v4
	ds_bpermute_b32 v6, v4, v5
	v_cmp_lt_i32_e32 vcc, v7, v12
	s_waitcnt lgkmcnt(0)
	v_max_f32_e32 v6, v6, v6
	v_max_f32_e32 v6, v5, v6
	v_cndmask_b32_e32 v5, v10, v7, vcc
	v_lshlrev_b32_e32 v5, 2, v5
	ds_bpermute_b32 v7, v5, v6
	v_cmp_lt_i32_e32 vcc, v13, v12
	s_waitcnt lgkmcnt(0)
	v_max_f32_e32 v7, v7, v7
	v_max_f32_e32 v7, v6, v7
	v_cndmask_b32_e32 v6, v10, v13, vcc
	v_lshlrev_b32_e32 v23, 2, v6
	ds_bpermute_b32 v13, v23, v7
	v_cmp_eq_u32_e32 vcc, 0, v22
	v_lshlrev_b32_e32 v6, 2, v1
	s_and_saveexec_b64 s[0:1], vcc
	s_cbranch_execz .LBB319_14
; %bb.13:
	s_waitcnt lgkmcnt(0)
	v_max_f32_e32 v13, v13, v13
	v_max_f32_e32 v7, v7, v7
	;; [unrolled: 1-line block ×3, first 2 shown]
	ds_write_b32 v6, v7 offset:160
.LBB319_14:
	s_or_b64 exec, exec, s[0:1]
	v_cmp_gt_u32_e64 s[0:1], 2, v22
	s_waitcnt lgkmcnt(0)
	v_mov_b32_e32 v13, 0xff7fffff
	v_lshlrev_b32_e32 v7, 2, v22
	s_barrier
	s_and_saveexec_b64 s[2:3], s[0:1]
; %bb.15:
	ds_read_b32 v13, v7 offset:160
; %bb.16:
	s_or_b64 exec, exec, s[2:3]
	v_xor_b32_e32 v14, 1, v10
	v_cmp_lt_i32_e64 s[2:3], v14, v12
	v_lshlrev_b32_e32 v11, 2, v11
	s_nop 0
	v_cndmask_b32_e64 v12, v10, v14, s[2:3]
	v_lshlrev_b32_e32 v24, 2, v12
	s_waitcnt lgkmcnt(0)
	ds_bpermute_b32 v12, v24, v13
	v_max_f32_e32 v13, v13, v13
	s_lshl_b32 s2, s19, 5
	s_min_i32 s30, s2, s17
	v_cmp_gt_i32_e64 s[2:3], s30, v0
	s_waitcnt lgkmcnt(0)
	v_max_f32_e32 v12, v12, v12
	v_max_f32_e32 v12, v13, v12
	ds_bpermute_b32 v12, v11, v12
	v_mov_b32_e32 v11, 0
	s_and_saveexec_b64 s[14:15], s[2:3]
	s_cbranch_execz .LBB319_20
; %bb.17:
	v_mov_b32_e32 v11, 0xb0
	v_lshl_add_u32 v13, v0, 2, v11
	v_mov_b32_e32 v11, 0
	s_mov_b64 s[28:29], 0
	v_mov_b32_e32 v14, v0
.LBB319_18:                             ; =>This Inner Loop Header: Depth=1
	ds_read_b32 v15, v13
	v_add_u32_e32 v14, 0x80, v14
	v_cmp_le_i32_e64 s[8:9], s30, v14
	s_or_b64 s[28:29], s[8:9], s[28:29]
	s_waitcnt lgkmcnt(0)
	v_sub_f32_e32 v15, v15, v12
	v_mul_f32_e32 v15, 0x3fb8aa3b, v15
	v_exp_f32_e32 v15, v15
	ds_write_b32 v13, v15
	v_add_f32_e32 v11, v11, v15
	v_add_u32_e32 v13, 0x200, v13
	s_andn2_b64 exec, exec, s[28:29]
	s_cbranch_execnz .LBB319_18
; %bb.19:
	s_or_b64 exec, exec, s[28:29]
.LBB319_20:
	s_or_b64 exec, exec, s[14:15]
	ds_bpermute_b32 v2, v2, v11
	s_waitcnt lgkmcnt(0)
	v_add_f32_e32 v2, v11, v2
	ds_bpermute_b32 v3, v3, v2
	s_waitcnt lgkmcnt(0)
	v_add_f32_e32 v2, v2, v3
	;; [unrolled: 3-line block ×6, first 2 shown]
	s_and_saveexec_b64 s[8:9], vcc
; %bb.21:
	ds_write_b32 v6, v2 offset:168
; %bb.22:
	s_or_b64 exec, exec, s[8:9]
	s_waitcnt lgkmcnt(0)
	s_barrier
	s_and_saveexec_b64 s[8:9], s[0:1]
; %bb.23:
	ds_read_b32 v2, v7 offset:168
; %bb.24:
	s_or_b64 exec, exec, s[8:9]
	s_waitcnt lgkmcnt(0)
	ds_bpermute_b32 v3, v24, v2
	v_lshlrev_b32_e32 v4, 2, v10
	s_waitcnt lgkmcnt(0)
	v_add_f32_e32 v2, v2, v3
	v_and_b32_e32 v3, 0xffffff00, v4
	ds_bpermute_b32 v2, v3, v2
	s_and_saveexec_b64 s[0:1], s[2:3]
	s_cbranch_execz .LBB319_37
; %bb.25:
	s_waitcnt lgkmcnt(0)
	v_add_f32_e32 v2, 0x358637bd, v2
	v_div_scale_f32 v3, s[2:3], v2, v2, 1.0
	v_rcp_f32_e32 v4, v3
	v_div_scale_f32 v5, vcc, 1.0, v2, 1.0
	s_movk_i32 s2, 0x7f
	v_fma_f32 v6, -v3, v4, 1.0
	v_fmac_f32_e32 v4, v6, v4
	v_mul_f32_e32 v6, v5, v4
	v_fma_f32 v7, -v3, v6, v5
	v_fmac_f32_e32 v6, v7, v4
	v_fma_f32 v3, -v3, v6, v5
	v_div_fmas_f32 v3, v3, v4, v6
	v_xad_u32 v4, v0, -1, s30
	v_div_fixup_f32 v2, v3, v2, 1.0
	v_cmp_lt_u32_e32 vcc, s2, v4
	s_mov_b64 s[8:9], -1
	v_mov_b32_e32 v3, v0
	s_and_saveexec_b64 s[2:3], vcc
	s_cbranch_execz .LBB319_34
; %bb.26:
	v_lshrrev_b32_e32 v4, 7, v4
	v_add_u32_e32 v6, -1, v4
	v_lshrrev_b32_e32 v5, 1, v6
	v_mov_b32_e32 v3, v2
	v_add_u32_e32 v5, 1, v5
	v_cmp_lt_u32_e32 vcc, 13, v6
	v_mov_b32_e32 v10, 0
	s_and_saveexec_b64 s[8:9], vcc
	s_cbranch_execz .LBB319_30
; %bb.27:
	v_mov_b32_e32 v7, 0xb0
	v_and_b32_e32 v6, -8, v5
	v_lshl_add_u32 v7, v0, 2, v7
	s_mov_b32 s28, 0
	s_mov_b64 s[14:15], 0
.LBB319_28:                             ; =>This Inner Loop Header: Depth=1
	ds_read2st64_b32 v[10:11], v7 offset1:2
	ds_read2st64_b32 v[12:13], v7 offset0:4 offset1:6
	ds_read2st64_b32 v[14:15], v7 offset0:8 offset1:10
	ds_read2st64_b32 v[16:17], v7 offset0:12 offset1:14
	v_add_u32_e32 v6, -8, v6
	s_waitcnt lgkmcnt(3)
	v_pk_mul_f32 v[10:11], v[2:3], v[10:11]
	s_waitcnt lgkmcnt(2)
	v_pk_mul_f32 v[12:13], v[2:3], v[12:13]
	ds_write2st64_b32 v7, v10, v11 offset1:2
	ds_write2st64_b32 v7, v12, v13 offset0:4 offset1:6
	ds_read2st64_b32 v[12:13], v7 offset0:16 offset1:18
	s_waitcnt lgkmcnt(4)
	v_pk_mul_f32 v[10:11], v[2:3], v[14:15]
	ds_write2st64_b32 v7, v10, v11 offset0:8 offset1:10
	s_waitcnt lgkmcnt(4)
	v_pk_mul_f32 v[10:11], v[2:3], v[16:17]
	ds_write2st64_b32 v7, v10, v11 offset0:12 offset1:14
	ds_read2st64_b32 v[10:11], v7 offset0:20 offset1:22
	s_waitcnt lgkmcnt(3)
	v_pk_mul_f32 v[12:13], v[2:3], v[12:13]
	ds_read2st64_b32 v[14:15], v7 offset0:24 offset1:26
	ds_write2st64_b32 v7, v12, v13 offset0:16 offset1:18
	ds_read2st64_b32 v[12:13], v7 offset0:28 offset1:30
	s_waitcnt lgkmcnt(3)
	v_pk_mul_f32 v[10:11], v[2:3], v[10:11]
	ds_write2st64_b32 v7, v10, v11 offset0:20 offset1:22
	s_waitcnt lgkmcnt(3)
	v_pk_mul_f32 v[10:11], v[2:3], v[14:15]
	ds_write2st64_b32 v7, v10, v11 offset0:24 offset1:26
	s_waitcnt lgkmcnt(2)
	v_pk_mul_f32 v[10:11], v[2:3], v[12:13]
	s_add_i32 s28, s28, 16
	v_cmp_eq_u32_e32 vcc, 0, v6
	ds_write2st64_b32 v7, v10, v11 offset0:28 offset1:30
	v_add_u32_e32 v7, 0x2000, v7
	s_or_b64 s[14:15], vcc, s[14:15]
	v_mov_b32_e32 v10, s28
	s_andn2_b64 exec, exec, s[14:15]
	s_cbranch_execnz .LBB319_28
; %bb.29:
	s_or_b64 exec, exec, s[14:15]
.LBB319_30:
	s_or_b64 exec, exec, s[8:9]
	v_and_b32_e32 v5, 7, v5
	v_cmp_ne_u32_e32 vcc, 0, v5
	s_and_saveexec_b64 s[8:9], vcc
	s_cbranch_execz .LBB319_33
; %bb.31:
	v_lshlrev_b32_e32 v6, 9, v10
	v_lshlrev_b32_e32 v7, 2, v0
	s_movk_i32 s14, 0xb0
	v_add3_u32 v6, v6, v7, s14
	s_mov_b64 s[14:15], 0
.LBB319_32:                             ; =>This Inner Loop Header: Depth=1
	ds_read2st64_b32 v[10:11], v6 offset1:2
	v_add_u32_e32 v5, -1, v5
	v_cmp_eq_u32_e32 vcc, 0, v5
	s_or_b64 s[14:15], vcc, s[14:15]
	s_waitcnt lgkmcnt(0)
	v_pk_mul_f32 v[10:11], v[2:3], v[10:11]
	ds_write2st64_b32 v6, v10, v11 offset1:2
	v_add_u32_e32 v6, 0x400, v6
	s_andn2_b64 exec, exec, s[14:15]
	s_cbranch_execnz .LBB319_32
.LBB319_33:
	s_or_b64 exec, exec, s[8:9]
	v_add_u32_e32 v4, 1, v4
	v_and_b32_e32 v5, 0x3fffffe, v4
	v_cmp_ne_u32_e32 vcc, v4, v5
	v_lshl_add_u32 v3, v5, 7, v0
	s_orn2_b64 s[8:9], vcc, exec
.LBB319_34:
	s_or_b64 exec, exec, s[2:3]
	s_and_b64 exec, exec, s[8:9]
	s_cbranch_execz .LBB319_37
; %bb.35:
	v_mov_b32_e32 v4, 0xb0
	v_lshl_add_u32 v4, v3, 2, v4
	s_mov_b64 s[2:3], 0
.LBB319_36:                             ; =>This Inner Loop Header: Depth=1
	ds_read_b32 v5, v4
	v_add_u32_e32 v3, 0x80, v3
	v_cmp_le_i32_e32 vcc, s30, v3
	s_or_b64 s[2:3], vcc, s[2:3]
	s_waitcnt lgkmcnt(0)
	v_mul_f32_e32 v5, v2, v5
	ds_write_b32 v4, v5
	v_add_u32_e32 v4, 0x200, v4
	s_andn2_b64 exec, exec, s[2:3]
	s_cbranch_execnz .LBB319_36
.LBB319_37:
	s_or_b64 exec, exec, s[0:1]
	v_mov_b32_e32 v13, 0
	v_and_b32_e32 v25, 3, v0
	v_mov_b32_e32 v12, 0
	v_mov_b32_e32 v15, 0
	;; [unrolled: 1-line block ×4, first 2 shown]
	s_waitcnt lgkmcnt(0)
	s_barrier
	s_and_saveexec_b64 s[2:3], s[6:7]
	s_cbranch_execz .LBB319_51
; %bb.38:
	s_ashr_i32 s1, s33, 31
	s_add_u32 s0, s26, s33
	s_addc_u32 s1, s27, s1
	v_and_b32_e32 v10, 0x1f8, v8
	s_load_dword s10, s[10:11], 0x0
	v_mov_b32_e32 v11, 0
	v_and_b32_e32 v2, 24, v8
	s_add_i32 s11, s19, -1
	v_lshl_add_u64 v[16:17], s[0:1], 0, v[10:11]
	v_lshlrev_b32_e32 v3, 5, v1
	s_lshl_b64 s[0:1], s[24:25], 2
	v_or3_b32 v26, v3, v2, 7
	v_lshlrev_b32_e32 v2, 5, v25
	s_add_u32 s0, s22, s0
	v_lshl_or_b32 v2, v1, 7, v2
	v_and_b32_e32 v10, 60, v9
	s_addc_u32 s1, s23, s1
	v_add_u32_e32 v27, 0xb0, v2
	v_lshl_add_u64 v[18:19], s[0:1], 0, v[10:11]
	s_mov_b64 s[6:7], 0
	v_mov_b32_e32 v13, v11
	v_mov_b32_e32 v12, v11
	;; [unrolled: 1-line block ×4, first 2 shown]
	s_branch .LBB319_40
.LBB319_39:                             ;   in Loop: Header=BB319_40 Depth=1
	s_or_b64 exec, exec, s[0:1]
	v_cvt_pk_bf16_f32 v6, v6, s0
	v_cvt_pk_bf16_f32 v7, v7, s0
	;; [unrolled: 1-line block ×4, first 2 shown]
	v_lshlrev_b32_e32 v7, 16, v7
	v_lshlrev_b32_e32 v35, 16, v71
	;; [unrolled: 1-line block ×4, first 2 shown]
	v_mul_f32_e32 v35, v7, v35
	v_mul_f32_e32 v39, v6, v39
	v_lshlrev_b32_e32 v9, 16, v9
	v_lshlrev_b32_e32 v40, 16, v69
	;; [unrolled: 1-line block ×4, first 2 shown]
	v_cvt_pk_bf16_f32 v2, v2, s0
	v_cvt_pk_bf16_f32 v3, v3, s0
	;; [unrolled: 1-line block ×4, first 2 shown]
	v_mul_f32_e32 v40, v9, v40
	v_mul_f32_e32 v43, v8, v43
	v_cvt_pk_bf16_f32 v40, v40, s0
	v_cvt_pk_bf16_f32 v43, v43, s0
	v_lshlrev_b32_e32 v3, 16, v3
	v_lshlrev_b32_e32 v44, 16, v67
	;; [unrolled: 1-line block ×6, first 2 shown]
	v_cvt_pk_bf16_f32 v4, v4, s0
	v_cvt_pk_bf16_f32 v5, v5, s0
	v_mul_f32_e32 v44, v3, v44
	v_mul_f32_e32 v45, v2, v45
	v_add_f32_e32 v35, v39, v35
	v_lshlrev_b32_e32 v39, 16, v43
	v_lshlrev_b32_e32 v40, 16, v40
	v_cvt_pk_bf16_f32 v44, v44, s0
	v_cvt_pk_bf16_f32 v45, v45, s0
	v_lshlrev_b32_e32 v5, 16, v5
	v_lshlrev_b32_e32 v49, 16, v65
	;; [unrolled: 1-line block ×4, first 2 shown]
	v_add_f32_e32 v39, v39, v40
	v_mul_f32_e32 v49, v5, v49
	v_mul_f32_e32 v64, v4, v64
	v_add_f32_e32 v35, v39, v35
	v_lshlrev_b32_e32 v39, 16, v45
	v_lshlrev_b32_e32 v40, 16, v44
	v_cvt_pk_bf16_f32 v49, v49, s0
	v_cvt_pk_bf16_f32 v64, v64, s0
	v_add_f32_e32 v39, v39, v40
	v_add_f32_e32 v35, v39, v35
	v_lshlrev_b32_e32 v39, 16, v64
	v_lshlrev_b32_e32 v40, 16, v49
	v_add_f32_e32 v39, v39, v40
	v_add_f32_e32 v35, v39, v35
	;; [unrolled: 1-line block ×3, first 2 shown]
	v_lshlrev_b32_e32 v35, 16, v57
	v_lshlrev_b32_e32 v39, 16, v56
	v_mul_f32_e32 v35, v7, v35
	v_mul_f32_e32 v39, v6, v39
	v_lshlrev_b32_e32 v40, 16, v55
	v_lshlrev_b32_e32 v43, 16, v54
	v_cvt_pk_bf16_f32 v35, v35, s0
	v_cvt_pk_bf16_f32 v39, v39, s0
	v_mul_f32_e32 v40, v9, v40
	v_mul_f32_e32 v43, v8, v43
	v_lshlrev_b32_e32 v34, 16, v34
	v_lshlrev_b32_e32 v33, 16, v33
	;; [unrolled: 1-line block ×4, first 2 shown]
	v_cvt_pk_bf16_f32 v40, v40, s0
	v_cvt_pk_bf16_f32 v43, v43, s0
	v_lshlrev_b32_e32 v44, 16, v53
	v_lshlrev_b32_e32 v45, 16, v52
	v_lshlrev_b32_e32 v39, 16, v39
	v_lshlrev_b32_e32 v35, 16, v35
	v_mul_f32_e32 v34, v7, v34
	v_mul_f32_e32 v33, v6, v33
	;; [unrolled: 1-line block ×4, first 2 shown]
	v_lshlrev_b32_e32 v30, 16, v30
	v_lshlrev_b32_e32 v29, 16, v29
	v_mul_f32_e32 v44, v3, v44
	v_mul_f32_e32 v45, v2, v45
	v_add_f32_e32 v35, v39, v35
	v_lshlrev_b32_e32 v39, 16, v43
	v_lshlrev_b32_e32 v40, 16, v40
	v_cvt_pk_bf16_f32 v34, v34, s0
	v_cvt_pk_bf16_f32 v33, v33, s0
	;; [unrolled: 1-line block ×4, first 2 shown]
	v_mul_f32_e32 v30, v3, v30
	v_mul_f32_e32 v29, v2, v29
	v_lshlrev_b32_e32 v28, 16, v28
	v_lshlrev_b32_e32 v10, 16, v10
	v_cvt_pk_bf16_f32 v44, v44, s0
	v_cvt_pk_bf16_f32 v45, v45, s0
	v_lshlrev_b32_e32 v49, 16, v51
	v_lshlrev_b32_e32 v50, 16, v50
	v_add_f32_e32 v39, v39, v40
	v_cvt_pk_bf16_f32 v30, v30, s0
	v_cvt_pk_bf16_f32 v29, v29, s0
	v_mul_f32_e32 v28, v5, v28
	v_mul_f32_e32 v10, v4, v10
	v_lshlrev_b32_e32 v33, 16, v33
	v_lshlrev_b32_e32 v34, 16, v34
	;; [unrolled: 1-line block ×4, first 2 shown]
	v_mul_f32_e32 v49, v5, v49
	v_mul_f32_e32 v50, v4, v50
	v_add_f32_e32 v35, v39, v35
	v_lshlrev_b32_e32 v39, 16, v45
	v_lshlrev_b32_e32 v40, 16, v44
	v_cvt_pk_bf16_f32 v28, v28, s0
	v_cvt_pk_bf16_f32 v10, v10, s0
	v_add_f32_e32 v33, v33, v34
	v_add_f32_e32 v31, v31, v32
	v_lshlrev_b32_e32 v29, 16, v29
	v_lshlrev_b32_e32 v30, 16, v30
	v_cvt_pk_bf16_f32 v49, v49, s0
	v_cvt_pk_bf16_f32 v50, v50, s0
	v_add_f32_e32 v39, v39, v40
	v_add_f32_e32 v31, v31, v33
	;; [unrolled: 1-line block ×3, first 2 shown]
	v_lshlrev_b32_e32 v10, 16, v10
	v_lshlrev_b32_e32 v28, 16, v28
	v_add_f32_e32 v35, v39, v35
	v_lshlrev_b32_e32 v39, 16, v50
	v_lshlrev_b32_e32 v40, 16, v49
	v_add_f32_e32 v29, v29, v31
	v_add_f32_e32 v10, v10, v28
	;; [unrolled: 1-line block ×5, first 2 shown]
	v_lshlrev_b32_e32 v39, 16, v47
	v_add_f32_e32 v14, v14, v10
	v_lshlrev_b32_e32 v10, 16, v63
	v_add_f32_e32 v12, v12, v35
	v_lshlrev_b32_e32 v35, 16, v48
	v_mul_f32_e32 v39, v6, v39
	v_mul_f32_e32 v6, v6, v10
	v_lshlrev_b32_e32 v10, 16, v62
	v_mul_f32_e32 v35, v7, v35
	v_lshlrev_b32_e32 v42, 16, v42
	;; [unrolled: 2-line block ×3, first 2 shown]
	v_lshlrev_b32_e32 v40, 16, v46
	v_mul_f32_e32 v42, v8, v42
	v_mul_f32_e32 v8, v8, v10
	v_lshlrev_b32_e32 v10, 16, v60
	v_mul_f32_e32 v40, v9, v40
	v_lshlrev_b32_e32 v38, 16, v38
	;; [unrolled: 2-line block ×3, first 2 shown]
	v_mul_f32_e32 v38, v2, v38
	v_mul_f32_e32 v2, v2, v10
	v_cvt_pk_bf16_f32 v10, v2, s0
	v_lshlrev_b32_e32 v2, 16, v58
	v_mul_f32_e32 v2, v3, v2
	v_cvt_pk_bf16_f32 v28, v2, s0
	v_lshlrev_b32_e32 v2, 16, v21
	v_cvt_pk_bf16_f32 v35, v35, s0
	v_cvt_pk_bf16_f32 v39, v39, s0
	v_mul_f32_e32 v2, v4, v2
	v_cvt_pk_bf16_f32 v40, v40, s0
	v_cvt_pk_bf16_f32 v42, v42, s0
	v_lshlrev_b32_e32 v41, 16, v41
	v_lshlrev_b32_e32 v39, 16, v39
	;; [unrolled: 1-line block ×3, first 2 shown]
	v_cvt_pk_bf16_f32 v21, v2, s0
	v_lshlrev_b32_e32 v2, 16, v20
	v_mul_f32_e32 v41, v3, v41
	v_lshlrev_b32_e32 v37, 16, v37
	v_lshlrev_b32_e32 v36, 16, v36
	v_add_f32_e32 v35, v39, v35
	v_lshlrev_b32_e32 v39, 16, v42
	v_lshlrev_b32_e32 v40, 16, v40
	v_cvt_pk_bf16_f32 v6, v6, s0
	v_cvt_pk_bf16_f32 v7, v7, s0
	;; [unrolled: 1-line block ×4, first 2 shown]
	v_mul_f32_e32 v2, v5, v2
	v_cvt_pk_bf16_f32 v41, v41, s0
	v_cvt_pk_bf16_f32 v38, v38, s0
	v_mul_f32_e32 v37, v5, v37
	v_mul_f32_e32 v36, v4, v36
	v_add_f32_e32 v39, v39, v40
	v_cvt_pk_bf16_f32 v20, v2, s0
	v_lshlrev_b32_e32 v3, 16, v7
	v_lshlrev_b32_e32 v5, 16, v6
	;; [unrolled: 1-line block ×4, first 2 shown]
	v_cvt_pk_bf16_f32 v37, v37, s0
	v_cvt_pk_bf16_f32 v36, v36, s0
	v_add_f32_e32 v35, v39, v35
	v_lshlrev_b32_e32 v38, 16, v38
	v_lshlrev_b32_e32 v39, 16, v41
	v_pk_add_f32 v[2:3], v[4:5], v[2:3]
	v_lshlrev_b32_e32 v5, 16, v28
	v_lshlrev_b32_e32 v7, 16, v10
	;; [unrolled: 1-line block ×4, first 2 shown]
	v_add_f32_e32 v38, v38, v39
	v_lshlrev_b32_e32 v36, 16, v36
	v_lshlrev_b32_e32 v37, 16, v37
	v_pk_add_f32 v[4:5], v[6:7], v[4:5]
	v_add_f32_e32 v2, v2, v3
	v_add_f32_e32 v35, v38, v35
	;; [unrolled: 1-line block ×4, first 2 shown]
	v_add_u32_e32 v1, 2, v1
	v_add_f32_e32 v35, v36, v35
	v_add_f32_e32 v2, v4, v2
	v_cmp_le_i32_e32 vcc, s19, v1
	v_add_f32_e32 v15, v15, v35
	v_add_f32_e32 v11, v11, v2
	v_add_u32_e32 v26, 64, v26
	v_add_u32_e32 v27, 0x100, v27
	s_or_b64 s[6:7], vcc, s[6:7]
	v_lshl_add_u64 v[18:19], v[18:19], 0, 8
	s_andn2_b64 exec, exec, s[6:7]
	s_cbranch_execz .LBB319_50
.LBB319_40:                             ; =>This Inner Loop Header: Depth=1
	global_load_dword v2, v[18:19], off
	v_add_u32_e32 v35, -7, v26
	v_cmp_eq_u32_e32 vcc, s11, v1
	v_add_u32_e32 v45, -6, v26
	v_add_u32_e32 v44, -5, v26
	;; [unrolled: 1-line block ×6, first 2 shown]
	s_waitcnt vmcnt(0)
	v_mad_i64_i32 v[20:21], s[0:1], v2, s13, v[16:17]
	global_load_dwordx2 v[28:29], v[20:21], off
	ds_read2_b64 v[6:9], v27 offset1:1
	ds_read2_b64 v[2:5], v27 offset0:2 offset1:3
	s_waitcnt vmcnt(0)
	v_and_b32_e32 v10, 0xff, v28
	v_bfe_u32 v30, v28, 8, 8
	v_bfe_u32 v31, v28, 16, 8
	v_lshrrev_b32_e32 v28, 24, v28
	v_and_b32_e32 v32, 0xff, v29
	v_bfe_u32 v33, v29, 8, 8
	v_bfe_u32 v34, v29, 16, 8
	v_lshrrev_b32_e32 v29, 24, v29
	v_cvt_f32_fp8_e32 v10, v10
	v_cvt_f32_fp8_e32 v30, v30
	;; [unrolled: 1-line block ×8, first 2 shown]
	s_waitcnt lgkmcnt(0)
	v_mul_f32_e32 v10, s10, v10
	v_mul_f32_e32 v30, s10, v30
	v_mul_f32_e32 v31, s10, v31
	v_mul_f32_e32 v28, s10, v28
	v_mul_f32_e32 v36, s10, v32
	v_mul_f32_e32 v37, s10, v33
	v_mul_f32_e32 v38, s10, v34
	v_mul_f32_e32 v41, s10, v29
	v_cvt_pk_bf16_f32 v33, v10, s0
	v_cvt_pk_bf16_f32 v34, v30, s0
	v_cvt_pk_bf16_f32 v31, v31, s0
	v_cvt_pk_bf16_f32 v32, v28, s0
	v_cvt_pk_bf16_f32 v29, v36, s0
	v_cvt_pk_bf16_f32 v30, v37, s0
	v_cvt_pk_bf16_f32 v10, v38, s0
	v_cvt_pk_bf16_f32 v28, v41, s0
	s_and_saveexec_b64 s[8:9], vcc
	s_cbranch_execz .LBB319_42
; %bb.41:                               ;   in Loop: Header=BB319_40 Depth=1
	v_cmp_gt_i32_e64 s[0:1], s17, v35
	s_nop 1
	v_cndmask_b32_e64 v33, 0, v33, s[0:1]
	v_cmp_gt_i32_e64 s[0:1], s17, v45
	s_nop 1
	v_cndmask_b32_e64 v34, 0, v34, s[0:1]
	v_cmp_gt_i32_e64 s[0:1], s17, v44
	s_nop 1
	v_cndmask_b32_e64 v31, 0, v31, s[0:1]
	v_cmp_gt_i32_e64 s[0:1], s17, v43
	s_nop 1
	v_cndmask_b32_e64 v32, 0, v32, s[0:1]
	v_cmp_gt_i32_e64 s[0:1], s17, v40
	s_nop 1
	v_cndmask_b32_e64 v29, 0, v29, s[0:1]
	v_cmp_gt_i32_e64 s[0:1], s17, v39
	s_nop 1
	v_cndmask_b32_e64 v30, 0, v30, s[0:1]
	v_cmp_gt_i32_e64 s[0:1], s17, v49
	s_nop 1
	v_cndmask_b32_e64 v10, 0, v10, s[0:1]
	v_cmp_gt_i32_e64 s[0:1], s17, v26
	s_nop 1
	v_cndmask_b32_e64 v28, 0, v28, s[0:1]
.LBB319_42:                             ;   in Loop: Header=BB319_40 Depth=1
	s_or_b64 exec, exec, s[8:9]
	global_load_dwordx2 v[36:37], v[20:21], off offset:512
	s_waitcnt vmcnt(0)
	v_and_b32_e32 v38, 0xff, v36
	v_bfe_u32 v41, v36, 8, 8
	v_bfe_u32 v42, v36, 16, 8
	v_lshrrev_b32_e32 v36, 24, v36
	v_and_b32_e32 v46, 0xff, v37
	v_bfe_u32 v47, v37, 8, 8
	v_bfe_u32 v48, v37, 16, 8
	v_lshrrev_b32_e32 v37, 24, v37
	v_cvt_f32_fp8_e32 v38, v38
	v_cvt_f32_fp8_e32 v41, v41
	v_cvt_f32_fp8_e32 v42, v42
	v_cvt_f32_fp8_e32 v36, v36
	v_cvt_f32_fp8_e32 v46, v46
	v_cvt_f32_fp8_e32 v47, v47
	v_cvt_f32_fp8_e32 v48, v48
	v_cvt_f32_fp8_e32 v37, v37
	v_mul_f32_e32 v38, s10, v38
	v_mul_f32_e32 v41, s10, v41
	v_mul_f32_e32 v42, s10, v42
	v_mul_f32_e32 v36, s10, v36
	v_mul_f32_e32 v50, s10, v46
	v_mul_f32_e32 v51, s10, v47
	v_mul_f32_e32 v52, s10, v48
	v_mul_f32_e32 v37, s10, v37
	v_cvt_pk_bf16_f32 v47, v38, s0
	v_cvt_pk_bf16_f32 v48, v41, s0
	v_cvt_pk_bf16_f32 v42, v42, s0
	v_cvt_pk_bf16_f32 v46, v36, s0
	v_cvt_pk_bf16_f32 v38, v50, s0
	v_cvt_pk_bf16_f32 v41, v51, s0
	v_cvt_pk_bf16_f32 v36, v52, s0
	v_cvt_pk_bf16_f32 v37, v37, s0
	s_and_saveexec_b64 s[8:9], vcc
	s_cbranch_execz .LBB319_44
; %bb.43:                               ;   in Loop: Header=BB319_40 Depth=1
	v_cmp_gt_i32_e64 s[0:1], s17, v35
	s_nop 1
	v_cndmask_b32_e64 v47, 0, v47, s[0:1]
	v_cmp_gt_i32_e64 s[0:1], s17, v45
	s_nop 1
	v_cndmask_b32_e64 v48, 0, v48, s[0:1]
	v_cmp_gt_i32_e64 s[0:1], s17, v44
	s_nop 1
	v_cndmask_b32_e64 v42, 0, v42, s[0:1]
	v_cmp_gt_i32_e64 s[0:1], s17, v43
	s_nop 1
	v_cndmask_b32_e64 v46, 0, v46, s[0:1]
	v_cmp_gt_i32_e64 s[0:1], s17, v40
	s_nop 1
	v_cndmask_b32_e64 v38, 0, v38, s[0:1]
	v_cmp_gt_i32_e64 s[0:1], s17, v39
	s_nop 1
	v_cndmask_b32_e64 v41, 0, v41, s[0:1]
	v_cmp_gt_i32_e64 s[0:1], s17, v49
	s_nop 1
	v_cndmask_b32_e64 v36, 0, v36, s[0:1]
	v_cmp_gt_i32_e64 s[0:1], s17, v26
	s_nop 1
	v_cndmask_b32_e64 v37, 0, v37, s[0:1]
.LBB319_44:                             ;   in Loop: Header=BB319_40 Depth=1
	s_or_b64 exec, exec, s[8:9]
	global_load_dwordx2 v[50:51], v[20:21], off offset:1024
	s_waitcnt vmcnt(0)
	v_and_b32_e32 v52, 0xff, v50
	v_bfe_u32 v53, v50, 8, 8
	v_bfe_u32 v54, v50, 16, 8
	v_lshrrev_b32_e32 v50, 24, v50
	v_and_b32_e32 v55, 0xff, v51
	v_bfe_u32 v56, v51, 8, 8
	v_bfe_u32 v57, v51, 16, 8
	v_lshrrev_b32_e32 v51, 24, v51
	v_cvt_f32_fp8_e32 v52, v52
	v_cvt_f32_fp8_e32 v53, v53
	v_cvt_f32_fp8_e32 v54, v54
	v_cvt_f32_fp8_e32 v50, v50
	v_cvt_f32_fp8_e32 v55, v55
	v_cvt_f32_fp8_e32 v56, v56
	v_cvt_f32_fp8_e32 v57, v57
	v_cvt_f32_fp8_e32 v51, v51
	;; [unrolled: 63-line block ×4, first 2 shown]
	v_mul_f32_e32 v58, s10, v58
	v_mul_f32_e32 v59, s10, v59
	;; [unrolled: 1-line block ×8, first 2 shown]
	v_cvt_pk_bf16_f32 v63, v58, s0
	v_cvt_pk_bf16_f32 v62, v59, s0
	;; [unrolled: 1-line block ×8, first 2 shown]
	s_and_saveexec_b64 s[0:1], vcc
	s_cbranch_execz .LBB319_39
; %bb.49:                               ;   in Loop: Header=BB319_40 Depth=1
	v_cmp_gt_i32_e32 vcc, s17, v35
	s_nop 1
	v_cndmask_b32_e32 v63, 0, v63, vcc
	v_cmp_gt_i32_e32 vcc, s17, v45
	s_nop 1
	v_cndmask_b32_e32 v62, 0, v62, vcc
	;; [unrolled: 3-line block ×8, first 2 shown]
	s_branch .LBB319_39
.LBB319_50:
	s_or_b64 exec, exec, s[6:7]
.LBB319_51:
	s_or_b64 exec, exec, s[2:3]
	ds_bpermute_b32 v2, v23, v14
	ds_bpermute_b32 v3, v23, v15
	;; [unrolled: 1-line block ×5, first 2 shown]
	s_waitcnt lgkmcnt(0)
	v_pk_add_f32 v[2:3], v[14:15], v[2:3]
	ds_bpermute_b32 v6, v24, v2
	ds_bpermute_b32 v7, v24, v3
	v_pk_add_f32 v[8:9], v[12:13], v[4:5]
	ds_bpermute_b32 v12, v24, v8
	ds_bpermute_b32 v13, v24, v9
	s_barrier
	s_waitcnt lgkmcnt(2)
	v_pk_add_f32 v[4:5], v[2:3], v[6:7]
	v_add_f32_e32 v6, v11, v1
	ds_bpermute_b32 v7, v24, v6
	v_and_b32_e32 v1, 0x3c3, v0
	s_waitcnt lgkmcnt(1)
	v_pk_add_f32 v[2:3], v[8:9], v[12:13]
	v_cmp_ne_u32_e32 vcc, 64, v1
	s_waitcnt lgkmcnt(0)
	s_and_saveexec_b64 s[0:1], vcc
	s_xor_b64 s[0:1], exec, s[0:1]
; %bb.52:
                                        ; implicit-def: $vgpr22
; %bb.53:
	s_or_saveexec_b64 s[0:1], s[0:1]
	v_add_f32_e32 v6, v6, v7
	s_xor_b64 exec, exec, s[0:1]
	s_cbranch_execz .LBB319_55
; %bb.54:
	v_add_u32_e32 v7, 0xb0, v22
	ds_write2_b32 v7, v4, v5 offset1:16
	ds_write2_b32 v7, v2, v3 offset0:32 offset1:48
	ds_write_b32 v7, v6 offset:256
.LBB319_55:
	s_or_b64 exec, exec, s[0:1]
	v_cmp_gt_u32_e32 vcc, 64, v0
	v_lshrrev_b32_e32 v0, 2, v0
	s_waitcnt lgkmcnt(0)
	s_barrier
	s_and_saveexec_b64 s[0:1], vcc
	s_cbranch_execz .LBB319_63
; %bb.56:
	v_mov_b32_e32 v7, 0xb0
	v_cmp_eq_u32_e32 vcc, 0, v25
	v_lshl_add_u32 v7, v0, 2, v7
	s_and_saveexec_b64 s[2:3], vcc
	s_cbranch_execnz .LBB319_66
; %bb.57:
	s_or_b64 exec, exec, s[2:3]
	s_and_saveexec_b64 s[2:3], vcc
	s_cbranch_execnz .LBB319_67
.LBB319_58:
	s_or_b64 exec, exec, s[2:3]
	s_and_saveexec_b64 s[2:3], vcc
	s_cbranch_execnz .LBB319_68
.LBB319_59:
	s_or_b64 exec, exec, s[2:3]
	s_and_saveexec_b64 s[2:3], vcc
	s_cbranch_execnz .LBB319_69
.LBB319_60:
	s_or_b64 exec, exec, s[2:3]
	s_and_saveexec_b64 s[2:3], vcc
	s_cbranch_execz .LBB319_62
.LBB319_61:
	ds_read_b32 v7, v7 offset:256
	s_waitcnt lgkmcnt(0)
	v_add_f32_e32 v6, v6, v7
.LBB319_62:
	s_or_b64 exec, exec, s[2:3]
.LBB319_63:
	s_or_b64 exec, exec, s[0:1]
	v_cmp_eq_u32_e32 vcc, 0, v1
	s_barrier
	s_and_saveexec_b64 s[0:1], vcc
	s_cbranch_execz .LBB319_65
; %bb.64:
	s_mul_i32 s0, s16, s12
	s_mul_i32 s0, s0, s5
	s_mulk_i32 s0, 0x50
	s_ashr_i32 s1, s0, 31
	s_lshl_b64 s[0:1], s[0:1], 1
	s_add_u32 s2, s20, s0
	s_mul_i32 s0, s12, s18
	s_addc_u32 s3, s21, s1
	s_ashr_i32 s1, s0, 31
	s_lshl_b64 s[0:1], s[0:1], 1
	s_add_u32 s2, s2, s0
	s_mul_i32 s0, s4, 0x50
	s_addc_u32 s3, s3, s1
	s_ashr_i32 s1, s0, 31
	s_lshl_b64 s[0:1], s[0:1], 1
	s_add_u32 s0, s2, s0
	s_addc_u32 s1, s3, s1
	v_lshlrev_b32_e32 v0, 1, v0
	v_cvt_pk_bf16_f32 v1, v4, s0
	global_store_short v0, v1, s[0:1]
	v_cvt_pk_bf16_f32 v1, v5, s0
	global_store_short v0, v1, s[0:1] offset:32
	v_cvt_pk_bf16_f32 v1, v2, s0
	global_store_short v0, v1, s[0:1] offset:64
	;; [unrolled: 2-line block ×4, first 2 shown]
.LBB319_65:
	s_endpgm
.LBB319_66:
	ds_read_b32 v8, v7
	s_waitcnt lgkmcnt(0)
	v_add_f32_e32 v4, v4, v8
	s_or_b64 exec, exec, s[2:3]
	s_and_saveexec_b64 s[2:3], vcc
	s_cbranch_execz .LBB319_58
.LBB319_67:
	ds_read_b32 v8, v7 offset:64
	s_waitcnt lgkmcnt(0)
	v_add_f32_e32 v5, v5, v8
	s_or_b64 exec, exec, s[2:3]
	s_and_saveexec_b64 s[2:3], vcc
	s_cbranch_execz .LBB319_59
.LBB319_68:
	ds_read_b32 v8, v7 offset:128
	s_waitcnt lgkmcnt(0)
	v_add_f32_e32 v2, v2, v8
	s_or_b64 exec, exec, s[2:3]
	s_and_saveexec_b64 s[2:3], vcc
	s_cbranch_execz .LBB319_60
.LBB319_69:
	ds_read_b32 v8, v7 offset:192
	s_waitcnt lgkmcnt(0)
	v_add_f32_e32 v3, v3, v8
	s_or_b64 exec, exec, s[2:3]
	s_and_saveexec_b64 s[2:3], vcc
	s_cbranch_execnz .LBB319_61
	s_branch .LBB319_62
	.section	.rodata,"a",@progbits
	.p2align	6, 0x0
	.amdhsa_kernel _ZN4vllm25paged_attention_v1_kernelI14__hip_bfloat16hLi80ELi32ELi128ELNS_18Fp8KVCacheDataTypeE1ELb0EEEvPT_PKS3_PKT0_S9_ifPKiSB_iPKfiiiSD_SD_iiiii
		.amdhsa_group_segment_fixed_size 176
		.amdhsa_private_segment_fixed_size 0
		.amdhsa_kernarg_size 384
		.amdhsa_user_sgpr_count 2
		.amdhsa_user_sgpr_dispatch_ptr 0
		.amdhsa_user_sgpr_queue_ptr 0
		.amdhsa_user_sgpr_kernarg_segment_ptr 1
		.amdhsa_user_sgpr_dispatch_id 0
		.amdhsa_user_sgpr_kernarg_preload_length 0
		.amdhsa_user_sgpr_kernarg_preload_offset 0
		.amdhsa_user_sgpr_private_segment_size 0
		.amdhsa_uses_dynamic_stack 0
		.amdhsa_enable_private_segment 0
		.amdhsa_system_sgpr_workgroup_id_x 1
		.amdhsa_system_sgpr_workgroup_id_y 1
		.amdhsa_system_sgpr_workgroup_id_z 1
		.amdhsa_system_sgpr_workgroup_info 0
		.amdhsa_system_vgpr_workitem_id 0
		.amdhsa_next_free_vgpr 87
		.amdhsa_next_free_sgpr 37
		.amdhsa_accum_offset 88
		.amdhsa_reserve_vcc 1
		.amdhsa_float_round_mode_32 0
		.amdhsa_float_round_mode_16_64 0
		.amdhsa_float_denorm_mode_32 3
		.amdhsa_float_denorm_mode_16_64 3
		.amdhsa_dx10_clamp 1
		.amdhsa_ieee_mode 1
		.amdhsa_fp16_overflow 0
		.amdhsa_tg_split 0
		.amdhsa_exception_fp_ieee_invalid_op 0
		.amdhsa_exception_fp_denorm_src 0
		.amdhsa_exception_fp_ieee_div_zero 0
		.amdhsa_exception_fp_ieee_overflow 0
		.amdhsa_exception_fp_ieee_underflow 0
		.amdhsa_exception_fp_ieee_inexact 0
		.amdhsa_exception_int_div_zero 0
	.end_amdhsa_kernel
	.section	.text._ZN4vllm25paged_attention_v1_kernelI14__hip_bfloat16hLi80ELi32ELi128ELNS_18Fp8KVCacheDataTypeE1ELb0EEEvPT_PKS3_PKT0_S9_ifPKiSB_iPKfiiiSD_SD_iiiii,"axG",@progbits,_ZN4vllm25paged_attention_v1_kernelI14__hip_bfloat16hLi80ELi32ELi128ELNS_18Fp8KVCacheDataTypeE1ELb0EEEvPT_PKS3_PKT0_S9_ifPKiSB_iPKfiiiSD_SD_iiiii,comdat
.Lfunc_end319:
	.size	_ZN4vllm25paged_attention_v1_kernelI14__hip_bfloat16hLi80ELi32ELi128ELNS_18Fp8KVCacheDataTypeE1ELb0EEEvPT_PKS3_PKT0_S9_ifPKiSB_iPKfiiiSD_SD_iiiii, .Lfunc_end319-_ZN4vllm25paged_attention_v1_kernelI14__hip_bfloat16hLi80ELi32ELi128ELNS_18Fp8KVCacheDataTypeE1ELb0EEEvPT_PKS3_PKT0_S9_ifPKiSB_iPKfiiiSD_SD_iiiii
                                        ; -- End function
	.set _ZN4vllm25paged_attention_v1_kernelI14__hip_bfloat16hLi80ELi32ELi128ELNS_18Fp8KVCacheDataTypeE1ELb0EEEvPT_PKS3_PKT0_S9_ifPKiSB_iPKfiiiSD_SD_iiiii.num_vgpr, 87
	.set _ZN4vllm25paged_attention_v1_kernelI14__hip_bfloat16hLi80ELi32ELi128ELNS_18Fp8KVCacheDataTypeE1ELb0EEEvPT_PKS3_PKT0_S9_ifPKiSB_iPKfiiiSD_SD_iiiii.num_agpr, 0
	.set _ZN4vllm25paged_attention_v1_kernelI14__hip_bfloat16hLi80ELi32ELi128ELNS_18Fp8KVCacheDataTypeE1ELb0EEEvPT_PKS3_PKT0_S9_ifPKiSB_iPKfiiiSD_SD_iiiii.numbered_sgpr, 37
	.set _ZN4vllm25paged_attention_v1_kernelI14__hip_bfloat16hLi80ELi32ELi128ELNS_18Fp8KVCacheDataTypeE1ELb0EEEvPT_PKS3_PKT0_S9_ifPKiSB_iPKfiiiSD_SD_iiiii.num_named_barrier, 0
	.set _ZN4vllm25paged_attention_v1_kernelI14__hip_bfloat16hLi80ELi32ELi128ELNS_18Fp8KVCacheDataTypeE1ELb0EEEvPT_PKS3_PKT0_S9_ifPKiSB_iPKfiiiSD_SD_iiiii.private_seg_size, 0
	.set _ZN4vllm25paged_attention_v1_kernelI14__hip_bfloat16hLi80ELi32ELi128ELNS_18Fp8KVCacheDataTypeE1ELb0EEEvPT_PKS3_PKT0_S9_ifPKiSB_iPKfiiiSD_SD_iiiii.uses_vcc, 1
	.set _ZN4vllm25paged_attention_v1_kernelI14__hip_bfloat16hLi80ELi32ELi128ELNS_18Fp8KVCacheDataTypeE1ELb0EEEvPT_PKS3_PKT0_S9_ifPKiSB_iPKfiiiSD_SD_iiiii.uses_flat_scratch, 0
	.set _ZN4vllm25paged_attention_v1_kernelI14__hip_bfloat16hLi80ELi32ELi128ELNS_18Fp8KVCacheDataTypeE1ELb0EEEvPT_PKS3_PKT0_S9_ifPKiSB_iPKfiiiSD_SD_iiiii.has_dyn_sized_stack, 0
	.set _ZN4vllm25paged_attention_v1_kernelI14__hip_bfloat16hLi80ELi32ELi128ELNS_18Fp8KVCacheDataTypeE1ELb0EEEvPT_PKS3_PKT0_S9_ifPKiSB_iPKfiiiSD_SD_iiiii.has_recursion, 0
	.set _ZN4vllm25paged_attention_v1_kernelI14__hip_bfloat16hLi80ELi32ELi128ELNS_18Fp8KVCacheDataTypeE1ELb0EEEvPT_PKS3_PKT0_S9_ifPKiSB_iPKfiiiSD_SD_iiiii.has_indirect_call, 0
	.section	.AMDGPU.csdata,"",@progbits
; Kernel info:
; codeLenInByte = 7732
; TotalNumSgprs: 43
; NumVgprs: 87
; NumAgprs: 0
; TotalNumVgprs: 87
; ScratchSize: 0
; MemoryBound: 0
; FloatMode: 240
; IeeeMode: 1
; LDSByteSize: 176 bytes/workgroup (compile time only)
; SGPRBlocks: 5
; VGPRBlocks: 10
; NumSGPRsForWavesPerEU: 43
; NumVGPRsForWavesPerEU: 87
; AccumOffset: 88
; Occupancy: 5
; WaveLimiterHint : 1
; COMPUTE_PGM_RSRC2:SCRATCH_EN: 0
; COMPUTE_PGM_RSRC2:USER_SGPR: 2
; COMPUTE_PGM_RSRC2:TRAP_HANDLER: 0
; COMPUTE_PGM_RSRC2:TGID_X_EN: 1
; COMPUTE_PGM_RSRC2:TGID_Y_EN: 1
; COMPUTE_PGM_RSRC2:TGID_Z_EN: 1
; COMPUTE_PGM_RSRC2:TIDIG_COMP_CNT: 0
; COMPUTE_PGM_RSRC3_GFX90A:ACCUM_OFFSET: 21
; COMPUTE_PGM_RSRC3_GFX90A:TG_SPLIT: 0
	.section	.text._ZN4vllm25paged_attention_v1_kernelI14__hip_bfloat16hLi96ELi32ELi128ELNS_18Fp8KVCacheDataTypeE1ELb0EEEvPT_PKS3_PKT0_S9_ifPKiSB_iPKfiiiSD_SD_iiiii,"axG",@progbits,_ZN4vllm25paged_attention_v1_kernelI14__hip_bfloat16hLi96ELi32ELi128ELNS_18Fp8KVCacheDataTypeE1ELb0EEEvPT_PKS3_PKT0_S9_ifPKiSB_iPKfiiiSD_SD_iiiii,comdat
	.protected	_ZN4vllm25paged_attention_v1_kernelI14__hip_bfloat16hLi96ELi32ELi128ELNS_18Fp8KVCacheDataTypeE1ELb0EEEvPT_PKS3_PKT0_S9_ifPKiSB_iPKfiiiSD_SD_iiiii ; -- Begin function _ZN4vllm25paged_attention_v1_kernelI14__hip_bfloat16hLi96ELi32ELi128ELNS_18Fp8KVCacheDataTypeE1ELb0EEEvPT_PKS3_PKT0_S9_ifPKiSB_iPKfiiiSD_SD_iiiii
	.globl	_ZN4vllm25paged_attention_v1_kernelI14__hip_bfloat16hLi96ELi32ELi128ELNS_18Fp8KVCacheDataTypeE1ELb0EEEvPT_PKS3_PKT0_S9_ifPKiSB_iPKfiiiSD_SD_iiiii
	.p2align	8
	.type	_ZN4vllm25paged_attention_v1_kernelI14__hip_bfloat16hLi96ELi32ELi128ELNS_18Fp8KVCacheDataTypeE1ELb0EEEvPT_PKS3_PKT0_S9_ifPKiSB_iPKfiiiSD_SD_iiiii,@function
_ZN4vllm25paged_attention_v1_kernelI14__hip_bfloat16hLi96ELi32ELi128ELNS_18Fp8KVCacheDataTypeE1ELb0EEEvPT_PKS3_PKT0_S9_ifPKiSB_iPKfiiiSD_SD_iiiii: ; @_ZN4vllm25paged_attention_v1_kernelI14__hip_bfloat16hLi96ELi32ELi128ELNS_18Fp8KVCacheDataTypeE1ELb0EEEvPT_PKS3_PKT0_S9_ifPKiSB_iPKfiiiSD_SD_iiiii
; %bb.0:
	s_load_dword s5, s[0:1], 0x80
	s_load_dwordx2 s[6:7], s[0:1], 0x30
	s_load_dwordx2 s[28:29], s[0:1], 0x20
	s_mov_b32 s16, s3
	s_ashr_i32 s17, s3, 31
	s_lshl_b64 s[8:9], s[16:17], 2
	s_waitcnt lgkmcnt(0)
	s_add_u32 s6, s6, s8
	s_addc_u32 s7, s7, s9
	s_abs_i32 s3, s28
	v_cvt_f32_u32_e32 v1, s3
	s_sub_i32 s10, 0, s3
	s_abs_i32 s9, s5
	s_xor_b32 s8, s5, s28
	v_rcp_iflag_f32_e32 v1, v1
	s_ashr_i32 s8, s8, 31
	s_mov_b32 s28, 0
	v_mul_f32_e32 v1, 0x4f7ffffe, v1
	v_cvt_u32_f32_e32 v1, v1
	s_nop 0
	v_readfirstlane_b32 s11, v1
	s_mul_i32 s10, s10, s11
	s_mul_hi_u32 s10, s11, s10
	s_add_i32 s11, s11, s10
	s_mul_hi_u32 s10, s9, s11
	s_mul_i32 s11, s10, s3
	s_sub_i32 s9, s9, s11
	s_add_i32 s11, s10, 1
	s_sub_i32 s12, s9, s3
	s_cmp_ge_u32 s9, s3
	s_cselect_b32 s10, s11, s10
	s_cselect_b32 s9, s12, s9
	s_add_i32 s11, s10, 1
	s_cmp_ge_u32 s9, s3
	s_cselect_b32 s3, s11, s10
	s_xor_b32 s3, s3, s8
	s_sub_i32 s12, s3, s8
	s_abs_i32 s10, s12
	v_cvt_f32_u32_e32 v1, s10
	s_load_dwordx2 s[8:9], s[0:1], 0x40
	s_sub_i32 s3, 0, s10
	s_abs_i32 s11, s2
	v_rcp_iflag_f32_e32 v1, v1
	s_nop 0
	v_mul_f32_e32 v1, 0x4f7ffffe, v1
	v_cvt_u32_f32_e32 v1, v1
	s_nop 0
	v_readfirstlane_b32 s13, v1
	s_mul_i32 s3, s3, s13
	s_mul_hi_u32 s3, s13, s3
	s_add_i32 s13, s13, s3
	s_waitcnt lgkmcnt(0)
	s_cmp_eq_u64 s[8:9], 0
	s_mul_hi_u32 s20, s11, s13
	s_cbranch_scc1 .LBB320_2
; %bb.1:
	s_ashr_i32 s3, s2, 31
	s_lshl_b64 s[14:15], s[2:3], 2
	s_add_u32 s8, s8, s14
	s_addc_u32 s9, s9, s15
	s_load_dword s28, s[8:9], 0x0
.LBB320_2:
	s_load_dword s17, s[6:7], 0x0
	s_ashr_i32 s7, s12, 31
	s_load_dwordx4 s[12:15], s[0:1], 0x48
	s_ashr_i32 s6, s2, 31
	v_and_b32_e32 v2, 1, v0
	s_movk_i32 s8, 0x60
	s_mul_i32 s18, s2, 0x60
	v_cmp_gt_u32_e32 vcc, 24, v0
	v_lshlrev_b32_e32 v8, 3, v0
	s_and_saveexec_b64 s[2:3], vcc
	s_cbranch_execz .LBB320_4
; %bb.3:
	s_load_dwordx2 s[22:23], s[0:1], 0x8
	s_waitcnt lgkmcnt(0)
	s_mul_i32 s24, s12, s16
	s_ashr_i32 s25, s24, 31
	s_lshl_b64 s[24:25], s[24:25], 1
	v_lshlrev_b32_e32 v1, 2, v0
	s_add_u32 s9, s22, s24
	s_addc_u32 s12, s23, s25
	s_ashr_i32 s19, s18, 31
	s_lshl_b64 s[22:23], s[18:19], 1
	s_add_u32 s22, s9, s22
	s_addc_u32 s23, s12, s23
	global_load_dwordx2 v[4:5], v8, s[22:23]
	v_and_b32_e32 v1, 0xff8, v1
	v_mad_u32_u24 v1, v2, s8, v1
	s_waitcnt vmcnt(0)
	ds_write_b64 v1, v[4:5]
.LBB320_4:
	s_or_b64 exec, exec, s[2:3]
	s_waitcnt lgkmcnt(0)
	s_add_i32 s3, s17, 31
	s_ashr_i32 s8, s3, 31
	s_lshr_b32 s8, s8, 27
	s_add_i32 s3, s3, s8
	s_ashr_i32 s19, s3, 5
	s_xor_b32 s3, s6, s7
	s_mul_i32 s6, s20, s10
	s_sub_i32 s6, s11, s6
	s_add_i32 s7, s20, 1
	s_sub_i32 s8, s6, s10
	s_load_dwordx2 s[22:23], s[0:1], 0x28
	s_load_dword s2, s[0:1], 0x38
	s_cmp_ge_u32 s6, s10
	s_cselect_b32 s7, s7, s20
	s_cselect_b32 s6, s8, s6
	s_add_i32 s8, s7, 1
	s_cmp_ge_u32 s6, s10
	s_cselect_b32 s6, s8, s7
	v_lshrrev_b32_e32 v1, 6, v0
	s_xor_b32 s6, s6, s3
	s_waitcnt lgkmcnt(0)
	s_mul_i32 s24, s2, s16
	s_sub_i32 s33, s6, s3
	s_ashr_i32 s25, s24, 31
	v_cmp_gt_i32_e64 s[6:7], s19, v1
	v_cmp_le_i32_e32 vcc, s19, v1
	v_mbcnt_lo_u32_b32 v3, -1, 0
	s_barrier
                                        ; implicit-def: $vgpr10
                                        ; implicit-def: $vgpr11
                                        ; implicit-def: $vgpr12
	s_and_saveexec_b64 s[2:3], vcc
	s_xor_b64 s[2:3], exec, s[2:3]
; %bb.5:
	v_mbcnt_hi_u32_b32 v10, -1, v3
	v_and_b32_e32 v11, 64, v10
	v_add_u32_e32 v12, 64, v11
                                        ; implicit-def: $vgpr2
                                        ; implicit-def: $vgpr3
; %bb.6:
	s_or_saveexec_b64 s[30:31], s[2:3]
	s_load_dwordx2 s[20:21], s[0:1], 0x0
	s_load_dwordx2 s[26:27], s[0:1], 0x18
	s_load_dword s12, s[0:1], 0x88
	s_load_dwordx4 s[8:11], s[0:1], 0x58
	v_mov_b32_e32 v61, 0xff7fffff
	s_mul_i32 s33, s33, s14
	v_lshrrev_b32_e32 v9, 4, v0
	s_xor_b64 exec, exec, s[30:31]
	s_cbranch_execz .LBB320_12
; %bb.7:
	v_mul_u32_u24_e32 v10, 0x60, v2
	ds_read_b128 v[4:7], v10
	s_load_dwordx2 s[0:1], s[0:1], 0x10
	ds_read_b128 v[26:29], v10 offset:16
	ds_read_b128 v[34:37], v10 offset:32
	;; [unrolled: 1-line block ×3, first 2 shown]
	s_ashr_i32 s2, s33, 31
	v_bfe_u32 v64, v0, 1, 5
	s_waitcnt lgkmcnt(0)
	v_lshlrev_b32_e32 v13, 16, v4
	v_and_b32_e32 v14, 0xffff0000, v4
	v_lshlrev_b32_e32 v15, 16, v5
	v_and_b32_e32 v16, 0xffff0000, v5
	;; [unrolled: 2-line block ×4, first 2 shown]
	ds_read_b128 v[4:7], v10 offset:64
	ds_read_b128 v[58:61], v10 offset:80
	v_mbcnt_hi_u32_b32 v10, -1, v3
	s_add_u32 s0, s0, s33
	v_and_b32_e32 v11, 64, v10
	v_lshlrev_b32_e32 v66, 4, v64
	s_addc_u32 s1, s1, s2
	v_mov_b32_e32 v67, 0
	v_xor_b32_e32 v3, 1, v10
	v_add_u32_e32 v12, 64, v11
	v_lshlrev_b32_e32 v21, 16, v26
	v_and_b32_e32 v22, 0xffff0000, v26
	v_lshlrev_b32_e32 v23, 16, v27
	v_and_b32_e32 v24, 0xffff0000, v27
	;; [unrolled: 2-line block ×12, first 2 shown]
	s_waitcnt lgkmcnt(1)
	v_lshlrev_b32_e32 v45, 16, v4
	v_and_b32_e32 v46, 0xffff0000, v4
	v_lshlrev_b32_e32 v47, 16, v5
	v_and_b32_e32 v48, 0xffff0000, v5
	v_lshl_add_u64 v[4:5], s[0:1], 0, v[66:67]
	v_cmp_lt_i32_e64 s[0:1], v3, v12
	s_load_dword s35, s[8:9], 0x0
	v_lshlrev_b32_e32 v66, 2, v2
	v_cmp_eq_u32_e32 vcc, 0, v2
	v_cndmask_b32_e64 v2, v10, v3, s[0:1]
	s_sub_i32 s36, 1, s17
	s_lshl_b64 s[0:1], s[24:25], 2
	v_lshlrev_b32_e32 v62, 2, v2
	v_lshl_add_u64 v[2:3], v[4:5], 0, v[66:67]
	v_lshlrev_b32_e32 v4, 2, v64
	s_add_u32 s0, s22, s0
	v_lshl_or_b32 v4, v1, 7, v4
	v_and_b32_e32 v66, 60, v9
	s_addc_u32 s1, s23, s1
	s_mov_b32 s34, s13
	v_lshlrev_b32_e32 v49, 16, v6
	v_and_b32_e32 v50, 0xffff0000, v6
	v_lshlrev_b32_e32 v51, 16, v7
	v_and_b32_e32 v52, 0xffff0000, v7
	s_waitcnt lgkmcnt(0)
	v_lshlrev_b32_e32 v53, 16, v58
	v_and_b32_e32 v54, 0xffff0000, v58
	v_lshlrev_b32_e32 v55, 16, v59
	v_and_b32_e32 v56, 0xffff0000, v59
	;; [unrolled: 2-line block ×4, first 2 shown]
	v_cmp_neq_f32_e64 s[2:3], s28, 0
	v_lshl_or_b32 v63, v1, 5, v64
	v_add_u32_e32 v64, 0xd0, v4
	v_lshl_add_u64 v[4:5], s[0:1], 0, v[66:67]
	s_mov_b64 s[8:9], 0
	v_mov_b32_e32 v61, 0xff7fffff
	v_mov_b32_e32 v65, v1
	s_branch .LBB320_9
.LBB320_8:                              ;   in Loop: Header=BB320_9 Depth=1
	s_or_b64 exec, exec, s[14:15]
	v_add_u32_e32 v65, 2, v65
	v_cmp_le_i32_e64 s[0:1], s19, v65
	v_add_u32_e32 v63, 64, v63
	v_add_u32_e32 v64, 0x100, v64
	s_or_b64 s[8:9], s[0:1], s[8:9]
	v_lshl_add_u64 v[4:5], v[4:5], 0, 8
	s_andn2_b64 exec, exec, s[8:9]
	s_cbranch_execz .LBB320_11
.LBB320_9:                              ; =>This Inner Loop Header: Depth=1
	global_load_dword v6, v[4:5], off
	s_waitcnt vmcnt(0) lgkmcnt(0)
	v_mad_i64_i32 v[6:7], s[0:1], v6, s34, v[2:3]
	global_load_dword v78, v[6:7], off
	global_load_dword v80, v[6:7], off offset:8
	global_load_dword v75, v[6:7], off offset:512
	;; [unrolled: 1-line block ×10, first 2 shown]
	s_nop 0
	global_load_dword v6, v[6:7], off offset:2568
	s_waitcnt vmcnt(11)
	v_bfe_u32 v79, v78, 16, 8
	s_waitcnt vmcnt(10)
	v_bfe_u32 v81, v80, 16, 8
	v_cvt_f32_fp8_e32 v81, v81
	s_waitcnt vmcnt(9)
	v_bfe_u32 v84, v75, 16, 8
	v_cvt_f32_fp8_e32 v79, v79
	v_and_b32_e32 v74, 0xff, v80
	s_waitcnt vmcnt(8)
	v_bfe_u32 v87, v73, 16, 8
	v_cvt_f32_fp8_e32 v84, v84
	v_and_b32_e32 v7, 0xff, v78
	s_waitcnt vmcnt(7)
	v_bfe_u32 v90, v72, 16, 8
	v_cvt_f32_fp8_e32 v74, v74
	v_cvt_f32_fp8_e32 v87, v87
	v_bfe_u32 v77, v80, 8, 8
	v_lshrrev_b32_e32 v80, 24, v80
	s_waitcnt vmcnt(6)
	v_bfe_u32 v93, v71, 16, 8
	v_cvt_f32_fp8_e32 v7, v7
	v_cvt_f32_fp8_e32 v90, v90
	v_mul_f32_e32 v81, s35, v81
	v_bfe_u32 v76, v78, 8, 8
	v_lshrrev_b32_e32 v78, 24, v78
	s_waitcnt vmcnt(5)
	v_bfe_u32 v96, v70, 16, 8
	v_cvt_f32_fp8_e32 v80, v80
	v_cvt_f32_fp8_e32 v93, v93
	v_mul_f32_e32 v79, s35, v79
	v_cvt_pk_bf16_f32 v81, v81, s0
	v_and_b32_e32 v82, 0xff, v75
	v_bfe_u32 v83, v75, 8, 8
	v_lshrrev_b32_e32 v75, 24, v75
	v_cvt_f32_fp8_e32 v78, v78
	v_cvt_f32_fp8_e32 v96, v96
	v_mul_f32_e32 v84, s35, v84
	v_cvt_pk_bf16_f32 v79, v79, s0
	v_lshlrev_b32_e32 v81, 16, v81
	v_and_b32_e32 v85, 0xff, v73
	v_bfe_u32 v86, v73, 8, 8
	v_lshrrev_b32_e32 v73, 24, v73
	v_cvt_f32_fp8_e32 v75, v75
	v_mul_f32_e32 v74, s35, v74
	v_mul_f32_e32 v87, s35, v87
	v_cvt_pk_bf16_f32 v84, v84, s0
	v_lshlrev_b32_e32 v79, 16, v79
	v_mul_f32_e32 v81, v19, v81
	v_and_b32_e32 v88, 0xff, v72
	v_bfe_u32 v89, v72, 8, 8
	v_lshrrev_b32_e32 v72, 24, v72
	v_and_b32_e32 v94, 0xff, v70
	v_bfe_u32 v95, v70, 8, 8
	v_lshrrev_b32_e32 v70, 24, v70
	v_cvt_f32_fp8_e32 v73, v73
	v_mul_f32_e32 v7, s35, v7
	v_mul_f32_e32 v90, s35, v90
	v_cvt_pk_bf16_f32 v74, v74, s0
	v_cvt_pk_bf16_f32 v87, v87, s0
	v_lshlrev_b32_e32 v84, 16, v84
	v_fmac_f32_e32 v81, v15, v79
	v_and_b32_e32 v91, 0xff, v71
	v_bfe_u32 v92, v71, 8, 8
	v_lshrrev_b32_e32 v71, 24, v71
	v_cvt_f32_fp8_e32 v72, v72
	v_cvt_f32_fp8_e32 v70, v70
	v_mul_f32_e32 v80, s35, v80
	v_mul_f32_e32 v93, s35, v93
	v_cvt_pk_bf16_f32 v7, v7, s0
	v_cvt_pk_bf16_f32 v90, v90, s0
	v_lshlrev_b32_e32 v74, 16, v74
	v_lshlrev_b32_e32 v87, 16, v87
	v_fmac_f32_e32 v81, v23, v84
	v_cvt_f32_fp8_e32 v71, v71
	v_mul_f32_e32 v78, s35, v78
	v_mul_f32_e32 v96, s35, v96
	v_cvt_pk_bf16_f32 v80, v80, s0
	v_cvt_pk_bf16_f32 v93, v93, s0
	v_lshlrev_b32_e32 v7, 16, v7
	v_lshlrev_b32_e32 v90, 16, v90
	v_mul_f32_e32 v74, v17, v74
	v_fmac_f32_e32 v81, v27, v87
	v_cvt_f32_fp8_e32 v82, v82
	v_mul_f32_e32 v75, s35, v75
	v_cvt_pk_bf16_f32 v78, v78, s0
	v_lshlrev_b32_e32 v80, 16, v80
	v_lshlrev_b32_e32 v93, 16, v93
	v_fmac_f32_e32 v74, v13, v7
	v_fmac_f32_e32 v81, v31, v90
	v_cvt_pk_bf16_f32 v7, v96, s0
	v_cvt_f32_fp8_e32 v85, v85
	v_mul_f32_e32 v73, s35, v73
	v_cvt_pk_bf16_f32 v75, v75, s0
	v_lshlrev_b32_e32 v78, 16, v78
	v_mul_f32_e32 v80, v20, v80
	v_fmac_f32_e32 v81, v35, v93
	v_lshlrev_b32_e32 v7, 16, v7
	v_cvt_f32_fp8_e32 v88, v88
	v_mul_f32_e32 v72, s35, v72
	v_cvt_pk_bf16_f32 v73, v73, s0
	v_lshlrev_b32_e32 v75, 16, v75
	v_fmac_f32_e32 v80, v16, v78
	v_fmac_f32_e32 v81, v39, v7
	v_mul_f32_e32 v7, s35, v70
	s_waitcnt vmcnt(4)
	v_and_b32_e32 v70, 0xff, v69
	v_cvt_f32_fp8_e32 v77, v77
	v_cvt_f32_fp8_e32 v91, v91
	v_mul_f32_e32 v71, s35, v71
	v_cvt_pk_bf16_f32 v72, v72, s0
	v_lshlrev_b32_e32 v73, 16, v73
	v_fmac_f32_e32 v80, v24, v75
	v_cvt_f32_fp8_e32 v70, v70
	v_cvt_f32_fp8_e32 v76, v76
	;; [unrolled: 1-line block ×3, first 2 shown]
	v_mul_f32_e32 v82, s35, v82
	v_cvt_pk_bf16_f32 v71, v71, s0
	v_lshlrev_b32_e32 v72, 16, v72
	v_fmac_f32_e32 v80, v28, v73
	v_cvt_f32_fp8_e32 v83, v83
	v_mul_f32_e32 v85, s35, v85
	v_cvt_pk_bf16_f32 v82, v82, s0
	v_lshlrev_b32_e32 v71, 16, v71
	v_fmac_f32_e32 v80, v32, v72
	v_cvt_pk_bf16_f32 v7, v7, s0
	v_cvt_f32_fp8_e32 v86, v86
	v_mul_f32_e32 v88, s35, v88
	v_cvt_pk_bf16_f32 v85, v85, s0
	v_lshlrev_b32_e32 v82, 16, v82
	v_fmac_f32_e32 v80, v36, v71
	v_lshlrev_b32_e32 v7, 16, v7
	v_cvt_f32_fp8_e32 v89, v89
	v_mul_f32_e32 v77, s35, v77
	v_mul_f32_e32 v91, s35, v91
	v_cvt_pk_bf16_f32 v88, v88, s0
	v_lshlrev_b32_e32 v85, 16, v85
	v_fmac_f32_e32 v74, v21, v82
	v_fmac_f32_e32 v80, v40, v7
	v_mul_f32_e32 v7, s35, v70
	v_bfe_u32 v70, v69, 8, 8
	v_cvt_f32_fp8_e32 v92, v92
	v_mul_f32_e32 v76, s35, v76
	v_mul_f32_e32 v94, s35, v94
	v_cvt_pk_bf16_f32 v77, v77, s0
	v_cvt_pk_bf16_f32 v91, v91, s0
	v_lshlrev_b32_e32 v88, 16, v88
	v_fmac_f32_e32 v74, v25, v85
	v_cvt_f32_fp8_e32 v70, v70
	v_cvt_f32_fp8_e32 v95, v95
	v_mul_f32_e32 v83, s35, v83
	v_cvt_pk_bf16_f32 v76, v76, s0
	v_cvt_pk_bf16_f32 v94, v94, s0
	v_lshlrev_b32_e32 v77, 16, v77
	v_lshlrev_b32_e32 v91, 16, v91
	v_fmac_f32_e32 v74, v29, v88
	v_mul_f32_e32 v86, s35, v86
	v_cvt_pk_bf16_f32 v83, v83, s0
	v_lshlrev_b32_e32 v76, 16, v76
	v_lshlrev_b32_e32 v94, 16, v94
	v_mul_f32_e32 v77, v18, v77
	v_fmac_f32_e32 v74, v33, v91
	v_cvt_pk_bf16_f32 v7, v7, s0
	v_mul_f32_e32 v89, s35, v89
	v_cvt_pk_bf16_f32 v86, v86, s0
	v_lshlrev_b32_e32 v83, 16, v83
	v_fmac_f32_e32 v77, v14, v76
	v_fmac_f32_e32 v74, v37, v94
	v_lshlrev_b32_e32 v7, 16, v7
	v_mul_f32_e32 v92, s35, v92
	v_cvt_pk_bf16_f32 v89, v89, s0
	v_lshlrev_b32_e32 v86, 16, v86
	v_fmac_f32_e32 v77, v22, v83
	v_fmac_f32_e32 v74, v41, v7
	v_mul_f32_e32 v7, s35, v70
	v_bfe_u32 v70, v69, 16, 8
	v_mul_f32_e32 v95, s35, v95
	v_cvt_pk_bf16_f32 v92, v92, s0
	v_lshlrev_b32_e32 v89, 16, v89
	v_fmac_f32_e32 v77, v26, v86
	v_cvt_f32_fp8_e32 v70, v70
	v_cvt_pk_bf16_f32 v95, v95, s0
	v_lshlrev_b32_e32 v92, 16, v92
	v_fmac_f32_e32 v77, v30, v89
	v_lshlrev_b32_e32 v95, 16, v95
	v_fmac_f32_e32 v77, v34, v92
	v_cvt_pk_bf16_f32 v7, v7, s0
	v_lshrrev_b32_e32 v69, 24, v69
	v_fmac_f32_e32 v77, v38, v95
	v_lshlrev_b32_e32 v7, 16, v7
	v_cvt_f32_fp8_e32 v69, v69
	v_fmac_f32_e32 v77, v42, v7
	v_mul_f32_e32 v7, s35, v70
	v_cvt_pk_bf16_f32 v7, v7, s0
	v_lshlrev_b32_e32 v7, 16, v7
	v_fmac_f32_e32 v81, v43, v7
	v_mul_f32_e32 v7, s35, v69
	s_waitcnt vmcnt(3)
	v_and_b32_e32 v69, 0xff, v68
	v_cvt_f32_fp8_e32 v69, v69
	v_cvt_pk_bf16_f32 v7, v7, s0
	v_lshlrev_b32_e32 v7, 16, v7
	v_fmac_f32_e32 v80, v44, v7
	v_mul_f32_e32 v7, s35, v69
	v_bfe_u32 v69, v68, 8, 8
	v_cvt_f32_fp8_e32 v69, v69
	v_cvt_pk_bf16_f32 v7, v7, s0
	v_lshlrev_b32_e32 v7, 16, v7
	v_fmac_f32_e32 v74, v45, v7
	v_mul_f32_e32 v7, s35, v69
	v_bfe_u32 v69, v68, 16, 8
	v_cvt_f32_fp8_e32 v69, v69
	v_cvt_pk_bf16_f32 v7, v7, s0
	v_lshrrev_b32_e32 v68, 24, v68
	v_lshlrev_b32_e32 v7, 16, v7
	v_cvt_f32_fp8_e32 v68, v68
	v_fmac_f32_e32 v77, v46, v7
	v_mul_f32_e32 v7, s35, v69
	v_cvt_pk_bf16_f32 v7, v7, s0
	v_lshlrev_b32_e32 v7, 16, v7
	v_fmac_f32_e32 v81, v47, v7
	v_mul_f32_e32 v7, s35, v68
	s_waitcnt vmcnt(2)
	v_and_b32_e32 v68, 0xff, v67
	v_cvt_f32_fp8_e32 v68, v68
	v_cvt_pk_bf16_f32 v7, v7, s0
	v_lshlrev_b32_e32 v7, 16, v7
	v_fmac_f32_e32 v80, v48, v7
	v_mul_f32_e32 v7, s35, v68
	v_bfe_u32 v68, v67, 8, 8
	v_cvt_f32_fp8_e32 v68, v68
	v_cvt_pk_bf16_f32 v7, v7, s0
	v_lshlrev_b32_e32 v7, 16, v7
	v_fmac_f32_e32 v74, v49, v7
	v_mul_f32_e32 v7, s35, v68
	v_bfe_u32 v68, v67, 16, 8
	v_cvt_f32_fp8_e32 v68, v68
	v_cvt_pk_bf16_f32 v7, v7, s0
	v_lshrrev_b32_e32 v67, 24, v67
	v_lshlrev_b32_e32 v7, 16, v7
	v_cvt_f32_fp8_e32 v67, v67
	v_fmac_f32_e32 v77, v50, v7
	v_mul_f32_e32 v7, s35, v68
	v_cvt_pk_bf16_f32 v7, v7, s0
	v_lshlrev_b32_e32 v7, 16, v7
	v_fmac_f32_e32 v81, v51, v7
	v_mul_f32_e32 v7, s35, v67
	s_waitcnt vmcnt(1)
	v_and_b32_e32 v67, 0xff, v66
	v_cvt_f32_fp8_e32 v67, v67
	v_cvt_pk_bf16_f32 v7, v7, s0
	v_lshlrev_b32_e32 v7, 16, v7
	v_fmac_f32_e32 v80, v52, v7
	v_mul_f32_e32 v7, s35, v67
	v_bfe_u32 v67, v66, 8, 8
	v_cvt_f32_fp8_e32 v67, v67
	v_cvt_pk_bf16_f32 v7, v7, s0
	v_lshlrev_b32_e32 v7, 16, v7
	v_fmac_f32_e32 v74, v53, v7
	v_mul_f32_e32 v7, s35, v67
	v_bfe_u32 v67, v66, 16, 8
	v_cvt_f32_fp8_e32 v67, v67
	v_cvt_pk_bf16_f32 v7, v7, s0
	v_lshlrev_b32_e32 v7, 16, v7
	v_fmac_f32_e32 v77, v54, v7
	v_mul_f32_e32 v7, s35, v67
	v_cvt_pk_bf16_f32 v7, v7, s0
	v_lshlrev_b32_e32 v7, 16, v7
	v_fmac_f32_e32 v81, v55, v7
	s_waitcnt vmcnt(0)
	v_and_b32_e32 v7, 0xff, v6
	v_cvt_f32_fp8_e32 v7, v7
	v_lshrrev_b32_e32 v66, 24, v66
	v_cvt_f32_fp8_e32 v66, v66
	v_bfe_u32 v67, v6, 8, 8
	v_mul_f32_e32 v7, s35, v7
	v_cvt_pk_bf16_f32 v7, v7, s0
	v_lshlrev_b32_e32 v7, 16, v7
	v_cvt_f32_fp8_e32 v67, v67
	v_fmac_f32_e32 v74, v57, v7
	v_bfe_u32 v7, v6, 16, 8
	v_lshrrev_b32_e32 v6, 24, v6
	v_mul_f32_e32 v66, s35, v66
	v_cvt_f32_fp8_e32 v7, v7
	v_cvt_f32_fp8_e32 v6, v6
	v_cvt_pk_bf16_f32 v66, v66, s0
	v_lshlrev_b32_e32 v66, 16, v66
	v_fmac_f32_e32 v80, v56, v66
	v_mul_f32_e32 v66, s35, v67
	v_cvt_pk_bf16_f32 v66, v66, s0
	v_mul_f32_e32 v7, s35, v7
	v_mul_f32_e32 v6, s35, v6
	v_cvt_pk_bf16_f32 v7, v7, s0
	v_cvt_pk_bf16_f32 v6, v6, s0
	v_lshlrev_b32_e32 v66, 16, v66
	v_fmac_f32_e32 v77, v58, v66
	v_lshlrev_b32_e32 v7, 16, v7
	v_lshlrev_b32_e32 v6, 16, v6
	v_fmac_f32_e32 v81, v59, v7
	v_fmac_f32_e32 v80, v60, v6
	v_add_f32_e32 v6, v74, v77
	v_add_f32_e32 v6, v6, v81
	;; [unrolled: 1-line block ×3, first 2 shown]
	ds_bpermute_b32 v7, v62, v6
	s_and_saveexec_b64 s[14:15], vcc
	s_cbranch_execz .LBB320_8
; %bb.10:                               ;   in Loop: Header=BB320_9 Depth=1
	v_add_u32_e32 v66, s36, v63
	v_cvt_f32_i32_e32 v66, v66
	s_waitcnt lgkmcnt(0)
	v_add_f32_e32 v6, v6, v7
	v_cmp_gt_i32_e64 s[0:1], s17, v63
	v_max_f32_e32 v7, v61, v61
	v_mul_f32_e32 v66, s28, v66
	v_cndmask_b32_e64 v66, 0, v66, s[2:3]
	v_fmac_f32_e32 v66, s29, v6
	v_cndmask_b32_e64 v6, 0, v66, s[0:1]
	ds_write_b32 v64, v6
	v_max_f32_e32 v6, v7, v66
	v_cndmask_b32_e64 v61, v61, v6, s[0:1]
	s_branch .LBB320_8
.LBB320_11:
	s_or_b64 exec, exec, s[8:9]
.LBB320_12:
	s_or_b64 exec, exec, s[30:31]
	v_xor_b32_e32 v2, 32, v10
	v_cmp_lt_i32_e32 vcc, v2, v12
	v_xor_b32_e32 v5, 16, v10
	v_max_f32_e32 v4, v61, v61
	v_cndmask_b32_e32 v2, v10, v2, vcc
	v_lshlrev_b32_e32 v2, 2, v2
	ds_bpermute_b32 v3, v2, v61
	v_cmp_lt_i32_e32 vcc, v5, v12
	v_xor_b32_e32 v6, 8, v10
	s_waitcnt lgkmcnt(0)
	v_xor_b32_e32 v7, 4, v10
	v_xor_b32_e32 v13, 2, v10
	v_max_f32_e32 v3, v3, v3
	v_max_f32_e32 v4, v4, v3
	v_cndmask_b32_e32 v3, v10, v5, vcc
	v_lshlrev_b32_e32 v3, 2, v3
	ds_bpermute_b32 v5, v3, v4
	v_cmp_lt_i32_e32 vcc, v6, v12
	v_and_b32_e32 v22, 63, v0
	s_waitcnt lgkmcnt(0)
	v_max_f32_e32 v5, v5, v5
	v_max_f32_e32 v5, v4, v5
	v_cndmask_b32_e32 v4, v10, v6, vcc
	v_lshlrev_b32_e32 v4, 2, v4
	ds_bpermute_b32 v6, v4, v5
	v_cmp_lt_i32_e32 vcc, v7, v12
	s_waitcnt lgkmcnt(0)
	v_max_f32_e32 v6, v6, v6
	v_max_f32_e32 v6, v5, v6
	v_cndmask_b32_e32 v5, v10, v7, vcc
	v_lshlrev_b32_e32 v5, 2, v5
	ds_bpermute_b32 v7, v5, v6
	v_cmp_lt_i32_e32 vcc, v13, v12
	s_waitcnt lgkmcnt(0)
	v_max_f32_e32 v7, v7, v7
	v_max_f32_e32 v7, v6, v7
	v_cndmask_b32_e32 v6, v10, v13, vcc
	v_lshlrev_b32_e32 v23, 2, v6
	ds_bpermute_b32 v13, v23, v7
	v_cmp_eq_u32_e32 vcc, 0, v22
	v_lshlrev_b32_e32 v6, 2, v1
	s_and_saveexec_b64 s[0:1], vcc
	s_cbranch_execz .LBB320_14
; %bb.13:
	s_waitcnt lgkmcnt(0)
	v_max_f32_e32 v13, v13, v13
	v_max_f32_e32 v7, v7, v7
	;; [unrolled: 1-line block ×3, first 2 shown]
	ds_write_b32 v6, v7 offset:192
.LBB320_14:
	s_or_b64 exec, exec, s[0:1]
	v_cmp_gt_u32_e64 s[0:1], 2, v22
	s_waitcnt lgkmcnt(0)
	v_mov_b32_e32 v13, 0xff7fffff
	v_lshlrev_b32_e32 v7, 2, v22
	s_barrier
	s_and_saveexec_b64 s[2:3], s[0:1]
; %bb.15:
	ds_read_b32 v13, v7 offset:192
; %bb.16:
	s_or_b64 exec, exec, s[2:3]
	v_xor_b32_e32 v14, 1, v10
	v_cmp_lt_i32_e64 s[2:3], v14, v12
	v_lshlrev_b32_e32 v11, 2, v11
	s_nop 0
	v_cndmask_b32_e64 v12, v10, v14, s[2:3]
	v_lshlrev_b32_e32 v24, 2, v12
	s_waitcnt lgkmcnt(0)
	ds_bpermute_b32 v12, v24, v13
	v_max_f32_e32 v13, v13, v13
	s_lshl_b32 s2, s19, 5
	s_min_i32 s30, s2, s17
	v_cmp_gt_i32_e64 s[2:3], s30, v0
	s_waitcnt lgkmcnt(0)
	v_max_f32_e32 v12, v12, v12
	v_max_f32_e32 v12, v13, v12
	ds_bpermute_b32 v12, v11, v12
	v_mov_b32_e32 v11, 0
	s_and_saveexec_b64 s[14:15], s[2:3]
	s_cbranch_execz .LBB320_20
; %bb.17:
	v_mov_b32_e32 v11, 0xd0
	v_lshl_add_u32 v13, v0, 2, v11
	v_mov_b32_e32 v11, 0
	s_mov_b64 s[28:29], 0
	v_mov_b32_e32 v14, v0
.LBB320_18:                             ; =>This Inner Loop Header: Depth=1
	ds_read_b32 v15, v13
	v_add_u32_e32 v14, 0x80, v14
	v_cmp_le_i32_e64 s[8:9], s30, v14
	s_or_b64 s[28:29], s[8:9], s[28:29]
	s_waitcnt lgkmcnt(0)
	v_sub_f32_e32 v15, v15, v12
	v_mul_f32_e32 v15, 0x3fb8aa3b, v15
	v_exp_f32_e32 v15, v15
	ds_write_b32 v13, v15
	v_add_f32_e32 v11, v11, v15
	v_add_u32_e32 v13, 0x200, v13
	s_andn2_b64 exec, exec, s[28:29]
	s_cbranch_execnz .LBB320_18
; %bb.19:
	s_or_b64 exec, exec, s[28:29]
.LBB320_20:
	s_or_b64 exec, exec, s[14:15]
	ds_bpermute_b32 v2, v2, v11
	s_waitcnt lgkmcnt(0)
	v_add_f32_e32 v2, v11, v2
	ds_bpermute_b32 v3, v3, v2
	s_waitcnt lgkmcnt(0)
	v_add_f32_e32 v2, v2, v3
	;; [unrolled: 3-line block ×6, first 2 shown]
	s_and_saveexec_b64 s[8:9], vcc
; %bb.21:
	ds_write_b32 v6, v2 offset:200
; %bb.22:
	s_or_b64 exec, exec, s[8:9]
	s_waitcnt lgkmcnt(0)
	s_barrier
	s_and_saveexec_b64 s[8:9], s[0:1]
; %bb.23:
	ds_read_b32 v2, v7 offset:200
; %bb.24:
	s_or_b64 exec, exec, s[8:9]
	s_waitcnt lgkmcnt(0)
	ds_bpermute_b32 v3, v24, v2
	v_lshlrev_b32_e32 v4, 2, v10
	s_waitcnt lgkmcnt(0)
	v_add_f32_e32 v2, v2, v3
	v_and_b32_e32 v3, 0xffffff00, v4
	ds_bpermute_b32 v2, v3, v2
	s_and_saveexec_b64 s[0:1], s[2:3]
	s_cbranch_execz .LBB320_37
; %bb.25:
	s_waitcnt lgkmcnt(0)
	v_add_f32_e32 v2, 0x358637bd, v2
	v_div_scale_f32 v3, s[2:3], v2, v2, 1.0
	v_rcp_f32_e32 v4, v3
	v_div_scale_f32 v5, vcc, 1.0, v2, 1.0
	s_movk_i32 s2, 0x7f
	v_fma_f32 v6, -v3, v4, 1.0
	v_fmac_f32_e32 v4, v6, v4
	v_mul_f32_e32 v6, v5, v4
	v_fma_f32 v7, -v3, v6, v5
	v_fmac_f32_e32 v6, v7, v4
	v_fma_f32 v3, -v3, v6, v5
	v_div_fmas_f32 v3, v3, v4, v6
	v_xad_u32 v4, v0, -1, s30
	v_div_fixup_f32 v2, v3, v2, 1.0
	v_cmp_lt_u32_e32 vcc, s2, v4
	s_mov_b64 s[8:9], -1
	v_mov_b32_e32 v3, v0
	s_and_saveexec_b64 s[2:3], vcc
	s_cbranch_execz .LBB320_34
; %bb.26:
	v_lshrrev_b32_e32 v4, 7, v4
	v_add_u32_e32 v6, -1, v4
	v_lshrrev_b32_e32 v5, 1, v6
	v_mov_b32_e32 v3, v2
	v_add_u32_e32 v5, 1, v5
	v_cmp_lt_u32_e32 vcc, 13, v6
	v_mov_b32_e32 v10, 0
	s_and_saveexec_b64 s[8:9], vcc
	s_cbranch_execz .LBB320_30
; %bb.27:
	v_mov_b32_e32 v7, 0xd0
	v_and_b32_e32 v6, -8, v5
	v_lshl_add_u32 v7, v0, 2, v7
	s_mov_b32 s28, 0
	s_mov_b64 s[14:15], 0
.LBB320_28:                             ; =>This Inner Loop Header: Depth=1
	ds_read2st64_b32 v[10:11], v7 offset1:2
	ds_read2st64_b32 v[12:13], v7 offset0:4 offset1:6
	ds_read2st64_b32 v[14:15], v7 offset0:8 offset1:10
	;; [unrolled: 1-line block ×3, first 2 shown]
	v_add_u32_e32 v6, -8, v6
	s_waitcnt lgkmcnt(3)
	v_pk_mul_f32 v[10:11], v[2:3], v[10:11]
	s_waitcnt lgkmcnt(2)
	v_pk_mul_f32 v[12:13], v[2:3], v[12:13]
	ds_write2st64_b32 v7, v10, v11 offset1:2
	ds_write2st64_b32 v7, v12, v13 offset0:4 offset1:6
	ds_read2st64_b32 v[12:13], v7 offset0:16 offset1:18
	s_waitcnt lgkmcnt(4)
	v_pk_mul_f32 v[10:11], v[2:3], v[14:15]
	ds_write2st64_b32 v7, v10, v11 offset0:8 offset1:10
	s_waitcnt lgkmcnt(4)
	v_pk_mul_f32 v[10:11], v[2:3], v[16:17]
	ds_write2st64_b32 v7, v10, v11 offset0:12 offset1:14
	ds_read2st64_b32 v[10:11], v7 offset0:20 offset1:22
	s_waitcnt lgkmcnt(3)
	v_pk_mul_f32 v[12:13], v[2:3], v[12:13]
	ds_read2st64_b32 v[14:15], v7 offset0:24 offset1:26
	ds_write2st64_b32 v7, v12, v13 offset0:16 offset1:18
	ds_read2st64_b32 v[12:13], v7 offset0:28 offset1:30
	s_waitcnt lgkmcnt(3)
	v_pk_mul_f32 v[10:11], v[2:3], v[10:11]
	ds_write2st64_b32 v7, v10, v11 offset0:20 offset1:22
	s_waitcnt lgkmcnt(3)
	v_pk_mul_f32 v[10:11], v[2:3], v[14:15]
	ds_write2st64_b32 v7, v10, v11 offset0:24 offset1:26
	s_waitcnt lgkmcnt(2)
	v_pk_mul_f32 v[10:11], v[2:3], v[12:13]
	s_add_i32 s28, s28, 16
	v_cmp_eq_u32_e32 vcc, 0, v6
	ds_write2st64_b32 v7, v10, v11 offset0:28 offset1:30
	v_add_u32_e32 v7, 0x2000, v7
	s_or_b64 s[14:15], vcc, s[14:15]
	v_mov_b32_e32 v10, s28
	s_andn2_b64 exec, exec, s[14:15]
	s_cbranch_execnz .LBB320_28
; %bb.29:
	s_or_b64 exec, exec, s[14:15]
.LBB320_30:
	s_or_b64 exec, exec, s[8:9]
	v_and_b32_e32 v5, 7, v5
	v_cmp_ne_u32_e32 vcc, 0, v5
	s_and_saveexec_b64 s[8:9], vcc
	s_cbranch_execz .LBB320_33
; %bb.31:
	v_lshlrev_b32_e32 v6, 9, v10
	v_lshlrev_b32_e32 v7, 2, v0
	s_movk_i32 s14, 0xd0
	v_add3_u32 v6, v6, v7, s14
	s_mov_b64 s[14:15], 0
.LBB320_32:                             ; =>This Inner Loop Header: Depth=1
	ds_read2st64_b32 v[10:11], v6 offset1:2
	v_add_u32_e32 v5, -1, v5
	v_cmp_eq_u32_e32 vcc, 0, v5
	s_or_b64 s[14:15], vcc, s[14:15]
	s_waitcnt lgkmcnt(0)
	v_pk_mul_f32 v[10:11], v[2:3], v[10:11]
	ds_write2st64_b32 v6, v10, v11 offset1:2
	v_add_u32_e32 v6, 0x400, v6
	s_andn2_b64 exec, exec, s[14:15]
	s_cbranch_execnz .LBB320_32
.LBB320_33:
	s_or_b64 exec, exec, s[8:9]
	v_add_u32_e32 v4, 1, v4
	v_and_b32_e32 v5, 0x3fffffe, v4
	v_cmp_ne_u32_e32 vcc, v4, v5
	v_lshl_add_u32 v3, v5, 7, v0
	s_orn2_b64 s[8:9], vcc, exec
.LBB320_34:
	s_or_b64 exec, exec, s[2:3]
	s_and_b64 exec, exec, s[8:9]
	s_cbranch_execz .LBB320_37
; %bb.35:
	v_mov_b32_e32 v4, 0xd0
	v_lshl_add_u32 v4, v3, 2, v4
	s_mov_b64 s[2:3], 0
.LBB320_36:                             ; =>This Inner Loop Header: Depth=1
	ds_read_b32 v5, v4
	v_add_u32_e32 v3, 0x80, v3
	v_cmp_le_i32_e32 vcc, s30, v3
	s_or_b64 s[2:3], vcc, s[2:3]
	s_waitcnt lgkmcnt(0)
	v_mul_f32_e32 v5, v2, v5
	ds_write_b32 v4, v5
	v_add_u32_e32 v4, 0x200, v4
	s_andn2_b64 exec, exec, s[2:3]
	s_cbranch_execnz .LBB320_36
.LBB320_37:
	s_or_b64 exec, exec, s[0:1]
	v_mov_b32_e32 v11, 0
	v_and_b32_e32 v25, 3, v0
	v_mov_b32_e32 v10, 0
	v_mov_b32_e32 v13, 0
	v_mov_b32_e32 v12, 0
	v_mov_b32_e32 v15, 0
	v_mov_b32_e32 v14, 0
	s_waitcnt lgkmcnt(0)
	s_barrier
	s_and_saveexec_b64 s[2:3], s[6:7]
	s_cbranch_execz .LBB320_53
; %bb.38:
	s_ashr_i32 s1, s33, 31
	s_add_u32 s0, s26, s33
	s_addc_u32 s1, s27, s1
	v_and_b32_e32 v10, 0x1f8, v8
	s_load_dword s10, s[10:11], 0x0
	v_mov_b32_e32 v11, 0
	v_and_b32_e32 v2, 24, v8
	s_add_i32 s11, s19, -1
	v_lshl_add_u64 v[16:17], s[0:1], 0, v[10:11]
	v_lshlrev_b32_e32 v3, 5, v1
	s_lshl_b64 s[0:1], s[24:25], 2
	v_or3_b32 v26, v3, v2, 7
	v_lshlrev_b32_e32 v2, 5, v25
	s_add_u32 s0, s22, s0
	v_lshl_or_b32 v2, v1, 7, v2
	v_and_b32_e32 v10, 60, v9
	s_addc_u32 s1, s23, s1
	v_add_u32_e32 v27, 0xd0, v2
	v_lshl_add_u64 v[18:19], s[0:1], 0, v[10:11]
	s_mov_b64 s[6:7], 0
	v_mov_b32_e32 v10, v11
	v_mov_b32_e32 v13, v11
	v_mov_b32_e32 v12, v11
	v_mov_b32_e32 v15, v11
	v_mov_b32_e32 v14, v11
	s_branch .LBB320_40
.LBB320_39:                             ;   in Loop: Header=BB320_40 Depth=1
	s_or_b64 exec, exec, s[0:1]
	v_cvt_pk_bf16_f32 v6, v6, s0
	v_cvt_pk_bf16_f32 v7, v7, s0
	;; [unrolled: 1-line block ×4, first 2 shown]
	v_lshlrev_b32_e32 v7, 16, v7
	v_lshlrev_b32_e32 v44, 16, v80
	;; [unrolled: 1-line block ×4, first 2 shown]
	v_mul_f32_e32 v44, v7, v44
	v_mul_f32_e32 v45, v6, v45
	v_lshlrev_b32_e32 v9, 16, v9
	v_lshlrev_b32_e32 v46, 16, v78
	;; [unrolled: 1-line block ×4, first 2 shown]
	v_cvt_pk_bf16_f32 v2, v2, s0
	v_cvt_pk_bf16_f32 v3, v3, s0
	;; [unrolled: 1-line block ×4, first 2 shown]
	v_mul_f32_e32 v46, v9, v46
	v_mul_f32_e32 v47, v8, v47
	v_cvt_pk_bf16_f32 v46, v46, s0
	v_cvt_pk_bf16_f32 v47, v47, s0
	v_lshlrev_b32_e32 v3, 16, v3
	v_lshlrev_b32_e32 v48, 16, v76
	;; [unrolled: 1-line block ×6, first 2 shown]
	v_cvt_pk_bf16_f32 v4, v4, s0
	v_cvt_pk_bf16_f32 v5, v5, s0
	v_mul_f32_e32 v48, v3, v48
	v_mul_f32_e32 v49, v2, v49
	v_add_f32_e32 v44, v45, v44
	v_lshlrev_b32_e32 v45, 16, v47
	v_lshlrev_b32_e32 v46, 16, v46
	v_cvt_pk_bf16_f32 v48, v48, s0
	v_cvt_pk_bf16_f32 v49, v49, s0
	v_lshlrev_b32_e32 v5, 16, v5
	v_lshlrev_b32_e32 v50, 16, v74
	;; [unrolled: 1-line block ×4, first 2 shown]
	v_add_f32_e32 v45, v45, v46
	v_mul_f32_e32 v50, v5, v50
	v_mul_f32_e32 v73, v4, v73
	v_add_f32_e32 v44, v45, v44
	v_lshlrev_b32_e32 v45, 16, v49
	v_lshlrev_b32_e32 v46, 16, v48
	v_cvt_pk_bf16_f32 v50, v50, s0
	v_cvt_pk_bf16_f32 v73, v73, s0
	v_add_f32_e32 v45, v45, v46
	v_add_f32_e32 v44, v45, v44
	v_lshlrev_b32_e32 v45, 16, v73
	v_lshlrev_b32_e32 v46, 16, v50
	v_add_f32_e32 v45, v45, v46
	v_add_f32_e32 v44, v45, v44
	;; [unrolled: 1-line block ×3, first 2 shown]
	v_lshlrev_b32_e32 v44, 16, v66
	v_lshlrev_b32_e32 v45, 16, v65
	v_mul_f32_e32 v44, v7, v44
	v_mul_f32_e32 v45, v6, v45
	v_lshlrev_b32_e32 v46, 16, v64
	v_lshlrev_b32_e32 v47, 16, v63
	v_cvt_pk_bf16_f32 v44, v44, s0
	v_cvt_pk_bf16_f32 v45, v45, s0
	v_mul_f32_e32 v46, v9, v46
	v_mul_f32_e32 v47, v8, v47
	v_lshlrev_b32_e32 v35, 16, v35
	v_lshlrev_b32_e32 v34, 16, v34
	;; [unrolled: 1-line block ×4, first 2 shown]
	v_cvt_pk_bf16_f32 v46, v46, s0
	v_cvt_pk_bf16_f32 v47, v47, s0
	v_lshlrev_b32_e32 v48, 16, v62
	v_lshlrev_b32_e32 v49, 16, v61
	v_lshlrev_b32_e32 v45, 16, v45
	v_lshlrev_b32_e32 v44, 16, v44
	v_mul_f32_e32 v35, v7, v35
	v_mul_f32_e32 v34, v6, v34
	;; [unrolled: 1-line block ×4, first 2 shown]
	v_lshlrev_b32_e32 v31, 16, v31
	v_lshlrev_b32_e32 v30, 16, v30
	v_mul_f32_e32 v48, v3, v48
	v_mul_f32_e32 v49, v2, v49
	v_add_f32_e32 v44, v45, v44
	v_lshlrev_b32_e32 v45, 16, v47
	v_lshlrev_b32_e32 v46, 16, v46
	v_cvt_pk_bf16_f32 v35, v35, s0
	v_cvt_pk_bf16_f32 v34, v34, s0
	;; [unrolled: 1-line block ×4, first 2 shown]
	v_mul_f32_e32 v31, v3, v31
	v_mul_f32_e32 v30, v2, v30
	v_lshlrev_b32_e32 v29, 16, v29
	v_lshlrev_b32_e32 v28, 16, v28
	v_cvt_pk_bf16_f32 v48, v48, s0
	v_cvt_pk_bf16_f32 v49, v49, s0
	v_lshlrev_b32_e32 v50, 16, v60
	v_lshlrev_b32_e32 v59, 16, v59
	v_add_f32_e32 v45, v45, v46
	v_cvt_pk_bf16_f32 v31, v31, s0
	v_cvt_pk_bf16_f32 v30, v30, s0
	v_mul_f32_e32 v29, v5, v29
	v_mul_f32_e32 v28, v4, v28
	v_lshlrev_b32_e32 v34, 16, v34
	v_lshlrev_b32_e32 v35, 16, v35
	;; [unrolled: 1-line block ×4, first 2 shown]
	v_mul_f32_e32 v50, v5, v50
	v_mul_f32_e32 v59, v4, v59
	v_add_f32_e32 v44, v45, v44
	v_lshlrev_b32_e32 v45, 16, v49
	v_lshlrev_b32_e32 v46, 16, v48
	v_cvt_pk_bf16_f32 v29, v29, s0
	v_cvt_pk_bf16_f32 v28, v28, s0
	v_add_f32_e32 v34, v34, v35
	v_add_f32_e32 v32, v32, v33
	v_lshlrev_b32_e32 v30, 16, v30
	v_lshlrev_b32_e32 v31, 16, v31
	v_cvt_pk_bf16_f32 v50, v50, s0
	v_cvt_pk_bf16_f32 v59, v59, s0
	v_add_f32_e32 v45, v45, v46
	v_add_f32_e32 v32, v32, v34
	;; [unrolled: 1-line block ×3, first 2 shown]
	v_lshlrev_b32_e32 v28, 16, v28
	v_lshlrev_b32_e32 v29, 16, v29
	v_add_f32_e32 v44, v45, v44
	v_lshlrev_b32_e32 v45, 16, v59
	v_lshlrev_b32_e32 v46, 16, v50
	v_add_f32_e32 v30, v30, v32
	v_add_f32_e32 v28, v28, v29
	;; [unrolled: 1-line block ×5, first 2 shown]
	v_lshlrev_b32_e32 v45, 16, v57
	v_lshlrev_b32_e32 v42, 16, v42
	v_add_f32_e32 v14, v14, v28
	v_lshlrev_b32_e32 v28, 16, v72
	v_add_f32_e32 v13, v13, v44
	v_lshlrev_b32_e32 v44, 16, v58
	v_mul_f32_e32 v45, v6, v45
	v_lshlrev_b32_e32 v43, 16, v43
	v_mul_f32_e32 v42, v6, v42
	v_mul_f32_e32 v6, v6, v28
	v_lshlrev_b32_e32 v28, 16, v71
	v_mul_f32_e32 v44, v7, v44
	v_lshlrev_b32_e32 v47, 16, v55
	;; [unrolled: 2-line block ×4, first 2 shown]
	v_lshlrev_b32_e32 v46, 16, v56
	v_mul_f32_e32 v47, v8, v47
	v_lshlrev_b32_e32 v41, 16, v41
	v_mul_f32_e32 v40, v8, v40
	v_mul_f32_e32 v8, v8, v28
	v_lshlrev_b32_e32 v28, 16, v69
	v_mul_f32_e32 v46, v9, v46
	v_lshlrev_b32_e32 v49, 16, v53
	;; [unrolled: 2-line block ×4, first 2 shown]
	v_mul_f32_e32 v49, v2, v49
	v_mul_f32_e32 v38, v2, v38
	;; [unrolled: 1-line block ×3, first 2 shown]
	v_cvt_pk_bf16_f32 v28, v2, s0
	v_lshlrev_b32_e32 v2, 16, v67
	v_mul_f32_e32 v2, v3, v2
	v_cvt_pk_bf16_f32 v44, v44, s0
	v_cvt_pk_bf16_f32 v45, v45, s0
	;; [unrolled: 1-line block ×3, first 2 shown]
	v_lshlrev_b32_e32 v2, 16, v21
	v_cvt_pk_bf16_f32 v46, v46, s0
	v_cvt_pk_bf16_f32 v47, v47, s0
	v_lshlrev_b32_e32 v48, 16, v54
	v_lshlrev_b32_e32 v45, 16, v45
	;; [unrolled: 1-line block ×3, first 2 shown]
	v_mul_f32_e32 v2, v4, v2
	v_mul_f32_e32 v48, v3, v48
	v_add_f32_e32 v44, v45, v44
	v_lshlrev_b32_e32 v45, 16, v47
	v_lshlrev_b32_e32 v46, 16, v46
	;; [unrolled: 1-line block ×3, first 2 shown]
	v_cvt_pk_bf16_f32 v21, v2, s0
	v_lshlrev_b32_e32 v2, 16, v20
	v_cvt_pk_bf16_f32 v48, v48, s0
	v_cvt_pk_bf16_f32 v49, v49, s0
	v_lshlrev_b32_e32 v50, 16, v52
	v_lshlrev_b32_e32 v51, 16, v51
	v_add_f32_e32 v45, v45, v46
	v_cvt_pk_bf16_f32 v43, v43, s0
	v_cvt_pk_bf16_f32 v42, v42, s0
	;; [unrolled: 1-line block ×4, first 2 shown]
	v_mul_f32_e32 v39, v3, v39
	v_lshlrev_b32_e32 v37, 16, v37
	v_lshlrev_b32_e32 v36, 16, v36
	v_cvt_pk_bf16_f32 v6, v6, s0
	v_cvt_pk_bf16_f32 v7, v7, s0
	v_cvt_pk_bf16_f32 v8, v8, s0
	v_cvt_pk_bf16_f32 v9, v9, s0
	v_mul_f32_e32 v2, v5, v2
	v_mul_f32_e32 v50, v5, v50
	;; [unrolled: 1-line block ×3, first 2 shown]
	v_add_f32_e32 v44, v45, v44
	v_lshlrev_b32_e32 v45, 16, v49
	v_lshlrev_b32_e32 v46, 16, v48
	v_cvt_pk_bf16_f32 v39, v39, s0
	v_cvt_pk_bf16_f32 v38, v38, s0
	v_mul_f32_e32 v37, v5, v37
	v_mul_f32_e32 v36, v4, v36
	v_lshlrev_b32_e32 v42, 16, v42
	v_lshlrev_b32_e32 v43, 16, v43
	;; [unrolled: 1-line block ×4, first 2 shown]
	v_cvt_pk_bf16_f32 v20, v2, s0
	v_lshlrev_b32_e32 v3, 16, v7
	v_lshlrev_b32_e32 v5, 16, v6
	;; [unrolled: 1-line block ×4, first 2 shown]
	v_cvt_pk_bf16_f32 v50, v50, s0
	v_cvt_pk_bf16_f32 v51, v51, s0
	v_add_f32_e32 v45, v45, v46
	v_cvt_pk_bf16_f32 v37, v37, s0
	v_cvt_pk_bf16_f32 v36, v36, s0
	v_add_f32_e32 v42, v42, v43
	v_add_f32_e32 v40, v40, v41
	v_lshlrev_b32_e32 v38, 16, v38
	v_lshlrev_b32_e32 v39, 16, v39
	v_pk_add_f32 v[2:3], v[4:5], v[2:3]
	v_lshlrev_b32_e32 v5, 16, v29
	v_lshlrev_b32_e32 v7, 16, v28
	;; [unrolled: 1-line block ×4, first 2 shown]
	v_add_f32_e32 v44, v45, v44
	v_lshlrev_b32_e32 v45, 16, v51
	v_lshlrev_b32_e32 v46, 16, v50
	v_add_f32_e32 v40, v40, v42
	v_add_f32_e32 v38, v38, v39
	v_lshlrev_b32_e32 v36, 16, v36
	v_lshlrev_b32_e32 v37, 16, v37
	v_pk_add_f32 v[4:5], v[6:7], v[4:5]
	v_add_f32_e32 v2, v2, v3
	v_add_f32_e32 v45, v45, v46
	;; [unrolled: 1-line block ×5, first 2 shown]
	v_add_u32_e32 v1, 2, v1
	v_add_f32_e32 v44, v45, v44
	v_add_f32_e32 v36, v36, v38
	;; [unrolled: 1-line block ×3, first 2 shown]
	v_cmp_le_i32_e32 vcc, s19, v1
	v_add_f32_e32 v12, v12, v44
	v_add_f32_e32 v15, v15, v36
	v_add_f32_e32 v11, v11, v2
	v_add_u32_e32 v26, 64, v26
	v_add_u32_e32 v27, 0x100, v27
	s_or_b64 s[6:7], vcc, s[6:7]
	v_lshl_add_u64 v[18:19], v[18:19], 0, 8
	s_andn2_b64 exec, exec, s[6:7]
	s_cbranch_execz .LBB320_52
.LBB320_40:                             ; =>This Inner Loop Header: Depth=1
	global_load_dword v2, v[18:19], off
	v_add_u32_e32 v44, -7, v26
	v_cmp_eq_u32_e32 vcc, s11, v1
	v_add_u32_e32 v49, -6, v26
	v_add_u32_e32 v48, -5, v26
	;; [unrolled: 1-line block ×6, first 2 shown]
	s_waitcnt vmcnt(0)
	v_mad_i64_i32 v[20:21], s[0:1], v2, s13, v[16:17]
	global_load_dwordx2 v[28:29], v[20:21], off
	ds_read2_b64 v[6:9], v27 offset1:1
	ds_read2_b64 v[2:5], v27 offset0:2 offset1:3
	s_waitcnt vmcnt(0)
	v_and_b32_e32 v30, 0xff, v28
	v_bfe_u32 v31, v28, 8, 8
	v_bfe_u32 v32, v28, 16, 8
	v_lshrrev_b32_e32 v28, 24, v28
	v_and_b32_e32 v33, 0xff, v29
	v_bfe_u32 v34, v29, 8, 8
	v_bfe_u32 v35, v29, 16, 8
	v_lshrrev_b32_e32 v29, 24, v29
	v_cvt_f32_fp8_e32 v30, v30
	v_cvt_f32_fp8_e32 v31, v31
	;; [unrolled: 1-line block ×8, first 2 shown]
	s_waitcnt lgkmcnt(0)
	v_mul_f32_e32 v30, s10, v30
	v_mul_f32_e32 v31, s10, v31
	v_mul_f32_e32 v32, s10, v32
	v_mul_f32_e32 v28, s10, v28
	v_mul_f32_e32 v36, s10, v33
	v_mul_f32_e32 v37, s10, v34
	v_mul_f32_e32 v38, s10, v35
	v_mul_f32_e32 v29, s10, v29
	v_cvt_pk_bf16_f32 v34, v30, s0
	v_cvt_pk_bf16_f32 v35, v31, s0
	v_cvt_pk_bf16_f32 v32, v32, s0
	v_cvt_pk_bf16_f32 v33, v28, s0
	v_cvt_pk_bf16_f32 v30, v36, s0
	v_cvt_pk_bf16_f32 v31, v37, s0
	v_cvt_pk_bf16_f32 v28, v38, s0
	v_cvt_pk_bf16_f32 v29, v29, s0
	s_and_saveexec_b64 s[8:9], vcc
	s_cbranch_execz .LBB320_42
; %bb.41:                               ;   in Loop: Header=BB320_40 Depth=1
	v_cmp_gt_i32_e64 s[0:1], s17, v44
	s_nop 1
	v_cndmask_b32_e64 v34, 0, v34, s[0:1]
	v_cmp_gt_i32_e64 s[0:1], s17, v49
	s_nop 1
	v_cndmask_b32_e64 v35, 0, v35, s[0:1]
	v_cmp_gt_i32_e64 s[0:1], s17, v48
	s_nop 1
	v_cndmask_b32_e64 v32, 0, v32, s[0:1]
	v_cmp_gt_i32_e64 s[0:1], s17, v47
	s_nop 1
	v_cndmask_b32_e64 v33, 0, v33, s[0:1]
	v_cmp_gt_i32_e64 s[0:1], s17, v46
	s_nop 1
	v_cndmask_b32_e64 v30, 0, v30, s[0:1]
	v_cmp_gt_i32_e64 s[0:1], s17, v45
	s_nop 1
	v_cndmask_b32_e64 v31, 0, v31, s[0:1]
	v_cmp_gt_i32_e64 s[0:1], s17, v50
	s_nop 1
	v_cndmask_b32_e64 v28, 0, v28, s[0:1]
	v_cmp_gt_i32_e64 s[0:1], s17, v26
	s_nop 1
	v_cndmask_b32_e64 v29, 0, v29, s[0:1]
.LBB320_42:                             ;   in Loop: Header=BB320_40 Depth=1
	s_or_b64 exec, exec, s[8:9]
	global_load_dwordx2 v[36:37], v[20:21], off offset:512
	s_waitcnt vmcnt(0)
	v_and_b32_e32 v38, 0xff, v36
	v_bfe_u32 v39, v36, 8, 8
	v_bfe_u32 v40, v36, 16, 8
	v_lshrrev_b32_e32 v36, 24, v36
	v_and_b32_e32 v41, 0xff, v37
	v_bfe_u32 v42, v37, 8, 8
	v_bfe_u32 v43, v37, 16, 8
	v_lshrrev_b32_e32 v37, 24, v37
	v_cvt_f32_fp8_e32 v38, v38
	v_cvt_f32_fp8_e32 v39, v39
	v_cvt_f32_fp8_e32 v40, v40
	v_cvt_f32_fp8_e32 v36, v36
	v_cvt_f32_fp8_e32 v41, v41
	v_cvt_f32_fp8_e32 v42, v42
	v_cvt_f32_fp8_e32 v43, v43
	v_cvt_f32_fp8_e32 v37, v37
	v_mul_f32_e32 v38, s10, v38
	v_mul_f32_e32 v39, s10, v39
	v_mul_f32_e32 v40, s10, v40
	v_mul_f32_e32 v36, s10, v36
	v_mul_f32_e32 v51, s10, v41
	v_mul_f32_e32 v52, s10, v42
	v_mul_f32_e32 v53, s10, v43
	v_mul_f32_e32 v37, s10, v37
	v_cvt_pk_bf16_f32 v42, v38, s0
	v_cvt_pk_bf16_f32 v43, v39, s0
	v_cvt_pk_bf16_f32 v40, v40, s0
	v_cvt_pk_bf16_f32 v41, v36, s0
	v_cvt_pk_bf16_f32 v38, v51, s0
	v_cvt_pk_bf16_f32 v39, v52, s0
	v_cvt_pk_bf16_f32 v36, v53, s0
	v_cvt_pk_bf16_f32 v37, v37, s0
	s_and_saveexec_b64 s[8:9], vcc
	s_cbranch_execz .LBB320_44
; %bb.43:                               ;   in Loop: Header=BB320_40 Depth=1
	v_cmp_gt_i32_e64 s[0:1], s17, v44
	s_nop 1
	v_cndmask_b32_e64 v42, 0, v42, s[0:1]
	v_cmp_gt_i32_e64 s[0:1], s17, v49
	s_nop 1
	v_cndmask_b32_e64 v43, 0, v43, s[0:1]
	v_cmp_gt_i32_e64 s[0:1], s17, v48
	s_nop 1
	v_cndmask_b32_e64 v40, 0, v40, s[0:1]
	v_cmp_gt_i32_e64 s[0:1], s17, v47
	s_nop 1
	v_cndmask_b32_e64 v41, 0, v41, s[0:1]
	v_cmp_gt_i32_e64 s[0:1], s17, v46
	s_nop 1
	v_cndmask_b32_e64 v38, 0, v38, s[0:1]
	v_cmp_gt_i32_e64 s[0:1], s17, v45
	s_nop 1
	v_cndmask_b32_e64 v39, 0, v39, s[0:1]
	v_cmp_gt_i32_e64 s[0:1], s17, v50
	s_nop 1
	v_cndmask_b32_e64 v36, 0, v36, s[0:1]
	v_cmp_gt_i32_e64 s[0:1], s17, v26
	s_nop 1
	v_cndmask_b32_e64 v37, 0, v37, s[0:1]
.LBB320_44:                             ;   in Loop: Header=BB320_40 Depth=1
	s_or_b64 exec, exec, s[8:9]
	global_load_dwordx2 v[52:53], v[20:21], off offset:1024
	s_waitcnt vmcnt(0)
	v_and_b32_e32 v51, 0xff, v52
	v_bfe_u32 v54, v52, 8, 8
	v_bfe_u32 v55, v52, 16, 8
	v_lshrrev_b32_e32 v52, 24, v52
	v_and_b32_e32 v56, 0xff, v53
	v_bfe_u32 v57, v53, 8, 8
	v_bfe_u32 v58, v53, 16, 8
	v_lshrrev_b32_e32 v53, 24, v53
	v_cvt_f32_fp8_e32 v51, v51
	v_cvt_f32_fp8_e32 v54, v54
	v_cvt_f32_fp8_e32 v55, v55
	v_cvt_f32_fp8_e32 v52, v52
	v_cvt_f32_fp8_e32 v56, v56
	v_cvt_f32_fp8_e32 v57, v57
	v_cvt_f32_fp8_e32 v58, v58
	v_cvt_f32_fp8_e32 v53, v53
	;; [unrolled: 63-line block ×5, first 2 shown]
	v_mul_f32_e32 v67, s10, v67
	v_mul_f32_e32 v68, s10, v68
	;; [unrolled: 1-line block ×8, first 2 shown]
	v_cvt_pk_bf16_f32 v72, v67, s0
	v_cvt_pk_bf16_f32 v71, v68, s0
	;; [unrolled: 1-line block ×8, first 2 shown]
	s_and_saveexec_b64 s[0:1], vcc
	s_cbranch_execz .LBB320_39
; %bb.51:                               ;   in Loop: Header=BB320_40 Depth=1
	v_cmp_gt_i32_e32 vcc, s17, v44
	s_nop 1
	v_cndmask_b32_e32 v72, 0, v72, vcc
	v_cmp_gt_i32_e32 vcc, s17, v49
	s_nop 1
	v_cndmask_b32_e32 v71, 0, v71, vcc
	;; [unrolled: 3-line block ×8, first 2 shown]
	s_branch .LBB320_39
.LBB320_52:
	s_or_b64 exec, exec, s[6:7]
.LBB320_53:
	s_or_b64 exec, exec, s[2:3]
	ds_bpermute_b32 v2, v23, v14
	ds_bpermute_b32 v3, v23, v15
	;; [unrolled: 1-line block ×4, first 2 shown]
	v_and_b32_e32 v1, 0x3c3, v0
	v_cmp_ne_u32_e32 vcc, 64, v1
	s_waitcnt lgkmcnt(2)
	v_pk_add_f32 v[2:3], v[14:15], v[2:3]
	ds_bpermute_b32 v6, v24, v2
	ds_bpermute_b32 v7, v24, v3
	s_waitcnt lgkmcnt(2)
	v_pk_add_f32 v[8:9], v[12:13], v[4:5]
	ds_bpermute_b32 v14, v23, v10
	ds_bpermute_b32 v15, v23, v11
	;; [unrolled: 1-line block ×4, first 2 shown]
	s_waitcnt lgkmcnt(4)
	v_pk_add_f32 v[4:5], v[2:3], v[6:7]
	s_waitcnt lgkmcnt(0)
	v_pk_add_f32 v[6:7], v[10:11], v[14:15]
	s_barrier
	v_pk_add_f32 v[2:3], v[8:9], v[12:13]
	ds_bpermute_b32 v8, v24, v6
	ds_bpermute_b32 v9, v24, v7
	s_waitcnt lgkmcnt(0)
	s_and_saveexec_b64 s[0:1], vcc
	s_xor_b64 s[0:1], exec, s[0:1]
; %bb.54:
                                        ; implicit-def: $vgpr22
; %bb.55:
	s_or_saveexec_b64 s[0:1], s[0:1]
	v_pk_add_f32 v[6:7], v[6:7], v[8:9]
	s_xor_b64 exec, exec, s[0:1]
	s_cbranch_execz .LBB320_57
; %bb.56:
	v_add_u32_e32 v8, 0xd0, v22
	ds_write2_b32 v8, v4, v5 offset1:16
	ds_write2_b32 v8, v2, v3 offset0:32 offset1:48
	ds_write2_b32 v8, v6, v7 offset0:64 offset1:80
.LBB320_57:
	s_or_b64 exec, exec, s[0:1]
	v_cmp_gt_u32_e32 vcc, 64, v0
	v_lshrrev_b32_e32 v0, 2, v0
	s_waitcnt lgkmcnt(0)
	s_barrier
	s_and_saveexec_b64 s[0:1], vcc
	s_cbranch_execz .LBB320_66
; %bb.58:
	v_mov_b32_e32 v8, 0xd0
	v_cmp_eq_u32_e32 vcc, 0, v25
	v_lshl_add_u32 v8, v0, 2, v8
	s_and_saveexec_b64 s[2:3], vcc
	s_cbranch_execnz .LBB320_69
; %bb.59:
	s_or_b64 exec, exec, s[2:3]
	s_and_saveexec_b64 s[2:3], vcc
	s_cbranch_execnz .LBB320_70
.LBB320_60:
	s_or_b64 exec, exec, s[2:3]
	s_and_saveexec_b64 s[2:3], vcc
	s_cbranch_execnz .LBB320_71
.LBB320_61:
	s_or_b64 exec, exec, s[2:3]
	s_and_saveexec_b64 s[2:3], vcc
	s_cbranch_execnz .LBB320_72
.LBB320_62:
	s_or_b64 exec, exec, s[2:3]
	s_and_saveexec_b64 s[2:3], vcc
	s_cbranch_execnz .LBB320_73
.LBB320_63:
	s_or_b64 exec, exec, s[2:3]
	s_and_saveexec_b64 s[2:3], vcc
	s_cbranch_execz .LBB320_65
.LBB320_64:
	ds_read_b32 v8, v8 offset:320
	s_waitcnt lgkmcnt(0)
	v_add_f32_e32 v7, v7, v8
.LBB320_65:
	s_or_b64 exec, exec, s[2:3]
.LBB320_66:
	s_or_b64 exec, exec, s[0:1]
	v_cmp_eq_u32_e32 vcc, 0, v1
	s_barrier
	s_and_saveexec_b64 s[0:1], vcc
	s_cbranch_execz .LBB320_68
; %bb.67:
	s_mul_i32 s0, s16, s12
	s_mul_i32 s0, s0, s5
	s_mulk_i32 s0, 0x60
	s_ashr_i32 s1, s0, 31
	s_lshl_b64 s[0:1], s[0:1], 1
	s_add_u32 s2, s20, s0
	s_mul_i32 s0, s12, s18
	s_addc_u32 s3, s21, s1
	s_ashr_i32 s1, s0, 31
	s_lshl_b64 s[0:1], s[0:1], 1
	s_add_u32 s2, s2, s0
	s_mul_i32 s0, s4, 0x60
	s_addc_u32 s3, s3, s1
	s_ashr_i32 s1, s0, 31
	s_lshl_b64 s[0:1], s[0:1], 1
	s_add_u32 s0, s2, s0
	s_addc_u32 s1, s3, s1
	v_lshlrev_b32_e32 v0, 1, v0
	v_cvt_pk_bf16_f32 v1, v4, s0
	global_store_short v0, v1, s[0:1]
	v_cvt_pk_bf16_f32 v1, v5, s0
	global_store_short v0, v1, s[0:1] offset:32
	v_cvt_pk_bf16_f32 v1, v2, s0
	global_store_short v0, v1, s[0:1] offset:64
	;; [unrolled: 2-line block ×5, first 2 shown]
.LBB320_68:
	s_endpgm
.LBB320_69:
	ds_read_b32 v9, v8
	s_waitcnt lgkmcnt(0)
	v_add_f32_e32 v4, v4, v9
	s_or_b64 exec, exec, s[2:3]
	s_and_saveexec_b64 s[2:3], vcc
	s_cbranch_execz .LBB320_60
.LBB320_70:
	ds_read_b32 v9, v8 offset:64
	s_waitcnt lgkmcnt(0)
	v_add_f32_e32 v5, v5, v9
	s_or_b64 exec, exec, s[2:3]
	s_and_saveexec_b64 s[2:3], vcc
	s_cbranch_execz .LBB320_61
.LBB320_71:
	ds_read_b32 v9, v8 offset:128
	s_waitcnt lgkmcnt(0)
	v_add_f32_e32 v2, v2, v9
	s_or_b64 exec, exec, s[2:3]
	s_and_saveexec_b64 s[2:3], vcc
	s_cbranch_execz .LBB320_62
.LBB320_72:
	ds_read_b32 v9, v8 offset:192
	s_waitcnt lgkmcnt(0)
	v_add_f32_e32 v3, v3, v9
	s_or_b64 exec, exec, s[2:3]
	s_and_saveexec_b64 s[2:3], vcc
	s_cbranch_execz .LBB320_63
.LBB320_73:
	ds_read_b32 v9, v8 offset:256
	s_waitcnt lgkmcnt(0)
	v_add_f32_e32 v6, v6, v9
	s_or_b64 exec, exec, s[2:3]
	s_and_saveexec_b64 s[2:3], vcc
	s_cbranch_execnz .LBB320_64
	s_branch .LBB320_65
	.section	.rodata,"a",@progbits
	.p2align	6, 0x0
	.amdhsa_kernel _ZN4vllm25paged_attention_v1_kernelI14__hip_bfloat16hLi96ELi32ELi128ELNS_18Fp8KVCacheDataTypeE1ELb0EEEvPT_PKS3_PKT0_S9_ifPKiSB_iPKfiiiSD_SD_iiiii
		.amdhsa_group_segment_fixed_size 208
		.amdhsa_private_segment_fixed_size 0
		.amdhsa_kernarg_size 384
		.amdhsa_user_sgpr_count 2
		.amdhsa_user_sgpr_dispatch_ptr 0
		.amdhsa_user_sgpr_queue_ptr 0
		.amdhsa_user_sgpr_kernarg_segment_ptr 1
		.amdhsa_user_sgpr_dispatch_id 0
		.amdhsa_user_sgpr_kernarg_preload_length 0
		.amdhsa_user_sgpr_kernarg_preload_offset 0
		.amdhsa_user_sgpr_private_segment_size 0
		.amdhsa_uses_dynamic_stack 0
		.amdhsa_enable_private_segment 0
		.amdhsa_system_sgpr_workgroup_id_x 1
		.amdhsa_system_sgpr_workgroup_id_y 1
		.amdhsa_system_sgpr_workgroup_id_z 1
		.amdhsa_system_sgpr_workgroup_info 0
		.amdhsa_system_vgpr_workitem_id 0
		.amdhsa_next_free_vgpr 97
		.amdhsa_next_free_sgpr 37
		.amdhsa_accum_offset 100
		.amdhsa_reserve_vcc 1
		.amdhsa_float_round_mode_32 0
		.amdhsa_float_round_mode_16_64 0
		.amdhsa_float_denorm_mode_32 3
		.amdhsa_float_denorm_mode_16_64 3
		.amdhsa_dx10_clamp 1
		.amdhsa_ieee_mode 1
		.amdhsa_fp16_overflow 0
		.amdhsa_tg_split 0
		.amdhsa_exception_fp_ieee_invalid_op 0
		.amdhsa_exception_fp_denorm_src 0
		.amdhsa_exception_fp_ieee_div_zero 0
		.amdhsa_exception_fp_ieee_overflow 0
		.amdhsa_exception_fp_ieee_underflow 0
		.amdhsa_exception_fp_ieee_inexact 0
		.amdhsa_exception_int_div_zero 0
	.end_amdhsa_kernel
	.section	.text._ZN4vllm25paged_attention_v1_kernelI14__hip_bfloat16hLi96ELi32ELi128ELNS_18Fp8KVCacheDataTypeE1ELb0EEEvPT_PKS3_PKT0_S9_ifPKiSB_iPKfiiiSD_SD_iiiii,"axG",@progbits,_ZN4vllm25paged_attention_v1_kernelI14__hip_bfloat16hLi96ELi32ELi128ELNS_18Fp8KVCacheDataTypeE1ELb0EEEvPT_PKS3_PKT0_S9_ifPKiSB_iPKfiiiSD_SD_iiiii,comdat
.Lfunc_end320:
	.size	_ZN4vllm25paged_attention_v1_kernelI14__hip_bfloat16hLi96ELi32ELi128ELNS_18Fp8KVCacheDataTypeE1ELb0EEEvPT_PKS3_PKT0_S9_ifPKiSB_iPKfiiiSD_SD_iiiii, .Lfunc_end320-_ZN4vllm25paged_attention_v1_kernelI14__hip_bfloat16hLi96ELi32ELi128ELNS_18Fp8KVCacheDataTypeE1ELb0EEEvPT_PKS3_PKT0_S9_ifPKiSB_iPKfiiiSD_SD_iiiii
                                        ; -- End function
	.set _ZN4vllm25paged_attention_v1_kernelI14__hip_bfloat16hLi96ELi32ELi128ELNS_18Fp8KVCacheDataTypeE1ELb0EEEvPT_PKS3_PKT0_S9_ifPKiSB_iPKfiiiSD_SD_iiiii.num_vgpr, 97
	.set _ZN4vllm25paged_attention_v1_kernelI14__hip_bfloat16hLi96ELi32ELi128ELNS_18Fp8KVCacheDataTypeE1ELb0EEEvPT_PKS3_PKT0_S9_ifPKiSB_iPKfiiiSD_SD_iiiii.num_agpr, 0
	.set _ZN4vllm25paged_attention_v1_kernelI14__hip_bfloat16hLi96ELi32ELi128ELNS_18Fp8KVCacheDataTypeE1ELb0EEEvPT_PKS3_PKT0_S9_ifPKiSB_iPKfiiiSD_SD_iiiii.numbered_sgpr, 37
	.set _ZN4vllm25paged_attention_v1_kernelI14__hip_bfloat16hLi96ELi32ELi128ELNS_18Fp8KVCacheDataTypeE1ELb0EEEvPT_PKS3_PKT0_S9_ifPKiSB_iPKfiiiSD_SD_iiiii.num_named_barrier, 0
	.set _ZN4vllm25paged_attention_v1_kernelI14__hip_bfloat16hLi96ELi32ELi128ELNS_18Fp8KVCacheDataTypeE1ELb0EEEvPT_PKS3_PKT0_S9_ifPKiSB_iPKfiiiSD_SD_iiiii.private_seg_size, 0
	.set _ZN4vllm25paged_attention_v1_kernelI14__hip_bfloat16hLi96ELi32ELi128ELNS_18Fp8KVCacheDataTypeE1ELb0EEEvPT_PKS3_PKT0_S9_ifPKiSB_iPKfiiiSD_SD_iiiii.uses_vcc, 1
	.set _ZN4vllm25paged_attention_v1_kernelI14__hip_bfloat16hLi96ELi32ELi128ELNS_18Fp8KVCacheDataTypeE1ELb0EEEvPT_PKS3_PKT0_S9_ifPKiSB_iPKfiiiSD_SD_iiiii.uses_flat_scratch, 0
	.set _ZN4vllm25paged_attention_v1_kernelI14__hip_bfloat16hLi96ELi32ELi128ELNS_18Fp8KVCacheDataTypeE1ELb0EEEvPT_PKS3_PKT0_S9_ifPKiSB_iPKfiiiSD_SD_iiiii.has_dyn_sized_stack, 0
	.set _ZN4vllm25paged_attention_v1_kernelI14__hip_bfloat16hLi96ELi32ELi128ELNS_18Fp8KVCacheDataTypeE1ELb0EEEvPT_PKS3_PKT0_S9_ifPKiSB_iPKfiiiSD_SD_iiiii.has_recursion, 0
	.set _ZN4vllm25paged_attention_v1_kernelI14__hip_bfloat16hLi96ELi32ELi128ELNS_18Fp8KVCacheDataTypeE1ELb0EEEvPT_PKS3_PKT0_S9_ifPKiSB_iPKfiiiSD_SD_iiiii.has_indirect_call, 0
	.section	.AMDGPU.csdata,"",@progbits
; Kernel info:
; codeLenInByte = 8724
; TotalNumSgprs: 43
; NumVgprs: 97
; NumAgprs: 0
; TotalNumVgprs: 97
; ScratchSize: 0
; MemoryBound: 0
; FloatMode: 240
; IeeeMode: 1
; LDSByteSize: 208 bytes/workgroup (compile time only)
; SGPRBlocks: 5
; VGPRBlocks: 12
; NumSGPRsForWavesPerEU: 43
; NumVGPRsForWavesPerEU: 97
; AccumOffset: 100
; Occupancy: 4
; WaveLimiterHint : 1
; COMPUTE_PGM_RSRC2:SCRATCH_EN: 0
; COMPUTE_PGM_RSRC2:USER_SGPR: 2
; COMPUTE_PGM_RSRC2:TRAP_HANDLER: 0
; COMPUTE_PGM_RSRC2:TGID_X_EN: 1
; COMPUTE_PGM_RSRC2:TGID_Y_EN: 1
; COMPUTE_PGM_RSRC2:TGID_Z_EN: 1
; COMPUTE_PGM_RSRC2:TIDIG_COMP_CNT: 0
; COMPUTE_PGM_RSRC3_GFX90A:ACCUM_OFFSET: 24
; COMPUTE_PGM_RSRC3_GFX90A:TG_SPLIT: 0
	.section	.text._ZN4vllm25paged_attention_v1_kernelI14__hip_bfloat16hLi112ELi32ELi128ELNS_18Fp8KVCacheDataTypeE1ELb0EEEvPT_PKS3_PKT0_S9_ifPKiSB_iPKfiiiSD_SD_iiiii,"axG",@progbits,_ZN4vllm25paged_attention_v1_kernelI14__hip_bfloat16hLi112ELi32ELi128ELNS_18Fp8KVCacheDataTypeE1ELb0EEEvPT_PKS3_PKT0_S9_ifPKiSB_iPKfiiiSD_SD_iiiii,comdat
	.protected	_ZN4vllm25paged_attention_v1_kernelI14__hip_bfloat16hLi112ELi32ELi128ELNS_18Fp8KVCacheDataTypeE1ELb0EEEvPT_PKS3_PKT0_S9_ifPKiSB_iPKfiiiSD_SD_iiiii ; -- Begin function _ZN4vllm25paged_attention_v1_kernelI14__hip_bfloat16hLi112ELi32ELi128ELNS_18Fp8KVCacheDataTypeE1ELb0EEEvPT_PKS3_PKT0_S9_ifPKiSB_iPKfiiiSD_SD_iiiii
	.globl	_ZN4vllm25paged_attention_v1_kernelI14__hip_bfloat16hLi112ELi32ELi128ELNS_18Fp8KVCacheDataTypeE1ELb0EEEvPT_PKS3_PKT0_S9_ifPKiSB_iPKfiiiSD_SD_iiiii
	.p2align	8
	.type	_ZN4vllm25paged_attention_v1_kernelI14__hip_bfloat16hLi112ELi32ELi128ELNS_18Fp8KVCacheDataTypeE1ELb0EEEvPT_PKS3_PKT0_S9_ifPKiSB_iPKfiiiSD_SD_iiiii,@function
_ZN4vllm25paged_attention_v1_kernelI14__hip_bfloat16hLi112ELi32ELi128ELNS_18Fp8KVCacheDataTypeE1ELb0EEEvPT_PKS3_PKT0_S9_ifPKiSB_iPKfiiiSD_SD_iiiii: ; @_ZN4vllm25paged_attention_v1_kernelI14__hip_bfloat16hLi112ELi32ELi128ELNS_18Fp8KVCacheDataTypeE1ELb0EEEvPT_PKS3_PKT0_S9_ifPKiSB_iPKfiiiSD_SD_iiiii
; %bb.0:
	s_load_dword s5, s[0:1], 0x80
	s_load_dwordx2 s[6:7], s[0:1], 0x30
	s_load_dwordx2 s[28:29], s[0:1], 0x20
	s_mov_b32 s16, s3
	s_ashr_i32 s17, s3, 31
	s_lshl_b64 s[8:9], s[16:17], 2
	s_waitcnt lgkmcnt(0)
	s_add_u32 s6, s6, s8
	s_addc_u32 s7, s7, s9
	s_abs_i32 s3, s28
	v_cvt_f32_u32_e32 v1, s3
	s_sub_i32 s10, 0, s3
	s_abs_i32 s9, s5
	s_xor_b32 s8, s5, s28
	v_rcp_iflag_f32_e32 v1, v1
	s_ashr_i32 s8, s8, 31
	s_mov_b32 s28, 0
	v_mul_f32_e32 v1, 0x4f7ffffe, v1
	v_cvt_u32_f32_e32 v1, v1
	s_nop 0
	v_readfirstlane_b32 s11, v1
	s_mul_i32 s10, s10, s11
	s_mul_hi_u32 s10, s11, s10
	s_add_i32 s11, s11, s10
	s_mul_hi_u32 s10, s9, s11
	s_mul_i32 s11, s10, s3
	s_sub_i32 s9, s9, s11
	s_add_i32 s11, s10, 1
	s_sub_i32 s12, s9, s3
	s_cmp_ge_u32 s9, s3
	s_cselect_b32 s10, s11, s10
	s_cselect_b32 s9, s12, s9
	s_add_i32 s11, s10, 1
	s_cmp_ge_u32 s9, s3
	s_cselect_b32 s3, s11, s10
	s_xor_b32 s3, s3, s8
	s_sub_i32 s12, s3, s8
	s_abs_i32 s10, s12
	v_cvt_f32_u32_e32 v1, s10
	s_load_dwordx2 s[8:9], s[0:1], 0x40
	s_sub_i32 s3, 0, s10
	s_abs_i32 s11, s2
	v_rcp_iflag_f32_e32 v1, v1
	s_nop 0
	v_mul_f32_e32 v1, 0x4f7ffffe, v1
	v_cvt_u32_f32_e32 v1, v1
	s_nop 0
	v_readfirstlane_b32 s13, v1
	s_mul_i32 s3, s3, s13
	s_mul_hi_u32 s3, s13, s3
	s_add_i32 s13, s13, s3
	s_waitcnt lgkmcnt(0)
	s_cmp_eq_u64 s[8:9], 0
	s_mul_hi_u32 s20, s11, s13
	s_cbranch_scc1 .LBB321_2
; %bb.1:
	s_ashr_i32 s3, s2, 31
	s_lshl_b64 s[14:15], s[2:3], 2
	s_add_u32 s8, s8, s14
	s_addc_u32 s9, s9, s15
	s_load_dword s28, s[8:9], 0x0
.LBB321_2:
	s_load_dword s17, s[6:7], 0x0
	s_ashr_i32 s7, s12, 31
	s_load_dwordx4 s[12:15], s[0:1], 0x48
	s_ashr_i32 s6, s2, 31
	v_and_b32_e32 v2, 1, v0
	s_movk_i32 s8, 0x70
	s_mul_i32 s18, s2, 0x70
	v_cmp_gt_u32_e32 vcc, 28, v0
	v_lshlrev_b32_e32 v8, 3, v0
	s_and_saveexec_b64 s[2:3], vcc
	s_cbranch_execz .LBB321_4
; %bb.3:
	s_load_dwordx2 s[22:23], s[0:1], 0x8
	s_waitcnt lgkmcnt(0)
	s_mul_i32 s24, s12, s16
	s_ashr_i32 s25, s24, 31
	s_lshl_b64 s[24:25], s[24:25], 1
	v_lshlrev_b32_e32 v1, 2, v0
	s_add_u32 s9, s22, s24
	s_addc_u32 s12, s23, s25
	s_ashr_i32 s19, s18, 31
	s_lshl_b64 s[22:23], s[18:19], 1
	s_add_u32 s22, s9, s22
	s_addc_u32 s23, s12, s23
	global_load_dwordx2 v[4:5], v8, s[22:23]
	v_and_b32_e32 v1, 0xff8, v1
	v_mad_u32_u24 v1, v2, s8, v1
	s_waitcnt vmcnt(0)
	ds_write_b64 v1, v[4:5]
.LBB321_4:
	s_or_b64 exec, exec, s[2:3]
	s_waitcnt lgkmcnt(0)
	s_add_i32 s3, s17, 31
	s_ashr_i32 s8, s3, 31
	s_lshr_b32 s8, s8, 27
	s_add_i32 s3, s3, s8
	s_ashr_i32 s19, s3, 5
	s_xor_b32 s3, s6, s7
	s_mul_i32 s6, s20, s10
	s_sub_i32 s6, s11, s6
	s_add_i32 s7, s20, 1
	s_sub_i32 s8, s6, s10
	s_load_dwordx2 s[22:23], s[0:1], 0x28
	s_load_dword s2, s[0:1], 0x38
	s_cmp_ge_u32 s6, s10
	s_cselect_b32 s7, s7, s20
	s_cselect_b32 s6, s8, s6
	s_add_i32 s8, s7, 1
	s_cmp_ge_u32 s6, s10
	s_cselect_b32 s6, s8, s7
	v_lshrrev_b32_e32 v1, 6, v0
	s_xor_b32 s6, s6, s3
	s_waitcnt lgkmcnt(0)
	s_mul_i32 s24, s2, s16
	s_sub_i32 s33, s6, s3
	s_ashr_i32 s25, s24, 31
	v_cmp_gt_i32_e64 s[6:7], s19, v1
	v_cmp_le_i32_e32 vcc, s19, v1
	v_mbcnt_lo_u32_b32 v3, -1, 0
	s_barrier
                                        ; implicit-def: $vgpr10
                                        ; implicit-def: $vgpr11
                                        ; implicit-def: $vgpr12
	s_and_saveexec_b64 s[2:3], vcc
	s_xor_b64 s[2:3], exec, s[2:3]
; %bb.5:
	v_mbcnt_hi_u32_b32 v10, -1, v3
	v_and_b32_e32 v11, 64, v10
	v_add_u32_e32 v12, 64, v11
                                        ; implicit-def: $vgpr2
                                        ; implicit-def: $vgpr3
; %bb.6:
	s_or_saveexec_b64 s[30:31], s[2:3]
	s_load_dwordx2 s[20:21], s[0:1], 0x0
	s_load_dwordx2 s[26:27], s[0:1], 0x18
	s_load_dword s12, s[0:1], 0x88
	s_load_dwordx4 s[8:11], s[0:1], 0x58
	v_mov_b32_e32 v69, 0xff7fffff
	s_mul_i32 s33, s33, s14
	v_lshrrev_b32_e32 v9, 4, v0
	s_xor_b64 exec, exec, s[30:31]
	s_cbranch_execz .LBB321_12
; %bb.7:
	v_mul_u32_u24_e32 v10, 0x70, v2
	ds_read_b128 v[4:7], v10
	ds_read_b128 v[26:29], v10 offset:16
	ds_read_b128 v[34:37], v10 offset:32
	;; [unrolled: 1-line block ×3, first 2 shown]
	s_load_dwordx2 s[0:1], s[0:1], 0x10
	s_waitcnt lgkmcnt(0)
	v_lshlrev_b32_e32 v13, 16, v4
	v_and_b32_e32 v14, 0xffff0000, v4
	v_lshlrev_b32_e32 v15, 16, v5
	v_and_b32_e32 v16, 0xffff0000, v5
	;; [unrolled: 2-line block ×4, first 2 shown]
	ds_read_b128 v[4:7], v10 offset:64
	ds_read_b128 v[58:61], v10 offset:80
	v_lshlrev_b32_e32 v21, 16, v26
	v_and_b32_e32 v22, 0xffff0000, v26
	v_lshlrev_b32_e32 v23, 16, v27
	v_and_b32_e32 v24, 0xffff0000, v27
	;; [unrolled: 2-line block ×12, first 2 shown]
	s_waitcnt lgkmcnt(1)
	v_lshlrev_b32_e32 v45, 16, v4
	v_and_b32_e32 v46, 0xffff0000, v4
	v_lshlrev_b32_e32 v47, 16, v5
	v_and_b32_e32 v48, 0xffff0000, v5
	;; [unrolled: 2-line block ×4, first 2 shown]
	ds_read_b128 v[4:7], v10 offset:96
	s_ashr_i32 s2, s33, 31
	s_add_u32 s0, s0, s33
	v_bfe_u32 v69, v0, 1, 5
	v_mbcnt_hi_u32_b32 v10, -1, v3
	s_waitcnt lgkmcnt(1)
	v_lshlrev_b32_e32 v53, 16, v58
	v_and_b32_e32 v54, 0xffff0000, v58
	v_lshlrev_b32_e32 v55, 16, v59
	v_and_b32_e32 v56, 0xffff0000, v59
	;; [unrolled: 2-line block ×4, first 2 shown]
	s_waitcnt lgkmcnt(0)
	v_lshlrev_b32_e32 v61, 16, v4
	v_and_b32_e32 v62, 0xffff0000, v4
	v_lshlrev_b32_e32 v63, 16, v5
	v_and_b32_e32 v64, 0xffff0000, v5
	s_addc_u32 s1, s1, s2
	v_lshlrev_b32_e32 v4, 4, v69
	v_mov_b32_e32 v5, 0
	v_and_b32_e32 v11, 64, v10
	v_lshlrev_b32_e32 v65, 16, v6
	v_and_b32_e32 v66, 0xffff0000, v6
	v_lshlrev_b32_e32 v67, 16, v7
	v_and_b32_e32 v68, 0xffff0000, v7
	v_lshl_add_u64 v[6:7], s[0:1], 0, v[4:5]
	v_lshlrev_b32_e32 v4, 2, v2
	v_cmp_eq_u32_e32 vcc, 0, v2
	v_xor_b32_e32 v2, 1, v10
	v_add_u32_e32 v12, 64, v11
	v_cmp_lt_i32_e64 s[0:1], v2, v12
	s_load_dword s35, s[8:9], 0x0
	s_sub_i32 s36, 1, s17
	v_cndmask_b32_e64 v2, v10, v2, s[0:1]
	v_lshlrev_b32_e32 v70, 2, v2
	v_lshl_add_u64 v[2:3], v[6:7], 0, v[4:5]
	v_lshlrev_b32_e32 v4, 2, v69
	s_lshl_b64 s[0:1], s[24:25], 2
	v_lshl_or_b32 v4, v1, 7, v4
	s_add_u32 s0, s22, s0
	v_add_u32_e32 v72, 0xf0, v4
	v_and_b32_e32 v4, 60, v9
	s_addc_u32 s1, s23, s1
	s_mov_b32 s34, s13
	v_cmp_neq_f32_e64 s[2:3], s28, 0
	v_lshl_or_b32 v71, v1, 5, v69
	v_lshl_add_u64 v[4:5], s[0:1], 0, v[4:5]
	s_mov_b64 s[8:9], 0
	v_mov_b32_e32 v69, 0xff7fffff
	v_mov_b32_e32 v73, v1
	s_branch .LBB321_9
.LBB321_8:                              ;   in Loop: Header=BB321_9 Depth=1
	s_or_b64 exec, exec, s[14:15]
	v_add_u32_e32 v73, 2, v73
	v_cmp_le_i32_e64 s[0:1], s19, v73
	v_add_u32_e32 v71, 64, v71
	v_add_u32_e32 v72, 0x100, v72
	s_or_b64 s[8:9], s[0:1], s[8:9]
	v_lshl_add_u64 v[4:5], v[4:5], 0, 8
	s_andn2_b64 exec, exec, s[8:9]
	s_cbranch_execz .LBB321_11
.LBB321_9:                              ; =>This Inner Loop Header: Depth=1
	global_load_dword v6, v[4:5], off
	s_waitcnt vmcnt(0) lgkmcnt(0)
	v_mad_i64_i32 v[6:7], s[0:1], v6, s34, v[2:3]
	global_load_dword v85, v[6:7], off
	global_load_dword v86, v[6:7], off offset:8
	global_load_dword v84, v[6:7], off offset:512
	global_load_dword v83, v[6:7], off offset:520
	global_load_dword v82, v[6:7], off offset:1024
	global_load_dword v81, v[6:7], off offset:1032
	global_load_dword v80, v[6:7], off offset:1536
	global_load_dword v79, v[6:7], off offset:1544
	global_load_dword v78, v[6:7], off offset:2048
	global_load_dword v77, v[6:7], off offset:2056
	global_load_dword v76, v[6:7], off offset:2560
	global_load_dword v75, v[6:7], off offset:2568
	global_load_dword v74, v[6:7], off offset:3072
	s_nop 0
	global_load_dword v6, v[6:7], off offset:3080
	s_waitcnt vmcnt(13)
	v_and_b32_e32 v7, 0xff, v85
	s_waitcnt vmcnt(12)
	v_and_b32_e32 v87, 0xff, v86
	v_cvt_f32_fp8_e32 v7, v7
	v_bfe_u32 v88, v85, 8, 8
	s_waitcnt vmcnt(9)
	v_and_b32_e32 v99, 0xff, v82
	v_bfe_u32 v100, v82, 8, 8
	v_bfe_u32 v101, v82, 16, 8
	v_lshrrev_b32_e32 v102, 24, v82
	v_cvt_f32_fp8_e32 v82, v87
	v_bfe_u32 v89, v86, 8, 8
	v_and_b32_e32 v95, 0xff, v83
	v_bfe_u32 v96, v83, 8, 8
	v_bfe_u32 v97, v83, 16, 8
	v_lshrrev_b32_e32 v98, 24, v83
	v_cvt_f32_fp8_e32 v83, v88
	v_cvt_f32_fp8_e32 v87, v89
	s_waitcnt lgkmcnt(0)
	v_mul_f32_e32 v7, s35, v7
	v_mul_f32_e32 v82, s35, v82
	v_cvt_pk_bf16_f32 v7, v7, s0
	v_cvt_pk_bf16_f32 v82, v82, s0
	v_lshlrev_b32_e32 v88, 16, v7
	v_lshlrev_b32_e32 v7, 16, v82
	v_mul_f32_e32 v7, v17, v7
	s_waitcnt vmcnt(8)
	v_and_b32_e32 v103, 0xff, v81
	v_bfe_u32 v104, v81, 8, 8
	v_fmac_f32_e32 v7, v13, v88
	v_bfe_u32 v88, v81, 16, 8
	v_lshrrev_b32_e32 v89, 24, v81
	v_mul_f32_e32 v81, s35, v83
	v_mul_f32_e32 v82, s35, v87
	v_cvt_pk_bf16_f32 v81, v81, s0
	v_cvt_pk_bf16_f32 v82, v82, s0
	v_lshlrev_b32_e32 v83, 16, v81
	v_lshlrev_b32_e32 v81, 16, v82
	v_bfe_u32 v90, v85, 16, 8
	v_bfe_u32 v91, v86, 16, 8
	v_mul_f32_e32 v81, v18, v81
	v_fmac_f32_e32 v81, v14, v83
	v_cvt_f32_fp8_e32 v82, v90
	v_cvt_f32_fp8_e32 v83, v91
	v_lshrrev_b32_e32 v85, 24, v85
	v_lshrrev_b32_e32 v86, 24, v86
	v_cvt_f32_fp8_e32 v85, v85
	v_cvt_f32_fp8_e32 v86, v86
	v_mul_f32_e32 v82, s35, v82
	v_mul_f32_e32 v83, s35, v83
	v_cvt_pk_bf16_f32 v82, v82, s0
	v_cvt_pk_bf16_f32 v83, v83, s0
	v_lshlrev_b32_e32 v90, 16, v82
	v_lshlrev_b32_e32 v82, 16, v83
	v_mul_f32_e32 v83, s35, v85
	v_mul_f32_e32 v85, s35, v86
	v_cvt_pk_bf16_f32 v83, v83, s0
	v_cvt_pk_bf16_f32 v85, v85, s0
	v_lshlrev_b32_e32 v86, 16, v83
	v_lshlrev_b32_e32 v83, 16, v85
	v_and_b32_e32 v92, 0xff, v84
	v_bfe_u32 v94, v84, 16, 8
	v_mul_f32_e32 v83, v20, v83
	v_bfe_u32 v93, v84, 8, 8
	v_fmac_f32_e32 v83, v16, v86
	v_cvt_f32_fp8_e32 v86, v92
	v_cvt_f32_fp8_e32 v92, v94
	v_lshrrev_b32_e32 v84, 24, v84
	v_cvt_f32_fp8_e32 v91, v93
	v_cvt_f32_fp8_e32 v93, v95
	;; [unrolled: 1-line block ×6, first 2 shown]
	s_waitcnt vmcnt(7)
	v_bfe_u32 v85, v80, 16, 8
	v_cvt_f32_fp8_e32 v88, v88
	v_cvt_f32_fp8_e32 v85, v85
	v_mul_f32_e32 v92, s35, v92
	v_mul_f32_e32 v82, v19, v82
	;; [unrolled: 1-line block ×3, first 2 shown]
	v_cvt_pk_bf16_f32 v92, v92, s0
	v_fmac_f32_e32 v82, v15, v90
	v_cvt_f32_fp8_e32 v94, v96
	v_cvt_f32_fp8_e32 v96, v98
	v_mul_f32_e32 v84, s35, v84
	v_mul_f32_e32 v99, s35, v99
	v_cvt_pk_bf16_f32 v95, v95, s0
	v_lshlrev_b32_e32 v92, 16, v92
	v_cvt_f32_fp8_e32 v98, v100
	v_cvt_f32_fp8_e32 v100, v102
	v_mul_f32_e32 v88, s35, v88
	v_cvt_pk_bf16_f32 v84, v84, s0
	v_cvt_pk_bf16_f32 v99, v99, s0
	v_lshlrev_b32_e32 v95, 16, v95
	v_fmac_f32_e32 v82, v23, v92
	v_and_b32_e32 v87, 0xff, v80
	v_bfe_u32 v90, v80, 8, 8
	v_cvt_f32_fp8_e32 v89, v89
	v_mul_f32_e32 v85, s35, v85
	v_cvt_pk_bf16_f32 v88, v88, s0
	v_lshlrev_b32_e32 v84, 16, v84
	v_lshlrev_b32_e32 v99, 16, v99
	v_fmac_f32_e32 v82, v27, v95
	v_lshrrev_b32_e32 v80, 24, v80
	v_lshlrev_b32_e32 v88, 16, v88
	v_fmac_f32_e32 v83, v24, v84
	v_fmac_f32_e32 v82, v31, v99
	v_cvt_f32_fp8_e32 v80, v80
	v_cvt_pk_bf16_f32 v84, v85, s0
	v_mul_f32_e32 v96, s35, v96
	v_fmac_f32_e32 v82, v35, v88
	v_lshlrev_b32_e32 v84, 16, v84
	v_mul_f32_e32 v100, s35, v100
	v_cvt_pk_bf16_f32 v96, v96, s0
	v_fmac_f32_e32 v82, v39, v84
	s_waitcnt vmcnt(6)
	v_and_b32_e32 v84, 0xff, v79
	v_cvt_f32_fp8_e32 v101, v103
	v_mul_f32_e32 v89, s35, v89
	v_cvt_pk_bf16_f32 v100, v100, s0
	v_lshlrev_b32_e32 v96, 16, v96
	v_cvt_f32_fp8_e32 v84, v84
	v_cvt_f32_fp8_e32 v87, v87
	v_mul_f32_e32 v86, s35, v86
	v_cvt_pk_bf16_f32 v89, v89, s0
	v_lshlrev_b32_e32 v100, 16, v100
	v_fmac_f32_e32 v83, v28, v96
	v_mul_f32_e32 v80, s35, v80
	v_mul_f32_e32 v93, s35, v93
	v_cvt_pk_bf16_f32 v86, v86, s0
	v_lshlrev_b32_e32 v89, 16, v89
	v_fmac_f32_e32 v83, v32, v100
	v_cvt_pk_bf16_f32 v80, v80, s0
	v_mul_f32_e32 v97, s35, v97
	v_cvt_pk_bf16_f32 v93, v93, s0
	v_lshlrev_b32_e32 v86, 16, v86
	v_fmac_f32_e32 v83, v36, v89
	v_lshlrev_b32_e32 v80, 16, v80
	v_mul_f32_e32 v101, s35, v101
	v_cvt_pk_bf16_f32 v97, v97, s0
	v_lshlrev_b32_e32 v93, 16, v93
	v_fmac_f32_e32 v7, v21, v86
	v_fmac_f32_e32 v83, v40, v80
	v_mul_f32_e32 v80, s35, v84
	v_bfe_u32 v84, v79, 8, 8
	v_cvt_f32_fp8_e32 v102, v104
	v_mul_f32_e32 v87, s35, v87
	v_cvt_pk_bf16_f32 v101, v101, s0
	v_lshlrev_b32_e32 v97, 16, v97
	v_fmac_f32_e32 v7, v25, v93
	v_cvt_f32_fp8_e32 v84, v84
	v_cvt_f32_fp8_e32 v90, v90
	v_mul_f32_e32 v91, s35, v91
	v_cvt_pk_bf16_f32 v87, v87, s0
	v_lshlrev_b32_e32 v101, 16, v101
	v_fmac_f32_e32 v7, v29, v97
	v_mul_f32_e32 v94, s35, v94
	v_cvt_pk_bf16_f32 v91, v91, s0
	v_lshlrev_b32_e32 v87, 16, v87
	v_fmac_f32_e32 v7, v33, v101
	v_cvt_pk_bf16_f32 v80, v80, s0
	v_mul_f32_e32 v98, s35, v98
	v_cvt_pk_bf16_f32 v94, v94, s0
	v_lshlrev_b32_e32 v91, 16, v91
	v_fmac_f32_e32 v7, v37, v87
	v_lshlrev_b32_e32 v80, 16, v80
	v_mul_f32_e32 v102, s35, v102
	v_cvt_pk_bf16_f32 v98, v98, s0
	v_lshlrev_b32_e32 v94, 16, v94
	v_fmac_f32_e32 v81, v22, v91
	v_fmac_f32_e32 v7, v41, v80
	v_mul_f32_e32 v80, s35, v84
	v_bfe_u32 v84, v79, 16, 8
	v_mul_f32_e32 v90, s35, v90
	v_cvt_pk_bf16_f32 v102, v102, s0
	v_lshlrev_b32_e32 v98, 16, v98
	v_fmac_f32_e32 v81, v26, v94
	v_cvt_f32_fp8_e32 v84, v84
	v_cvt_pk_bf16_f32 v90, v90, s0
	v_lshlrev_b32_e32 v102, 16, v102
	v_fmac_f32_e32 v81, v30, v98
	v_lshlrev_b32_e32 v90, 16, v90
	v_fmac_f32_e32 v81, v34, v102
	v_cvt_pk_bf16_f32 v80, v80, s0
	v_fmac_f32_e32 v81, v38, v90
	v_lshlrev_b32_e32 v80, 16, v80
	v_fmac_f32_e32 v81, v42, v80
	v_mul_f32_e32 v80, s35, v84
	v_lshrrev_b32_e32 v79, 24, v79
	v_cvt_f32_fp8_e32 v79, v79
	v_cvt_pk_bf16_f32 v80, v80, s0
	v_lshlrev_b32_e32 v80, 16, v80
	v_fmac_f32_e32 v82, v43, v80
	s_waitcnt vmcnt(5)
	v_and_b32_e32 v80, 0xff, v78
	v_cvt_f32_fp8_e32 v80, v80
	v_mul_f32_e32 v79, s35, v79
	v_cvt_pk_bf16_f32 v79, v79, s0
	v_lshlrev_b32_e32 v79, 16, v79
	v_fmac_f32_e32 v83, v44, v79
	v_mul_f32_e32 v79, s35, v80
	v_bfe_u32 v80, v78, 8, 8
	v_cvt_f32_fp8_e32 v80, v80
	v_cvt_pk_bf16_f32 v79, v79, s0
	v_lshlrev_b32_e32 v79, 16, v79
	v_fmac_f32_e32 v7, v45, v79
	v_mul_f32_e32 v79, s35, v80
	v_bfe_u32 v80, v78, 16, 8
	v_cvt_f32_fp8_e32 v80, v80
	v_cvt_pk_bf16_f32 v79, v79, s0
	v_lshlrev_b32_e32 v79, 16, v79
	v_fmac_f32_e32 v81, v46, v79
	v_mul_f32_e32 v79, s35, v80
	v_lshrrev_b32_e32 v78, 24, v78
	v_cvt_f32_fp8_e32 v78, v78
	v_cvt_pk_bf16_f32 v79, v79, s0
	v_lshlrev_b32_e32 v79, 16, v79
	v_fmac_f32_e32 v82, v47, v79
	s_waitcnt vmcnt(4)
	v_and_b32_e32 v79, 0xff, v77
	v_cvt_f32_fp8_e32 v79, v79
	v_mul_f32_e32 v78, s35, v78
	v_cvt_pk_bf16_f32 v78, v78, s0
	v_lshlrev_b32_e32 v78, 16, v78
	v_fmac_f32_e32 v83, v48, v78
	v_mul_f32_e32 v78, s35, v79
	v_bfe_u32 v79, v77, 8, 8
	v_cvt_f32_fp8_e32 v79, v79
	v_cvt_pk_bf16_f32 v78, v78, s0
	v_lshlrev_b32_e32 v78, 16, v78
	v_fmac_f32_e32 v7, v49, v78
	v_mul_f32_e32 v78, s35, v79
	v_bfe_u32 v79, v77, 16, 8
	v_cvt_f32_fp8_e32 v79, v79
	v_cvt_pk_bf16_f32 v78, v78, s0
	;; [unrolled: 25-line block ×5, first 2 shown]
	v_lshlrev_b32_e32 v75, 16, v75
	v_lshrrev_b32_e32 v74, 24, v74
	v_fmac_f32_e32 v81, v62, v75
	v_mul_f32_e32 v75, s35, v76
	v_cvt_f32_fp8_e32 v74, v74
	v_cvt_pk_bf16_f32 v75, v75, s0
	v_lshlrev_b32_e32 v75, 16, v75
	v_fmac_f32_e32 v82, v63, v75
	s_waitcnt vmcnt(0)
	v_and_b32_e32 v75, 0xff, v6
	v_cvt_f32_fp8_e32 v75, v75
	v_mul_f32_e32 v74, s35, v74
	v_cvt_pk_bf16_f32 v74, v74, s0
	v_lshlrev_b32_e32 v74, 16, v74
	v_fmac_f32_e32 v83, v64, v74
	v_mul_f32_e32 v74, s35, v75
	v_cvt_pk_bf16_f32 v74, v74, s0
	v_bfe_u32 v76, v6, 8, 8
	v_lshlrev_b32_e32 v74, 16, v74
	v_cvt_f32_fp8_e32 v76, v76
	v_fmac_f32_e32 v7, v65, v74
	v_bfe_u32 v74, v6, 16, 8
	v_lshrrev_b32_e32 v6, 24, v6
	v_cvt_f32_fp8_e32 v74, v74
	v_cvt_f32_fp8_e32 v6, v6
	v_mul_f32_e32 v75, s35, v76
	v_cvt_pk_bf16_f32 v75, v75, s0
	v_mul_f32_e32 v74, s35, v74
	v_mul_f32_e32 v6, s35, v6
	v_cvt_pk_bf16_f32 v74, v74, s0
	v_cvt_pk_bf16_f32 v6, v6, s0
	v_lshlrev_b32_e32 v75, 16, v75
	v_fmac_f32_e32 v81, v66, v75
	v_lshlrev_b32_e32 v74, 16, v74
	v_lshlrev_b32_e32 v6, 16, v6
	v_fmac_f32_e32 v82, v67, v74
	v_fmac_f32_e32 v83, v68, v6
	v_add_f32_e32 v6, v7, v81
	v_add_f32_e32 v6, v6, v82
	;; [unrolled: 1-line block ×3, first 2 shown]
	ds_bpermute_b32 v7, v70, v6
	s_and_saveexec_b64 s[14:15], vcc
	s_cbranch_execz .LBB321_8
; %bb.10:                               ;   in Loop: Header=BB321_9 Depth=1
	v_add_u32_e32 v74, s36, v71
	v_cvt_f32_i32_e32 v74, v74
	s_waitcnt lgkmcnt(0)
	v_add_f32_e32 v6, v6, v7
	v_cmp_gt_i32_e64 s[0:1], s17, v71
	v_max_f32_e32 v7, v69, v69
	v_mul_f32_e32 v74, s28, v74
	v_cndmask_b32_e64 v74, 0, v74, s[2:3]
	v_fmac_f32_e32 v74, s29, v6
	v_cndmask_b32_e64 v6, 0, v74, s[0:1]
	ds_write_b32 v72, v6
	v_max_f32_e32 v6, v7, v74
	v_cndmask_b32_e64 v69, v69, v6, s[0:1]
	s_branch .LBB321_8
.LBB321_11:
	s_or_b64 exec, exec, s[8:9]
.LBB321_12:
	s_or_b64 exec, exec, s[30:31]
	v_xor_b32_e32 v2, 32, v10
	v_cmp_lt_i32_e32 vcc, v2, v12
	v_xor_b32_e32 v5, 16, v10
	v_max_f32_e32 v4, v69, v69
	v_cndmask_b32_e32 v2, v10, v2, vcc
	v_lshlrev_b32_e32 v2, 2, v2
	ds_bpermute_b32 v3, v2, v69
	v_cmp_lt_i32_e32 vcc, v5, v12
	v_xor_b32_e32 v6, 8, v10
	s_waitcnt lgkmcnt(0)
	v_xor_b32_e32 v7, 4, v10
	v_xor_b32_e32 v13, 2, v10
	v_max_f32_e32 v3, v3, v3
	v_max_f32_e32 v4, v4, v3
	v_cndmask_b32_e32 v3, v10, v5, vcc
	v_lshlrev_b32_e32 v3, 2, v3
	ds_bpermute_b32 v5, v3, v4
	v_cmp_lt_i32_e32 vcc, v6, v12
	v_and_b32_e32 v24, 63, v0
	s_waitcnt lgkmcnt(0)
	v_max_f32_e32 v5, v5, v5
	v_max_f32_e32 v5, v4, v5
	v_cndmask_b32_e32 v4, v10, v6, vcc
	v_lshlrev_b32_e32 v4, 2, v4
	ds_bpermute_b32 v6, v4, v5
	v_cmp_lt_i32_e32 vcc, v7, v12
	s_waitcnt lgkmcnt(0)
	v_max_f32_e32 v6, v6, v6
	v_max_f32_e32 v6, v5, v6
	v_cndmask_b32_e32 v5, v10, v7, vcc
	v_lshlrev_b32_e32 v5, 2, v5
	ds_bpermute_b32 v7, v5, v6
	v_cmp_lt_i32_e32 vcc, v13, v12
	s_waitcnt lgkmcnt(0)
	v_max_f32_e32 v7, v7, v7
	v_max_f32_e32 v7, v6, v7
	v_cndmask_b32_e32 v6, v10, v13, vcc
	v_lshlrev_b32_e32 v25, 2, v6
	ds_bpermute_b32 v13, v25, v7
	v_cmp_eq_u32_e32 vcc, 0, v24
	v_lshlrev_b32_e32 v6, 2, v1
	s_and_saveexec_b64 s[0:1], vcc
	s_cbranch_execz .LBB321_14
; %bb.13:
	s_waitcnt lgkmcnt(0)
	v_max_f32_e32 v13, v13, v13
	v_max_f32_e32 v7, v7, v7
	;; [unrolled: 1-line block ×3, first 2 shown]
	ds_write_b32 v6, v7 offset:224
.LBB321_14:
	s_or_b64 exec, exec, s[0:1]
	v_cmp_gt_u32_e64 s[0:1], 2, v24
	s_waitcnt lgkmcnt(0)
	v_mov_b32_e32 v13, 0xff7fffff
	v_lshlrev_b32_e32 v7, 2, v24
	s_barrier
	s_and_saveexec_b64 s[2:3], s[0:1]
; %bb.15:
	ds_read_b32 v13, v7 offset:224
; %bb.16:
	s_or_b64 exec, exec, s[2:3]
	v_xor_b32_e32 v14, 1, v10
	v_cmp_lt_i32_e64 s[2:3], v14, v12
	v_lshlrev_b32_e32 v11, 2, v11
	s_nop 0
	v_cndmask_b32_e64 v12, v10, v14, s[2:3]
	v_lshlrev_b32_e32 v26, 2, v12
	s_waitcnt lgkmcnt(0)
	ds_bpermute_b32 v12, v26, v13
	v_max_f32_e32 v13, v13, v13
	s_lshl_b32 s2, s19, 5
	s_min_i32 s30, s2, s17
	v_cmp_gt_i32_e64 s[2:3], s30, v0
	s_waitcnt lgkmcnt(0)
	v_max_f32_e32 v12, v12, v12
	v_max_f32_e32 v12, v13, v12
	ds_bpermute_b32 v12, v11, v12
	v_mov_b32_e32 v11, 0
	s_and_saveexec_b64 s[14:15], s[2:3]
	s_cbranch_execz .LBB321_20
; %bb.17:
	v_mov_b32_e32 v11, 0xf0
	v_lshl_add_u32 v13, v0, 2, v11
	v_mov_b32_e32 v11, 0
	s_mov_b64 s[28:29], 0
	v_mov_b32_e32 v14, v0
.LBB321_18:                             ; =>This Inner Loop Header: Depth=1
	ds_read_b32 v15, v13
	v_add_u32_e32 v14, 0x80, v14
	v_cmp_le_i32_e64 s[8:9], s30, v14
	s_or_b64 s[28:29], s[8:9], s[28:29]
	s_waitcnt lgkmcnt(0)
	v_sub_f32_e32 v15, v15, v12
	v_mul_f32_e32 v15, 0x3fb8aa3b, v15
	v_exp_f32_e32 v15, v15
	ds_write_b32 v13, v15
	v_add_f32_e32 v11, v11, v15
	v_add_u32_e32 v13, 0x200, v13
	s_andn2_b64 exec, exec, s[28:29]
	s_cbranch_execnz .LBB321_18
; %bb.19:
	s_or_b64 exec, exec, s[28:29]
.LBB321_20:
	s_or_b64 exec, exec, s[14:15]
	ds_bpermute_b32 v2, v2, v11
	s_waitcnt lgkmcnt(0)
	v_add_f32_e32 v2, v11, v2
	ds_bpermute_b32 v3, v3, v2
	s_waitcnt lgkmcnt(0)
	v_add_f32_e32 v2, v2, v3
	;; [unrolled: 3-line block ×6, first 2 shown]
	s_and_saveexec_b64 s[8:9], vcc
; %bb.21:
	ds_write_b32 v6, v2 offset:232
; %bb.22:
	s_or_b64 exec, exec, s[8:9]
	s_waitcnt lgkmcnt(0)
	s_barrier
	s_and_saveexec_b64 s[8:9], s[0:1]
; %bb.23:
	ds_read_b32 v2, v7 offset:232
; %bb.24:
	s_or_b64 exec, exec, s[8:9]
	s_waitcnt lgkmcnt(0)
	ds_bpermute_b32 v3, v26, v2
	v_lshlrev_b32_e32 v4, 2, v10
	s_waitcnt lgkmcnt(0)
	v_add_f32_e32 v2, v2, v3
	v_and_b32_e32 v3, 0xffffff00, v4
	ds_bpermute_b32 v2, v3, v2
	s_and_saveexec_b64 s[0:1], s[2:3]
	s_cbranch_execz .LBB321_37
; %bb.25:
	s_waitcnt lgkmcnt(0)
	v_add_f32_e32 v2, 0x358637bd, v2
	v_div_scale_f32 v3, s[2:3], v2, v2, 1.0
	v_rcp_f32_e32 v4, v3
	v_div_scale_f32 v5, vcc, 1.0, v2, 1.0
	s_movk_i32 s2, 0x7f
	v_fma_f32 v6, -v3, v4, 1.0
	v_fmac_f32_e32 v4, v6, v4
	v_mul_f32_e32 v6, v5, v4
	v_fma_f32 v7, -v3, v6, v5
	v_fmac_f32_e32 v6, v7, v4
	v_fma_f32 v3, -v3, v6, v5
	v_div_fmas_f32 v3, v3, v4, v6
	v_xad_u32 v4, v0, -1, s30
	v_div_fixup_f32 v2, v3, v2, 1.0
	v_cmp_lt_u32_e32 vcc, s2, v4
	s_mov_b64 s[8:9], -1
	v_mov_b32_e32 v3, v0
	s_and_saveexec_b64 s[2:3], vcc
	s_cbranch_execz .LBB321_34
; %bb.26:
	v_lshrrev_b32_e32 v4, 7, v4
	v_add_u32_e32 v6, -1, v4
	v_lshrrev_b32_e32 v5, 1, v6
	v_mov_b32_e32 v3, v2
	v_add_u32_e32 v5, 1, v5
	v_cmp_lt_u32_e32 vcc, 13, v6
	v_mov_b32_e32 v10, 0
	s_and_saveexec_b64 s[8:9], vcc
	s_cbranch_execz .LBB321_30
; %bb.27:
	v_mov_b32_e32 v7, 0xf0
	v_and_b32_e32 v6, -8, v5
	v_lshl_add_u32 v7, v0, 2, v7
	s_mov_b32 s28, 0
	s_mov_b64 s[14:15], 0
.LBB321_28:                             ; =>This Inner Loop Header: Depth=1
	ds_read2st64_b32 v[10:11], v7 offset1:2
	ds_read2st64_b32 v[12:13], v7 offset0:4 offset1:6
	ds_read2st64_b32 v[14:15], v7 offset0:8 offset1:10
	;; [unrolled: 1-line block ×3, first 2 shown]
	v_add_u32_e32 v6, -8, v6
	s_waitcnt lgkmcnt(3)
	v_pk_mul_f32 v[10:11], v[2:3], v[10:11]
	s_waitcnt lgkmcnt(2)
	v_pk_mul_f32 v[12:13], v[2:3], v[12:13]
	ds_write2st64_b32 v7, v10, v11 offset1:2
	ds_write2st64_b32 v7, v12, v13 offset0:4 offset1:6
	ds_read2st64_b32 v[12:13], v7 offset0:16 offset1:18
	s_waitcnt lgkmcnt(4)
	v_pk_mul_f32 v[10:11], v[2:3], v[14:15]
	ds_write2st64_b32 v7, v10, v11 offset0:8 offset1:10
	s_waitcnt lgkmcnt(4)
	v_pk_mul_f32 v[10:11], v[2:3], v[16:17]
	ds_write2st64_b32 v7, v10, v11 offset0:12 offset1:14
	ds_read2st64_b32 v[10:11], v7 offset0:20 offset1:22
	s_waitcnt lgkmcnt(3)
	v_pk_mul_f32 v[12:13], v[2:3], v[12:13]
	ds_read2st64_b32 v[14:15], v7 offset0:24 offset1:26
	ds_write2st64_b32 v7, v12, v13 offset0:16 offset1:18
	ds_read2st64_b32 v[12:13], v7 offset0:28 offset1:30
	s_waitcnt lgkmcnt(3)
	v_pk_mul_f32 v[10:11], v[2:3], v[10:11]
	ds_write2st64_b32 v7, v10, v11 offset0:20 offset1:22
	s_waitcnt lgkmcnt(3)
	v_pk_mul_f32 v[10:11], v[2:3], v[14:15]
	ds_write2st64_b32 v7, v10, v11 offset0:24 offset1:26
	s_waitcnt lgkmcnt(2)
	v_pk_mul_f32 v[10:11], v[2:3], v[12:13]
	s_add_i32 s28, s28, 16
	v_cmp_eq_u32_e32 vcc, 0, v6
	ds_write2st64_b32 v7, v10, v11 offset0:28 offset1:30
	v_add_u32_e32 v7, 0x2000, v7
	s_or_b64 s[14:15], vcc, s[14:15]
	v_mov_b32_e32 v10, s28
	s_andn2_b64 exec, exec, s[14:15]
	s_cbranch_execnz .LBB321_28
; %bb.29:
	s_or_b64 exec, exec, s[14:15]
.LBB321_30:
	s_or_b64 exec, exec, s[8:9]
	v_and_b32_e32 v5, 7, v5
	v_cmp_ne_u32_e32 vcc, 0, v5
	s_and_saveexec_b64 s[8:9], vcc
	s_cbranch_execz .LBB321_33
; %bb.31:
	v_lshlrev_b32_e32 v6, 9, v10
	v_lshlrev_b32_e32 v7, 2, v0
	s_movk_i32 s14, 0xf0
	v_add3_u32 v6, v6, v7, s14
	s_mov_b64 s[14:15], 0
.LBB321_32:                             ; =>This Inner Loop Header: Depth=1
	ds_read2st64_b32 v[10:11], v6 offset1:2
	v_add_u32_e32 v5, -1, v5
	v_cmp_eq_u32_e32 vcc, 0, v5
	s_or_b64 s[14:15], vcc, s[14:15]
	s_waitcnt lgkmcnt(0)
	v_pk_mul_f32 v[10:11], v[2:3], v[10:11]
	ds_write2st64_b32 v6, v10, v11 offset1:2
	v_add_u32_e32 v6, 0x400, v6
	s_andn2_b64 exec, exec, s[14:15]
	s_cbranch_execnz .LBB321_32
.LBB321_33:
	s_or_b64 exec, exec, s[8:9]
	v_add_u32_e32 v4, 1, v4
	v_and_b32_e32 v5, 0x3fffffe, v4
	v_cmp_ne_u32_e32 vcc, v4, v5
	v_lshl_add_u32 v3, v5, 7, v0
	s_orn2_b64 s[8:9], vcc, exec
.LBB321_34:
	s_or_b64 exec, exec, s[2:3]
	s_and_b64 exec, exec, s[8:9]
	s_cbranch_execz .LBB321_37
; %bb.35:
	v_mov_b32_e32 v4, 0xf0
	v_lshl_add_u32 v4, v3, 2, v4
	s_mov_b64 s[2:3], 0
.LBB321_36:                             ; =>This Inner Loop Header: Depth=1
	ds_read_b32 v5, v4
	v_add_u32_e32 v3, 0x80, v3
	v_cmp_le_i32_e32 vcc, s30, v3
	s_or_b64 s[2:3], vcc, s[2:3]
	s_waitcnt lgkmcnt(0)
	v_mul_f32_e32 v5, v2, v5
	ds_write_b32 v4, v5
	v_add_u32_e32 v4, 0x200, v4
	s_andn2_b64 exec, exec, s[2:3]
	s_cbranch_execnz .LBB321_36
.LBB321_37:
	s_or_b64 exec, exec, s[0:1]
	v_mov_b32_e32 v13, 0
	v_and_b32_e32 v27, 3, v0
	v_mov_b32_e32 v12, 0
	v_mov_b32_e32 v15, 0
	;; [unrolled: 1-line block ×6, first 2 shown]
	s_waitcnt lgkmcnt(0)
	s_barrier
	s_and_saveexec_b64 s[2:3], s[6:7]
	s_cbranch_execz .LBB321_55
; %bb.38:
	s_ashr_i32 s1, s33, 31
	s_add_u32 s0, s26, s33
	s_addc_u32 s1, s27, s1
	v_and_b32_e32 v10, 0x1f8, v8
	s_load_dword s10, s[10:11], 0x0
	v_mov_b32_e32 v11, 0
	v_and_b32_e32 v2, 24, v8
	s_add_i32 s11, s19, -1
	v_lshl_add_u64 v[18:19], s[0:1], 0, v[10:11]
	v_lshlrev_b32_e32 v3, 5, v1
	s_lshl_b64 s[0:1], s[24:25], 2
	v_or3_b32 v28, v3, v2, 7
	v_lshlrev_b32_e32 v2, 5, v27
	s_add_u32 s0, s22, s0
	v_lshl_or_b32 v2, v1, 7, v2
	v_and_b32_e32 v10, 60, v9
	s_addc_u32 s1, s23, s1
	v_add_u32_e32 v29, 0xf0, v2
	v_lshl_add_u64 v[20:21], s[0:1], 0, v[10:11]
	s_mov_b64 s[6:7], 0
	v_mov_b32_e32 v13, v11
	v_mov_b32_e32 v12, v11
	v_mov_b32_e32 v15, v11
	v_mov_b32_e32 v14, v11
	v_mov_b32_e32 v17, v11
	v_mov_b32_e32 v16, v11
	s_branch .LBB321_40
.LBB321_39:                             ;   in Loop: Header=BB321_40 Depth=1
	s_or_b64 exec, exec, s[0:1]
	v_cvt_pk_bf16_f32 v6, v6, s0
	v_cvt_pk_bf16_f32 v7, v7, s0
	;; [unrolled: 1-line block ×4, first 2 shown]
	v_lshlrev_b32_e32 v7, 16, v7
	v_lshlrev_b32_e32 v45, 16, v89
	;; [unrolled: 1-line block ×4, first 2 shown]
	v_mul_f32_e32 v45, v7, v45
	v_mul_f32_e32 v46, v6, v46
	v_lshlrev_b32_e32 v9, 16, v9
	v_lshlrev_b32_e32 v47, 16, v87
	;; [unrolled: 1-line block ×4, first 2 shown]
	v_cvt_pk_bf16_f32 v2, v2, s0
	v_cvt_pk_bf16_f32 v3, v3, s0
	;; [unrolled: 1-line block ×4, first 2 shown]
	v_mul_f32_e32 v47, v9, v47
	v_mul_f32_e32 v48, v8, v48
	v_cvt_pk_bf16_f32 v47, v47, s0
	v_cvt_pk_bf16_f32 v48, v48, s0
	v_lshlrev_b32_e32 v3, 16, v3
	v_lshlrev_b32_e32 v49, 16, v85
	;; [unrolled: 1-line block ×6, first 2 shown]
	v_cvt_pk_bf16_f32 v4, v4, s0
	v_cvt_pk_bf16_f32 v5, v5, s0
	v_mul_f32_e32 v49, v3, v49
	v_mul_f32_e32 v50, v2, v50
	v_add_f32_e32 v45, v46, v45
	v_lshlrev_b32_e32 v46, 16, v48
	v_lshlrev_b32_e32 v47, 16, v47
	v_cvt_pk_bf16_f32 v49, v49, s0
	v_cvt_pk_bf16_f32 v50, v50, s0
	v_lshlrev_b32_e32 v5, 16, v5
	v_lshlrev_b32_e32 v51, 16, v83
	v_lshlrev_b32_e32 v4, 16, v4
	v_lshlrev_b32_e32 v82, 16, v82
	v_add_f32_e32 v46, v46, v47
	v_mul_f32_e32 v51, v5, v51
	v_mul_f32_e32 v82, v4, v82
	v_add_f32_e32 v45, v46, v45
	v_lshlrev_b32_e32 v46, 16, v50
	v_lshlrev_b32_e32 v47, 16, v49
	v_cvt_pk_bf16_f32 v51, v51, s0
	v_cvt_pk_bf16_f32 v82, v82, s0
	v_add_f32_e32 v46, v46, v47
	v_add_f32_e32 v45, v46, v45
	v_lshlrev_b32_e32 v46, 16, v82
	v_lshlrev_b32_e32 v47, 16, v51
	v_add_f32_e32 v46, v46, v47
	v_add_f32_e32 v45, v46, v45
	;; [unrolled: 1-line block ×3, first 2 shown]
	v_lshlrev_b32_e32 v45, 16, v79
	v_lshlrev_b32_e32 v46, 16, v76
	v_mul_f32_e32 v45, v7, v45
	v_mul_f32_e32 v46, v6, v46
	v_lshlrev_b32_e32 v47, 16, v75
	v_lshlrev_b32_e32 v48, 16, v72
	v_cvt_pk_bf16_f32 v45, v45, s0
	v_cvt_pk_bf16_f32 v46, v46, s0
	v_mul_f32_e32 v47, v9, v47
	v_mul_f32_e32 v48, v8, v48
	v_cvt_pk_bf16_f32 v47, v47, s0
	v_cvt_pk_bf16_f32 v48, v48, s0
	v_lshlrev_b32_e32 v49, 16, v71
	v_lshlrev_b32_e32 v50, 16, v70
	;; [unrolled: 1-line block ×4, first 2 shown]
	v_mul_f32_e32 v49, v3, v49
	v_mul_f32_e32 v50, v2, v50
	v_add_f32_e32 v45, v46, v45
	v_lshlrev_b32_e32 v46, 16, v48
	v_lshlrev_b32_e32 v47, 16, v47
	v_cvt_pk_bf16_f32 v49, v49, s0
	v_cvt_pk_bf16_f32 v50, v50, s0
	v_lshlrev_b32_e32 v51, 16, v69
	v_lshlrev_b32_e32 v68, 16, v68
	v_add_f32_e32 v46, v46, v47
	v_mul_f32_e32 v51, v5, v51
	v_mul_f32_e32 v68, v4, v68
	v_add_f32_e32 v45, v46, v45
	v_lshlrev_b32_e32 v46, 16, v50
	v_lshlrev_b32_e32 v47, 16, v49
	v_cvt_pk_bf16_f32 v51, v51, s0
	v_cvt_pk_bf16_f32 v68, v68, s0
	v_add_f32_e32 v46, v46, v47
	v_add_f32_e32 v45, v46, v45
	v_lshlrev_b32_e32 v46, 16, v68
	v_lshlrev_b32_e32 v47, 16, v51
	v_add_f32_e32 v46, v46, v47
	v_add_f32_e32 v45, v46, v45
	v_add_f32_e32 v12, v12, v45
	v_lshlrev_b32_e32 v45, 16, v67
	v_lshlrev_b32_e32 v46, 16, v66
	v_mul_f32_e32 v45, v7, v45
	v_mul_f32_e32 v46, v6, v46
	v_lshlrev_b32_e32 v47, 16, v65
	v_lshlrev_b32_e32 v48, 16, v64
	v_cvt_pk_bf16_f32 v45, v45, s0
	v_cvt_pk_bf16_f32 v46, v46, s0
	v_mul_f32_e32 v47, v9, v47
	v_mul_f32_e32 v48, v8, v48
	v_lshlrev_b32_e32 v36, 16, v36
	v_lshlrev_b32_e32 v35, 16, v35
	;; [unrolled: 1-line block ×4, first 2 shown]
	v_cvt_pk_bf16_f32 v47, v47, s0
	v_cvt_pk_bf16_f32 v48, v48, s0
	v_lshlrev_b32_e32 v49, 16, v63
	v_lshlrev_b32_e32 v50, 16, v62
	;; [unrolled: 1-line block ×4, first 2 shown]
	v_mul_f32_e32 v36, v7, v36
	v_mul_f32_e32 v35, v6, v35
	;; [unrolled: 1-line block ×4, first 2 shown]
	v_lshlrev_b32_e32 v32, 16, v32
	v_lshlrev_b32_e32 v31, 16, v31
	v_mul_f32_e32 v49, v3, v49
	v_mul_f32_e32 v50, v2, v50
	v_add_f32_e32 v45, v46, v45
	v_lshlrev_b32_e32 v46, 16, v48
	v_lshlrev_b32_e32 v47, 16, v47
	v_cvt_pk_bf16_f32 v36, v36, s0
	v_cvt_pk_bf16_f32 v35, v35, s0
	;; [unrolled: 1-line block ×4, first 2 shown]
	v_mul_f32_e32 v32, v3, v32
	v_mul_f32_e32 v31, v2, v31
	v_lshlrev_b32_e32 v30, 16, v30
	v_lshlrev_b32_e32 v10, 16, v10
	v_cvt_pk_bf16_f32 v49, v49, s0
	v_cvt_pk_bf16_f32 v50, v50, s0
	v_lshlrev_b32_e32 v51, 16, v61
	v_lshlrev_b32_e32 v60, 16, v60
	v_add_f32_e32 v46, v46, v47
	v_cvt_pk_bf16_f32 v32, v32, s0
	v_cvt_pk_bf16_f32 v31, v31, s0
	v_mul_f32_e32 v30, v5, v30
	v_mul_f32_e32 v10, v4, v10
	v_lshlrev_b32_e32 v35, 16, v35
	v_lshlrev_b32_e32 v36, 16, v36
	;; [unrolled: 1-line block ×4, first 2 shown]
	v_mul_f32_e32 v51, v5, v51
	v_mul_f32_e32 v60, v4, v60
	v_add_f32_e32 v45, v46, v45
	v_lshlrev_b32_e32 v46, 16, v50
	v_lshlrev_b32_e32 v47, 16, v49
	v_cvt_pk_bf16_f32 v30, v30, s0
	v_cvt_pk_bf16_f32 v10, v10, s0
	v_add_f32_e32 v35, v35, v36
	v_add_f32_e32 v33, v33, v34
	v_lshlrev_b32_e32 v31, 16, v31
	v_lshlrev_b32_e32 v32, 16, v32
	v_cvt_pk_bf16_f32 v51, v51, s0
	v_cvt_pk_bf16_f32 v60, v60, s0
	v_add_f32_e32 v46, v46, v47
	v_add_f32_e32 v33, v33, v35
	;; [unrolled: 1-line block ×3, first 2 shown]
	v_lshlrev_b32_e32 v10, 16, v10
	v_lshlrev_b32_e32 v30, 16, v30
	v_add_f32_e32 v45, v46, v45
	v_lshlrev_b32_e32 v46, 16, v60
	v_lshlrev_b32_e32 v47, 16, v51
	v_add_f32_e32 v31, v31, v33
	v_add_f32_e32 v10, v10, v30
	;; [unrolled: 1-line block ×5, first 2 shown]
	v_lshlrev_b32_e32 v46, 16, v58
	v_lshlrev_b32_e32 v43, 16, v43
	v_add_f32_e32 v16, v16, v10
	v_lshlrev_b32_e32 v10, 16, v81
	v_add_f32_e32 v15, v15, v45
	v_lshlrev_b32_e32 v45, 16, v59
	v_mul_f32_e32 v46, v6, v46
	v_lshlrev_b32_e32 v44, 16, v44
	v_mul_f32_e32 v43, v6, v43
	v_mul_f32_e32 v6, v6, v10
	v_lshlrev_b32_e32 v10, 16, v80
	v_mul_f32_e32 v45, v7, v45
	v_lshlrev_b32_e32 v48, 16, v56
	;; [unrolled: 2-line block ×4, first 2 shown]
	v_lshlrev_b32_e32 v47, 16, v57
	v_mul_f32_e32 v48, v8, v48
	v_lshlrev_b32_e32 v42, 16, v42
	v_mul_f32_e32 v41, v8, v41
	v_mul_f32_e32 v8, v8, v10
	v_lshlrev_b32_e32 v10, 16, v77
	v_mul_f32_e32 v47, v9, v47
	v_lshlrev_b32_e32 v50, 16, v54
	;; [unrolled: 2-line block ×4, first 2 shown]
	v_mul_f32_e32 v50, v2, v50
	v_mul_f32_e32 v39, v2, v39
	v_mul_f32_e32 v2, v2, v10
	v_cvt_pk_bf16_f32 v10, v2, s0
	v_lshlrev_b32_e32 v2, 16, v73
	v_mul_f32_e32 v2, v3, v2
	v_cvt_pk_bf16_f32 v45, v45, s0
	v_cvt_pk_bf16_f32 v46, v46, s0
	;; [unrolled: 1-line block ×3, first 2 shown]
	v_lshlrev_b32_e32 v2, 16, v23
	v_cvt_pk_bf16_f32 v47, v47, s0
	v_cvt_pk_bf16_f32 v48, v48, s0
	v_lshlrev_b32_e32 v49, 16, v55
	v_lshlrev_b32_e32 v46, 16, v46
	;; [unrolled: 1-line block ×3, first 2 shown]
	v_mul_f32_e32 v2, v4, v2
	v_mul_f32_e32 v49, v3, v49
	v_add_f32_e32 v45, v46, v45
	v_lshlrev_b32_e32 v46, 16, v48
	v_lshlrev_b32_e32 v47, 16, v47
	;; [unrolled: 1-line block ×3, first 2 shown]
	v_cvt_pk_bf16_f32 v23, v2, s0
	v_lshlrev_b32_e32 v2, 16, v22
	v_cvt_pk_bf16_f32 v49, v49, s0
	v_cvt_pk_bf16_f32 v50, v50, s0
	v_lshlrev_b32_e32 v51, 16, v53
	v_lshlrev_b32_e32 v52, 16, v52
	v_add_f32_e32 v46, v46, v47
	v_cvt_pk_bf16_f32 v44, v44, s0
	v_cvt_pk_bf16_f32 v43, v43, s0
	;; [unrolled: 1-line block ×4, first 2 shown]
	v_mul_f32_e32 v40, v3, v40
	v_lshlrev_b32_e32 v38, 16, v38
	v_lshlrev_b32_e32 v37, 16, v37
	v_cvt_pk_bf16_f32 v6, v6, s0
	v_cvt_pk_bf16_f32 v7, v7, s0
	;; [unrolled: 1-line block ×4, first 2 shown]
	v_mul_f32_e32 v2, v5, v2
	v_mul_f32_e32 v51, v5, v51
	;; [unrolled: 1-line block ×3, first 2 shown]
	v_add_f32_e32 v45, v46, v45
	v_lshlrev_b32_e32 v46, 16, v50
	v_lshlrev_b32_e32 v47, 16, v49
	v_cvt_pk_bf16_f32 v40, v40, s0
	v_cvt_pk_bf16_f32 v39, v39, s0
	v_mul_f32_e32 v38, v5, v38
	v_mul_f32_e32 v37, v4, v37
	v_lshlrev_b32_e32 v43, 16, v43
	v_lshlrev_b32_e32 v44, 16, v44
	;; [unrolled: 1-line block ×4, first 2 shown]
	v_cvt_pk_bf16_f32 v22, v2, s0
	v_lshlrev_b32_e32 v3, 16, v7
	v_lshlrev_b32_e32 v5, 16, v6
	;; [unrolled: 1-line block ×4, first 2 shown]
	v_cvt_pk_bf16_f32 v51, v51, s0
	v_cvt_pk_bf16_f32 v52, v52, s0
	v_add_f32_e32 v46, v46, v47
	v_cvt_pk_bf16_f32 v38, v38, s0
	v_cvt_pk_bf16_f32 v37, v37, s0
	v_add_f32_e32 v43, v43, v44
	v_add_f32_e32 v41, v41, v42
	v_lshlrev_b32_e32 v39, 16, v39
	v_lshlrev_b32_e32 v40, 16, v40
	v_pk_add_f32 v[2:3], v[4:5], v[2:3]
	v_lshlrev_b32_e32 v5, 16, v30
	v_lshlrev_b32_e32 v7, 16, v10
	;; [unrolled: 1-line block ×4, first 2 shown]
	v_add_f32_e32 v45, v46, v45
	v_lshlrev_b32_e32 v46, 16, v52
	v_lshlrev_b32_e32 v47, 16, v51
	v_add_f32_e32 v41, v41, v43
	v_add_f32_e32 v39, v39, v40
	v_lshlrev_b32_e32 v37, 16, v37
	v_lshlrev_b32_e32 v38, 16, v38
	v_pk_add_f32 v[4:5], v[6:7], v[4:5]
	v_add_f32_e32 v2, v2, v3
	v_add_f32_e32 v46, v46, v47
	;; [unrolled: 1-line block ×5, first 2 shown]
	v_add_u32_e32 v1, 2, v1
	v_add_f32_e32 v45, v46, v45
	v_add_f32_e32 v37, v37, v39
	;; [unrolled: 1-line block ×3, first 2 shown]
	v_cmp_le_i32_e32 vcc, s19, v1
	v_add_f32_e32 v14, v14, v45
	v_add_f32_e32 v17, v17, v37
	;; [unrolled: 1-line block ×3, first 2 shown]
	v_add_u32_e32 v28, 64, v28
	v_add_u32_e32 v29, 0x100, v29
	s_or_b64 s[6:7], vcc, s[6:7]
	v_lshl_add_u64 v[20:21], v[20:21], 0, 8
	s_andn2_b64 exec, exec, s[6:7]
	s_cbranch_execz .LBB321_54
.LBB321_40:                             ; =>This Inner Loop Header: Depth=1
	global_load_dword v2, v[20:21], off
	v_add_u32_e32 v45, -7, v28
	v_cmp_eq_u32_e32 vcc, s11, v1
	v_add_u32_e32 v50, -6, v28
	v_add_u32_e32 v49, -5, v28
	;; [unrolled: 1-line block ×6, first 2 shown]
	s_waitcnt vmcnt(0)
	v_mad_i64_i32 v[22:23], s[0:1], v2, s13, v[18:19]
	global_load_dwordx2 v[30:31], v[22:23], off
	ds_read2_b64 v[6:9], v29 offset1:1
	ds_read2_b64 v[2:5], v29 offset0:2 offset1:3
	s_waitcnt vmcnt(0)
	v_and_b32_e32 v10, 0xff, v30
	v_bfe_u32 v32, v30, 8, 8
	v_bfe_u32 v33, v30, 16, 8
	v_lshrrev_b32_e32 v30, 24, v30
	v_and_b32_e32 v34, 0xff, v31
	v_bfe_u32 v35, v31, 8, 8
	v_bfe_u32 v36, v31, 16, 8
	v_lshrrev_b32_e32 v31, 24, v31
	v_cvt_f32_fp8_e32 v10, v10
	v_cvt_f32_fp8_e32 v32, v32
	;; [unrolled: 1-line block ×8, first 2 shown]
	s_waitcnt lgkmcnt(0)
	v_mul_f32_e32 v10, s10, v10
	v_mul_f32_e32 v32, s10, v32
	v_mul_f32_e32 v33, s10, v33
	v_mul_f32_e32 v30, s10, v30
	v_mul_f32_e32 v37, s10, v34
	v_mul_f32_e32 v38, s10, v35
	v_mul_f32_e32 v39, s10, v36
	v_mul_f32_e32 v40, s10, v31
	v_cvt_pk_bf16_f32 v35, v10, s0
	v_cvt_pk_bf16_f32 v36, v32, s0
	v_cvt_pk_bf16_f32 v33, v33, s0
	v_cvt_pk_bf16_f32 v34, v30, s0
	v_cvt_pk_bf16_f32 v31, v37, s0
	v_cvt_pk_bf16_f32 v32, v38, s0
	v_cvt_pk_bf16_f32 v10, v39, s0
	v_cvt_pk_bf16_f32 v30, v40, s0
	s_and_saveexec_b64 s[8:9], vcc
	s_cbranch_execz .LBB321_42
; %bb.41:                               ;   in Loop: Header=BB321_40 Depth=1
	v_cmp_gt_i32_e64 s[0:1], s17, v45
	s_nop 1
	v_cndmask_b32_e64 v35, 0, v35, s[0:1]
	v_cmp_gt_i32_e64 s[0:1], s17, v50
	s_nop 1
	v_cndmask_b32_e64 v36, 0, v36, s[0:1]
	v_cmp_gt_i32_e64 s[0:1], s17, v49
	s_nop 1
	v_cndmask_b32_e64 v33, 0, v33, s[0:1]
	v_cmp_gt_i32_e64 s[0:1], s17, v48
	s_nop 1
	v_cndmask_b32_e64 v34, 0, v34, s[0:1]
	v_cmp_gt_i32_e64 s[0:1], s17, v47
	s_nop 1
	v_cndmask_b32_e64 v31, 0, v31, s[0:1]
	v_cmp_gt_i32_e64 s[0:1], s17, v46
	s_nop 1
	v_cndmask_b32_e64 v32, 0, v32, s[0:1]
	v_cmp_gt_i32_e64 s[0:1], s17, v51
	s_nop 1
	v_cndmask_b32_e64 v10, 0, v10, s[0:1]
	v_cmp_gt_i32_e64 s[0:1], s17, v28
	s_nop 1
	v_cndmask_b32_e64 v30, 0, v30, s[0:1]
.LBB321_42:                             ;   in Loop: Header=BB321_40 Depth=1
	s_or_b64 exec, exec, s[8:9]
	global_load_dwordx2 v[38:39], v[22:23], off offset:512
	s_waitcnt vmcnt(0)
	v_and_b32_e32 v37, 0xff, v38
	v_bfe_u32 v40, v38, 8, 8
	v_bfe_u32 v41, v38, 16, 8
	v_lshrrev_b32_e32 v38, 24, v38
	v_and_b32_e32 v42, 0xff, v39
	v_bfe_u32 v43, v39, 8, 8
	v_bfe_u32 v44, v39, 16, 8
	v_lshrrev_b32_e32 v39, 24, v39
	v_cvt_f32_fp8_e32 v37, v37
	v_cvt_f32_fp8_e32 v40, v40
	v_cvt_f32_fp8_e32 v41, v41
	v_cvt_f32_fp8_e32 v38, v38
	v_cvt_f32_fp8_e32 v42, v42
	v_cvt_f32_fp8_e32 v43, v43
	v_cvt_f32_fp8_e32 v44, v44
	v_cvt_f32_fp8_e32 v39, v39
	v_mul_f32_e32 v37, s10, v37
	v_mul_f32_e32 v40, s10, v40
	v_mul_f32_e32 v41, s10, v41
	v_mul_f32_e32 v38, s10, v38
	v_mul_f32_e32 v52, s10, v42
	v_mul_f32_e32 v53, s10, v43
	v_mul_f32_e32 v54, s10, v44
	v_mul_f32_e32 v55, s10, v39
	v_cvt_pk_bf16_f32 v43, v37, s0
	v_cvt_pk_bf16_f32 v44, v40, s0
	v_cvt_pk_bf16_f32 v41, v41, s0
	v_cvt_pk_bf16_f32 v42, v38, s0
	v_cvt_pk_bf16_f32 v39, v52, s0
	v_cvt_pk_bf16_f32 v40, v53, s0
	v_cvt_pk_bf16_f32 v37, v54, s0
	v_cvt_pk_bf16_f32 v38, v55, s0
	s_and_saveexec_b64 s[8:9], vcc
	s_cbranch_execz .LBB321_44
; %bb.43:                               ;   in Loop: Header=BB321_40 Depth=1
	v_cmp_gt_i32_e64 s[0:1], s17, v45
	s_nop 1
	v_cndmask_b32_e64 v43, 0, v43, s[0:1]
	v_cmp_gt_i32_e64 s[0:1], s17, v50
	s_nop 1
	v_cndmask_b32_e64 v44, 0, v44, s[0:1]
	v_cmp_gt_i32_e64 s[0:1], s17, v49
	s_nop 1
	v_cndmask_b32_e64 v41, 0, v41, s[0:1]
	v_cmp_gt_i32_e64 s[0:1], s17, v48
	s_nop 1
	v_cndmask_b32_e64 v42, 0, v42, s[0:1]
	v_cmp_gt_i32_e64 s[0:1], s17, v47
	s_nop 1
	v_cndmask_b32_e64 v39, 0, v39, s[0:1]
	v_cmp_gt_i32_e64 s[0:1], s17, v46
	s_nop 1
	v_cndmask_b32_e64 v40, 0, v40, s[0:1]
	v_cmp_gt_i32_e64 s[0:1], s17, v51
	s_nop 1
	v_cndmask_b32_e64 v37, 0, v37, s[0:1]
	v_cmp_gt_i32_e64 s[0:1], s17, v28
	s_nop 1
	v_cndmask_b32_e64 v38, 0, v38, s[0:1]
.LBB321_44:                             ;   in Loop: Header=BB321_40 Depth=1
	s_or_b64 exec, exec, s[8:9]
	global_load_dwordx2 v[52:53], v[22:23], off offset:1024
	s_waitcnt vmcnt(0)
	v_and_b32_e32 v54, 0xff, v52
	v_bfe_u32 v55, v52, 8, 8
	v_bfe_u32 v56, v52, 16, 8
	v_lshrrev_b32_e32 v52, 24, v52
	v_and_b32_e32 v57, 0xff, v53
	v_bfe_u32 v58, v53, 8, 8
	v_bfe_u32 v59, v53, 16, 8
	v_lshrrev_b32_e32 v53, 24, v53
	v_cvt_f32_fp8_e32 v54, v54
	v_cvt_f32_fp8_e32 v55, v55
	v_cvt_f32_fp8_e32 v56, v56
	v_cvt_f32_fp8_e32 v52, v52
	v_cvt_f32_fp8_e32 v57, v57
	v_cvt_f32_fp8_e32 v58, v58
	v_cvt_f32_fp8_e32 v59, v59
	v_cvt_f32_fp8_e32 v53, v53
	;; [unrolled: 63-line block ×6, first 2 shown]
	v_mul_f32_e32 v73, s10, v73
	v_mul_f32_e32 v74, s10, v74
	;; [unrolled: 1-line block ×8, first 2 shown]
	v_cvt_pk_bf16_f32 v81, v73, s0
	v_cvt_pk_bf16_f32 v80, v74, s0
	;; [unrolled: 1-line block ×8, first 2 shown]
	s_and_saveexec_b64 s[0:1], vcc
	s_cbranch_execz .LBB321_39
; %bb.53:                               ;   in Loop: Header=BB321_40 Depth=1
	v_cmp_gt_i32_e32 vcc, s17, v45
	s_nop 1
	v_cndmask_b32_e32 v81, 0, v81, vcc
	v_cmp_gt_i32_e32 vcc, s17, v50
	s_nop 1
	v_cndmask_b32_e32 v80, 0, v80, vcc
	;; [unrolled: 3-line block ×8, first 2 shown]
	s_branch .LBB321_39
.LBB321_54:
	s_or_b64 exec, exec, s[6:7]
.LBB321_55:
	s_or_b64 exec, exec, s[2:3]
	ds_bpermute_b32 v2, v25, v16
	ds_bpermute_b32 v3, v25, v17
	;; [unrolled: 1-line block ×6, first 2 shown]
	s_waitcnt lgkmcnt(4)
	v_pk_add_f32 v[2:3], v[16:17], v[2:3]
	ds_bpermute_b32 v8, v26, v2
	ds_bpermute_b32 v9, v26, v3
	;; [unrolled: 1-line block ×3, first 2 shown]
	s_waitcnt lgkmcnt(5)
	v_pk_add_f32 v[4:5], v[14:15], v[4:5]
	s_waitcnt lgkmcnt(3)
	v_pk_add_f32 v[12:13], v[12:13], v[6:7]
	ds_bpermute_b32 v14, v26, v4
	ds_bpermute_b32 v15, v26, v5
	;; [unrolled: 1-line block ×4, first 2 shown]
	s_waitcnt lgkmcnt(5)
	v_pk_add_f32 v[6:7], v[2:3], v[8:9]
	s_waitcnt lgkmcnt(4)
	v_add_f32_e32 v8, v11, v1
	ds_bpermute_b32 v9, v26, v8
	v_and_b32_e32 v1, 0x3c3, v0
	s_waitcnt lgkmcnt(3)
	v_pk_add_f32 v[4:5], v[4:5], v[14:15]
	s_waitcnt lgkmcnt(1)
	v_pk_add_f32 v[2:3], v[12:13], v[16:17]
	v_cmp_ne_u32_e32 vcc, 64, v1
	s_waitcnt lgkmcnt(0)
	s_barrier
	s_and_saveexec_b64 s[0:1], vcc
	s_xor_b64 s[0:1], exec, s[0:1]
; %bb.56:
                                        ; implicit-def: $vgpr24
; %bb.57:
	s_or_saveexec_b64 s[0:1], s[0:1]
	v_add_f32_e32 v8, v8, v9
	s_xor_b64 exec, exec, s[0:1]
	s_cbranch_execz .LBB321_59
; %bb.58:
	v_add_u32_e32 v9, 0xf0, v24
	ds_write2_b32 v9, v6, v7 offset1:16
	ds_write2_b32 v9, v4, v5 offset0:32 offset1:48
	ds_write2_b32 v9, v2, v3 offset0:64 offset1:80
	ds_write_b32 v9, v8 offset:384
.LBB321_59:
	s_or_b64 exec, exec, s[0:1]
	v_cmp_gt_u32_e32 vcc, 64, v0
	v_lshrrev_b32_e32 v0, 2, v0
	s_waitcnt lgkmcnt(0)
	s_barrier
	s_and_saveexec_b64 s[0:1], vcc
	s_cbranch_execz .LBB321_69
; %bb.60:
	v_mov_b32_e32 v9, 0xf0
	v_cmp_eq_u32_e32 vcc, 0, v27
	v_lshl_add_u32 v9, v0, 2, v9
	s_and_saveexec_b64 s[2:3], vcc
	s_cbranch_execnz .LBB321_72
; %bb.61:
	s_or_b64 exec, exec, s[2:3]
	s_and_saveexec_b64 s[2:3], vcc
	s_cbranch_execnz .LBB321_73
.LBB321_62:
	s_or_b64 exec, exec, s[2:3]
	s_and_saveexec_b64 s[2:3], vcc
	s_cbranch_execnz .LBB321_74
.LBB321_63:
	s_or_b64 exec, exec, s[2:3]
	s_and_saveexec_b64 s[2:3], vcc
	s_cbranch_execnz .LBB321_75
.LBB321_64:
	s_or_b64 exec, exec, s[2:3]
	s_and_saveexec_b64 s[2:3], vcc
	s_cbranch_execnz .LBB321_76
.LBB321_65:
	s_or_b64 exec, exec, s[2:3]
	s_and_saveexec_b64 s[2:3], vcc
	s_cbranch_execnz .LBB321_77
.LBB321_66:
	s_or_b64 exec, exec, s[2:3]
	s_and_saveexec_b64 s[2:3], vcc
	s_cbranch_execz .LBB321_68
.LBB321_67:
	ds_read_b32 v9, v9 offset:384
	s_waitcnt lgkmcnt(0)
	v_add_f32_e32 v8, v8, v9
.LBB321_68:
	s_or_b64 exec, exec, s[2:3]
.LBB321_69:
	s_or_b64 exec, exec, s[0:1]
	v_cmp_eq_u32_e32 vcc, 0, v1
	s_barrier
	s_and_saveexec_b64 s[0:1], vcc
	s_cbranch_execz .LBB321_71
; %bb.70:
	s_mul_i32 s0, s16, s12
	s_mul_i32 s0, s0, s5
	s_mulk_i32 s0, 0x70
	s_ashr_i32 s1, s0, 31
	s_lshl_b64 s[0:1], s[0:1], 1
	s_add_u32 s2, s20, s0
	s_mul_i32 s0, s12, s18
	s_addc_u32 s3, s21, s1
	s_ashr_i32 s1, s0, 31
	s_lshl_b64 s[0:1], s[0:1], 1
	s_add_u32 s2, s2, s0
	s_mul_i32 s0, s4, 0x70
	s_addc_u32 s3, s3, s1
	s_ashr_i32 s1, s0, 31
	s_lshl_b64 s[0:1], s[0:1], 1
	s_add_u32 s0, s2, s0
	s_addc_u32 s1, s3, s1
	v_lshlrev_b32_e32 v0, 1, v0
	v_cvt_pk_bf16_f32 v1, v6, s0
	global_store_short v0, v1, s[0:1]
	v_cvt_pk_bf16_f32 v1, v7, s0
	global_store_short v0, v1, s[0:1] offset:32
	v_cvt_pk_bf16_f32 v1, v4, s0
	global_store_short v0, v1, s[0:1] offset:64
	;; [unrolled: 2-line block ×6, first 2 shown]
.LBB321_71:
	s_endpgm
.LBB321_72:
	ds_read_b32 v10, v9
	s_waitcnt lgkmcnt(0)
	v_add_f32_e32 v6, v6, v10
	s_or_b64 exec, exec, s[2:3]
	s_and_saveexec_b64 s[2:3], vcc
	s_cbranch_execz .LBB321_62
.LBB321_73:
	ds_read_b32 v10, v9 offset:64
	s_waitcnt lgkmcnt(0)
	v_add_f32_e32 v7, v7, v10
	s_or_b64 exec, exec, s[2:3]
	s_and_saveexec_b64 s[2:3], vcc
	s_cbranch_execz .LBB321_63
.LBB321_74:
	ds_read_b32 v10, v9 offset:128
	s_waitcnt lgkmcnt(0)
	v_add_f32_e32 v4, v4, v10
	s_or_b64 exec, exec, s[2:3]
	s_and_saveexec_b64 s[2:3], vcc
	s_cbranch_execz .LBB321_64
.LBB321_75:
	ds_read_b32 v10, v9 offset:192
	s_waitcnt lgkmcnt(0)
	v_add_f32_e32 v5, v5, v10
	s_or_b64 exec, exec, s[2:3]
	s_and_saveexec_b64 s[2:3], vcc
	s_cbranch_execz .LBB321_65
.LBB321_76:
	ds_read_b32 v10, v9 offset:256
	s_waitcnt lgkmcnt(0)
	v_add_f32_e32 v2, v2, v10
	s_or_b64 exec, exec, s[2:3]
	s_and_saveexec_b64 s[2:3], vcc
	s_cbranch_execz .LBB321_66
.LBB321_77:
	ds_read_b32 v10, v9 offset:320
	s_waitcnt lgkmcnt(0)
	v_add_f32_e32 v3, v3, v10
	s_or_b64 exec, exec, s[2:3]
	s_and_saveexec_b64 s[2:3], vcc
	s_cbranch_execnz .LBB321_67
	s_branch .LBB321_68
	.section	.rodata,"a",@progbits
	.p2align	6, 0x0
	.amdhsa_kernel _ZN4vllm25paged_attention_v1_kernelI14__hip_bfloat16hLi112ELi32ELi128ELNS_18Fp8KVCacheDataTypeE1ELb0EEEvPT_PKS3_PKT0_S9_ifPKiSB_iPKfiiiSD_SD_iiiii
		.amdhsa_group_segment_fixed_size 240
		.amdhsa_private_segment_fixed_size 0
		.amdhsa_kernarg_size 384
		.amdhsa_user_sgpr_count 2
		.amdhsa_user_sgpr_dispatch_ptr 0
		.amdhsa_user_sgpr_queue_ptr 0
		.amdhsa_user_sgpr_kernarg_segment_ptr 1
		.amdhsa_user_sgpr_dispatch_id 0
		.amdhsa_user_sgpr_kernarg_preload_length 0
		.amdhsa_user_sgpr_kernarg_preload_offset 0
		.amdhsa_user_sgpr_private_segment_size 0
		.amdhsa_uses_dynamic_stack 0
		.amdhsa_enable_private_segment 0
		.amdhsa_system_sgpr_workgroup_id_x 1
		.amdhsa_system_sgpr_workgroup_id_y 1
		.amdhsa_system_sgpr_workgroup_id_z 1
		.amdhsa_system_sgpr_workgroup_info 0
		.amdhsa_system_vgpr_workitem_id 0
		.amdhsa_next_free_vgpr 105
		.amdhsa_next_free_sgpr 37
		.amdhsa_accum_offset 108
		.amdhsa_reserve_vcc 1
		.amdhsa_float_round_mode_32 0
		.amdhsa_float_round_mode_16_64 0
		.amdhsa_float_denorm_mode_32 3
		.amdhsa_float_denorm_mode_16_64 3
		.amdhsa_dx10_clamp 1
		.amdhsa_ieee_mode 1
		.amdhsa_fp16_overflow 0
		.amdhsa_tg_split 0
		.amdhsa_exception_fp_ieee_invalid_op 0
		.amdhsa_exception_fp_denorm_src 0
		.amdhsa_exception_fp_ieee_div_zero 0
		.amdhsa_exception_fp_ieee_overflow 0
		.amdhsa_exception_fp_ieee_underflow 0
		.amdhsa_exception_fp_ieee_inexact 0
		.amdhsa_exception_int_div_zero 0
	.end_amdhsa_kernel
	.section	.text._ZN4vllm25paged_attention_v1_kernelI14__hip_bfloat16hLi112ELi32ELi128ELNS_18Fp8KVCacheDataTypeE1ELb0EEEvPT_PKS3_PKT0_S9_ifPKiSB_iPKfiiiSD_SD_iiiii,"axG",@progbits,_ZN4vllm25paged_attention_v1_kernelI14__hip_bfloat16hLi112ELi32ELi128ELNS_18Fp8KVCacheDataTypeE1ELb0EEEvPT_PKS3_PKT0_S9_ifPKiSB_iPKfiiiSD_SD_iiiii,comdat
.Lfunc_end321:
	.size	_ZN4vllm25paged_attention_v1_kernelI14__hip_bfloat16hLi112ELi32ELi128ELNS_18Fp8KVCacheDataTypeE1ELb0EEEvPT_PKS3_PKT0_S9_ifPKiSB_iPKfiiiSD_SD_iiiii, .Lfunc_end321-_ZN4vllm25paged_attention_v1_kernelI14__hip_bfloat16hLi112ELi32ELi128ELNS_18Fp8KVCacheDataTypeE1ELb0EEEvPT_PKS3_PKT0_S9_ifPKiSB_iPKfiiiSD_SD_iiiii
                                        ; -- End function
	.set _ZN4vllm25paged_attention_v1_kernelI14__hip_bfloat16hLi112ELi32ELi128ELNS_18Fp8KVCacheDataTypeE1ELb0EEEvPT_PKS3_PKT0_S9_ifPKiSB_iPKfiiiSD_SD_iiiii.num_vgpr, 105
	.set _ZN4vllm25paged_attention_v1_kernelI14__hip_bfloat16hLi112ELi32ELi128ELNS_18Fp8KVCacheDataTypeE1ELb0EEEvPT_PKS3_PKT0_S9_ifPKiSB_iPKfiiiSD_SD_iiiii.num_agpr, 0
	.set _ZN4vllm25paged_attention_v1_kernelI14__hip_bfloat16hLi112ELi32ELi128ELNS_18Fp8KVCacheDataTypeE1ELb0EEEvPT_PKS3_PKT0_S9_ifPKiSB_iPKfiiiSD_SD_iiiii.numbered_sgpr, 37
	.set _ZN4vllm25paged_attention_v1_kernelI14__hip_bfloat16hLi112ELi32ELi128ELNS_18Fp8KVCacheDataTypeE1ELb0EEEvPT_PKS3_PKT0_S9_ifPKiSB_iPKfiiiSD_SD_iiiii.num_named_barrier, 0
	.set _ZN4vllm25paged_attention_v1_kernelI14__hip_bfloat16hLi112ELi32ELi128ELNS_18Fp8KVCacheDataTypeE1ELb0EEEvPT_PKS3_PKT0_S9_ifPKiSB_iPKfiiiSD_SD_iiiii.private_seg_size, 0
	.set _ZN4vllm25paged_attention_v1_kernelI14__hip_bfloat16hLi112ELi32ELi128ELNS_18Fp8KVCacheDataTypeE1ELb0EEEvPT_PKS3_PKT0_S9_ifPKiSB_iPKfiiiSD_SD_iiiii.uses_vcc, 1
	.set _ZN4vllm25paged_attention_v1_kernelI14__hip_bfloat16hLi112ELi32ELi128ELNS_18Fp8KVCacheDataTypeE1ELb0EEEvPT_PKS3_PKT0_S9_ifPKiSB_iPKfiiiSD_SD_iiiii.uses_flat_scratch, 0
	.set _ZN4vllm25paged_attention_v1_kernelI14__hip_bfloat16hLi112ELi32ELi128ELNS_18Fp8KVCacheDataTypeE1ELb0EEEvPT_PKS3_PKT0_S9_ifPKiSB_iPKfiiiSD_SD_iiiii.has_dyn_sized_stack, 0
	.set _ZN4vllm25paged_attention_v1_kernelI14__hip_bfloat16hLi112ELi32ELi128ELNS_18Fp8KVCacheDataTypeE1ELb0EEEvPT_PKS3_PKT0_S9_ifPKiSB_iPKfiiiSD_SD_iiiii.has_recursion, 0
	.set _ZN4vllm25paged_attention_v1_kernelI14__hip_bfloat16hLi112ELi32ELi128ELNS_18Fp8KVCacheDataTypeE1ELb0EEEvPT_PKS3_PKT0_S9_ifPKiSB_iPKfiiiSD_SD_iiiii.has_indirect_call, 0
	.section	.AMDGPU.csdata,"",@progbits
; Kernel info:
; codeLenInByte = 9720
; TotalNumSgprs: 43
; NumVgprs: 105
; NumAgprs: 0
; TotalNumVgprs: 105
; ScratchSize: 0
; MemoryBound: 0
; FloatMode: 240
; IeeeMode: 1
; LDSByteSize: 240 bytes/workgroup (compile time only)
; SGPRBlocks: 5
; VGPRBlocks: 13
; NumSGPRsForWavesPerEU: 43
; NumVGPRsForWavesPerEU: 105
; AccumOffset: 108
; Occupancy: 4
; WaveLimiterHint : 1
; COMPUTE_PGM_RSRC2:SCRATCH_EN: 0
; COMPUTE_PGM_RSRC2:USER_SGPR: 2
; COMPUTE_PGM_RSRC2:TRAP_HANDLER: 0
; COMPUTE_PGM_RSRC2:TGID_X_EN: 1
; COMPUTE_PGM_RSRC2:TGID_Y_EN: 1
; COMPUTE_PGM_RSRC2:TGID_Z_EN: 1
; COMPUTE_PGM_RSRC2:TIDIG_COMP_CNT: 0
; COMPUTE_PGM_RSRC3_GFX90A:ACCUM_OFFSET: 26
; COMPUTE_PGM_RSRC3_GFX90A:TG_SPLIT: 0
	.section	.text._ZN4vllm25paged_attention_v1_kernelI14__hip_bfloat16hLi120ELi32ELi128ELNS_18Fp8KVCacheDataTypeE1ELb0EEEvPT_PKS3_PKT0_S9_ifPKiSB_iPKfiiiSD_SD_iiiii,"axG",@progbits,_ZN4vllm25paged_attention_v1_kernelI14__hip_bfloat16hLi120ELi32ELi128ELNS_18Fp8KVCacheDataTypeE1ELb0EEEvPT_PKS3_PKT0_S9_ifPKiSB_iPKfiiiSD_SD_iiiii,comdat
	.protected	_ZN4vllm25paged_attention_v1_kernelI14__hip_bfloat16hLi120ELi32ELi128ELNS_18Fp8KVCacheDataTypeE1ELb0EEEvPT_PKS3_PKT0_S9_ifPKiSB_iPKfiiiSD_SD_iiiii ; -- Begin function _ZN4vllm25paged_attention_v1_kernelI14__hip_bfloat16hLi120ELi32ELi128ELNS_18Fp8KVCacheDataTypeE1ELb0EEEvPT_PKS3_PKT0_S9_ifPKiSB_iPKfiiiSD_SD_iiiii
	.globl	_ZN4vllm25paged_attention_v1_kernelI14__hip_bfloat16hLi120ELi32ELi128ELNS_18Fp8KVCacheDataTypeE1ELb0EEEvPT_PKS3_PKT0_S9_ifPKiSB_iPKfiiiSD_SD_iiiii
	.p2align	8
	.type	_ZN4vllm25paged_attention_v1_kernelI14__hip_bfloat16hLi120ELi32ELi128ELNS_18Fp8KVCacheDataTypeE1ELb0EEEvPT_PKS3_PKT0_S9_ifPKiSB_iPKfiiiSD_SD_iiiii,@function
_ZN4vllm25paged_attention_v1_kernelI14__hip_bfloat16hLi120ELi32ELi128ELNS_18Fp8KVCacheDataTypeE1ELb0EEEvPT_PKS3_PKT0_S9_ifPKiSB_iPKfiiiSD_SD_iiiii: ; @_ZN4vllm25paged_attention_v1_kernelI14__hip_bfloat16hLi120ELi32ELi128ELNS_18Fp8KVCacheDataTypeE1ELb0EEEvPT_PKS3_PKT0_S9_ifPKiSB_iPKfiiiSD_SD_iiiii
; %bb.0:
	s_load_dword s5, s[0:1], 0x80
	s_load_dwordx2 s[6:7], s[0:1], 0x30
	s_load_dwordx2 s[28:29], s[0:1], 0x20
	s_mov_b32 s16, s3
	s_ashr_i32 s17, s3, 31
	s_lshl_b64 s[8:9], s[16:17], 2
	s_waitcnt lgkmcnt(0)
	s_add_u32 s6, s6, s8
	s_addc_u32 s7, s7, s9
	s_abs_i32 s3, s28
	v_cvt_f32_u32_e32 v1, s3
	s_sub_i32 s10, 0, s3
	s_abs_i32 s9, s5
	s_xor_b32 s8, s5, s28
	v_rcp_iflag_f32_e32 v1, v1
	s_ashr_i32 s8, s8, 31
	s_mov_b32 s28, 0
	v_mul_f32_e32 v1, 0x4f7ffffe, v1
	v_cvt_u32_f32_e32 v1, v1
	s_nop 0
	v_readfirstlane_b32 s11, v1
	s_mul_i32 s10, s10, s11
	s_mul_hi_u32 s10, s11, s10
	s_add_i32 s11, s11, s10
	s_mul_hi_u32 s10, s9, s11
	s_mul_i32 s11, s10, s3
	s_sub_i32 s9, s9, s11
	s_add_i32 s11, s10, 1
	s_sub_i32 s12, s9, s3
	s_cmp_ge_u32 s9, s3
	s_cselect_b32 s10, s11, s10
	s_cselect_b32 s9, s12, s9
	s_add_i32 s11, s10, 1
	s_cmp_ge_u32 s9, s3
	s_cselect_b32 s3, s11, s10
	s_xor_b32 s3, s3, s8
	s_sub_i32 s12, s3, s8
	s_abs_i32 s10, s12
	v_cvt_f32_u32_e32 v1, s10
	s_load_dwordx2 s[8:9], s[0:1], 0x40
	s_sub_i32 s3, 0, s10
	s_abs_i32 s11, s2
	v_rcp_iflag_f32_e32 v1, v1
	s_nop 0
	v_mul_f32_e32 v1, 0x4f7ffffe, v1
	v_cvt_u32_f32_e32 v1, v1
	s_nop 0
	v_readfirstlane_b32 s13, v1
	s_mul_i32 s3, s3, s13
	s_mul_hi_u32 s3, s13, s3
	s_add_i32 s13, s13, s3
	s_waitcnt lgkmcnt(0)
	s_cmp_eq_u64 s[8:9], 0
	s_mul_hi_u32 s20, s11, s13
	s_cbranch_scc1 .LBB322_2
; %bb.1:
	s_ashr_i32 s3, s2, 31
	s_lshl_b64 s[14:15], s[2:3], 2
	s_add_u32 s8, s8, s14
	s_addc_u32 s9, s9, s15
	s_load_dword s28, s[8:9], 0x0
.LBB322_2:
	s_load_dword s17, s[6:7], 0x0
	s_ashr_i32 s7, s12, 31
	s_load_dwordx4 s[12:15], s[0:1], 0x48
	s_ashr_i32 s6, s2, 31
	v_and_b32_e32 v2, 1, v0
	s_movk_i32 s8, 0x78
	s_mul_i32 s18, s2, 0x78
	v_cmp_gt_u32_e32 vcc, 30, v0
	v_lshlrev_b32_e32 v8, 3, v0
	s_and_saveexec_b64 s[2:3], vcc
	s_cbranch_execz .LBB322_4
; %bb.3:
	s_load_dwordx2 s[22:23], s[0:1], 0x8
	s_waitcnt lgkmcnt(0)
	s_mul_i32 s24, s12, s16
	s_ashr_i32 s25, s24, 31
	s_lshl_b64 s[24:25], s[24:25], 1
	v_lshlrev_b32_e32 v1, 2, v0
	s_add_u32 s9, s22, s24
	s_addc_u32 s12, s23, s25
	s_ashr_i32 s19, s18, 31
	s_lshl_b64 s[22:23], s[18:19], 1
	s_add_u32 s22, s9, s22
	s_addc_u32 s23, s12, s23
	global_load_dwordx2 v[4:5], v8, s[22:23]
	v_and_b32_e32 v1, 0xff8, v1
	v_mad_u32_u24 v1, v2, s8, v1
	s_waitcnt vmcnt(0)
	ds_write_b64 v1, v[4:5]
.LBB322_4:
	s_or_b64 exec, exec, s[2:3]
	s_waitcnt lgkmcnt(0)
	s_add_i32 s3, s17, 31
	s_ashr_i32 s8, s3, 31
	s_lshr_b32 s8, s8, 27
	s_add_i32 s3, s3, s8
	s_ashr_i32 s19, s3, 5
	s_xor_b32 s3, s6, s7
	s_mul_i32 s6, s20, s10
	s_sub_i32 s6, s11, s6
	s_add_i32 s7, s20, 1
	s_sub_i32 s8, s6, s10
	s_load_dwordx2 s[22:23], s[0:1], 0x28
	s_load_dword s2, s[0:1], 0x38
	s_cmp_ge_u32 s6, s10
	s_cselect_b32 s7, s7, s20
	s_cselect_b32 s6, s8, s6
	s_add_i32 s8, s7, 1
	s_cmp_ge_u32 s6, s10
	s_cselect_b32 s6, s8, s7
	v_lshrrev_b32_e32 v1, 6, v0
	s_xor_b32 s6, s6, s3
	s_waitcnt lgkmcnt(0)
	s_mul_i32 s24, s2, s16
	s_sub_i32 s33, s6, s3
	s_ashr_i32 s25, s24, 31
	v_cmp_le_i32_e64 s[6:7], s19, v1
	v_mbcnt_lo_u32_b32 v3, -1, 0
	s_barrier
                                        ; implicit-def: $vgpr10
                                        ; implicit-def: $vgpr11
                                        ; implicit-def: $vgpr12
	s_and_saveexec_b64 s[2:3], s[6:7]
	s_xor_b64 s[2:3], exec, s[2:3]
; %bb.5:
	v_mbcnt_hi_u32_b32 v10, -1, v3
	v_and_b32_e32 v11, 64, v10
	v_add_u32_e32 v12, 64, v11
                                        ; implicit-def: $vgpr2
                                        ; implicit-def: $vgpr3
; %bb.6:
	s_or_saveexec_b64 s[30:31], s[2:3]
	s_load_dwordx2 s[20:21], s[0:1], 0x0
	s_load_dwordx2 s[26:27], s[0:1], 0x18
	s_load_dword s12, s[0:1], 0x88
	s_load_dwordx4 s[8:11], s[0:1], 0x58
	v_mov_b32_e32 v69, 0xff7fffff
	s_mul_i32 s33, s33, s14
	v_lshrrev_b32_e32 v9, 4, v0
	s_xor_b64 exec, exec, s[30:31]
	s_cbranch_execz .LBB322_12
; %bb.7:
	v_mul_u32_u24_e32 v10, 0x78, v2
	ds_read2_b64 v[4:7], v10 offset1:1
	ds_read2_b64 v[26:29], v10 offset0:2 offset1:3
	s_load_dwordx2 s[0:1], s[0:1], 0x10
	s_ashr_i32 s2, s33, 31
	v_bfe_u32 v69, v0, 1, 5
	s_waitcnt lgkmcnt(0)
	v_lshlrev_b32_e32 v13, 16, v4
	v_and_b32_e32 v14, 0xffff0000, v4
	v_lshlrev_b32_e32 v15, 16, v5
	v_and_b32_e32 v16, 0xffff0000, v5
	;; [unrolled: 2-line block ×4, first 2 shown]
	ds_read2_b64 v[4:7], v10 offset0:4 offset1:5
	ds_read2_b64 v[42:45], v10 offset0:6 offset1:7
	v_lshlrev_b32_e32 v21, 16, v26
	v_and_b32_e32 v22, 0xffff0000, v26
	v_lshlrev_b32_e32 v23, 16, v27
	v_and_b32_e32 v24, 0xffff0000, v27
	;; [unrolled: 2-line block ×4, first 2 shown]
	s_waitcnt lgkmcnt(1)
	v_lshlrev_b32_e32 v29, 16, v4
	v_and_b32_e32 v30, 0xffff0000, v4
	v_lshlrev_b32_e32 v31, 16, v5
	v_and_b32_e32 v32, 0xffff0000, v5
	;; [unrolled: 2-line block ×4, first 2 shown]
	ds_read2_b64 v[4:7], v10 offset0:8 offset1:9
	ds_read2_b64 v[58:61], v10 offset0:10 offset1:11
	s_waitcnt lgkmcnt(2)
	v_lshlrev_b32_e32 v37, 16, v42
	v_and_b32_e32 v38, 0xffff0000, v42
	v_lshlrev_b32_e32 v39, 16, v43
	v_and_b32_e32 v40, 0xffff0000, v43
	;; [unrolled: 2-line block ×4, first 2 shown]
	s_waitcnt lgkmcnt(1)
	v_lshlrev_b32_e32 v45, 16, v4
	v_and_b32_e32 v46, 0xffff0000, v4
	v_lshlrev_b32_e32 v47, 16, v5
	v_and_b32_e32 v48, 0xffff0000, v5
	;; [unrolled: 2-line block ×4, first 2 shown]
	ds_read2_b64 v[4:7], v10 offset0:12 offset1:13
	ds_read_b64 v[10:11], v10 offset:112
	s_add_u32 s0, s0, s33
	s_waitcnt lgkmcnt(2)
	v_lshlrev_b32_e32 v53, 16, v58
	v_and_b32_e32 v54, 0xffff0000, v58
	v_lshlrev_b32_e32 v55, 16, v59
	s_waitcnt lgkmcnt(0)
	v_lshlrev_b32_e32 v70, 16, v10
	v_and_b32_e32 v71, 0xffff0000, v10
	v_mbcnt_hi_u32_b32 v10, -1, v3
	v_and_b32_e32 v56, 0xffff0000, v59
	v_lshlrev_b32_e32 v57, 16, v60
	v_and_b32_e32 v58, 0xffff0000, v60
	v_lshlrev_b32_e32 v59, 16, v61
	;; [unrolled: 2-line block ×4, first 2 shown]
	v_and_b32_e32 v64, 0xffff0000, v5
	s_addc_u32 s1, s1, s2
	v_lshlrev_b32_e32 v4, 4, v69
	v_mov_b32_e32 v5, 0
	v_lshlrev_b32_e32 v72, 16, v11
	v_and_b32_e32 v73, 0xffff0000, v11
	v_and_b32_e32 v11, 64, v10
	v_lshlrev_b32_e32 v65, 16, v6
	v_and_b32_e32 v66, 0xffff0000, v6
	v_lshlrev_b32_e32 v67, 16, v7
	v_and_b32_e32 v68, 0xffff0000, v7
	v_lshl_add_u64 v[6:7], s[0:1], 0, v[4:5]
	v_lshlrev_b32_e32 v4, 2, v2
	v_cmp_eq_u32_e32 vcc, 0, v2
	v_xor_b32_e32 v2, 1, v10
	v_add_u32_e32 v12, 64, v11
	v_cmp_lt_i32_e64 s[0:1], v2, v12
	s_load_dword s35, s[8:9], 0x0
	s_sub_i32 s36, 1, s17
	v_cndmask_b32_e64 v2, v10, v2, s[0:1]
	v_lshlrev_b32_e32 v74, 2, v2
	v_lshl_add_u64 v[2:3], v[6:7], 0, v[4:5]
	v_lshlrev_b32_e32 v4, 2, v69
	s_lshl_b64 s[0:1], s[24:25], 2
	v_lshl_or_b32 v4, v1, 7, v4
	s_add_u32 s0, s22, s0
	v_add_u32_e32 v76, 0x100, v4
	v_and_b32_e32 v4, 60, v9
	s_addc_u32 s1, s23, s1
	s_mov_b32 s34, s13
	v_cmp_neq_f32_e64 s[2:3], s28, 0
	v_lshl_or_b32 v75, v1, 5, v69
	v_lshl_add_u64 v[4:5], s[0:1], 0, v[4:5]
	s_mov_b64 s[8:9], 0
	v_mov_b32_e32 v69, 0xff7fffff
	v_mov_b32_e32 v77, v1
	s_branch .LBB322_9
.LBB322_8:                              ;   in Loop: Header=BB322_9 Depth=1
	s_or_b64 exec, exec, s[14:15]
	v_add_u32_e32 v77, 2, v77
	v_cmp_le_i32_e64 s[0:1], s19, v77
	v_add_u32_e32 v75, 64, v75
	v_add_u32_e32 v76, 0x100, v76
	s_or_b64 s[8:9], s[0:1], s[8:9]
	v_lshl_add_u64 v[4:5], v[4:5], 0, 8
	s_andn2_b64 exec, exec, s[8:9]
	s_cbranch_execz .LBB322_11
.LBB322_9:                              ; =>This Inner Loop Header: Depth=1
	global_load_dword v6, v[4:5], off
	s_waitcnt vmcnt(0) lgkmcnt(0)
	v_mad_i64_i32 v[6:7], s[0:1], v6, s34, v[2:3]
	global_load_dword v90, v[6:7], off
	global_load_dword v91, v[6:7], off offset:8
	global_load_dword v82, v[6:7], off offset:512
	;; [unrolled: 1-line block ×13, first 2 shown]
	s_nop 0
	global_load_dword v6, v[6:7], off offset:3584
	s_waitcnt vmcnt(14)
	v_and_b32_e32 v7, 0xff, v90
	s_waitcnt vmcnt(13)
	v_and_b32_e32 v92, 0xff, v91
	;; [unrolled: 2-line block ×3, first 2 shown]
	v_bfe_u32 v98, v82, 8, 8
	v_bfe_u32 v99, v82, 16, 8
	v_lshrrev_b32_e32 v100, 24, v82
	v_cvt_f32_fp8_e32 v7, v7
	v_cvt_f32_fp8_e32 v82, v92
	s_waitcnt vmcnt(11)
	v_and_b32_e32 v101, 0xff, v81
	v_bfe_u32 v102, v81, 8, 8
	v_bfe_u32 v92, v81, 16, 8
	v_lshrrev_b32_e32 v103, 24, v81
	s_waitcnt lgkmcnt(0)
	v_mul_f32_e32 v7, s35, v7
	v_mul_f32_e32 v81, s35, v82
	v_cvt_pk_bf16_f32 v7, v7, s0
	v_cvt_pk_bf16_f32 v81, v81, s0
	v_lshlrev_b32_e32 v82, 16, v7
	v_lshlrev_b32_e32 v7, 16, v81
	v_bfe_u32 v93, v90, 8, 8
	v_bfe_u32 v94, v91, 8, 8
	v_mul_f32_e32 v7, v17, v7
	v_fmac_f32_e32 v7, v13, v82
	v_cvt_f32_fp8_e32 v81, v93
	v_cvt_f32_fp8_e32 v82, v94
	v_bfe_u32 v95, v90, 16, 8
	v_bfe_u32 v96, v91, 16, 8
	v_cvt_f32_fp8_e32 v93, v95
	v_cvt_f32_fp8_e32 v94, v96
	v_mul_f32_e32 v81, s35, v81
	v_mul_f32_e32 v82, s35, v82
	v_lshrrev_b32_e32 v90, 24, v90
	v_lshrrev_b32_e32 v91, 24, v91
	v_cvt_pk_bf16_f32 v81, v81, s0
	v_cvt_pk_bf16_f32 v82, v82, s0
	v_lshlrev_b32_e32 v95, 16, v81
	v_lshlrev_b32_e32 v81, 16, v82
	v_mul_f32_e32 v82, s35, v93
	v_mul_f32_e32 v93, s35, v94
	v_cvt_f32_fp8_e32 v90, v90
	v_cvt_f32_fp8_e32 v91, v91
	v_cvt_pk_bf16_f32 v82, v82, s0
	v_cvt_pk_bf16_f32 v93, v93, s0
	v_lshlrev_b32_e32 v94, 16, v82
	v_lshlrev_b32_e32 v82, 16, v93
	v_mul_f32_e32 v81, v18, v81
	v_mul_f32_e32 v82, v19, v82
	s_waitcnt vmcnt(10)
	v_and_b32_e32 v104, 0xff, v84
	v_fmac_f32_e32 v81, v14, v95
	v_bfe_u32 v95, v84, 8, 8
	v_fmac_f32_e32 v82, v15, v94
	v_bfe_u32 v93, v84, 16, 8
	v_lshrrev_b32_e32 v94, 24, v84
	v_mul_f32_e32 v84, s35, v90
	v_mul_f32_e32 v90, s35, v91
	v_cvt_pk_bf16_f32 v84, v84, s0
	v_cvt_pk_bf16_f32 v90, v90, s0
	v_lshlrev_b32_e32 v91, 16, v84
	v_lshlrev_b32_e32 v84, 16, v90
	v_mul_f32_e32 v84, v20, v84
	v_cvt_f32_fp8_e32 v96, v97
	v_fmac_f32_e32 v84, v16, v91
	v_cvt_f32_fp8_e32 v91, v98
	v_cvt_f32_fp8_e32 v97, v99
	;; [unrolled: 1-line block ×3, first 2 shown]
	v_mul_f32_e32 v96, s35, v96
	v_mul_f32_e32 v91, s35, v91
	v_cvt_pk_bf16_f32 v96, v96, s0
	v_cvt_pk_bf16_f32 v91, v91, s0
	v_cvt_f32_fp8_e32 v98, v100
	v_lshlrev_b32_e32 v96, 16, v96
	v_lshlrev_b32_e32 v91, 16, v91
	v_cvt_f32_fp8_e32 v101, v103
	s_waitcnt vmcnt(9)
	v_and_b32_e32 v90, 0xff, v89
	v_fmac_f32_e32 v7, v21, v96
	v_bfe_u32 v96, v89, 8, 8
	v_fmac_f32_e32 v81, v22, v91
	v_bfe_u32 v91, v89, 16, 8
	v_lshrrev_b32_e32 v89, 24, v89
	v_mul_f32_e32 v99, s35, v99
	v_cvt_f32_fp8_e32 v94, v94
	v_cvt_pk_bf16_f32 v99, v99, s0
	v_cvt_f32_fp8_e32 v92, v92
	v_cvt_f32_fp8_e32 v89, v89
	v_mul_f32_e32 v98, s35, v98
	v_lshlrev_b32_e32 v99, 16, v99
	v_cvt_f32_fp8_e32 v93, v93
	v_cvt_pk_bf16_f32 v98, v98, s0
	v_fmac_f32_e32 v7, v25, v99
	s_waitcnt vmcnt(8)
	v_bfe_u32 v99, v88, 16, 8
	v_cvt_f32_fp8_e32 v91, v91
	v_mul_f32_e32 v101, s35, v101
	v_mul_f32_e32 v97, s35, v97
	v_lshlrev_b32_e32 v98, 16, v98
	v_cvt_f32_fp8_e32 v99, v99
	v_mul_f32_e32 v94, s35, v94
	v_cvt_pk_bf16_f32 v101, v101, s0
	v_cvt_pk_bf16_f32 v97, v97, s0
	v_fmac_f32_e32 v84, v24, v98
	v_mul_f32_e32 v92, s35, v92
	v_mul_f32_e32 v89, s35, v89
	v_cvt_pk_bf16_f32 v94, v94, s0
	v_lshlrev_b32_e32 v101, 16, v101
	v_lshlrev_b32_e32 v97, 16, v97
	v_mul_f32_e32 v93, s35, v93
	v_cvt_pk_bf16_f32 v92, v92, s0
	v_cvt_pk_bf16_f32 v89, v89, s0
	v_lshlrev_b32_e32 v94, 16, v94
	v_fmac_f32_e32 v84, v28, v101
	v_fmac_f32_e32 v82, v23, v97
	v_mul_f32_e32 v91, s35, v91
	v_cvt_pk_bf16_f32 v93, v93, s0
	v_lshlrev_b32_e32 v92, 16, v92
	v_lshlrev_b32_e32 v89, 16, v89
	v_fmac_f32_e32 v84, v32, v94
	v_and_b32_e32 v97, 0xff, v88
	v_bfe_u32 v98, v88, 8, 8
	v_cvt_pk_bf16_f32 v91, v91, s0
	v_lshlrev_b32_e32 v93, 16, v93
	v_fmac_f32_e32 v82, v27, v92
	v_fmac_f32_e32 v84, v36, v89
	v_mul_f32_e32 v89, s35, v99
	v_lshrrev_b32_e32 v88, 24, v88
	v_lshlrev_b32_e32 v91, 16, v91
	v_fmac_f32_e32 v82, v31, v93
	v_cvt_f32_fp8_e32 v88, v88
	v_cvt_pk_bf16_f32 v89, v89, s0
	v_fmac_f32_e32 v82, v35, v91
	v_lshlrev_b32_e32 v89, 16, v89
	v_cvt_f32_fp8_e32 v100, v102
	v_cvt_f32_fp8_e32 v102, v104
	v_fmac_f32_e32 v82, v39, v89
	s_waitcnt vmcnt(7)
	v_and_b32_e32 v89, 0xff, v87
	v_cvt_f32_fp8_e32 v90, v90
	v_cvt_f32_fp8_e32 v89, v89
	;; [unrolled: 1-line block ×3, first 2 shown]
	v_mul_f32_e32 v88, s35, v88
	v_cvt_pk_bf16_f32 v88, v88, s0
	v_mul_f32_e32 v102, s35, v102
	v_lshlrev_b32_e32 v88, 16, v88
	v_cvt_f32_fp8_e32 v95, v95
	v_mul_f32_e32 v90, s35, v90
	v_cvt_pk_bf16_f32 v102, v102, s0
	v_fmac_f32_e32 v84, v40, v88
	v_mul_f32_e32 v88, s35, v89
	v_bfe_u32 v89, v87, 8, 8
	v_cvt_f32_fp8_e32 v96, v96
	v_mul_f32_e32 v97, s35, v97
	v_cvt_pk_bf16_f32 v90, v90, s0
	v_lshlrev_b32_e32 v102, 16, v102
	v_cvt_f32_fp8_e32 v89, v89
	v_cvt_f32_fp8_e32 v98, v98
	v_cvt_pk_bf16_f32 v97, v97, s0
	v_lshlrev_b32_e32 v90, 16, v90
	v_fmac_f32_e32 v7, v29, v102
	v_mul_f32_e32 v100, s35, v100
	v_lshlrev_b32_e32 v97, 16, v97
	v_fmac_f32_e32 v7, v33, v90
	v_cvt_pk_bf16_f32 v88, v88, s0
	v_mul_f32_e32 v95, s35, v95
	v_cvt_pk_bf16_f32 v100, v100, s0
	v_fmac_f32_e32 v7, v37, v97
	v_lshlrev_b32_e32 v88, 16, v88
	v_mul_f32_e32 v96, s35, v96
	v_cvt_pk_bf16_f32 v95, v95, s0
	v_lshlrev_b32_e32 v100, 16, v100
	v_fmac_f32_e32 v7, v41, v88
	v_mul_f32_e32 v88, s35, v89
	v_bfe_u32 v89, v87, 16, 8
	v_mul_f32_e32 v98, s35, v98
	v_cvt_pk_bf16_f32 v96, v96, s0
	v_lshlrev_b32_e32 v95, 16, v95
	v_fmac_f32_e32 v81, v26, v100
	v_cvt_f32_fp8_e32 v89, v89
	v_cvt_pk_bf16_f32 v98, v98, s0
	v_lshlrev_b32_e32 v96, 16, v96
	v_fmac_f32_e32 v81, v30, v95
	v_lshlrev_b32_e32 v98, 16, v98
	v_fmac_f32_e32 v81, v34, v96
	v_cvt_pk_bf16_f32 v88, v88, s0
	v_fmac_f32_e32 v81, v38, v98
	v_lshlrev_b32_e32 v88, 16, v88
	v_fmac_f32_e32 v81, v42, v88
	v_mul_f32_e32 v88, s35, v89
	v_lshrrev_b32_e32 v87, 24, v87
	v_cvt_f32_fp8_e32 v87, v87
	v_cvt_pk_bf16_f32 v88, v88, s0
	v_lshlrev_b32_e32 v88, 16, v88
	v_fmac_f32_e32 v82, v43, v88
	s_waitcnt vmcnt(6)
	v_and_b32_e32 v88, 0xff, v86
	v_cvt_f32_fp8_e32 v88, v88
	v_mul_f32_e32 v87, s35, v87
	v_cvt_pk_bf16_f32 v87, v87, s0
	v_lshlrev_b32_e32 v87, 16, v87
	v_fmac_f32_e32 v84, v44, v87
	v_mul_f32_e32 v87, s35, v88
	v_bfe_u32 v88, v86, 8, 8
	v_cvt_f32_fp8_e32 v88, v88
	v_cvt_pk_bf16_f32 v87, v87, s0
	v_lshlrev_b32_e32 v87, 16, v87
	v_fmac_f32_e32 v7, v45, v87
	v_mul_f32_e32 v87, s35, v88
	v_bfe_u32 v88, v86, 16, 8
	v_cvt_f32_fp8_e32 v88, v88
	v_cvt_pk_bf16_f32 v87, v87, s0
	v_lshlrev_b32_e32 v87, 16, v87
	v_fmac_f32_e32 v81, v46, v87
	v_mul_f32_e32 v87, s35, v88
	v_lshrrev_b32_e32 v86, 24, v86
	v_cvt_f32_fp8_e32 v86, v86
	v_cvt_pk_bf16_f32 v87, v87, s0
	v_lshlrev_b32_e32 v87, 16, v87
	v_fmac_f32_e32 v82, v47, v87
	s_waitcnt vmcnt(5)
	v_and_b32_e32 v87, 0xff, v85
	v_cvt_f32_fp8_e32 v87, v87
	v_mul_f32_e32 v86, s35, v86
	v_cvt_pk_bf16_f32 v86, v86, s0
	v_lshlrev_b32_e32 v86, 16, v86
	v_fmac_f32_e32 v84, v48, v86
	v_mul_f32_e32 v86, s35, v87
	v_bfe_u32 v87, v85, 8, 8
	v_cvt_f32_fp8_e32 v87, v87
	v_cvt_pk_bf16_f32 v86, v86, s0
	v_lshlrev_b32_e32 v86, 16, v86
	v_fmac_f32_e32 v7, v49, v86
	v_mul_f32_e32 v86, s35, v87
	v_bfe_u32 v87, v85, 16, 8
	v_cvt_f32_fp8_e32 v87, v87
	v_cvt_pk_bf16_f32 v86, v86, s0
	;; [unrolled: 25-line block ×6, first 2 shown]
	v_lshlrev_b32_e32 v79, 16, v79
	v_fmac_f32_e32 v81, v66, v79
	v_mul_f32_e32 v79, s35, v80
	v_lshrrev_b32_e32 v78, 24, v78
	v_cvt_f32_fp8_e32 v78, v78
	v_cvt_pk_bf16_f32 v79, v79, s0
	v_lshlrev_b32_e32 v79, 16, v79
	v_fmac_f32_e32 v82, v67, v79
	s_waitcnt vmcnt(0)
	v_and_b32_e32 v79, 0xff, v6
	v_cvt_f32_fp8_e32 v79, v79
	v_mul_f32_e32 v78, s35, v78
	v_cvt_pk_bf16_f32 v78, v78, s0
	v_lshlrev_b32_e32 v78, 16, v78
	v_fmac_f32_e32 v84, v68, v78
	v_mul_f32_e32 v78, s35, v79
	v_bfe_u32 v79, v6, 8, 8
	v_cvt_f32_fp8_e32 v79, v79
	v_cvt_pk_bf16_f32 v78, v78, s0
	v_lshlrev_b32_e32 v78, 16, v78
	v_fmac_f32_e32 v7, v70, v78
	v_mul_f32_e32 v78, s35, v79
	v_bfe_u32 v79, v6, 16, 8
	v_lshrrev_b32_e32 v6, 24, v6
	v_cvt_f32_fp8_e32 v79, v79
	v_cvt_f32_fp8_e32 v6, v6
	v_cvt_pk_bf16_f32 v78, v78, s0
	v_lshlrev_b32_e32 v78, 16, v78
	v_fmac_f32_e32 v81, v71, v78
	v_mul_f32_e32 v78, s35, v79
	v_mul_f32_e32 v6, s35, v6
	v_cvt_pk_bf16_f32 v78, v78, s0
	v_cvt_pk_bf16_f32 v6, v6, s0
	v_lshlrev_b32_e32 v78, 16, v78
	v_lshlrev_b32_e32 v6, 16, v6
	v_fmac_f32_e32 v82, v72, v78
	v_fmac_f32_e32 v84, v73, v6
	v_add_f32_e32 v6, v7, v81
	v_add_f32_e32 v6, v6, v82
	;; [unrolled: 1-line block ×3, first 2 shown]
	ds_bpermute_b32 v7, v74, v6
	s_and_saveexec_b64 s[14:15], vcc
	s_cbranch_execz .LBB322_8
; %bb.10:                               ;   in Loop: Header=BB322_9 Depth=1
	v_add_u32_e32 v78, s36, v75
	v_cvt_f32_i32_e32 v78, v78
	s_waitcnt lgkmcnt(0)
	v_add_f32_e32 v6, v6, v7
	v_cmp_gt_i32_e64 s[0:1], s17, v75
	v_max_f32_e32 v7, v69, v69
	v_mul_f32_e32 v78, s28, v78
	v_cndmask_b32_e64 v78, 0, v78, s[2:3]
	v_fmac_f32_e32 v78, s29, v6
	v_cndmask_b32_e64 v6, 0, v78, s[0:1]
	ds_write_b32 v76, v6
	v_max_f32_e32 v6, v7, v78
	v_cndmask_b32_e64 v69, v69, v6, s[0:1]
	s_branch .LBB322_8
.LBB322_11:
	s_or_b64 exec, exec, s[8:9]
.LBB322_12:
	s_or_b64 exec, exec, s[30:31]
	v_xor_b32_e32 v2, 32, v10
	v_cmp_lt_i32_e32 vcc, v2, v12
	v_xor_b32_e32 v5, 16, v10
	v_max_f32_e32 v4, v69, v69
	v_cndmask_b32_e32 v2, v10, v2, vcc
	v_lshlrev_b32_e32 v2, 2, v2
	ds_bpermute_b32 v3, v2, v69
	v_cmp_lt_i32_e32 vcc, v5, v12
	v_xor_b32_e32 v6, 8, v10
	s_waitcnt lgkmcnt(0)
	v_xor_b32_e32 v7, 4, v10
	v_xor_b32_e32 v14, 2, v10
	v_max_f32_e32 v3, v3, v3
	v_max_f32_e32 v4, v4, v3
	v_cndmask_b32_e32 v3, v10, v5, vcc
	v_lshlrev_b32_e32 v3, 2, v3
	ds_bpermute_b32 v5, v3, v4
	v_cmp_lt_i32_e32 vcc, v6, v12
	s_waitcnt lgkmcnt(0)
	v_max_f32_e32 v5, v5, v5
	v_max_f32_e32 v4, v4, v5
	v_cndmask_b32_e32 v5, v10, v6, vcc
	v_lshlrev_b32_e32 v5, 2, v5
	ds_bpermute_b32 v6, v5, v4
	v_cmp_lt_i32_e32 vcc, v7, v12
	s_waitcnt lgkmcnt(0)
	;; [unrolled: 7-line block ×3, first 2 shown]
	v_max_f32_e32 v7, v7, v7
	v_max_f32_e32 v13, v4, v7
	v_cndmask_b32_e32 v4, v10, v14, vcc
	v_lshlrev_b32_e32 v30, 2, v4
	ds_bpermute_b32 v14, v30, v13
	v_and_b32_e32 v4, 63, v0
	v_cmp_eq_u32_e32 vcc, 0, v4
	v_lshlrev_b32_e32 v7, 2, v1
	s_and_saveexec_b64 s[0:1], vcc
	s_cbranch_execz .LBB322_14
; %bb.13:
	s_waitcnt lgkmcnt(0)
	v_max_f32_e32 v14, v14, v14
	v_max_f32_e32 v13, v13, v13
	v_max_f32_e32 v13, v13, v14
	ds_write_b32 v7, v13 offset:240
.LBB322_14:
	s_or_b64 exec, exec, s[0:1]
	v_cmp_gt_u32_e64 s[0:1], 2, v4
	s_waitcnt lgkmcnt(0)
	v_mov_b32_e32 v14, 0xff7fffff
	v_lshlrev_b32_e32 v13, 2, v4
	s_barrier
	s_and_saveexec_b64 s[2:3], s[0:1]
; %bb.15:
	ds_read_b32 v14, v13 offset:240
; %bb.16:
	s_or_b64 exec, exec, s[2:3]
	v_xor_b32_e32 v15, 1, v10
	v_cmp_lt_i32_e64 s[2:3], v15, v12
	v_lshlrev_b32_e32 v11, 2, v11
	s_nop 0
	v_cndmask_b32_e64 v12, v10, v15, s[2:3]
	v_lshlrev_b32_e32 v31, 2, v12
	s_waitcnt lgkmcnt(0)
	ds_bpermute_b32 v12, v31, v14
	v_max_f32_e32 v14, v14, v14
	s_lshl_b32 s2, s19, 5
	s_min_i32 s30, s2, s17
	v_cmp_gt_i32_e64 s[2:3], s30, v0
	s_waitcnt lgkmcnt(0)
	v_max_f32_e32 v12, v12, v12
	v_max_f32_e32 v12, v14, v12
	ds_bpermute_b32 v12, v11, v12
	v_mov_b32_e32 v11, 0
	s_and_saveexec_b64 s[14:15], s[2:3]
	s_cbranch_execz .LBB322_20
; %bb.17:
	v_mov_b32_e32 v11, 0x100
	v_lshl_add_u32 v14, v0, 2, v11
	v_mov_b32_e32 v11, 0
	s_mov_b64 s[28:29], 0
	v_mov_b32_e32 v15, v0
.LBB322_18:                             ; =>This Inner Loop Header: Depth=1
	ds_read_b32 v16, v14
	v_add_u32_e32 v15, 0x80, v15
	v_cmp_le_i32_e64 s[8:9], s30, v15
	s_or_b64 s[28:29], s[8:9], s[28:29]
	s_waitcnt lgkmcnt(0)
	v_sub_f32_e32 v16, v16, v12
	v_mul_f32_e32 v16, 0x3fb8aa3b, v16
	v_exp_f32_e32 v16, v16
	ds_write_b32 v14, v16
	v_add_f32_e32 v11, v11, v16
	v_add_u32_e32 v14, 0x200, v14
	s_andn2_b64 exec, exec, s[28:29]
	s_cbranch_execnz .LBB322_18
; %bb.19:
	s_or_b64 exec, exec, s[28:29]
.LBB322_20:
	s_or_b64 exec, exec, s[14:15]
	ds_bpermute_b32 v2, v2, v11
	s_waitcnt lgkmcnt(0)
	v_add_f32_e32 v2, v11, v2
	ds_bpermute_b32 v3, v3, v2
	s_waitcnt lgkmcnt(0)
	v_add_f32_e32 v2, v2, v3
	;; [unrolled: 3-line block ×6, first 2 shown]
	s_and_saveexec_b64 s[8:9], vcc
; %bb.21:
	ds_write_b32 v7, v2 offset:248
; %bb.22:
	s_or_b64 exec, exec, s[8:9]
	s_waitcnt lgkmcnt(0)
	s_barrier
	s_and_saveexec_b64 s[8:9], s[0:1]
; %bb.23:
	ds_read_b32 v2, v13 offset:248
; %bb.24:
	s_or_b64 exec, exec, s[8:9]
	s_waitcnt lgkmcnt(0)
	ds_bpermute_b32 v3, v31, v2
	v_lshlrev_b32_e32 v5, 2, v10
	s_waitcnt lgkmcnt(0)
	v_add_f32_e32 v2, v2, v3
	v_and_b32_e32 v3, 0xffffff00, v5
	ds_bpermute_b32 v2, v3, v2
	s_and_saveexec_b64 s[0:1], s[2:3]
	s_cbranch_execz .LBB322_37
; %bb.25:
	s_waitcnt lgkmcnt(0)
	v_add_f32_e32 v2, 0x358637bd, v2
	v_div_scale_f32 v3, s[2:3], v2, v2, 1.0
	v_rcp_f32_e32 v5, v3
	v_div_scale_f32 v6, vcc, 1.0, v2, 1.0
	s_movk_i32 s2, 0x7f
	v_fma_f32 v7, -v3, v5, 1.0
	v_fmac_f32_e32 v5, v7, v5
	v_mul_f32_e32 v7, v6, v5
	v_fma_f32 v10, -v3, v7, v6
	v_fmac_f32_e32 v7, v10, v5
	v_fma_f32 v3, -v3, v7, v6
	v_div_fmas_f32 v3, v3, v5, v7
	v_xad_u32 v5, v0, -1, s30
	v_div_fixup_f32 v2, v3, v2, 1.0
	v_cmp_lt_u32_e32 vcc, s2, v5
	s_mov_b64 s[8:9], -1
	v_mov_b32_e32 v3, v0
	s_and_saveexec_b64 s[2:3], vcc
	s_cbranch_execz .LBB322_34
; %bb.26:
	v_lshrrev_b32_e32 v5, 7, v5
	v_add_u32_e32 v7, -1, v5
	v_lshrrev_b32_e32 v6, 1, v7
	v_mov_b32_e32 v3, v2
	v_add_u32_e32 v6, 1, v6
	v_cmp_lt_u32_e32 vcc, 13, v7
	v_mov_b32_e32 v11, 0
	s_and_saveexec_b64 s[8:9], vcc
	s_cbranch_execz .LBB322_30
; %bb.27:
	v_mov_b32_e32 v10, 0x100
	v_and_b32_e32 v7, -8, v6
	v_lshl_add_u32 v10, v0, 2, v10
	s_mov_b32 s28, 0
	s_mov_b64 s[14:15], 0
.LBB322_28:                             ; =>This Inner Loop Header: Depth=1
	ds_read2st64_b32 v[12:13], v10 offset1:2
	ds_read2st64_b32 v[14:15], v10 offset0:4 offset1:6
	ds_read2st64_b32 v[16:17], v10 offset0:8 offset1:10
	;; [unrolled: 1-line block ×3, first 2 shown]
	v_add_u32_e32 v7, -8, v7
	s_waitcnt lgkmcnt(3)
	v_pk_mul_f32 v[12:13], v[2:3], v[12:13]
	s_waitcnt lgkmcnt(2)
	v_pk_mul_f32 v[14:15], v[2:3], v[14:15]
	ds_write2st64_b32 v10, v12, v13 offset1:2
	ds_write2st64_b32 v10, v14, v15 offset0:4 offset1:6
	ds_read2st64_b32 v[14:15], v10 offset0:16 offset1:18
	s_waitcnt lgkmcnt(4)
	v_pk_mul_f32 v[12:13], v[2:3], v[16:17]
	ds_write2st64_b32 v10, v12, v13 offset0:8 offset1:10
	s_waitcnt lgkmcnt(4)
	v_pk_mul_f32 v[12:13], v[2:3], v[18:19]
	ds_write2st64_b32 v10, v12, v13 offset0:12 offset1:14
	ds_read2st64_b32 v[12:13], v10 offset0:20 offset1:22
	s_waitcnt lgkmcnt(3)
	v_pk_mul_f32 v[14:15], v[2:3], v[14:15]
	ds_read2st64_b32 v[16:17], v10 offset0:24 offset1:26
	ds_write2st64_b32 v10, v14, v15 offset0:16 offset1:18
	ds_read2st64_b32 v[14:15], v10 offset0:28 offset1:30
	s_waitcnt lgkmcnt(3)
	v_pk_mul_f32 v[12:13], v[2:3], v[12:13]
	ds_write2st64_b32 v10, v12, v13 offset0:20 offset1:22
	s_waitcnt lgkmcnt(3)
	v_pk_mul_f32 v[12:13], v[2:3], v[16:17]
	ds_write2st64_b32 v10, v12, v13 offset0:24 offset1:26
	s_waitcnt lgkmcnt(2)
	v_pk_mul_f32 v[12:13], v[2:3], v[14:15]
	s_add_i32 s28, s28, 16
	v_cmp_eq_u32_e32 vcc, 0, v7
	ds_write2st64_b32 v10, v12, v13 offset0:28 offset1:30
	v_add_u32_e32 v10, 0x2000, v10
	s_or_b64 s[14:15], vcc, s[14:15]
	v_mov_b32_e32 v11, s28
	s_andn2_b64 exec, exec, s[14:15]
	s_cbranch_execnz .LBB322_28
; %bb.29:
	s_or_b64 exec, exec, s[14:15]
.LBB322_30:
	s_or_b64 exec, exec, s[8:9]
	v_and_b32_e32 v6, 7, v6
	v_cmp_ne_u32_e32 vcc, 0, v6
	s_and_saveexec_b64 s[8:9], vcc
	s_cbranch_execz .LBB322_33
; %bb.31:
	v_lshlrev_b32_e32 v7, 9, v11
	v_lshlrev_b32_e32 v10, 2, v0
	s_movk_i32 s14, 0x100
	v_add3_u32 v7, v7, v10, s14
	s_mov_b64 s[14:15], 0
.LBB322_32:                             ; =>This Inner Loop Header: Depth=1
	ds_read2st64_b32 v[10:11], v7 offset1:2
	v_add_u32_e32 v6, -1, v6
	v_cmp_eq_u32_e32 vcc, 0, v6
	s_or_b64 s[14:15], vcc, s[14:15]
	s_waitcnt lgkmcnt(0)
	v_pk_mul_f32 v[10:11], v[2:3], v[10:11]
	ds_write2st64_b32 v7, v10, v11 offset1:2
	v_add_u32_e32 v7, 0x400, v7
	s_andn2_b64 exec, exec, s[14:15]
	s_cbranch_execnz .LBB322_32
.LBB322_33:
	s_or_b64 exec, exec, s[8:9]
	v_add_u32_e32 v5, 1, v5
	v_and_b32_e32 v6, 0x3fffffe, v5
	v_cmp_ne_u32_e32 vcc, v5, v6
	v_lshl_add_u32 v3, v6, 7, v0
	s_orn2_b64 s[8:9], vcc, exec
.LBB322_34:
	s_or_b64 exec, exec, s[2:3]
	s_and_b64 exec, exec, s[8:9]
	s_cbranch_execz .LBB322_37
; %bb.35:
	v_mov_b32_e32 v5, 0x100
	v_lshl_add_u32 v5, v3, 2, v5
	s_mov_b64 s[2:3], 0
.LBB322_36:                             ; =>This Inner Loop Header: Depth=1
	ds_read_b32 v6, v5
	v_add_u32_e32 v3, 0x80, v3
	v_cmp_le_i32_e32 vcc, s30, v3
	s_or_b64 s[2:3], vcc, s[2:3]
	s_waitcnt lgkmcnt(0)
	v_mul_f32_e32 v6, v2, v6
	ds_write_b32 v5, v6
	v_add_u32_e32 v5, 0x200, v5
	s_andn2_b64 exec, exec, s[2:3]
	s_cbranch_execnz .LBB322_36
.LBB322_37:
	s_or_b64 exec, exec, s[0:1]
	v_lshrrev_b32_e32 v32, 2, v4
	s_waitcnt lgkmcnt(0)
	s_barrier
	s_and_saveexec_b64 s[0:1], s[6:7]
	s_xor_b64 s[0:1], exec, s[0:1]
; %bb.38:
	v_lshrrev_b32_e32 v32, 2, v4
                                        ; implicit-def: $vgpr1
                                        ; implicit-def: $vgpr8
                                        ; implicit-def: $vgpr9
; %bb.39:
	s_or_saveexec_b64 s[6:7], s[0:1]
	v_mov_b32_e32 v11, 0
	v_and_b32_e32 v33, 3, v0
	v_mov_b32_e32 v10, 0
	v_mov_b32_e32 v13, 0
	;; [unrolled: 1-line block ×7, first 2 shown]
	s_xor_b64 exec, exec, s[6:7]
	s_cbranch_execz .LBB322_61
; %bb.40:
	v_and_b32_e32 v2, 24, v8
	s_ashr_i32 s1, s33, 31
	v_or_b32_e32 v3, 0x70, v32
	s_movk_i32 s2, 0x78
	s_add_u32 s0, s26, s33
	s_load_dword s15, s[10:11], 0x0
	v_cmp_gt_u32_e32 vcc, s2, v3
	v_lshl_or_b32 v20, v3, 5, v2
	v_lshlrev_b32_e32 v3, 5, v1
	s_addc_u32 s1, s27, s1
	s_add_i32 s14, s19, -1
	v_lshl_or_b32 v18, v32, 5, v2
	v_or3_b32 v34, v3, v2, 7
	v_lshlrev_b32_e32 v2, 5, v33
	s_lshl_b64 s[2:3], s[24:25], 2
	v_mov_b32_e32 v19, 0
	v_lshl_or_b32 v2, v1, 7, v2
	s_add_u32 s2, s22, s2
	v_add_u32_e32 v35, 0x100, v2
	v_and_b32_e32 v2, 60, v9
	v_mov_b32_e32 v3, v19
	s_addc_u32 s3, s23, s3
	v_mov_b32_e32 v21, v19
	v_lshl_add_u64 v[22:23], s[2:3], 0, v[2:3]
	s_mov_b64 s[8:9], 0
	v_mov_b64_e32 v[24:25], s[0:1]
	v_mov_b32_e32 v11, v19
	v_mov_b32_e32 v10, v19
	;; [unrolled: 1-line block ×8, first 2 shown]
	s_branch .LBB322_43
.LBB322_41:                             ;   in Loop: Header=BB322_43 Depth=1
	s_or_b64 exec, exec, s[10:11]
	v_and_b32_e32 v59, 0xffff0000, v7
	v_lshlrev_b32_e32 v92, 16, v92
	v_mul_f32_e32 v59, v59, v92
	v_lshlrev_b32_e32 v92, 16, v7
	v_lshlrev_b32_e32 v91, 16, v91
	v_mul_f32_e32 v91, v92, v91
	v_and_b32_e32 v92, 0xffff0000, v6
	v_lshlrev_b32_e32 v27, 16, v27
	v_mul_f32_e32 v27, v92, v27
	v_lshlrev_b32_e32 v92, 16, v6
	v_lshlrev_b32_e32 v26, 16, v26
	v_mul_f32_e32 v26, v92, v26
	;; [unrolled: 6-line block ×3, first 2 shown]
	v_and_b32_e32 v92, 0xffff0000, v2
	v_lshlrev_b32_e32 v5, 16, v5
	v_cvt_pk_bf16_f32 v59, v59, s0
	v_cvt_pk_bf16_f32 v91, v91, s0
	;; [unrolled: 1-line block ×4, first 2 shown]
	v_mul_f32_e32 v5, v92, v5
	v_lshlrev_b32_e32 v92, 16, v2
	v_lshlrev_b32_e32 v4, 16, v4
	v_cvt_pk_bf16_f32 v9, v9, s0
	v_cvt_pk_bf16_f32 v8, v8, s0
	v_mul_f32_e32 v4, v92, v4
	v_lshlrev_b32_e32 v91, 16, v91
	v_lshlrev_b32_e32 v59, 16, v59
	;; [unrolled: 1-line block ×4, first 2 shown]
	v_cvt_pk_bf16_f32 v5, v5, s0
	v_cvt_pk_bf16_f32 v4, v4, s0
	v_lshlrev_b32_e32 v8, 16, v8
	v_lshlrev_b32_e32 v9, 16, v9
	v_add_f32_e32 v59, v59, v91
	v_add_f32_e32 v26, v27, v26
	v_lshlrev_b32_e32 v4, 16, v4
	v_lshlrev_b32_e32 v5, 16, v5
	v_add_f32_e32 v26, v26, v59
	v_add_f32_e32 v8, v9, v8
	;; [unrolled: 1-line block ×6, first 2 shown]
.LBB322_42:                             ;   in Loop: Header=BB322_43 Depth=1
	s_or_b64 exec, exec, s[2:3]
	v_and_b32_e32 v4, 0xffff0000, v7
	v_lshlrev_b32_e32 v5, 16, v90
	v_lshlrev_b32_e32 v7, 16, v7
	;; [unrolled: 1-line block ×3, first 2 shown]
	v_mul_f32_e32 v5, v4, v5
	v_mul_f32_e32 v8, v7, v8
	v_and_b32_e32 v9, 0xffff0000, v6
	v_lshlrev_b32_e32 v26, 16, v88
	v_lshlrev_b32_e32 v6, 16, v6
	;; [unrolled: 1-line block ×3, first 2 shown]
	v_cvt_pk_bf16_f32 v5, v5, s0
	v_cvt_pk_bf16_f32 v8, v8, s0
	v_mul_f32_e32 v26, v9, v26
	v_mul_f32_e32 v27, v6, v27
	v_cvt_pk_bf16_f32 v26, v26, s0
	v_cvt_pk_bf16_f32 v27, v27, s0
	v_and_b32_e32 v59, 0xffff0000, v3
	v_lshlrev_b32_e32 v86, 16, v86
	v_lshlrev_b32_e32 v3, 16, v3
	v_lshlrev_b32_e32 v85, 16, v85
	v_lshlrev_b32_e32 v8, 16, v8
	v_lshlrev_b32_e32 v5, 16, v5
	v_mul_f32_e32 v86, v59, v86
	v_mul_f32_e32 v85, v3, v85
	v_add_f32_e32 v5, v8, v5
	v_lshlrev_b32_e32 v8, 16, v27
	v_lshlrev_b32_e32 v26, 16, v26
	v_cvt_pk_bf16_f32 v86, v86, s0
	v_cvt_pk_bf16_f32 v85, v85, s0
	v_and_b32_e32 v87, 0xffff0000, v2
	v_lshlrev_b32_e32 v29, 16, v29
	v_lshlrev_b32_e32 v2, 16, v2
	;; [unrolled: 1-line block ×3, first 2 shown]
	v_add_f32_e32 v8, v8, v26
	v_mul_f32_e32 v29, v87, v29
	v_mul_f32_e32 v28, v2, v28
	v_add_f32_e32 v5, v8, v5
	v_lshlrev_b32_e32 v8, 16, v85
	v_lshlrev_b32_e32 v26, 16, v86
	v_cvt_pk_bf16_f32 v29, v29, s0
	v_cvt_pk_bf16_f32 v28, v28, s0
	v_add_f32_e32 v8, v8, v26
	v_add_f32_e32 v5, v8, v5
	v_lshlrev_b32_e32 v8, 16, v28
	v_lshlrev_b32_e32 v26, 16, v29
	v_add_f32_e32 v8, v8, v26
	v_add_f32_e32 v5, v8, v5
	v_add_f32_e32 v10, v10, v5
	v_lshlrev_b32_e32 v5, 16, v84
	v_lshlrev_b32_e32 v8, 16, v83
	v_mul_f32_e32 v5, v4, v5
	v_mul_f32_e32 v8, v7, v8
	v_lshlrev_b32_e32 v26, 16, v82
	v_lshlrev_b32_e32 v27, 16, v81
	v_cvt_pk_bf16_f32 v5, v5, s0
	v_cvt_pk_bf16_f32 v8, v8, s0
	v_mul_f32_e32 v26, v9, v26
	v_mul_f32_e32 v27, v6, v27
	v_cvt_pk_bf16_f32 v26, v26, s0
	v_cvt_pk_bf16_f32 v27, v27, s0
	v_lshlrev_b32_e32 v28, 16, v80
	v_lshlrev_b32_e32 v29, 16, v79
	v_lshlrev_b32_e32 v8, 16, v8
	v_lshlrev_b32_e32 v5, 16, v5
	v_mul_f32_e32 v28, v59, v28
	v_mul_f32_e32 v29, v3, v29
	v_add_f32_e32 v5, v8, v5
	v_lshlrev_b32_e32 v8, 16, v27
	v_lshlrev_b32_e32 v26, 16, v26
	v_cvt_pk_bf16_f32 v28, v28, s0
	v_cvt_pk_bf16_f32 v29, v29, s0
	v_lshlrev_b32_e32 v78, 16, v78
	v_lshlrev_b32_e32 v77, 16, v77
	v_add_f32_e32 v8, v8, v26
	v_mul_f32_e32 v78, v87, v78
	v_mul_f32_e32 v77, v2, v77
	v_add_f32_e32 v5, v8, v5
	v_lshlrev_b32_e32 v8, 16, v29
	v_lshlrev_b32_e32 v26, 16, v28
	v_cvt_pk_bf16_f32 v78, v78, s0
	v_cvt_pk_bf16_f32 v77, v77, s0
	v_add_f32_e32 v8, v8, v26
	v_add_f32_e32 v5, v8, v5
	v_lshlrev_b32_e32 v8, 16, v77
	v_lshlrev_b32_e32 v26, 16, v78
	v_add_f32_e32 v8, v8, v26
	v_add_f32_e32 v5, v8, v5
	v_add_f32_e32 v13, v13, v5
	v_lshlrev_b32_e32 v5, 16, v76
	v_lshlrev_b32_e32 v8, 16, v75
	v_mul_f32_e32 v5, v4, v5
	v_mul_f32_e32 v8, v7, v8
	v_lshlrev_b32_e32 v26, 16, v74
	v_lshlrev_b32_e32 v27, 16, v73
	v_cvt_pk_bf16_f32 v5, v5, s0
	v_cvt_pk_bf16_f32 v8, v8, s0
	v_mul_f32_e32 v26, v9, v26
	v_mul_f32_e32 v27, v6, v27
	v_cvt_pk_bf16_f32 v26, v26, s0
	v_cvt_pk_bf16_f32 v27, v27, s0
	v_lshlrev_b32_e32 v28, 16, v72
	v_lshlrev_b32_e32 v29, 16, v71
	v_lshlrev_b32_e32 v8, 16, v8
	v_lshlrev_b32_e32 v5, 16, v5
	v_mul_f32_e32 v28, v59, v28
	v_mul_f32_e32 v29, v3, v29
	v_add_f32_e32 v5, v8, v5
	v_lshlrev_b32_e32 v8, 16, v27
	v_lshlrev_b32_e32 v26, 16, v26
	v_cvt_pk_bf16_f32 v28, v28, s0
	v_cvt_pk_bf16_f32 v29, v29, s0
	v_lshlrev_b32_e32 v70, 16, v70
	v_lshlrev_b32_e32 v69, 16, v69
	;; [unrolled: 40-line block ×5, first 2 shown]
	v_add_f32_e32 v8, v8, v26
	v_mul_f32_e32 v45, v87, v45
	v_mul_f32_e32 v44, v2, v44
	v_add_f32_e32 v5, v8, v5
	v_lshlrev_b32_e32 v8, 16, v29
	v_lshlrev_b32_e32 v26, 16, v28
	v_cvt_pk_bf16_f32 v45, v45, s0
	v_cvt_pk_bf16_f32 v44, v44, s0
	v_add_f32_e32 v8, v8, v26
	v_add_f32_e32 v5, v8, v5
	v_lshlrev_b32_e32 v8, 16, v44
	v_lshlrev_b32_e32 v26, 16, v45
	v_add_f32_e32 v8, v8, v26
	v_add_f32_e32 v5, v8, v5
	;; [unrolled: 1-line block ×3, first 2 shown]
	v_lshlrev_b32_e32 v5, 16, v43
	v_mul_f32_e32 v4, v4, v5
	v_lshlrev_b32_e32 v5, 16, v42
	v_mul_f32_e32 v5, v7, v5
	v_lshlrev_b32_e32 v7, 16, v41
	v_lshlrev_b32_e32 v8, 16, v40
	v_cvt_pk_bf16_f32 v4, v4, s0
	v_cvt_pk_bf16_f32 v5, v5, s0
	v_mul_f32_e32 v7, v9, v7
	v_mul_f32_e32 v6, v6, v8
	v_cvt_pk_bf16_f32 v7, v7, s0
	v_cvt_pk_bf16_f32 v6, v6, s0
	v_lshlrev_b32_e32 v8, 16, v39
	v_lshlrev_b32_e32 v9, 16, v38
	;; [unrolled: 1-line block ×4, first 2 shown]
	v_mul_f32_e32 v8, v59, v8
	v_mul_f32_e32 v3, v3, v9
	v_add_f32_e32 v4, v5, v4
	v_lshlrev_b32_e32 v5, 16, v6
	v_lshlrev_b32_e32 v6, 16, v7
	v_cvt_pk_bf16_f32 v8, v8, s0
	v_cvt_pk_bf16_f32 v3, v3, s0
	v_lshlrev_b32_e32 v9, 16, v37
	v_lshlrev_b32_e32 v26, 16, v36
	v_add_f32_e32 v5, v5, v6
	v_mul_f32_e32 v9, v87, v9
	v_mul_f32_e32 v2, v2, v26
	v_add_f32_e32 v4, v5, v4
	v_lshlrev_b32_e32 v3, 16, v3
	v_lshlrev_b32_e32 v5, 16, v8
	v_cvt_pk_bf16_f32 v9, v9, s0
	v_cvt_pk_bf16_f32 v2, v2, s0
	v_add_f32_e32 v3, v3, v5
	v_add_f32_e32 v3, v3, v4
	v_lshlrev_b32_e32 v2, 16, v2
	v_lshlrev_b32_e32 v4, 16, v9
	v_add_f32_e32 v2, v2, v4
	v_add_u32_e32 v1, 2, v1
	v_add_f32_e32 v2, v2, v3
	v_cmp_le_i32_e64 s[0:1], s19, v1
	v_add_f32_e32 v16, v16, v2
	v_add_u32_e32 v34, 64, v34
	v_add_u32_e32 v35, 0x100, v35
	s_or_b64 s[8:9], s[0:1], s[8:9]
	v_lshl_add_u64 v[22:23], v[22:23], 0, 8
	s_andn2_b64 exec, exec, s[8:9]
	s_cbranch_execz .LBB322_60
.LBB322_43:                             ; =>This Inner Loop Header: Depth=1
	global_load_dword v2, v[22:23], off
	v_add_u32_e32 v59, -7, v34
	s_waitcnt vmcnt(0)
	v_mad_i64_i32 v[26:27], s[0:1], v2, s13, v[24:25]
	v_lshl_add_u64 v[28:29], v[26:27], 0, v[18:19]
	global_load_dwordx2 v[36:37], v[28:29], off
	ds_read2_b64 v[6:9], v35 offset1:1
	ds_read2_b64 v[2:5], v35 offset0:2 offset1:3
	v_cmp_eq_u32_e64 s[0:1], s14, v1
	s_waitcnt vmcnt(0)
	v_and_b32_e32 v38, 0xff, v36
	v_bfe_u32 v39, v36, 8, 8
	v_bfe_u32 v40, v36, 16, 8
	v_lshrrev_b32_e32 v36, 24, v36
	v_and_b32_e32 v41, 0xff, v37
	v_bfe_u32 v42, v37, 8, 8
	v_bfe_u32 v43, v37, 16, 8
	v_lshrrev_b32_e32 v37, 24, v37
	v_cvt_f32_fp8_e32 v38, v38
	v_cvt_f32_fp8_e32 v39, v39
	;; [unrolled: 1-line block ×8, first 2 shown]
	s_waitcnt lgkmcnt(0)
	v_mul_f32_e32 v38, s15, v38
	v_mul_f32_e32 v39, s15, v39
	;; [unrolled: 1-line block ×8, first 2 shown]
	v_cvt_pk_bf16_f32 v42, v38, s0
	v_cvt_pk_bf16_f32 v43, v39, s0
	;; [unrolled: 1-line block ×8, first 2 shown]
	s_and_saveexec_b64 s[10:11], s[0:1]
	s_cbranch_execz .LBB322_45
; %bb.44:                               ;   in Loop: Header=BB322_43 Depth=1
	v_cmp_gt_i32_e64 s[2:3], s17, v59
	v_add_u32_e32 v44, -6, v34
	s_nop 0
	v_cndmask_b32_e64 v42, 0, v42, s[2:3]
	v_cmp_gt_i32_e64 s[2:3], s17, v44
	v_add_u32_e32 v44, -5, v34
	s_nop 0
	v_cndmask_b32_e64 v43, 0, v43, s[2:3]
	;; [unrolled: 4-line block ×6, first 2 shown]
	v_cmp_gt_i32_e64 s[2:3], s17, v44
	s_nop 1
	v_cndmask_b32_e64 v36, 0, v36, s[2:3]
	v_cmp_gt_i32_e64 s[2:3], s17, v34
	s_nop 1
	v_cndmask_b32_e64 v37, 0, v37, s[2:3]
.LBB322_45:                             ;   in Loop: Header=BB322_43 Depth=1
	s_or_b64 exec, exec, s[10:11]
	global_load_dwordx2 v[44:45], v[28:29], off offset:512
	s_waitcnt vmcnt(0)
	v_and_b32_e32 v46, 0xff, v44
	v_bfe_u32 v47, v44, 8, 8
	v_bfe_u32 v48, v44, 16, 8
	v_lshrrev_b32_e32 v44, 24, v44
	v_and_b32_e32 v49, 0xff, v45
	v_bfe_u32 v50, v45, 8, 8
	v_bfe_u32 v51, v45, 16, 8
	v_lshrrev_b32_e32 v45, 24, v45
	v_cvt_f32_fp8_e32 v46, v46
	v_cvt_f32_fp8_e32 v47, v47
	;; [unrolled: 1-line block ×8, first 2 shown]
	v_mul_f32_e32 v46, s15, v46
	v_mul_f32_e32 v47, s15, v47
	;; [unrolled: 1-line block ×8, first 2 shown]
	v_cvt_pk_bf16_f32 v50, v46, s0
	v_cvt_pk_bf16_f32 v51, v47, s0
	;; [unrolled: 1-line block ×8, first 2 shown]
	s_and_saveexec_b64 s[10:11], s[0:1]
	s_cbranch_execz .LBB322_47
; %bb.46:                               ;   in Loop: Header=BB322_43 Depth=1
	v_cmp_gt_i32_e64 s[2:3], s17, v59
	v_add_u32_e32 v52, -6, v34
	s_nop 0
	v_cndmask_b32_e64 v50, 0, v50, s[2:3]
	v_cmp_gt_i32_e64 s[2:3], s17, v52
	v_add_u32_e32 v52, -5, v34
	s_nop 0
	v_cndmask_b32_e64 v51, 0, v51, s[2:3]
	;; [unrolled: 4-line block ×6, first 2 shown]
	v_cmp_gt_i32_e64 s[2:3], s17, v52
	s_nop 1
	v_cndmask_b32_e64 v44, 0, v44, s[2:3]
	v_cmp_gt_i32_e64 s[2:3], s17, v34
	s_nop 1
	v_cndmask_b32_e64 v45, 0, v45, s[2:3]
.LBB322_47:                             ;   in Loop: Header=BB322_43 Depth=1
	s_or_b64 exec, exec, s[10:11]
	global_load_dwordx2 v[52:53], v[28:29], off offset:1024
	s_waitcnt vmcnt(0)
	v_and_b32_e32 v54, 0xff, v52
	v_bfe_u32 v55, v52, 8, 8
	v_bfe_u32 v56, v52, 16, 8
	v_lshrrev_b32_e32 v52, 24, v52
	v_and_b32_e32 v57, 0xff, v53
	v_bfe_u32 v58, v53, 8, 8
	v_bfe_u32 v60, v53, 16, 8
	v_lshrrev_b32_e32 v53, 24, v53
	v_cvt_f32_fp8_e32 v54, v54
	v_cvt_f32_fp8_e32 v55, v55
	;; [unrolled: 1-line block ×8, first 2 shown]
	v_mul_f32_e32 v54, s15, v54
	v_mul_f32_e32 v55, s15, v55
	;; [unrolled: 1-line block ×8, first 2 shown]
	v_cvt_pk_bf16_f32 v58, v54, s0
	v_cvt_pk_bf16_f32 v60, v55, s0
	;; [unrolled: 1-line block ×8, first 2 shown]
	s_and_saveexec_b64 s[10:11], s[0:1]
	s_cbranch_execz .LBB322_49
; %bb.48:                               ;   in Loop: Header=BB322_43 Depth=1
	v_cmp_gt_i32_e64 s[2:3], s17, v59
	v_add_u32_e32 v61, -6, v34
	s_nop 0
	v_cndmask_b32_e64 v58, 0, v58, s[2:3]
	v_cmp_gt_i32_e64 s[2:3], s17, v61
	v_add_u32_e32 v61, -5, v34
	s_nop 0
	v_cndmask_b32_e64 v60, 0, v60, s[2:3]
	v_cmp_gt_i32_e64 s[2:3], s17, v61
	v_add_u32_e32 v61, -4, v34
	s_nop 0
	v_cndmask_b32_e64 v56, 0, v56, s[2:3]
	v_cmp_gt_i32_e64 s[2:3], s17, v61
	v_add_u32_e32 v61, -3, v34
	s_nop 0
	v_cndmask_b32_e64 v57, 0, v57, s[2:3]
	v_cmp_gt_i32_e64 s[2:3], s17, v61
	v_add_u32_e32 v61, -2, v34
	s_nop 0
	v_cndmask_b32_e64 v54, 0, v54, s[2:3]
	v_cmp_gt_i32_e64 s[2:3], s17, v61
	v_add_u32_e32 v61, -1, v34
	s_nop 0
	v_cndmask_b32_e64 v55, 0, v55, s[2:3]
	v_cmp_gt_i32_e64 s[2:3], s17, v61
	s_nop 1
	v_cndmask_b32_e64 v52, 0, v52, s[2:3]
	v_cmp_gt_i32_e64 s[2:3], s17, v34
	s_nop 1
	v_cndmask_b32_e64 v53, 0, v53, s[2:3]
.LBB322_49:                             ;   in Loop: Header=BB322_43 Depth=1
	s_or_b64 exec, exec, s[10:11]
	global_load_dwordx2 v[62:63], v[28:29], off offset:1536
	s_waitcnt vmcnt(0)
	v_and_b32_e32 v61, 0xff, v62
	v_bfe_u32 v64, v62, 8, 8
	v_bfe_u32 v65, v62, 16, 8
	v_lshrrev_b32_e32 v62, 24, v62
	v_and_b32_e32 v66, 0xff, v63
	v_bfe_u32 v67, v63, 8, 8
	v_bfe_u32 v68, v63, 16, 8
	v_lshrrev_b32_e32 v63, 24, v63
	v_cvt_f32_fp8_e32 v61, v61
	v_cvt_f32_fp8_e32 v64, v64
	;; [unrolled: 1-line block ×8, first 2 shown]
	v_mul_f32_e32 v61, s15, v61
	v_mul_f32_e32 v64, s15, v64
	v_mul_f32_e32 v65, s15, v65
	v_mul_f32_e32 v62, s15, v62
	v_mul_f32_e32 v69, s15, v66
	v_mul_f32_e32 v70, s15, v67
	v_mul_f32_e32 v71, s15, v68
	v_mul_f32_e32 v72, s15, v63
	v_cvt_pk_bf16_f32 v67, v61, s0
	v_cvt_pk_bf16_f32 v68, v64, s0
	;; [unrolled: 1-line block ×8, first 2 shown]
	s_and_saveexec_b64 s[10:11], s[0:1]
	s_cbranch_execz .LBB322_51
; %bb.50:                               ;   in Loop: Header=BB322_43 Depth=1
	v_cmp_gt_i32_e64 s[2:3], s17, v59
	v_add_u32_e32 v69, -6, v34
	s_nop 0
	v_cndmask_b32_e64 v67, 0, v67, s[2:3]
	v_cmp_gt_i32_e64 s[2:3], s17, v69
	v_add_u32_e32 v69, -5, v34
	s_nop 0
	v_cndmask_b32_e64 v68, 0, v68, s[2:3]
	;; [unrolled: 4-line block ×6, first 2 shown]
	v_cmp_gt_i32_e64 s[2:3], s17, v69
	s_nop 1
	v_cndmask_b32_e64 v61, 0, v61, s[2:3]
	v_cmp_gt_i32_e64 s[2:3], s17, v34
	s_nop 1
	v_cndmask_b32_e64 v62, 0, v62, s[2:3]
.LBB322_51:                             ;   in Loop: Header=BB322_43 Depth=1
	s_or_b64 exec, exec, s[10:11]
	global_load_dwordx2 v[70:71], v[28:29], off offset:2048
	s_waitcnt vmcnt(0)
	v_and_b32_e32 v69, 0xff, v70
	v_bfe_u32 v72, v70, 8, 8
	v_bfe_u32 v73, v70, 16, 8
	v_lshrrev_b32_e32 v70, 24, v70
	v_and_b32_e32 v74, 0xff, v71
	v_bfe_u32 v75, v71, 8, 8
	v_bfe_u32 v76, v71, 16, 8
	v_lshrrev_b32_e32 v71, 24, v71
	v_cvt_f32_fp8_e32 v69, v69
	v_cvt_f32_fp8_e32 v72, v72
	;; [unrolled: 1-line block ×8, first 2 shown]
	v_mul_f32_e32 v69, s15, v69
	v_mul_f32_e32 v72, s15, v72
	;; [unrolled: 1-line block ×8, first 2 shown]
	v_cvt_pk_bf16_f32 v75, v69, s0
	v_cvt_pk_bf16_f32 v76, v72, s0
	;; [unrolled: 1-line block ×8, first 2 shown]
	s_and_saveexec_b64 s[10:11], s[0:1]
	s_cbranch_execz .LBB322_53
; %bb.52:                               ;   in Loop: Header=BB322_43 Depth=1
	v_cmp_gt_i32_e64 s[2:3], s17, v59
	v_add_u32_e32 v77, -6, v34
	s_nop 0
	v_cndmask_b32_e64 v75, 0, v75, s[2:3]
	v_cmp_gt_i32_e64 s[2:3], s17, v77
	v_add_u32_e32 v77, -5, v34
	s_nop 0
	v_cndmask_b32_e64 v76, 0, v76, s[2:3]
	;; [unrolled: 4-line block ×6, first 2 shown]
	v_cmp_gt_i32_e64 s[2:3], s17, v77
	s_nop 1
	v_cndmask_b32_e64 v69, 0, v69, s[2:3]
	v_cmp_gt_i32_e64 s[2:3], s17, v34
	s_nop 1
	v_cndmask_b32_e64 v70, 0, v70, s[2:3]
.LBB322_53:                             ;   in Loop: Header=BB322_43 Depth=1
	s_or_b64 exec, exec, s[10:11]
	global_load_dwordx2 v[78:79], v[28:29], off offset:2560
	s_waitcnt vmcnt(0)
	v_and_b32_e32 v77, 0xff, v78
	v_bfe_u32 v80, v78, 8, 8
	v_bfe_u32 v81, v78, 16, 8
	v_lshrrev_b32_e32 v78, 24, v78
	v_and_b32_e32 v82, 0xff, v79
	v_bfe_u32 v83, v79, 8, 8
	v_bfe_u32 v84, v79, 16, 8
	v_lshrrev_b32_e32 v79, 24, v79
	v_cvt_f32_fp8_e32 v77, v77
	v_cvt_f32_fp8_e32 v80, v80
	;; [unrolled: 1-line block ×8, first 2 shown]
	v_mul_f32_e32 v77, s15, v77
	v_mul_f32_e32 v80, s15, v80
	;; [unrolled: 1-line block ×8, first 2 shown]
	v_cvt_pk_bf16_f32 v83, v77, s0
	v_cvt_pk_bf16_f32 v84, v80, s0
	;; [unrolled: 1-line block ×8, first 2 shown]
	s_and_saveexec_b64 s[10:11], s[0:1]
	s_cbranch_execz .LBB322_55
; %bb.54:                               ;   in Loop: Header=BB322_43 Depth=1
	v_cmp_gt_i32_e64 s[2:3], s17, v59
	v_add_u32_e32 v85, -6, v34
	s_nop 0
	v_cndmask_b32_e64 v83, 0, v83, s[2:3]
	v_cmp_gt_i32_e64 s[2:3], s17, v85
	v_add_u32_e32 v85, -5, v34
	s_nop 0
	v_cndmask_b32_e64 v84, 0, v84, s[2:3]
	;; [unrolled: 4-line block ×6, first 2 shown]
	v_cmp_gt_i32_e64 s[2:3], s17, v85
	s_nop 1
	v_cndmask_b32_e64 v77, 0, v77, s[2:3]
	v_cmp_gt_i32_e64 s[2:3], s17, v34
	s_nop 1
	v_cndmask_b32_e64 v78, 0, v78, s[2:3]
.LBB322_55:                             ;   in Loop: Header=BB322_43 Depth=1
	s_or_b64 exec, exec, s[10:11]
	global_load_dwordx2 v[28:29], v[28:29], off offset:3072
	s_waitcnt vmcnt(0)
	v_and_b32_e32 v85, 0xff, v28
	v_bfe_u32 v86, v28, 8, 8
	v_bfe_u32 v87, v28, 16, 8
	v_lshrrev_b32_e32 v28, 24, v28
	v_and_b32_e32 v88, 0xff, v29
	v_bfe_u32 v89, v29, 8, 8
	v_bfe_u32 v90, v29, 16, 8
	v_lshrrev_b32_e32 v29, 24, v29
	v_cvt_f32_fp8_e32 v85, v85
	v_cvt_f32_fp8_e32 v86, v86
	;; [unrolled: 1-line block ×8, first 2 shown]
	v_mul_f32_e32 v85, s15, v85
	v_mul_f32_e32 v86, s15, v86
	;; [unrolled: 1-line block ×8, first 2 shown]
	v_cvt_pk_bf16_f32 v89, v85, s0
	v_cvt_pk_bf16_f32 v90, v86, s0
	;; [unrolled: 1-line block ×8, first 2 shown]
	s_and_saveexec_b64 s[10:11], s[0:1]
	s_cbranch_execz .LBB322_57
; %bb.56:                               ;   in Loop: Header=BB322_43 Depth=1
	v_cmp_gt_i32_e64 s[2:3], s17, v59
	v_add_u32_e32 v91, -6, v34
	s_nop 0
	v_cndmask_b32_e64 v89, 0, v89, s[2:3]
	v_cmp_gt_i32_e64 s[2:3], s17, v91
	v_add_u32_e32 v91, -5, v34
	s_nop 0
	v_cndmask_b32_e64 v90, 0, v90, s[2:3]
	;; [unrolled: 4-line block ×6, first 2 shown]
	v_cmp_gt_i32_e64 s[2:3], s17, v91
	s_nop 1
	v_cndmask_b32_e64 v28, 0, v28, s[2:3]
	v_cmp_gt_i32_e64 s[2:3], s17, v34
	s_nop 1
	v_cndmask_b32_e64 v29, 0, v29, s[2:3]
.LBB322_57:                             ;   in Loop: Header=BB322_43 Depth=1
	s_or_b64 exec, exec, s[10:11]
	v_cvt_pk_bf16_f32 v7, v6, v7
	v_cvt_pk_bf16_f32 v6, v8, v9
	v_cvt_pk_bf16_f32 v3, v2, v3
	v_cvt_pk_bf16_f32 v2, v4, v5
	s_and_saveexec_b64 s[2:3], vcc
	s_cbranch_execz .LBB322_42
; %bb.58:                               ;   in Loop: Header=BB322_43 Depth=1
	v_lshl_add_u64 v[4:5], v[26:27], 0, v[20:21]
	global_load_dwordx2 v[4:5], v[4:5], off
	s_waitcnt vmcnt(0)
	v_and_b32_e32 v8, 0xff, v4
	v_bfe_u32 v9, v4, 8, 8
	v_bfe_u32 v26, v4, 16, 8
	v_lshrrev_b32_e32 v4, 24, v4
	v_and_b32_e32 v27, 0xff, v5
	v_bfe_u32 v91, v5, 8, 8
	v_bfe_u32 v92, v5, 16, 8
	v_lshrrev_b32_e32 v5, 24, v5
	v_cvt_f32_fp8_e32 v8, v8
	v_cvt_f32_fp8_e32 v9, v9
	v_cvt_f32_fp8_e32 v26, v26
	v_cvt_f32_fp8_e32 v4, v4
	v_cvt_f32_fp8_e32 v27, v27
	v_cvt_f32_fp8_e32 v91, v91
	v_cvt_f32_fp8_e32 v92, v92
	v_cvt_f32_fp8_e32 v5, v5
	v_mul_f32_e32 v8, s15, v8
	v_mul_f32_e32 v9, s15, v9
	;; [unrolled: 1-line block ×8, first 2 shown]
	v_cvt_pk_bf16_f32 v91, v8, s0
	v_cvt_pk_bf16_f32 v92, v9, s0
	;; [unrolled: 1-line block ×8, first 2 shown]
	s_and_saveexec_b64 s[10:11], s[0:1]
	s_cbranch_execz .LBB322_41
; %bb.59:                               ;   in Loop: Header=BB322_43 Depth=1
	v_cmp_gt_i32_e64 s[0:1], s17, v59
	v_add_u32_e32 v59, -6, v34
	s_nop 0
	v_cndmask_b32_e64 v91, 0, v91, s[0:1]
	v_cmp_gt_i32_e64 s[0:1], s17, v59
	v_add_u32_e32 v59, -5, v34
	s_nop 0
	v_cndmask_b32_e64 v92, 0, v92, s[0:1]
	;; [unrolled: 4-line block ×6, first 2 shown]
	v_cmp_gt_i32_e64 s[0:1], s17, v59
	s_nop 1
	v_cndmask_b32_e64 v4, 0, v4, s[0:1]
	v_cmp_gt_i32_e64 s[0:1], s17, v34
	s_nop 1
	v_cndmask_b32_e64 v5, 0, v5, s[0:1]
	s_branch .LBB322_41
.LBB322_60:
	s_or_b64 exec, exec, s[8:9]
.LBB322_61:
	s_or_b64 exec, exec, s[6:7]
	ds_bpermute_b32 v2, v30, v16
	ds_bpermute_b32 v3, v30, v17
	;; [unrolled: 1-line block ×6, first 2 shown]
	s_waitcnt lgkmcnt(4)
	v_pk_add_f32 v[2:3], v[16:17], v[2:3]
	ds_bpermute_b32 v16, v30, v10
	ds_bpermute_b32 v17, v30, v11
	s_waitcnt lgkmcnt(4)
	v_pk_add_f32 v[4:5], v[14:15], v[4:5]
	s_waitcnt lgkmcnt(2)
	v_pk_add_f32 v[12:13], v[12:13], v[8:9]
	ds_bpermute_b32 v6, v31, v2
	ds_bpermute_b32 v7, v31, v3
	s_waitcnt lgkmcnt(2)
	v_pk_add_f32 v[10:11], v[10:11], v[16:17]
	ds_bpermute_b32 v14, v31, v4
	ds_bpermute_b32 v15, v31, v5
	;; [unrolled: 1-line block ×6, first 2 shown]
	v_and_b32_e32 v1, 0x3c0, v0
	s_waitcnt lgkmcnt(6)
	v_pk_add_f32 v[8:9], v[2:3], v[6:7]
	s_waitcnt lgkmcnt(4)
	v_pk_add_f32 v[6:7], v[4:5], v[14:15]
	;; [unrolled: 2-line block ×4, first 2 shown]
	v_cmp_eq_u32_e64 s[0:1], 64, v1
	v_cmp_eq_u32_e32 vcc, 0, v33
	s_barrier
	s_and_saveexec_b64 s[2:3], s[0:1]
	s_cbranch_execz .LBB322_66
; %bb.62:
	s_and_saveexec_b64 s[0:1], vcc
	s_cbranch_execz .LBB322_64
; %bb.63:
	v_mov_b32_e32 v1, 0x100
	v_lshl_add_u32 v1, v32, 2, v1
	ds_write2_b32 v1, v8, v9 offset1:16
	ds_write2_b32 v1, v6, v7 offset0:32 offset1:48
	ds_write2_b32 v1, v4, v5 offset0:64 offset1:80
	ds_write_b32 v1, v2 offset:384
.LBB322_64:
	s_or_b64 exec, exec, s[0:1]
	v_or_b32_e32 v1, 0x70, v32
	s_movk_i32 s0, 0x78
	v_cmp_gt_u32_e64 s[0:1], s0, v1
	s_and_b64 s[0:1], vcc, s[0:1]
	s_and_b64 exec, exec, s[0:1]
; %bb.65:
	v_mov_b32_e32 v1, 0x100
	v_lshl_add_u32 v1, v32, 2, v1
	ds_write_b32 v1, v3 offset:448
.LBB322_66:
	s_or_b64 exec, exec, s[2:3]
	v_cmp_gt_u32_e64 s[0:1], 64, v0
	v_lshrrev_b32_e32 v0, 2, v0
	s_waitcnt lgkmcnt(0)
	s_barrier
	s_and_saveexec_b64 s[6:7], s[0:1]
	s_cbranch_execz .LBB322_84
; %bb.67:
	s_and_saveexec_b64 s[2:3], vcc
	s_cbranch_execz .LBB322_69
; %bb.68:
	v_mov_b32_e32 v1, 0x100
	v_lshl_add_u32 v1, v0, 2, v1
	ds_read_b32 v1, v1
	s_waitcnt lgkmcnt(0)
	v_add_f32_e32 v8, v8, v1
.LBB322_69:
	s_or_b64 exec, exec, s[2:3]
	v_or_b32_e32 v1, 16, v0
	s_movk_i32 s8, 0x78
	v_cmp_gt_u32_e64 s[2:3], s8, v1
	s_and_b64 s[10:11], vcc, s[2:3]
	s_and_saveexec_b64 s[2:3], s[10:11]
	s_cbranch_execz .LBB322_71
; %bb.70:
	v_mov_b32_e32 v1, 0x100
	v_lshl_add_u32 v1, v0, 2, v1
	ds_read_b32 v1, v1 offset:64
	s_waitcnt lgkmcnt(0)
	v_add_f32_e32 v9, v9, v1
.LBB322_71:
	s_or_b64 exec, exec, s[2:3]
	v_or_b32_e32 v1, 32, v0
	v_cmp_gt_u32_e64 s[2:3], s8, v1
	s_and_b64 s[8:9], vcc, s[2:3]
	s_and_saveexec_b64 s[2:3], s[8:9]
	s_cbranch_execz .LBB322_73
; %bb.72:
	v_mov_b32_e32 v1, 0x100
	v_lshl_add_u32 v1, v0, 2, v1
	ds_read_b32 v1, v1 offset:128
	s_waitcnt lgkmcnt(0)
	v_add_f32_e32 v6, v6, v1
.LBB322_73:
	s_or_b64 exec, exec, s[2:3]
	v_or_b32_e32 v1, 48, v0
	s_movk_i32 s8, 0x78
	v_cmp_gt_u32_e64 s[2:3], s8, v1
	s_and_b64 s[10:11], vcc, s[2:3]
	s_and_saveexec_b64 s[2:3], s[10:11]
	s_cbranch_execz .LBB322_75
; %bb.74:
	v_mov_b32_e32 v1, 0x100
	v_lshl_add_u32 v1, v0, 2, v1
	ds_read_b32 v1, v1 offset:192
	s_waitcnt lgkmcnt(0)
	v_add_f32_e32 v7, v7, v1
.LBB322_75:
	s_or_b64 exec, exec, s[2:3]
	v_or_b32_e32 v1, 64, v0
	v_cmp_gt_u32_e64 s[2:3], s8, v1
	s_and_b64 s[8:9], vcc, s[2:3]
	s_and_saveexec_b64 s[2:3], s[8:9]
	s_cbranch_execz .LBB322_77
; %bb.76:
	v_mov_b32_e32 v1, 0x100
	v_lshl_add_u32 v1, v0, 2, v1
	ds_read_b32 v1, v1 offset:256
	s_waitcnt lgkmcnt(0)
	v_add_f32_e32 v4, v4, v1
.LBB322_77:
	;; [unrolled: 27-line block ×3, first 2 shown]
	s_or_b64 exec, exec, s[2:3]
	v_or_b32_e32 v1, 0x70, v0
	s_movk_i32 s2, 0x78
	v_cmp_gt_u32_e64 s[2:3], s2, v1
	s_and_b64 s[8:9], vcc, s[2:3]
	s_and_saveexec_b64 s[2:3], s[8:9]
	s_cbranch_execz .LBB322_83
; %bb.82:
	v_mov_b32_e32 v1, 0x100
	v_lshl_add_u32 v1, v0, 2, v1
	ds_read_b32 v1, v1 offset:448
	s_waitcnt lgkmcnt(0)
	v_add_f32_e32 v3, v3, v1
.LBB322_83:
	s_or_b64 exec, exec, s[2:3]
.LBB322_84:
	s_or_b64 exec, exec, s[6:7]
	s_barrier
	s_and_saveexec_b64 s[2:3], s[0:1]
	s_cbranch_execz .LBB322_101
; %bb.85:
	s_mul_i32 s0, s16, s12
	s_mul_i32 s0, s0, s5
	s_mulk_i32 s0, 0x78
	s_ashr_i32 s1, s0, 31
	s_lshl_b64 s[0:1], s[0:1], 1
	s_add_u32 s2, s20, s0
	s_mul_i32 s0, s12, s18
	s_addc_u32 s3, s21, s1
	s_ashr_i32 s1, s0, 31
	s_lshl_b64 s[0:1], s[0:1], 1
	s_add_u32 s2, s2, s0
	s_mul_i32 s0, s4, 0x78
	s_addc_u32 s3, s3, s1
	s_ashr_i32 s1, s0, 31
	s_lshl_b64 s[0:1], s[0:1], 1
	s_add_u32 s2, s2, s0
	s_movk_i32 s5, 0x78
	s_addc_u32 s3, s3, s1
	v_lshlrev_b32_e32 v1, 1, v0
	s_and_saveexec_b64 s[0:1], vcc
	s_cbranch_execz .LBB322_87
; %bb.86:
	v_cvt_pk_bf16_f32 v8, v8, s0
	global_store_short v1, v8, s[2:3]
.LBB322_87:
	s_or_b64 exec, exec, s[0:1]
	v_or_b32_e32 v8, 16, v0
	v_cmp_gt_u32_e64 s[0:1], s5, v8
	s_and_b64 s[4:5], vcc, s[0:1]
	s_and_saveexec_b64 s[0:1], s[4:5]
	s_cbranch_execz .LBB322_89
; %bb.88:
	v_cvt_pk_bf16_f32 v8, v9, s0
	global_store_short v1, v8, s[2:3] offset:32
.LBB322_89:
	s_or_b64 exec, exec, s[0:1]
	v_or_b32_e32 v8, 32, v0
	s_movk_i32 s4, 0x78
	v_cmp_gt_u32_e64 s[0:1], s4, v8
	s_and_b64 s[6:7], vcc, s[0:1]
	s_and_saveexec_b64 s[0:1], s[6:7]
	s_cbranch_execz .LBB322_91
; %bb.90:
	v_cvt_pk_bf16_f32 v6, v6, s0
	global_store_short v1, v6, s[2:3] offset:64
.LBB322_91:
	s_or_b64 exec, exec, s[0:1]
	v_or_b32_e32 v6, 48, v0
	v_cmp_gt_u32_e64 s[0:1], s4, v6
	s_and_b64 s[4:5], vcc, s[0:1]
	s_and_saveexec_b64 s[0:1], s[4:5]
	s_cbranch_execz .LBB322_93
; %bb.92:
	v_cvt_pk_bf16_f32 v6, v7, s0
	global_store_short v1, v6, s[2:3] offset:96
.LBB322_93:
	s_or_b64 exec, exec, s[0:1]
	v_or_b32_e32 v6, 64, v0
	s_movk_i32 s4, 0x78
	v_cmp_gt_u32_e64 s[0:1], s4, v6
	s_and_b64 s[6:7], vcc, s[0:1]
	s_and_saveexec_b64 s[0:1], s[6:7]
	s_cbranch_execz .LBB322_95
; %bb.94:
	v_cvt_pk_bf16_f32 v4, v4, s0
	global_store_short v1, v4, s[2:3] offset:128
.LBB322_95:
	;; [unrolled: 21-line block ×3, first 2 shown]
	s_or_b64 exec, exec, s[0:1]
	v_or_b32_e32 v0, 0x70, v0
	v_cmp_gt_u32_e64 s[0:1], s4, v0
	s_and_b64 s[0:1], vcc, s[0:1]
	s_and_b64 exec, exec, s[0:1]
	s_cbranch_execz .LBB322_101
; %bb.100:
	v_cvt_pk_bf16_f32 v0, v3, s0
	global_store_short v1, v0, s[2:3] offset:224
.LBB322_101:
	s_endpgm
	.section	.rodata,"a",@progbits
	.p2align	6, 0x0
	.amdhsa_kernel _ZN4vllm25paged_attention_v1_kernelI14__hip_bfloat16hLi120ELi32ELi128ELNS_18Fp8KVCacheDataTypeE1ELb0EEEvPT_PKS3_PKT0_S9_ifPKiSB_iPKfiiiSD_SD_iiiii
		.amdhsa_group_segment_fixed_size 256
		.amdhsa_private_segment_fixed_size 0
		.amdhsa_kernarg_size 384
		.amdhsa_user_sgpr_count 2
		.amdhsa_user_sgpr_dispatch_ptr 0
		.amdhsa_user_sgpr_queue_ptr 0
		.amdhsa_user_sgpr_kernarg_segment_ptr 1
		.amdhsa_user_sgpr_dispatch_id 0
		.amdhsa_user_sgpr_kernarg_preload_length 0
		.amdhsa_user_sgpr_kernarg_preload_offset 0
		.amdhsa_user_sgpr_private_segment_size 0
		.amdhsa_uses_dynamic_stack 0
		.amdhsa_enable_private_segment 0
		.amdhsa_system_sgpr_workgroup_id_x 1
		.amdhsa_system_sgpr_workgroup_id_y 1
		.amdhsa_system_sgpr_workgroup_id_z 1
		.amdhsa_system_sgpr_workgroup_info 0
		.amdhsa_system_vgpr_workitem_id 0
		.amdhsa_next_free_vgpr 105
		.amdhsa_next_free_sgpr 37
		.amdhsa_accum_offset 108
		.amdhsa_reserve_vcc 1
		.amdhsa_float_round_mode_32 0
		.amdhsa_float_round_mode_16_64 0
		.amdhsa_float_denorm_mode_32 3
		.amdhsa_float_denorm_mode_16_64 3
		.amdhsa_dx10_clamp 1
		.amdhsa_ieee_mode 1
		.amdhsa_fp16_overflow 0
		.amdhsa_tg_split 0
		.amdhsa_exception_fp_ieee_invalid_op 0
		.amdhsa_exception_fp_denorm_src 0
		.amdhsa_exception_fp_ieee_div_zero 0
		.amdhsa_exception_fp_ieee_overflow 0
		.amdhsa_exception_fp_ieee_underflow 0
		.amdhsa_exception_fp_ieee_inexact 0
		.amdhsa_exception_int_div_zero 0
	.end_amdhsa_kernel
	.section	.text._ZN4vllm25paged_attention_v1_kernelI14__hip_bfloat16hLi120ELi32ELi128ELNS_18Fp8KVCacheDataTypeE1ELb0EEEvPT_PKS3_PKT0_S9_ifPKiSB_iPKfiiiSD_SD_iiiii,"axG",@progbits,_ZN4vllm25paged_attention_v1_kernelI14__hip_bfloat16hLi120ELi32ELi128ELNS_18Fp8KVCacheDataTypeE1ELb0EEEvPT_PKS3_PKT0_S9_ifPKiSB_iPKfiiiSD_SD_iiiii,comdat
.Lfunc_end322:
	.size	_ZN4vllm25paged_attention_v1_kernelI14__hip_bfloat16hLi120ELi32ELi128ELNS_18Fp8KVCacheDataTypeE1ELb0EEEvPT_PKS3_PKT0_S9_ifPKiSB_iPKfiiiSD_SD_iiiii, .Lfunc_end322-_ZN4vllm25paged_attention_v1_kernelI14__hip_bfloat16hLi120ELi32ELi128ELNS_18Fp8KVCacheDataTypeE1ELb0EEEvPT_PKS3_PKT0_S9_ifPKiSB_iPKfiiiSD_SD_iiiii
                                        ; -- End function
	.set _ZN4vllm25paged_attention_v1_kernelI14__hip_bfloat16hLi120ELi32ELi128ELNS_18Fp8KVCacheDataTypeE1ELb0EEEvPT_PKS3_PKT0_S9_ifPKiSB_iPKfiiiSD_SD_iiiii.num_vgpr, 105
	.set _ZN4vllm25paged_attention_v1_kernelI14__hip_bfloat16hLi120ELi32ELi128ELNS_18Fp8KVCacheDataTypeE1ELb0EEEvPT_PKS3_PKT0_S9_ifPKiSB_iPKfiiiSD_SD_iiiii.num_agpr, 0
	.set _ZN4vllm25paged_attention_v1_kernelI14__hip_bfloat16hLi120ELi32ELi128ELNS_18Fp8KVCacheDataTypeE1ELb0EEEvPT_PKS3_PKT0_S9_ifPKiSB_iPKfiiiSD_SD_iiiii.numbered_sgpr, 37
	.set _ZN4vllm25paged_attention_v1_kernelI14__hip_bfloat16hLi120ELi32ELi128ELNS_18Fp8KVCacheDataTypeE1ELb0EEEvPT_PKS3_PKT0_S9_ifPKiSB_iPKfiiiSD_SD_iiiii.num_named_barrier, 0
	.set _ZN4vllm25paged_attention_v1_kernelI14__hip_bfloat16hLi120ELi32ELi128ELNS_18Fp8KVCacheDataTypeE1ELb0EEEvPT_PKS3_PKT0_S9_ifPKiSB_iPKfiiiSD_SD_iiiii.private_seg_size, 0
	.set _ZN4vllm25paged_attention_v1_kernelI14__hip_bfloat16hLi120ELi32ELi128ELNS_18Fp8KVCacheDataTypeE1ELb0EEEvPT_PKS3_PKT0_S9_ifPKiSB_iPKfiiiSD_SD_iiiii.uses_vcc, 1
	.set _ZN4vllm25paged_attention_v1_kernelI14__hip_bfloat16hLi120ELi32ELi128ELNS_18Fp8KVCacheDataTypeE1ELb0EEEvPT_PKS3_PKT0_S9_ifPKiSB_iPKfiiiSD_SD_iiiii.uses_flat_scratch, 0
	.set _ZN4vllm25paged_attention_v1_kernelI14__hip_bfloat16hLi120ELi32ELi128ELNS_18Fp8KVCacheDataTypeE1ELb0EEEvPT_PKS3_PKT0_S9_ifPKiSB_iPKfiiiSD_SD_iiiii.has_dyn_sized_stack, 0
	.set _ZN4vllm25paged_attention_v1_kernelI14__hip_bfloat16hLi120ELi32ELi128ELNS_18Fp8KVCacheDataTypeE1ELb0EEEvPT_PKS3_PKT0_S9_ifPKiSB_iPKfiiiSD_SD_iiiii.has_recursion, 0
	.set _ZN4vllm25paged_attention_v1_kernelI14__hip_bfloat16hLi120ELi32ELi128ELNS_18Fp8KVCacheDataTypeE1ELb0EEEvPT_PKS3_PKT0_S9_ifPKiSB_iPKfiiiSD_SD_iiiii.has_indirect_call, 0
	.section	.AMDGPU.csdata,"",@progbits
; Kernel info:
; codeLenInByte = 11360
; TotalNumSgprs: 43
; NumVgprs: 105
; NumAgprs: 0
; TotalNumVgprs: 105
; ScratchSize: 0
; MemoryBound: 0
; FloatMode: 240
; IeeeMode: 1
; LDSByteSize: 256 bytes/workgroup (compile time only)
; SGPRBlocks: 5
; VGPRBlocks: 13
; NumSGPRsForWavesPerEU: 43
; NumVGPRsForWavesPerEU: 105
; AccumOffset: 108
; Occupancy: 4
; WaveLimiterHint : 1
; COMPUTE_PGM_RSRC2:SCRATCH_EN: 0
; COMPUTE_PGM_RSRC2:USER_SGPR: 2
; COMPUTE_PGM_RSRC2:TRAP_HANDLER: 0
; COMPUTE_PGM_RSRC2:TGID_X_EN: 1
; COMPUTE_PGM_RSRC2:TGID_Y_EN: 1
; COMPUTE_PGM_RSRC2:TGID_Z_EN: 1
; COMPUTE_PGM_RSRC2:TIDIG_COMP_CNT: 0
; COMPUTE_PGM_RSRC3_GFX90A:ACCUM_OFFSET: 26
; COMPUTE_PGM_RSRC3_GFX90A:TG_SPLIT: 0
	.section	.text._ZN4vllm25paged_attention_v1_kernelI14__hip_bfloat16hLi128ELi32ELi128ELNS_18Fp8KVCacheDataTypeE1ELb0EEEvPT_PKS3_PKT0_S9_ifPKiSB_iPKfiiiSD_SD_iiiii,"axG",@progbits,_ZN4vllm25paged_attention_v1_kernelI14__hip_bfloat16hLi128ELi32ELi128ELNS_18Fp8KVCacheDataTypeE1ELb0EEEvPT_PKS3_PKT0_S9_ifPKiSB_iPKfiiiSD_SD_iiiii,comdat
	.protected	_ZN4vllm25paged_attention_v1_kernelI14__hip_bfloat16hLi128ELi32ELi128ELNS_18Fp8KVCacheDataTypeE1ELb0EEEvPT_PKS3_PKT0_S9_ifPKiSB_iPKfiiiSD_SD_iiiii ; -- Begin function _ZN4vllm25paged_attention_v1_kernelI14__hip_bfloat16hLi128ELi32ELi128ELNS_18Fp8KVCacheDataTypeE1ELb0EEEvPT_PKS3_PKT0_S9_ifPKiSB_iPKfiiiSD_SD_iiiii
	.globl	_ZN4vllm25paged_attention_v1_kernelI14__hip_bfloat16hLi128ELi32ELi128ELNS_18Fp8KVCacheDataTypeE1ELb0EEEvPT_PKS3_PKT0_S9_ifPKiSB_iPKfiiiSD_SD_iiiii
	.p2align	8
	.type	_ZN4vllm25paged_attention_v1_kernelI14__hip_bfloat16hLi128ELi32ELi128ELNS_18Fp8KVCacheDataTypeE1ELb0EEEvPT_PKS3_PKT0_S9_ifPKiSB_iPKfiiiSD_SD_iiiii,@function
_ZN4vllm25paged_attention_v1_kernelI14__hip_bfloat16hLi128ELi32ELi128ELNS_18Fp8KVCacheDataTypeE1ELb0EEEvPT_PKS3_PKT0_S9_ifPKiSB_iPKfiiiSD_SD_iiiii: ; @_ZN4vllm25paged_attention_v1_kernelI14__hip_bfloat16hLi128ELi32ELi128ELNS_18Fp8KVCacheDataTypeE1ELb0EEEvPT_PKS3_PKT0_S9_ifPKiSB_iPKfiiiSD_SD_iiiii
; %bb.0:
	s_load_dword s5, s[0:1], 0x80
	s_load_dwordx2 s[6:7], s[0:1], 0x30
	s_load_dwordx2 s[28:29], s[0:1], 0x20
	s_mov_b32 s16, s3
	s_ashr_i32 s17, s3, 31
	s_lshl_b64 s[8:9], s[16:17], 2
	s_waitcnt lgkmcnt(0)
	s_add_u32 s6, s6, s8
	s_addc_u32 s7, s7, s9
	s_abs_i32 s3, s28
	v_cvt_f32_u32_e32 v1, s3
	s_sub_i32 s10, 0, s3
	s_abs_i32 s9, s5
	s_xor_b32 s8, s5, s28
	v_rcp_iflag_f32_e32 v1, v1
	s_ashr_i32 s8, s8, 31
	s_mov_b32 s28, 0
	v_mul_f32_e32 v1, 0x4f7ffffe, v1
	v_cvt_u32_f32_e32 v1, v1
	s_nop 0
	v_readfirstlane_b32 s11, v1
	s_mul_i32 s10, s10, s11
	s_mul_hi_u32 s10, s11, s10
	s_add_i32 s11, s11, s10
	s_mul_hi_u32 s10, s9, s11
	s_mul_i32 s11, s10, s3
	s_sub_i32 s9, s9, s11
	s_add_i32 s11, s10, 1
	s_sub_i32 s12, s9, s3
	s_cmp_ge_u32 s9, s3
	s_cselect_b32 s10, s11, s10
	s_cselect_b32 s9, s12, s9
	s_add_i32 s11, s10, 1
	s_cmp_ge_u32 s9, s3
	s_cselect_b32 s3, s11, s10
	s_xor_b32 s3, s3, s8
	s_sub_i32 s12, s3, s8
	s_abs_i32 s10, s12
	v_cvt_f32_u32_e32 v1, s10
	s_load_dwordx2 s[8:9], s[0:1], 0x40
	s_sub_i32 s3, 0, s10
	s_abs_i32 s11, s2
	v_rcp_iflag_f32_e32 v1, v1
	s_nop 0
	v_mul_f32_e32 v1, 0x4f7ffffe, v1
	v_cvt_u32_f32_e32 v1, v1
	s_nop 0
	v_readfirstlane_b32 s13, v1
	s_mul_i32 s3, s3, s13
	s_mul_hi_u32 s3, s13, s3
	s_add_i32 s13, s13, s3
	s_waitcnt lgkmcnt(0)
	s_cmp_eq_u64 s[8:9], 0
	s_mul_hi_u32 s20, s11, s13
	s_cbranch_scc1 .LBB323_2
; %bb.1:
	s_ashr_i32 s3, s2, 31
	s_lshl_b64 s[14:15], s[2:3], 2
	s_add_u32 s8, s8, s14
	s_addc_u32 s9, s9, s15
	s_load_dword s28, s[8:9], 0x0
.LBB323_2:
	s_load_dword s17, s[6:7], 0x0
	s_ashr_i32 s7, s12, 31
	s_load_dwordx4 s[12:15], s[0:1], 0x48
	s_ashr_i32 s6, s2, 31
	v_and_b32_e32 v2, 1, v0
	s_lshl_b32 s18, s2, 7
	v_cmp_gt_u32_e32 vcc, 32, v0
	v_lshlrev_b32_e32 v8, 3, v0
	s_and_saveexec_b64 s[2:3], vcc
	s_cbranch_execz .LBB323_4
; %bb.3:
	s_load_dwordx2 s[8:9], s[0:1], 0x8
	s_waitcnt lgkmcnt(0)
	s_mul_i32 s22, s12, s16
	s_ashr_i32 s23, s22, 31
	s_lshl_b64 s[22:23], s[22:23], 1
	v_lshlrev_b32_e32 v1, 2, v0
	s_add_u32 s12, s8, s22
	s_addc_u32 s15, s9, s23
	s_ashr_i32 s19, s18, 31
	s_lshl_b64 s[8:9], s[18:19], 1
	s_add_u32 s8, s12, s8
	s_addc_u32 s9, s15, s9
	global_load_dwordx2 v[4:5], v8, s[8:9]
	v_and_b32_e32 v1, 0xff8, v1
	v_lshl_add_u32 v1, v2, 7, v1
	s_waitcnt vmcnt(0)
	ds_write_b64 v1, v[4:5]
.LBB323_4:
	s_or_b64 exec, exec, s[2:3]
	s_waitcnt lgkmcnt(0)
	s_add_i32 s3, s17, 31
	s_ashr_i32 s8, s3, 31
	s_lshr_b32 s8, s8, 27
	s_add_i32 s3, s3, s8
	s_ashr_i32 s19, s3, 5
	s_xor_b32 s3, s6, s7
	s_mul_i32 s6, s20, s10
	s_sub_i32 s6, s11, s6
	s_add_i32 s7, s20, 1
	s_sub_i32 s8, s6, s10
	s_load_dwordx2 s[22:23], s[0:1], 0x28
	s_load_dword s2, s[0:1], 0x38
	s_cmp_ge_u32 s6, s10
	s_cselect_b32 s7, s7, s20
	s_cselect_b32 s6, s8, s6
	s_add_i32 s8, s7, 1
	s_cmp_ge_u32 s6, s10
	s_cselect_b32 s6, s8, s7
	v_lshrrev_b32_e32 v1, 6, v0
	s_xor_b32 s6, s6, s3
	s_waitcnt lgkmcnt(0)
	s_mul_i32 s24, s2, s16
	s_sub_i32 s33, s6, s3
	s_ashr_i32 s25, s24, 31
	v_cmp_gt_i32_e64 s[6:7], s19, v1
	v_cmp_le_i32_e32 vcc, s19, v1
	v_mbcnt_lo_u32_b32 v3, -1, 0
	s_barrier
                                        ; implicit-def: $vgpr10
                                        ; implicit-def: $vgpr11
                                        ; implicit-def: $vgpr12
	s_and_saveexec_b64 s[2:3], vcc
	s_xor_b64 s[2:3], exec, s[2:3]
; %bb.5:
	v_mbcnt_hi_u32_b32 v10, -1, v3
	v_and_b32_e32 v11, 64, v10
	v_add_u32_e32 v12, 64, v11
                                        ; implicit-def: $vgpr2
                                        ; implicit-def: $vgpr3
; %bb.6:
	s_or_saveexec_b64 s[30:31], s[2:3]
	s_load_dwordx2 s[20:21], s[0:1], 0x0
	s_load_dwordx2 s[26:27], s[0:1], 0x18
	s_load_dword s12, s[0:1], 0x88
	s_load_dwordx4 s[8:11], s[0:1], 0x58
	v_mov_b32_e32 v77, 0xff7fffff
	s_mul_i32 s33, s33, s14
	v_lshrrev_b32_e32 v9, 4, v0
	s_xor_b64 exec, exec, s[30:31]
	s_cbranch_execz .LBB323_12
; %bb.7:
	v_lshlrev_b32_e32 v10, 7, v2
	ds_read_b128 v[4:7], v10
	ds_read_b128 v[26:29], v10 offset:16
	ds_read_b128 v[34:37], v10 offset:32
	ds_read_b128 v[42:45], v10 offset:48
	s_load_dwordx2 s[0:1], s[0:1], 0x10
	s_waitcnt lgkmcnt(0)
	v_lshlrev_b32_e32 v13, 16, v4
	v_and_b32_e32 v14, 0xffff0000, v4
	v_lshlrev_b32_e32 v15, 16, v5
	v_and_b32_e32 v16, 0xffff0000, v5
	;; [unrolled: 2-line block ×4, first 2 shown]
	ds_read_b128 v[4:7], v10 offset:64
	ds_read_b128 v[58:61], v10 offset:80
	v_lshlrev_b32_e32 v21, 16, v26
	v_and_b32_e32 v22, 0xffff0000, v26
	v_lshlrev_b32_e32 v23, 16, v27
	v_and_b32_e32 v24, 0xffff0000, v27
	;; [unrolled: 2-line block ×12, first 2 shown]
	s_waitcnt lgkmcnt(1)
	v_lshlrev_b32_e32 v45, 16, v4
	v_and_b32_e32 v46, 0xffff0000, v4
	v_lshlrev_b32_e32 v47, 16, v5
	v_and_b32_e32 v48, 0xffff0000, v5
	v_lshlrev_b32_e32 v49, 16, v6
	v_and_b32_e32 v50, 0xffff0000, v6
	v_lshlrev_b32_e32 v51, 16, v7
	v_and_b32_e32 v52, 0xffff0000, v7
	ds_read_b128 v[4:7], v10 offset:96
	ds_read_b128 v[74:77], v10 offset:112
	s_ashr_i32 s2, s33, 31
	s_add_u32 s0, s0, s33
	v_mbcnt_hi_u32_b32 v10, -1, v3
	s_waitcnt lgkmcnt(2)
	v_lshlrev_b32_e32 v53, 16, v58
	s_waitcnt lgkmcnt(0)
	v_lshlrev_b32_e32 v69, 16, v74
	v_and_b32_e32 v70, 0xffff0000, v74
	v_lshlrev_b32_e32 v71, 16, v75
	v_and_b32_e32 v72, 0xffff0000, v75
	;; [unrolled: 2-line block ×4, first 2 shown]
	v_bfe_u32 v77, v0, 1, 5
	v_and_b32_e32 v54, 0xffff0000, v58
	v_lshlrev_b32_e32 v55, 16, v59
	v_and_b32_e32 v56, 0xffff0000, v59
	v_lshlrev_b32_e32 v57, 16, v60
	;; [unrolled: 2-line block ×5, first 2 shown]
	v_and_b32_e32 v64, 0xffff0000, v5
	s_addc_u32 s1, s1, s2
	v_lshlrev_b32_e32 v4, 4, v77
	v_mov_b32_e32 v5, 0
	v_and_b32_e32 v11, 64, v10
	v_lshlrev_b32_e32 v65, 16, v6
	v_and_b32_e32 v66, 0xffff0000, v6
	v_lshlrev_b32_e32 v67, 16, v7
	v_and_b32_e32 v68, 0xffff0000, v7
	v_lshl_add_u64 v[6:7], s[0:1], 0, v[4:5]
	v_lshlrev_b32_e32 v4, 2, v2
	v_cmp_eq_u32_e32 vcc, 0, v2
	v_xor_b32_e32 v2, 1, v10
	v_add_u32_e32 v12, 64, v11
	v_cmp_lt_i32_e64 s[0:1], v2, v12
	s_load_dword s35, s[8:9], 0x0
	s_sub_i32 s36, 1, s17
	v_cndmask_b32_e64 v2, v10, v2, s[0:1]
	v_lshlrev_b32_e32 v78, 2, v2
	v_lshl_add_u64 v[2:3], v[6:7], 0, v[4:5]
	v_lshlrev_b32_e32 v4, 2, v77
	s_lshl_b64 s[0:1], s[24:25], 2
	v_lshl_or_b32 v4, v1, 7, v4
	s_add_u32 s0, s22, s0
	v_add_u32_e32 v80, 0x110, v4
	v_and_b32_e32 v4, 60, v9
	s_addc_u32 s1, s23, s1
	s_mov_b32 s34, s13
	v_cmp_neq_f32_e64 s[2:3], s28, 0
	v_lshl_or_b32 v79, v1, 5, v77
	v_lshl_add_u64 v[4:5], s[0:1], 0, v[4:5]
	s_mov_b64 s[8:9], 0
	v_mov_b32_e32 v77, 0xff7fffff
	v_mov_b32_e32 v81, v1
	s_branch .LBB323_9
.LBB323_8:                              ;   in Loop: Header=BB323_9 Depth=1
	s_or_b64 exec, exec, s[14:15]
	v_add_u32_e32 v81, 2, v81
	v_cmp_le_i32_e64 s[0:1], s19, v81
	v_add_u32_e32 v79, 64, v79
	v_add_u32_e32 v80, 0x100, v80
	s_or_b64 s[8:9], s[0:1], s[8:9]
	v_lshl_add_u64 v[4:5], v[4:5], 0, 8
	s_andn2_b64 exec, exec, s[8:9]
	s_cbranch_execz .LBB323_11
.LBB323_9:                              ; =>This Inner Loop Header: Depth=1
	global_load_dword v6, v[4:5], off
	s_waitcnt vmcnt(0) lgkmcnt(0)
	v_mad_i64_i32 v[6:7], s[0:1], v6, s34, v[2:3]
	global_load_dword v95, v[6:7], off
	global_load_dword v96, v[6:7], off offset:8
	global_load_dword v94, v[6:7], off offset:512
	;; [unrolled: 1-line block ×14, first 2 shown]
	s_nop 0
	global_load_dword v6, v[6:7], off offset:3592
	s_waitcnt vmcnt(15)
	v_and_b32_e32 v7, 0xff, v95
	s_waitcnt vmcnt(14)
	v_and_b32_e32 v97, 0xff, v96
	v_bfe_u32 v98, v95, 8, 8
	v_bfe_u32 v99, v96, 8, 8
	v_bfe_u32 v100, v95, 16, 8
	v_bfe_u32 v101, v96, 16, 8
	v_lshrrev_b32_e32 v96, 24, v96
	s_waitcnt vmcnt(11)
	v_and_b32_e32 v108, 0xff, v92
	v_bfe_u32 v109, v92, 8, 8
	v_bfe_u32 v110, v92, 16, 8
	v_lshrrev_b32_e32 v92, 24, v92
	v_cvt_f32_fp8_e32 v7, v7
	v_cvt_f32_fp8_e32 v97, v97
	;; [unrolled: 1-line block ×6, first 2 shown]
	v_lshrrev_b32_e32 v95, 24, v95
	v_and_b32_e32 v102, 0xff, v94
	v_bfe_u32 v103, v94, 8, 8
	v_bfe_u32 v104, v94, 16, 8
	v_and_b32_e32 v105, 0xff, v93
	v_bfe_u32 v106, v93, 8, 8
	v_bfe_u32 v107, v93, 16, 8
	v_lshrrev_b32_e32 v93, 24, v93
	v_cvt_f32_fp8_e32 v96, v96
	v_cvt_f32_fp8_e32 v92, v92
	v_lshrrev_b32_e32 v94, 24, v94
	v_cvt_f32_fp8_e32 v95, v95
	v_cvt_f32_fp8_e32 v102, v102
	;; [unrolled: 1-line block ×9, first 2 shown]
	s_waitcnt vmcnt(10)
	v_bfe_u32 v113, v91, 16, 8
	v_cvt_f32_fp8_e32 v110, v110
	s_waitcnt lgkmcnt(0)
	v_mul_f32_e32 v7, s35, v7
	v_mul_f32_e32 v97, s35, v97
	;; [unrolled: 1-line block ×6, first 2 shown]
	s_waitcnt vmcnt(9)
	v_bfe_u32 v116, v90, 16, 8
	v_cvt_f32_fp8_e32 v113, v113
	v_mul_f32_e32 v96, s35, v96
	v_mul_f32_e32 v92, s35, v92
	v_cvt_pk_bf16_f32 v7, v7, s0
	v_cvt_pk_bf16_f32 v97, v97, s0
	;; [unrolled: 1-line block ×6, first 2 shown]
	v_cvt_f32_fp8_e32 v116, v116
	v_mul_f32_e32 v95, s35, v95
	v_mul_f32_e32 v102, s35, v102
	;; [unrolled: 1-line block ×8, first 2 shown]
	v_cvt_pk_bf16_f32 v96, v96, s0
	v_cvt_pk_bf16_f32 v92, v92, s0
	v_lshlrev_b32_e32 v117, 16, v7
	v_lshlrev_b32_e32 v7, 16, v97
	;; [unrolled: 1-line block ×6, first 2 shown]
	v_mul_f32_e32 v94, s35, v94
	v_cvt_pk_bf16_f32 v95, v95, s0
	v_cvt_pk_bf16_f32 v102, v102, s0
	;; [unrolled: 1-line block ×8, first 2 shown]
	v_lshlrev_b32_e32 v96, 16, v96
	v_lshlrev_b32_e32 v118, 16, v92
	v_mul_f32_e32 v92, v19, v100
	v_mul_f32_e32 v110, s35, v110
	v_cvt_pk_bf16_f32 v94, v94, s0
	v_lshlrev_b32_e32 v95, 16, v95
	v_lshlrev_b32_e32 v101, 16, v102
	;; [unrolled: 1-line block ×8, first 2 shown]
	v_mul_f32_e32 v93, v20, v96
	v_fmac_f32_e32 v92, v15, v99
	v_and_b32_e32 v111, 0xff, v91
	v_bfe_u32 v112, v91, 8, 8
	v_lshrrev_b32_e32 v91, 24, v91
	v_mul_f32_e32 v113, s35, v113
	v_cvt_pk_bf16_f32 v110, v110, s0
	v_lshlrev_b32_e32 v94, 16, v94
	v_fmac_f32_e32 v93, v16, v95
	v_fmac_f32_e32 v92, v23, v103
	v_and_b32_e32 v114, 0xff, v90
	v_bfe_u32 v115, v90, 8, 8
	v_cvt_f32_fp8_e32 v91, v91
	v_cvt_pk_bf16_f32 v113, v113, s0
	v_lshlrev_b32_e32 v110, 16, v110
	v_fmac_f32_e32 v93, v24, v94
	v_fmac_f32_e32 v92, v27, v106
	v_mul_f32_e32 v94, s35, v116
	v_lshrrev_b32_e32 v90, 24, v90
	v_lshlrev_b32_e32 v113, 16, v113
	v_fmac_f32_e32 v92, v31, v110
	v_cvt_f32_fp8_e32 v90, v90
	v_cvt_pk_bf16_f32 v94, v94, s0
	v_fmac_f32_e32 v92, v35, v113
	v_lshlrev_b32_e32 v94, 16, v94
	v_cvt_f32_fp8_e32 v108, v108
	v_fmac_f32_e32 v92, v39, v94
	s_waitcnt vmcnt(8)
	v_and_b32_e32 v94, 0xff, v89
	v_cvt_f32_fp8_e32 v111, v111
	v_mul_f32_e32 v91, s35, v91
	v_cvt_f32_fp8_e32 v94, v94
	v_cvt_f32_fp8_e32 v114, v114
	v_cvt_pk_bf16_f32 v91, v91, s0
	v_fmac_f32_e32 v93, v28, v107
	v_mul_f32_e32 v90, s35, v90
	v_lshlrev_b32_e32 v119, 16, v91
	v_mul_f32_e32 v7, v17, v7
	v_fmac_f32_e32 v93, v32, v118
	v_cvt_pk_bf16_f32 v90, v90, s0
	v_mul_f32_e32 v108, s35, v108
	v_fmac_f32_e32 v7, v13, v117
	v_fmac_f32_e32 v93, v36, v119
	v_lshlrev_b32_e32 v90, 16, v90
	v_cvt_f32_fp8_e32 v109, v109
	v_mul_f32_e32 v111, s35, v111
	v_cvt_pk_bf16_f32 v108, v108, s0
	v_fmac_f32_e32 v7, v21, v101
	v_fmac_f32_e32 v93, v40, v90
	v_mul_f32_e32 v90, s35, v94
	v_bfe_u32 v94, v89, 8, 8
	v_cvt_f32_fp8_e32 v112, v112
	v_mul_f32_e32 v114, s35, v114
	v_cvt_pk_bf16_f32 v111, v111, s0
	v_lshlrev_b32_e32 v108, 16, v108
	v_fmac_f32_e32 v7, v25, v104
	v_cvt_f32_fp8_e32 v94, v94
	v_cvt_f32_fp8_e32 v115, v115
	v_cvt_pk_bf16_f32 v114, v114, s0
	v_lshlrev_b32_e32 v111, 16, v111
	v_fmac_f32_e32 v7, v29, v108
	v_lshlrev_b32_e32 v114, 16, v114
	v_mul_f32_e32 v91, v18, v98
	v_fmac_f32_e32 v7, v33, v111
	v_cvt_pk_bf16_f32 v90, v90, s0
	v_mul_f32_e32 v109, s35, v109
	v_fmac_f32_e32 v91, v14, v97
	v_fmac_f32_e32 v7, v37, v114
	v_lshlrev_b32_e32 v90, 16, v90
	v_mul_f32_e32 v112, s35, v112
	v_cvt_pk_bf16_f32 v109, v109, s0
	v_fmac_f32_e32 v91, v22, v102
	v_fmac_f32_e32 v7, v41, v90
	v_mul_f32_e32 v90, s35, v94
	v_bfe_u32 v94, v89, 16, 8
	v_mul_f32_e32 v115, s35, v115
	v_cvt_pk_bf16_f32 v112, v112, s0
	v_lshlrev_b32_e32 v109, 16, v109
	v_fmac_f32_e32 v91, v26, v105
	v_cvt_f32_fp8_e32 v94, v94
	v_cvt_pk_bf16_f32 v115, v115, s0
	v_lshlrev_b32_e32 v112, 16, v112
	v_fmac_f32_e32 v91, v30, v109
	v_lshlrev_b32_e32 v115, 16, v115
	v_fmac_f32_e32 v91, v34, v112
	v_cvt_pk_bf16_f32 v90, v90, s0
	v_fmac_f32_e32 v91, v38, v115
	v_lshlrev_b32_e32 v90, 16, v90
	v_fmac_f32_e32 v91, v42, v90
	v_mul_f32_e32 v90, s35, v94
	v_lshrrev_b32_e32 v89, 24, v89
	v_cvt_f32_fp8_e32 v89, v89
	v_cvt_pk_bf16_f32 v90, v90, s0
	v_lshlrev_b32_e32 v90, 16, v90
	v_fmac_f32_e32 v92, v43, v90
	s_waitcnt vmcnt(7)
	v_and_b32_e32 v90, 0xff, v88
	v_cvt_f32_fp8_e32 v90, v90
	v_mul_f32_e32 v89, s35, v89
	v_cvt_pk_bf16_f32 v89, v89, s0
	v_lshlrev_b32_e32 v89, 16, v89
	v_fmac_f32_e32 v93, v44, v89
	v_mul_f32_e32 v89, s35, v90
	v_bfe_u32 v90, v88, 8, 8
	v_cvt_f32_fp8_e32 v90, v90
	v_cvt_pk_bf16_f32 v89, v89, s0
	v_lshlrev_b32_e32 v89, 16, v89
	v_fmac_f32_e32 v7, v45, v89
	v_mul_f32_e32 v89, s35, v90
	v_bfe_u32 v90, v88, 16, 8
	v_cvt_f32_fp8_e32 v90, v90
	v_cvt_pk_bf16_f32 v89, v89, s0
	v_lshlrev_b32_e32 v89, 16, v89
	v_fmac_f32_e32 v91, v46, v89
	v_mul_f32_e32 v89, s35, v90
	v_lshrrev_b32_e32 v88, 24, v88
	v_cvt_f32_fp8_e32 v88, v88
	v_cvt_pk_bf16_f32 v89, v89, s0
	v_lshlrev_b32_e32 v89, 16, v89
	v_fmac_f32_e32 v92, v47, v89
	s_waitcnt vmcnt(6)
	v_and_b32_e32 v89, 0xff, v87
	v_cvt_f32_fp8_e32 v89, v89
	v_mul_f32_e32 v88, s35, v88
	v_cvt_pk_bf16_f32 v88, v88, s0
	v_lshlrev_b32_e32 v88, 16, v88
	v_fmac_f32_e32 v93, v48, v88
	v_mul_f32_e32 v88, s35, v89
	v_bfe_u32 v89, v87, 8, 8
	v_cvt_f32_fp8_e32 v89, v89
	v_cvt_pk_bf16_f32 v88, v88, s0
	v_lshlrev_b32_e32 v88, 16, v88
	v_fmac_f32_e32 v7, v49, v88
	v_mul_f32_e32 v88, s35, v89
	v_bfe_u32 v89, v87, 16, 8
	v_cvt_f32_fp8_e32 v89, v89
	v_cvt_pk_bf16_f32 v88, v88, s0
	;; [unrolled: 25-line block ×7, first 2 shown]
	v_lshlrev_b32_e32 v83, 16, v83
	v_lshrrev_b32_e32 v82, 24, v82
	v_fmac_f32_e32 v91, v70, v83
	v_mul_f32_e32 v83, s35, v84
	v_cvt_f32_fp8_e32 v82, v82
	v_cvt_pk_bf16_f32 v83, v83, s0
	v_lshlrev_b32_e32 v83, 16, v83
	v_fmac_f32_e32 v92, v71, v83
	s_waitcnt vmcnt(0)
	v_and_b32_e32 v83, 0xff, v6
	v_cvt_f32_fp8_e32 v83, v83
	v_mul_f32_e32 v82, s35, v82
	v_cvt_pk_bf16_f32 v82, v82, s0
	v_lshlrev_b32_e32 v82, 16, v82
	v_fmac_f32_e32 v93, v72, v82
	v_mul_f32_e32 v82, s35, v83
	v_cvt_pk_bf16_f32 v82, v82, s0
	v_bfe_u32 v84, v6, 8, 8
	v_lshlrev_b32_e32 v82, 16, v82
	v_cvt_f32_fp8_e32 v84, v84
	v_fmac_f32_e32 v7, v73, v82
	v_bfe_u32 v82, v6, 16, 8
	v_lshrrev_b32_e32 v6, 24, v6
	v_cvt_f32_fp8_e32 v82, v82
	v_cvt_f32_fp8_e32 v6, v6
	v_mul_f32_e32 v83, s35, v84
	v_cvt_pk_bf16_f32 v83, v83, s0
	v_mul_f32_e32 v82, s35, v82
	v_mul_f32_e32 v6, s35, v6
	v_cvt_pk_bf16_f32 v82, v82, s0
	v_cvt_pk_bf16_f32 v6, v6, s0
	v_lshlrev_b32_e32 v83, 16, v83
	v_fmac_f32_e32 v91, v74, v83
	v_lshlrev_b32_e32 v82, 16, v82
	v_lshlrev_b32_e32 v6, 16, v6
	v_fmac_f32_e32 v92, v75, v82
	v_fmac_f32_e32 v93, v76, v6
	v_add_f32_e32 v6, v7, v91
	v_add_f32_e32 v6, v6, v92
	;; [unrolled: 1-line block ×3, first 2 shown]
	ds_bpermute_b32 v7, v78, v6
	s_and_saveexec_b64 s[14:15], vcc
	s_cbranch_execz .LBB323_8
; %bb.10:                               ;   in Loop: Header=BB323_9 Depth=1
	v_add_u32_e32 v82, s36, v79
	v_cvt_f32_i32_e32 v82, v82
	s_waitcnt lgkmcnt(0)
	v_add_f32_e32 v6, v6, v7
	v_cmp_gt_i32_e64 s[0:1], s17, v79
	v_max_f32_e32 v7, v77, v77
	v_mul_f32_e32 v82, s28, v82
	v_cndmask_b32_e64 v82, 0, v82, s[2:3]
	v_fmac_f32_e32 v82, s29, v6
	v_cndmask_b32_e64 v6, 0, v82, s[0:1]
	ds_write_b32 v80, v6
	v_max_f32_e32 v6, v7, v82
	v_cndmask_b32_e64 v77, v77, v6, s[0:1]
	s_branch .LBB323_8
.LBB323_11:
	s_or_b64 exec, exec, s[8:9]
.LBB323_12:
	s_or_b64 exec, exec, s[30:31]
	v_xor_b32_e32 v2, 32, v10
	v_cmp_lt_i32_e32 vcc, v2, v12
	v_xor_b32_e32 v5, 16, v10
	v_max_f32_e32 v4, v77, v77
	v_cndmask_b32_e32 v2, v10, v2, vcc
	v_lshlrev_b32_e32 v2, 2, v2
	ds_bpermute_b32 v3, v2, v77
	v_cmp_lt_i32_e32 vcc, v5, v12
	v_xor_b32_e32 v6, 8, v10
	s_waitcnt lgkmcnt(0)
	v_xor_b32_e32 v7, 4, v10
	v_xor_b32_e32 v13, 2, v10
	v_max_f32_e32 v3, v3, v3
	v_max_f32_e32 v4, v4, v3
	v_cndmask_b32_e32 v3, v10, v5, vcc
	v_lshlrev_b32_e32 v3, 2, v3
	ds_bpermute_b32 v5, v3, v4
	v_cmp_lt_i32_e32 vcc, v6, v12
	v_and_b32_e32 v24, 63, v0
	s_waitcnt lgkmcnt(0)
	v_max_f32_e32 v5, v5, v5
	v_max_f32_e32 v5, v4, v5
	v_cndmask_b32_e32 v4, v10, v6, vcc
	v_lshlrev_b32_e32 v4, 2, v4
	ds_bpermute_b32 v6, v4, v5
	v_cmp_lt_i32_e32 vcc, v7, v12
	s_waitcnt lgkmcnt(0)
	v_max_f32_e32 v6, v6, v6
	v_max_f32_e32 v6, v5, v6
	v_cndmask_b32_e32 v5, v10, v7, vcc
	v_lshlrev_b32_e32 v5, 2, v5
	ds_bpermute_b32 v7, v5, v6
	v_cmp_lt_i32_e32 vcc, v13, v12
	s_waitcnt lgkmcnt(0)
	v_max_f32_e32 v7, v7, v7
	v_max_f32_e32 v7, v6, v7
	v_cndmask_b32_e32 v6, v10, v13, vcc
	v_lshlrev_b32_e32 v25, 2, v6
	ds_bpermute_b32 v13, v25, v7
	v_cmp_eq_u32_e32 vcc, 0, v24
	v_lshlrev_b32_e32 v6, 2, v1
	s_and_saveexec_b64 s[0:1], vcc
	s_cbranch_execz .LBB323_14
; %bb.13:
	s_waitcnt lgkmcnt(0)
	v_max_f32_e32 v13, v13, v13
	v_max_f32_e32 v7, v7, v7
	;; [unrolled: 1-line block ×3, first 2 shown]
	ds_write_b32 v6, v7 offset:256
.LBB323_14:
	s_or_b64 exec, exec, s[0:1]
	v_cmp_gt_u32_e64 s[0:1], 2, v24
	s_waitcnt lgkmcnt(0)
	v_mov_b32_e32 v13, 0xff7fffff
	v_lshlrev_b32_e32 v7, 2, v24
	s_barrier
	s_and_saveexec_b64 s[2:3], s[0:1]
; %bb.15:
	ds_read_b32 v13, v7 offset:256
; %bb.16:
	s_or_b64 exec, exec, s[2:3]
	v_xor_b32_e32 v14, 1, v10
	v_cmp_lt_i32_e64 s[2:3], v14, v12
	v_lshlrev_b32_e32 v11, 2, v11
	s_nop 0
	v_cndmask_b32_e64 v12, v10, v14, s[2:3]
	v_lshlrev_b32_e32 v26, 2, v12
	s_waitcnt lgkmcnt(0)
	ds_bpermute_b32 v12, v26, v13
	v_max_f32_e32 v13, v13, v13
	s_lshl_b32 s2, s19, 5
	s_min_i32 s30, s2, s17
	v_cmp_gt_i32_e64 s[2:3], s30, v0
	s_waitcnt lgkmcnt(0)
	v_max_f32_e32 v12, v12, v12
	v_max_f32_e32 v12, v13, v12
	ds_bpermute_b32 v12, v11, v12
	v_mov_b32_e32 v11, 0
	s_and_saveexec_b64 s[14:15], s[2:3]
	s_cbranch_execz .LBB323_20
; %bb.17:
	v_mov_b32_e32 v11, 0x110
	v_lshl_add_u32 v13, v0, 2, v11
	v_mov_b32_e32 v11, 0
	s_mov_b64 s[28:29], 0
	v_mov_b32_e32 v14, v0
.LBB323_18:                             ; =>This Inner Loop Header: Depth=1
	ds_read_b32 v15, v13
	v_add_u32_e32 v14, 0x80, v14
	v_cmp_le_i32_e64 s[8:9], s30, v14
	s_or_b64 s[28:29], s[8:9], s[28:29]
	s_waitcnt lgkmcnt(0)
	v_sub_f32_e32 v15, v15, v12
	v_mul_f32_e32 v15, 0x3fb8aa3b, v15
	v_exp_f32_e32 v15, v15
	ds_write_b32 v13, v15
	v_add_f32_e32 v11, v11, v15
	v_add_u32_e32 v13, 0x200, v13
	s_andn2_b64 exec, exec, s[28:29]
	s_cbranch_execnz .LBB323_18
; %bb.19:
	s_or_b64 exec, exec, s[28:29]
.LBB323_20:
	s_or_b64 exec, exec, s[14:15]
	ds_bpermute_b32 v2, v2, v11
	s_waitcnt lgkmcnt(0)
	v_add_f32_e32 v2, v11, v2
	ds_bpermute_b32 v3, v3, v2
	s_waitcnt lgkmcnt(0)
	v_add_f32_e32 v2, v2, v3
	;; [unrolled: 3-line block ×6, first 2 shown]
	s_and_saveexec_b64 s[8:9], vcc
; %bb.21:
	ds_write_b32 v6, v2 offset:264
; %bb.22:
	s_or_b64 exec, exec, s[8:9]
	s_waitcnt lgkmcnt(0)
	s_barrier
	s_and_saveexec_b64 s[8:9], s[0:1]
; %bb.23:
	ds_read_b32 v2, v7 offset:264
; %bb.24:
	s_or_b64 exec, exec, s[8:9]
	s_waitcnt lgkmcnt(0)
	ds_bpermute_b32 v3, v26, v2
	v_lshlrev_b32_e32 v4, 2, v10
	s_waitcnt lgkmcnt(0)
	v_add_f32_e32 v2, v2, v3
	v_and_b32_e32 v3, 0xffffff00, v4
	ds_bpermute_b32 v2, v3, v2
	s_and_saveexec_b64 s[0:1], s[2:3]
	s_cbranch_execz .LBB323_37
; %bb.25:
	s_waitcnt lgkmcnt(0)
	v_add_f32_e32 v2, 0x358637bd, v2
	v_div_scale_f32 v3, s[2:3], v2, v2, 1.0
	v_rcp_f32_e32 v4, v3
	v_div_scale_f32 v5, vcc, 1.0, v2, 1.0
	s_movk_i32 s2, 0x7f
	v_fma_f32 v6, -v3, v4, 1.0
	v_fmac_f32_e32 v4, v6, v4
	v_mul_f32_e32 v6, v5, v4
	v_fma_f32 v7, -v3, v6, v5
	v_fmac_f32_e32 v6, v7, v4
	v_fma_f32 v3, -v3, v6, v5
	v_div_fmas_f32 v3, v3, v4, v6
	v_xad_u32 v4, v0, -1, s30
	v_div_fixup_f32 v2, v3, v2, 1.0
	v_cmp_lt_u32_e32 vcc, s2, v4
	s_mov_b64 s[8:9], -1
	v_mov_b32_e32 v3, v0
	s_and_saveexec_b64 s[2:3], vcc
	s_cbranch_execz .LBB323_34
; %bb.26:
	v_lshrrev_b32_e32 v4, 7, v4
	v_add_u32_e32 v6, -1, v4
	v_lshrrev_b32_e32 v5, 1, v6
	v_mov_b32_e32 v3, v2
	v_add_u32_e32 v5, 1, v5
	v_cmp_lt_u32_e32 vcc, 13, v6
	v_mov_b32_e32 v10, 0
	s_and_saveexec_b64 s[8:9], vcc
	s_cbranch_execz .LBB323_30
; %bb.27:
	v_mov_b32_e32 v7, 0x110
	v_and_b32_e32 v6, -8, v5
	v_lshl_add_u32 v7, v0, 2, v7
	s_mov_b32 s28, 0
	s_mov_b64 s[14:15], 0
.LBB323_28:                             ; =>This Inner Loop Header: Depth=1
	ds_read2st64_b32 v[10:11], v7 offset1:2
	ds_read2st64_b32 v[12:13], v7 offset0:4 offset1:6
	ds_read2st64_b32 v[14:15], v7 offset0:8 offset1:10
	;; [unrolled: 1-line block ×3, first 2 shown]
	v_add_u32_e32 v6, -8, v6
	s_waitcnt lgkmcnt(3)
	v_pk_mul_f32 v[10:11], v[2:3], v[10:11]
	s_waitcnt lgkmcnt(2)
	v_pk_mul_f32 v[12:13], v[2:3], v[12:13]
	ds_write2st64_b32 v7, v10, v11 offset1:2
	ds_write2st64_b32 v7, v12, v13 offset0:4 offset1:6
	ds_read2st64_b32 v[12:13], v7 offset0:16 offset1:18
	s_waitcnt lgkmcnt(4)
	v_pk_mul_f32 v[10:11], v[2:3], v[14:15]
	ds_write2st64_b32 v7, v10, v11 offset0:8 offset1:10
	s_waitcnt lgkmcnt(4)
	v_pk_mul_f32 v[10:11], v[2:3], v[16:17]
	ds_write2st64_b32 v7, v10, v11 offset0:12 offset1:14
	ds_read2st64_b32 v[10:11], v7 offset0:20 offset1:22
	s_waitcnt lgkmcnt(3)
	v_pk_mul_f32 v[12:13], v[2:3], v[12:13]
	ds_read2st64_b32 v[14:15], v7 offset0:24 offset1:26
	ds_write2st64_b32 v7, v12, v13 offset0:16 offset1:18
	ds_read2st64_b32 v[12:13], v7 offset0:28 offset1:30
	s_waitcnt lgkmcnt(3)
	v_pk_mul_f32 v[10:11], v[2:3], v[10:11]
	ds_write2st64_b32 v7, v10, v11 offset0:20 offset1:22
	s_waitcnt lgkmcnt(3)
	v_pk_mul_f32 v[10:11], v[2:3], v[14:15]
	ds_write2st64_b32 v7, v10, v11 offset0:24 offset1:26
	s_waitcnt lgkmcnt(2)
	v_pk_mul_f32 v[10:11], v[2:3], v[12:13]
	s_add_i32 s28, s28, 16
	v_cmp_eq_u32_e32 vcc, 0, v6
	ds_write2st64_b32 v7, v10, v11 offset0:28 offset1:30
	v_add_u32_e32 v7, 0x2000, v7
	s_or_b64 s[14:15], vcc, s[14:15]
	v_mov_b32_e32 v10, s28
	s_andn2_b64 exec, exec, s[14:15]
	s_cbranch_execnz .LBB323_28
; %bb.29:
	s_or_b64 exec, exec, s[14:15]
.LBB323_30:
	s_or_b64 exec, exec, s[8:9]
	v_and_b32_e32 v5, 7, v5
	v_cmp_ne_u32_e32 vcc, 0, v5
	s_and_saveexec_b64 s[8:9], vcc
	s_cbranch_execz .LBB323_33
; %bb.31:
	v_lshlrev_b32_e32 v6, 9, v10
	v_lshlrev_b32_e32 v7, 2, v0
	s_movk_i32 s14, 0x110
	v_add3_u32 v6, v6, v7, s14
	s_mov_b64 s[14:15], 0
.LBB323_32:                             ; =>This Inner Loop Header: Depth=1
	ds_read2st64_b32 v[10:11], v6 offset1:2
	v_add_u32_e32 v5, -1, v5
	v_cmp_eq_u32_e32 vcc, 0, v5
	s_or_b64 s[14:15], vcc, s[14:15]
	s_waitcnt lgkmcnt(0)
	v_pk_mul_f32 v[10:11], v[2:3], v[10:11]
	ds_write2st64_b32 v6, v10, v11 offset1:2
	v_add_u32_e32 v6, 0x400, v6
	s_andn2_b64 exec, exec, s[14:15]
	s_cbranch_execnz .LBB323_32
.LBB323_33:
	s_or_b64 exec, exec, s[8:9]
	v_add_u32_e32 v4, 1, v4
	v_and_b32_e32 v5, 0x3fffffe, v4
	v_cmp_ne_u32_e32 vcc, v4, v5
	v_lshl_add_u32 v3, v5, 7, v0
	s_orn2_b64 s[8:9], vcc, exec
.LBB323_34:
	s_or_b64 exec, exec, s[2:3]
	s_and_b64 exec, exec, s[8:9]
	s_cbranch_execz .LBB323_37
; %bb.35:
	v_mov_b32_e32 v4, 0x110
	v_lshl_add_u32 v4, v3, 2, v4
	s_mov_b64 s[2:3], 0
.LBB323_36:                             ; =>This Inner Loop Header: Depth=1
	ds_read_b32 v5, v4
	v_add_u32_e32 v3, 0x80, v3
	v_cmp_le_i32_e32 vcc, s30, v3
	s_or_b64 s[2:3], vcc, s[2:3]
	s_waitcnt lgkmcnt(0)
	v_mul_f32_e32 v5, v2, v5
	ds_write_b32 v4, v5
	v_add_u32_e32 v4, 0x200, v4
	s_andn2_b64 exec, exec, s[2:3]
	s_cbranch_execnz .LBB323_36
.LBB323_37:
	s_or_b64 exec, exec, s[0:1]
	v_mov_b32_e32 v11, 0
	v_and_b32_e32 v27, 3, v0
	v_mov_b32_e32 v10, 0
	v_mov_b32_e32 v13, 0
	;; [unrolled: 1-line block ×7, first 2 shown]
	s_waitcnt lgkmcnt(0)
	s_barrier
	s_and_saveexec_b64 s[2:3], s[6:7]
	s_cbranch_execz .LBB323_57
; %bb.38:
	s_ashr_i32 s1, s33, 31
	s_add_u32 s0, s26, s33
	s_addc_u32 s1, s27, s1
	v_and_b32_e32 v10, 0x1f8, v8
	s_load_dword s10, s[10:11], 0x0
	v_mov_b32_e32 v11, 0
	v_and_b32_e32 v2, 24, v8
	s_add_i32 s11, s19, -1
	v_lshl_add_u64 v[18:19], s[0:1], 0, v[10:11]
	v_lshlrev_b32_e32 v3, 5, v1
	s_lshl_b64 s[0:1], s[24:25], 2
	v_or3_b32 v28, v3, v2, 7
	v_lshlrev_b32_e32 v2, 5, v27
	s_add_u32 s0, s22, s0
	v_lshl_or_b32 v2, v1, 7, v2
	v_and_b32_e32 v10, 60, v9
	s_addc_u32 s1, s23, s1
	v_add_u32_e32 v29, 0x110, v2
	v_lshl_add_u64 v[20:21], s[0:1], 0, v[10:11]
	s_mov_b64 s[6:7], 0
	v_mov_b32_e32 v10, v11
	v_mov_b32_e32 v13, v11
	;; [unrolled: 1-line block ×7, first 2 shown]
	s_branch .LBB323_40
.LBB323_39:                             ;   in Loop: Header=BB323_40 Depth=1
	s_or_b64 exec, exec, s[0:1]
	v_cvt_pk_bf16_f32 v7, v7, s0
	v_cvt_pk_bf16_f32 v46, v2, s0
	;; [unrolled: 1-line block ×3, first 2 shown]
	v_lshlrev_b32_e32 v2, 16, v7
	v_lshlrev_b32_e32 v3, 16, v98
	v_cvt_pk_bf16_f32 v6, v6, s0
	v_mul_f32_e32 v3, v2, v3
	v_cvt_pk_bf16_f32 v49, v3, s0
	v_lshlrev_b32_e32 v6, 16, v6
	v_lshlrev_b32_e32 v3, 16, v97
	v_cvt_pk_bf16_f32 v9, v9, s0
	v_mul_f32_e32 v3, v6, v3
	v_cvt_pk_bf16_f32 v48, v4, s0
	v_cvt_pk_bf16_f32 v50, v3, s0
	v_lshlrev_b32_e32 v3, 16, v9
	v_lshlrev_b32_e32 v4, 16, v96
	v_cvt_pk_bf16_f32 v8, v8, s0
	v_mul_f32_e32 v4, v3, v4
	v_cvt_pk_bf16_f32 v51, v4, s0
	v_lshlrev_b32_e32 v7, 16, v8
	v_lshlrev_b32_e32 v4, 16, v95
	v_mul_f32_e32 v4, v7, v4
	v_cvt_pk_bf16_f32 v59, v4, s0
	v_lshlrev_b32_e32 v4, 16, v47
	v_lshlrev_b32_e32 v8, 16, v94
	;; [unrolled: 4-line block ×3, first 2 shown]
	v_cvt_pk_bf16_f32 v5, v5, s0
	v_mul_f32_e32 v9, v8, v9
	v_cvt_pk_bf16_f32 v46, v9, s0
	v_lshlrev_b32_e32 v5, 16, v5
	v_lshlrev_b32_e32 v9, 16, v92
	v_mul_f32_e32 v9, v5, v9
	v_cvt_pk_bf16_f32 v92, v9, s0
	v_lshlrev_b32_e32 v9, 16, v48
	v_lshlrev_b32_e32 v48, 16, v91
	;; [unrolled: 1-line block ×4, first 2 shown]
	v_mul_f32_e32 v48, v9, v48
	v_add_f32_e32 v49, v50, v49
	v_lshlrev_b32_e32 v50, 16, v59
	v_lshlrev_b32_e32 v51, 16, v51
	v_cvt_pk_bf16_f32 v48, v48, s0
	v_add_f32_e32 v50, v50, v51
	v_lshlrev_b32_e32 v46, 16, v46
	v_lshlrev_b32_e32 v47, 16, v47
	v_add_f32_e32 v49, v50, v49
	v_add_f32_e32 v46, v46, v47
	v_lshlrev_b32_e32 v47, 16, v48
	v_lshlrev_b32_e32 v48, 16, v92
	v_add_f32_e32 v46, v46, v49
	v_add_f32_e32 v47, v47, v48
	;; [unrolled: 1-line block ×4, first 2 shown]
	v_lshlrev_b32_e32 v46, 16, v90
	v_lshlrev_b32_e32 v47, 16, v89
	v_mul_f32_e32 v46, v2, v46
	v_mul_f32_e32 v47, v6, v47
	v_lshlrev_b32_e32 v48, 16, v88
	v_lshlrev_b32_e32 v49, 16, v87
	v_cvt_pk_bf16_f32 v46, v46, s0
	v_cvt_pk_bf16_f32 v47, v47, s0
	v_mul_f32_e32 v48, v3, v48
	v_mul_f32_e32 v49, v7, v49
	v_cvt_pk_bf16_f32 v48, v48, s0
	v_cvt_pk_bf16_f32 v49, v49, s0
	v_lshlrev_b32_e32 v50, 16, v86
	v_lshlrev_b32_e32 v51, 16, v85
	;; [unrolled: 1-line block ×4, first 2 shown]
	v_mul_f32_e32 v50, v4, v50
	v_mul_f32_e32 v51, v8, v51
	v_add_f32_e32 v46, v47, v46
	v_lshlrev_b32_e32 v47, 16, v49
	v_lshlrev_b32_e32 v48, 16, v48
	v_cvt_pk_bf16_f32 v50, v50, s0
	v_cvt_pk_bf16_f32 v51, v51, s0
	v_lshlrev_b32_e32 v59, 16, v84
	v_lshlrev_b32_e32 v83, 16, v83
	v_add_f32_e32 v47, v47, v48
	v_mul_f32_e32 v59, v5, v59
	v_mul_f32_e32 v83, v9, v83
	v_add_f32_e32 v46, v47, v46
	v_lshlrev_b32_e32 v47, 16, v51
	v_lshlrev_b32_e32 v48, 16, v50
	v_cvt_pk_bf16_f32 v59, v59, s0
	v_cvt_pk_bf16_f32 v83, v83, s0
	v_add_f32_e32 v47, v47, v48
	v_add_f32_e32 v46, v47, v46
	v_lshlrev_b32_e32 v47, 16, v83
	v_lshlrev_b32_e32 v48, 16, v59
	v_add_f32_e32 v47, v47, v48
	v_add_f32_e32 v46, v47, v46
	;; [unrolled: 1-line block ×3, first 2 shown]
	v_lshlrev_b32_e32 v46, 16, v76
	v_lshlrev_b32_e32 v47, 16, v75
	v_mul_f32_e32 v46, v2, v46
	v_mul_f32_e32 v47, v6, v47
	v_lshlrev_b32_e32 v48, 16, v74
	v_lshlrev_b32_e32 v49, 16, v73
	v_cvt_pk_bf16_f32 v46, v46, s0
	v_cvt_pk_bf16_f32 v47, v47, s0
	v_mul_f32_e32 v48, v3, v48
	v_mul_f32_e32 v49, v7, v49
	v_cvt_pk_bf16_f32 v48, v48, s0
	v_cvt_pk_bf16_f32 v49, v49, s0
	v_lshlrev_b32_e32 v50, 16, v72
	v_lshlrev_b32_e32 v51, 16, v71
	;; [unrolled: 1-line block ×4, first 2 shown]
	v_mul_f32_e32 v50, v4, v50
	v_mul_f32_e32 v51, v8, v51
	v_add_f32_e32 v46, v47, v46
	v_lshlrev_b32_e32 v47, 16, v49
	v_lshlrev_b32_e32 v48, 16, v48
	v_cvt_pk_bf16_f32 v50, v50, s0
	v_cvt_pk_bf16_f32 v51, v51, s0
	v_lshlrev_b32_e32 v59, 16, v70
	v_lshlrev_b32_e32 v69, 16, v69
	v_add_f32_e32 v47, v47, v48
	v_mul_f32_e32 v59, v5, v59
	v_mul_f32_e32 v69, v9, v69
	v_add_f32_e32 v46, v47, v46
	v_lshlrev_b32_e32 v47, 16, v51
	v_lshlrev_b32_e32 v48, 16, v50
	v_cvt_pk_bf16_f32 v59, v59, s0
	v_cvt_pk_bf16_f32 v69, v69, s0
	v_add_f32_e32 v47, v47, v48
	v_add_f32_e32 v46, v47, v46
	v_lshlrev_b32_e32 v47, 16, v69
	v_lshlrev_b32_e32 v48, 16, v59
	v_add_f32_e32 v47, v47, v48
	v_add_f32_e32 v46, v47, v46
	;; [unrolled: 1-line block ×3, first 2 shown]
	v_lshlrev_b32_e32 v46, 16, v68
	v_lshlrev_b32_e32 v47, 16, v67
	v_mul_f32_e32 v46, v2, v46
	v_mul_f32_e32 v47, v6, v47
	v_lshlrev_b32_e32 v48, 16, v66
	v_lshlrev_b32_e32 v49, 16, v65
	v_cvt_pk_bf16_f32 v46, v46, s0
	v_cvt_pk_bf16_f32 v47, v47, s0
	v_mul_f32_e32 v48, v3, v48
	v_mul_f32_e32 v49, v7, v49
	v_lshlrev_b32_e32 v37, 16, v37
	v_lshlrev_b32_e32 v36, 16, v36
	;; [unrolled: 1-line block ×4, first 2 shown]
	v_cvt_pk_bf16_f32 v48, v48, s0
	v_cvt_pk_bf16_f32 v49, v49, s0
	v_lshlrev_b32_e32 v50, 16, v64
	v_lshlrev_b32_e32 v51, 16, v63
	;; [unrolled: 1-line block ×4, first 2 shown]
	v_mul_f32_e32 v37, v2, v37
	v_mul_f32_e32 v36, v6, v36
	;; [unrolled: 1-line block ×4, first 2 shown]
	v_lshlrev_b32_e32 v33, 16, v33
	v_lshlrev_b32_e32 v32, 16, v32
	v_mul_f32_e32 v50, v4, v50
	v_mul_f32_e32 v51, v8, v51
	v_add_f32_e32 v46, v47, v46
	v_lshlrev_b32_e32 v47, 16, v49
	v_lshlrev_b32_e32 v48, 16, v48
	v_cvt_pk_bf16_f32 v37, v37, s0
	v_cvt_pk_bf16_f32 v36, v36, s0
	;; [unrolled: 1-line block ×4, first 2 shown]
	v_mul_f32_e32 v33, v4, v33
	v_mul_f32_e32 v32, v8, v32
	v_lshlrev_b32_e32 v31, 16, v31
	v_lshlrev_b32_e32 v30, 16, v30
	v_cvt_pk_bf16_f32 v50, v50, s0
	v_cvt_pk_bf16_f32 v51, v51, s0
	v_lshlrev_b32_e32 v59, 16, v62
	v_lshlrev_b32_e32 v61, 16, v61
	v_add_f32_e32 v47, v47, v48
	v_cvt_pk_bf16_f32 v33, v33, s0
	v_cvt_pk_bf16_f32 v32, v32, s0
	v_mul_f32_e32 v31, v5, v31
	v_mul_f32_e32 v30, v9, v30
	v_lshlrev_b32_e32 v36, 16, v36
	v_lshlrev_b32_e32 v37, 16, v37
	;; [unrolled: 1-line block ×4, first 2 shown]
	v_mul_f32_e32 v59, v5, v59
	v_mul_f32_e32 v61, v9, v61
	v_add_f32_e32 v46, v47, v46
	v_lshlrev_b32_e32 v47, 16, v51
	v_lshlrev_b32_e32 v48, 16, v50
	v_cvt_pk_bf16_f32 v31, v31, s0
	v_cvt_pk_bf16_f32 v30, v30, s0
	v_add_f32_e32 v36, v36, v37
	v_add_f32_e32 v34, v34, v35
	v_lshlrev_b32_e32 v32, 16, v32
	v_lshlrev_b32_e32 v33, 16, v33
	v_cvt_pk_bf16_f32 v59, v59, s0
	v_cvt_pk_bf16_f32 v61, v61, s0
	v_add_f32_e32 v47, v47, v48
	v_add_f32_e32 v34, v34, v36
	v_add_f32_e32 v32, v32, v33
	v_lshlrev_b32_e32 v30, 16, v30
	v_lshlrev_b32_e32 v31, 16, v31
	v_add_f32_e32 v46, v47, v46
	v_lshlrev_b32_e32 v47, 16, v61
	v_lshlrev_b32_e32 v48, 16, v59
	v_add_f32_e32 v32, v32, v34
	v_add_f32_e32 v30, v30, v31
	;; [unrolled: 1-line block ×5, first 2 shown]
	v_lshlrev_b32_e32 v47, 16, v58
	v_lshlrev_b32_e32 v44, 16, v44
	v_add_f32_e32 v16, v16, v30
	v_lshlrev_b32_e32 v30, 16, v82
	v_add_f32_e32 v15, v15, v46
	v_lshlrev_b32_e32 v46, 16, v60
	v_mul_f32_e32 v47, v6, v47
	v_lshlrev_b32_e32 v45, 16, v45
	v_mul_f32_e32 v44, v6, v44
	v_mul_f32_e32 v6, v6, v30
	v_lshlrev_b32_e32 v30, 16, v81
	v_mul_f32_e32 v46, v2, v46
	v_lshlrev_b32_e32 v49, 16, v56
	;; [unrolled: 2-line block ×4, first 2 shown]
	v_lshlrev_b32_e32 v48, 16, v57
	v_mul_f32_e32 v49, v7, v49
	v_lshlrev_b32_e32 v43, 16, v43
	v_mul_f32_e32 v42, v7, v42
	v_mul_f32_e32 v7, v7, v30
	v_lshlrev_b32_e32 v30, 16, v79
	v_mul_f32_e32 v48, v3, v48
	v_mul_f32_e32 v43, v3, v43
	;; [unrolled: 1-line block ×3, first 2 shown]
	v_cvt_pk_bf16_f32 v30, v3, s0
	v_lshlrev_b32_e32 v3, 16, v78
	v_lshlrev_b32_e32 v51, 16, v54
	;; [unrolled: 1-line block ×3, first 2 shown]
	v_mul_f32_e32 v3, v8, v3
	v_mul_f32_e32 v51, v8, v51
	;; [unrolled: 1-line block ×3, first 2 shown]
	v_cvt_pk_bf16_f32 v8, v3, s0
	v_lshlrev_b32_e32 v3, 16, v77
	v_mul_f32_e32 v3, v4, v3
	v_cvt_pk_bf16_f32 v46, v46, s0
	v_cvt_pk_bf16_f32 v47, v47, s0
	;; [unrolled: 1-line block ×3, first 2 shown]
	v_lshlrev_b32_e32 v3, 16, v23
	v_cvt_pk_bf16_f32 v48, v48, s0
	v_cvt_pk_bf16_f32 v49, v49, s0
	v_lshlrev_b32_e32 v50, 16, v55
	v_lshlrev_b32_e32 v52, 16, v52
	;; [unrolled: 1-line block ×5, first 2 shown]
	v_mul_f32_e32 v3, v9, v3
	v_mul_f32_e32 v50, v4, v50
	;; [unrolled: 1-line block ×3, first 2 shown]
	v_add_f32_e32 v46, v47, v46
	v_lshlrev_b32_e32 v47, 16, v49
	v_lshlrev_b32_e32 v48, 16, v48
	;; [unrolled: 1-line block ×3, first 2 shown]
	v_mul_f32_e32 v38, v9, v38
	v_cvt_pk_bf16_f32 v9, v3, s0
	v_lshlrev_b32_e32 v3, 16, v22
	v_cvt_pk_bf16_f32 v50, v50, s0
	v_cvt_pk_bf16_f32 v51, v51, s0
	v_lshlrev_b32_e32 v53, 16, v53
	v_add_f32_e32 v47, v47, v48
	v_cvt_pk_bf16_f32 v45, v45, s0
	v_cvt_pk_bf16_f32 v44, v44, s0
	;; [unrolled: 1-line block ×4, first 2 shown]
	v_mul_f32_e32 v41, v4, v41
	v_lshlrev_b32_e32 v39, 16, v39
	v_cvt_pk_bf16_f32 v6, v6, s0
	v_cvt_pk_bf16_f32 v2, v2, s0
	;; [unrolled: 1-line block ×3, first 2 shown]
	v_mul_f32_e32 v3, v5, v3
	v_mul_f32_e32 v53, v5, v53
	v_add_f32_e32 v46, v47, v46
	v_lshlrev_b32_e32 v47, 16, v51
	v_lshlrev_b32_e32 v48, 16, v50
	v_cvt_pk_bf16_f32 v41, v41, s0
	v_cvt_pk_bf16_f32 v40, v40, s0
	v_mul_f32_e32 v39, v5, v39
	v_lshlrev_b32_e32 v44, 16, v44
	v_lshlrev_b32_e32 v45, 16, v45
	;; [unrolled: 1-line block ×4, first 2 shown]
	v_cvt_pk_bf16_f32 v22, v3, s0
	v_lshlrev_b32_e32 v3, 16, v2
	v_lshlrev_b32_e32 v5, 16, v6
	;; [unrolled: 1-line block ×4, first 2 shown]
	v_cvt_pk_bf16_f32 v53, v53, s0
	v_cvt_pk_bf16_f32 v52, v52, s0
	v_add_f32_e32 v47, v47, v48
	v_cvt_pk_bf16_f32 v39, v39, s0
	v_cvt_pk_bf16_f32 v38, v38, s0
	v_add_f32_e32 v44, v44, v45
	v_add_f32_e32 v42, v42, v43
	v_lshlrev_b32_e32 v40, 16, v40
	v_lshlrev_b32_e32 v41, 16, v41
	v_pk_add_f32 v[2:3], v[4:5], v[2:3]
	v_lshlrev_b32_e32 v5, 16, v31
	v_lshlrev_b32_e32 v7, 16, v8
	;; [unrolled: 1-line block ×4, first 2 shown]
	v_add_f32_e32 v46, v47, v46
	v_lshlrev_b32_e32 v47, 16, v52
	v_lshlrev_b32_e32 v48, 16, v53
	v_add_f32_e32 v42, v42, v44
	v_add_f32_e32 v40, v40, v41
	v_lshlrev_b32_e32 v38, 16, v38
	v_lshlrev_b32_e32 v39, 16, v39
	v_pk_add_f32 v[4:5], v[6:7], v[4:5]
	v_add_f32_e32 v2, v2, v3
	v_add_f32_e32 v47, v47, v48
	;; [unrolled: 1-line block ×5, first 2 shown]
	v_add_u32_e32 v1, 2, v1
	v_add_f32_e32 v46, v47, v46
	v_add_f32_e32 v38, v38, v40
	;; [unrolled: 1-line block ×3, first 2 shown]
	v_cmp_le_i32_e32 vcc, s19, v1
	v_add_f32_e32 v14, v14, v46
	v_add_f32_e32 v17, v17, v38
	v_add_f32_e32 v11, v11, v2
	v_add_u32_e32 v28, 64, v28
	v_add_u32_e32 v29, 0x100, v29
	s_or_b64 s[6:7], vcc, s[6:7]
	v_lshl_add_u64 v[20:21], v[20:21], 0, 8
	s_andn2_b64 exec, exec, s[6:7]
	s_cbranch_execz .LBB323_56
.LBB323_40:                             ; =>This Inner Loop Header: Depth=1
	global_load_dword v2, v[20:21], off
	v_add_u32_e32 v46, -7, v28
	v_cmp_eq_u32_e32 vcc, s11, v1
	v_add_u32_e32 v51, -6, v28
	v_add_u32_e32 v50, -5, v28
	;; [unrolled: 1-line block ×6, first 2 shown]
	s_waitcnt vmcnt(0)
	v_mad_i64_i32 v[22:23], s[0:1], v2, s13, v[18:19]
	global_load_dwordx2 v[30:31], v[22:23], off
	ds_read2_b64 v[6:9], v29 offset1:1
	ds_read2_b64 v[2:5], v29 offset0:2 offset1:3
	s_waitcnt vmcnt(0)
	v_and_b32_e32 v32, 0xff, v30
	v_bfe_u32 v33, v30, 8, 8
	v_bfe_u32 v34, v30, 16, 8
	v_lshrrev_b32_e32 v30, 24, v30
	v_and_b32_e32 v35, 0xff, v31
	v_bfe_u32 v36, v31, 8, 8
	v_bfe_u32 v37, v31, 16, 8
	v_lshrrev_b32_e32 v31, 24, v31
	v_cvt_f32_fp8_e32 v32, v32
	v_cvt_f32_fp8_e32 v33, v33
	;; [unrolled: 1-line block ×8, first 2 shown]
	s_waitcnt lgkmcnt(0)
	v_mul_f32_e32 v32, s10, v32
	v_mul_f32_e32 v33, s10, v33
	v_mul_f32_e32 v34, s10, v34
	v_mul_f32_e32 v30, s10, v30
	v_mul_f32_e32 v38, s10, v35
	v_mul_f32_e32 v39, s10, v36
	v_mul_f32_e32 v40, s10, v37
	v_mul_f32_e32 v31, s10, v31
	v_cvt_pk_bf16_f32 v36, v32, s0
	v_cvt_pk_bf16_f32 v37, v33, s0
	v_cvt_pk_bf16_f32 v34, v34, s0
	v_cvt_pk_bf16_f32 v35, v30, s0
	v_cvt_pk_bf16_f32 v32, v38, s0
	v_cvt_pk_bf16_f32 v33, v39, s0
	v_cvt_pk_bf16_f32 v30, v40, s0
	v_cvt_pk_bf16_f32 v31, v31, s0
	s_and_saveexec_b64 s[8:9], vcc
	s_cbranch_execz .LBB323_42
; %bb.41:                               ;   in Loop: Header=BB323_40 Depth=1
	v_cmp_gt_i32_e64 s[0:1], s17, v46
	s_nop 1
	v_cndmask_b32_e64 v36, 0, v36, s[0:1]
	v_cmp_gt_i32_e64 s[0:1], s17, v51
	s_nop 1
	v_cndmask_b32_e64 v37, 0, v37, s[0:1]
	v_cmp_gt_i32_e64 s[0:1], s17, v50
	s_nop 1
	v_cndmask_b32_e64 v34, 0, v34, s[0:1]
	v_cmp_gt_i32_e64 s[0:1], s17, v49
	s_nop 1
	v_cndmask_b32_e64 v35, 0, v35, s[0:1]
	v_cmp_gt_i32_e64 s[0:1], s17, v48
	s_nop 1
	v_cndmask_b32_e64 v32, 0, v32, s[0:1]
	v_cmp_gt_i32_e64 s[0:1], s17, v47
	s_nop 1
	v_cndmask_b32_e64 v33, 0, v33, s[0:1]
	v_cmp_gt_i32_e64 s[0:1], s17, v59
	s_nop 1
	v_cndmask_b32_e64 v30, 0, v30, s[0:1]
	v_cmp_gt_i32_e64 s[0:1], s17, v28
	s_nop 1
	v_cndmask_b32_e64 v31, 0, v31, s[0:1]
.LBB323_42:                             ;   in Loop: Header=BB323_40 Depth=1
	s_or_b64 exec, exec, s[8:9]
	global_load_dwordx2 v[38:39], v[22:23], off offset:512
	s_waitcnt vmcnt(0)
	v_and_b32_e32 v40, 0xff, v38
	v_bfe_u32 v41, v38, 8, 8
	v_bfe_u32 v42, v38, 16, 8
	v_lshrrev_b32_e32 v38, 24, v38
	v_and_b32_e32 v43, 0xff, v39
	v_bfe_u32 v44, v39, 8, 8
	v_bfe_u32 v45, v39, 16, 8
	v_lshrrev_b32_e32 v39, 24, v39
	v_cvt_f32_fp8_e32 v40, v40
	v_cvt_f32_fp8_e32 v41, v41
	v_cvt_f32_fp8_e32 v42, v42
	v_cvt_f32_fp8_e32 v38, v38
	v_cvt_f32_fp8_e32 v43, v43
	v_cvt_f32_fp8_e32 v44, v44
	v_cvt_f32_fp8_e32 v45, v45
	v_cvt_f32_fp8_e32 v39, v39
	v_mul_f32_e32 v40, s10, v40
	v_mul_f32_e32 v41, s10, v41
	v_mul_f32_e32 v42, s10, v42
	v_mul_f32_e32 v38, s10, v38
	v_mul_f32_e32 v52, s10, v43
	v_mul_f32_e32 v53, s10, v44
	v_mul_f32_e32 v54, s10, v45
	v_mul_f32_e32 v39, s10, v39
	v_cvt_pk_bf16_f32 v44, v40, s0
	v_cvt_pk_bf16_f32 v45, v41, s0
	v_cvt_pk_bf16_f32 v42, v42, s0
	v_cvt_pk_bf16_f32 v43, v38, s0
	v_cvt_pk_bf16_f32 v40, v52, s0
	v_cvt_pk_bf16_f32 v41, v53, s0
	v_cvt_pk_bf16_f32 v38, v54, s0
	v_cvt_pk_bf16_f32 v39, v39, s0
	s_and_saveexec_b64 s[8:9], vcc
	s_cbranch_execz .LBB323_44
; %bb.43:                               ;   in Loop: Header=BB323_40 Depth=1
	v_cmp_gt_i32_e64 s[0:1], s17, v46
	s_nop 1
	v_cndmask_b32_e64 v44, 0, v44, s[0:1]
	v_cmp_gt_i32_e64 s[0:1], s17, v51
	s_nop 1
	v_cndmask_b32_e64 v45, 0, v45, s[0:1]
	v_cmp_gt_i32_e64 s[0:1], s17, v50
	s_nop 1
	v_cndmask_b32_e64 v42, 0, v42, s[0:1]
	v_cmp_gt_i32_e64 s[0:1], s17, v49
	s_nop 1
	v_cndmask_b32_e64 v43, 0, v43, s[0:1]
	v_cmp_gt_i32_e64 s[0:1], s17, v48
	s_nop 1
	v_cndmask_b32_e64 v40, 0, v40, s[0:1]
	v_cmp_gt_i32_e64 s[0:1], s17, v47
	s_nop 1
	v_cndmask_b32_e64 v41, 0, v41, s[0:1]
	v_cmp_gt_i32_e64 s[0:1], s17, v59
	s_nop 1
	v_cndmask_b32_e64 v38, 0, v38, s[0:1]
	v_cmp_gt_i32_e64 s[0:1], s17, v28
	s_nop 1
	v_cndmask_b32_e64 v39, 0, v39, s[0:1]
.LBB323_44:                             ;   in Loop: Header=BB323_40 Depth=1
	s_or_b64 exec, exec, s[8:9]
	global_load_dwordx2 v[52:53], v[22:23], off offset:1024
	s_waitcnt vmcnt(0)
	v_and_b32_e32 v54, 0xff, v52
	v_bfe_u32 v55, v52, 8, 8
	v_bfe_u32 v56, v52, 16, 8
	v_lshrrev_b32_e32 v52, 24, v52
	v_and_b32_e32 v57, 0xff, v53
	v_bfe_u32 v58, v53, 8, 8
	v_bfe_u32 v60, v53, 16, 8
	v_lshrrev_b32_e32 v53, 24, v53
	v_cvt_f32_fp8_e32 v54, v54
	v_cvt_f32_fp8_e32 v55, v55
	v_cvt_f32_fp8_e32 v56, v56
	v_cvt_f32_fp8_e32 v52, v52
	v_cvt_f32_fp8_e32 v57, v57
	v_cvt_f32_fp8_e32 v58, v58
	v_cvt_f32_fp8_e32 v60, v60
	v_cvt_f32_fp8_e32 v53, v53
	;; [unrolled: 63-line block ×7, first 2 shown]
	v_mul_f32_e32 v77, s10, v77
	v_mul_f32_e32 v78, s10, v78
	v_mul_f32_e32 v79, s10, v79
	v_mul_f32_e32 v22, s10, v22
	v_mul_f32_e32 v99, s10, v80
	v_mul_f32_e32 v100, s10, v81
	v_mul_f32_e32 v101, s10, v82
	v_mul_f32_e32 v102, s10, v23
	v_cvt_pk_bf16_f32 v82, v77, s0
	v_cvt_pk_bf16_f32 v81, v78, s0
	;; [unrolled: 1-line block ×8, first 2 shown]
	s_and_saveexec_b64 s[0:1], vcc
	s_cbranch_execz .LBB323_39
; %bb.55:                               ;   in Loop: Header=BB323_40 Depth=1
	v_cmp_gt_i32_e32 vcc, s17, v46
	s_nop 1
	v_cndmask_b32_e32 v82, 0, v82, vcc
	v_cmp_gt_i32_e32 vcc, s17, v51
	s_nop 1
	v_cndmask_b32_e32 v81, 0, v81, vcc
	v_cmp_gt_i32_e32 vcc, s17, v50
	s_nop 1
	v_cndmask_b32_e32 v80, 0, v80, vcc
	v_cmp_gt_i32_e32 vcc, s17, v49
	s_nop 1
	v_cndmask_b32_e32 v79, 0, v79, vcc
	v_cmp_gt_i32_e32 vcc, s17, v48
	s_nop 1
	v_cndmask_b32_e32 v78, 0, v78, vcc
	v_cmp_gt_i32_e32 vcc, s17, v47
	s_nop 1
	v_cndmask_b32_e32 v77, 0, v77, vcc
	v_cmp_gt_i32_e32 vcc, s17, v59
	s_nop 1
	v_cndmask_b32_e32 v23, 0, v23, vcc
	v_cmp_gt_i32_e32 vcc, s17, v28
	s_nop 1
	v_cndmask_b32_e32 v22, 0, v22, vcc
	s_branch .LBB323_39
.LBB323_56:
	s_or_b64 exec, exec, s[6:7]
.LBB323_57:
	s_or_b64 exec, exec, s[2:3]
	ds_bpermute_b32 v2, v25, v16
	ds_bpermute_b32 v3, v25, v17
	;; [unrolled: 1-line block ×6, first 2 shown]
	s_waitcnt lgkmcnt(4)
	v_pk_add_f32 v[2:3], v[16:17], v[2:3]
	ds_bpermute_b32 v8, v26, v2
	ds_bpermute_b32 v9, v26, v3
	;; [unrolled: 1-line block ×4, first 2 shown]
	s_waitcnt lgkmcnt(6)
	v_pk_add_f32 v[4:5], v[14:15], v[4:5]
	s_waitcnt lgkmcnt(4)
	v_pk_add_f32 v[12:13], v[12:13], v[6:7]
	ds_bpermute_b32 v14, v26, v4
	ds_bpermute_b32 v15, v26, v5
	;; [unrolled: 1-line block ×4, first 2 shown]
	s_waitcnt lgkmcnt(6)
	v_pk_add_f32 v[6:7], v[2:3], v[8:9]
	s_waitcnt lgkmcnt(4)
	v_pk_add_f32 v[8:9], v[10:11], v[18:19]
	ds_bpermute_b32 v10, v26, v8
	ds_bpermute_b32 v11, v26, v9
	v_and_b32_e32 v1, 0x3c3, v0
	s_waitcnt lgkmcnt(4)
	v_pk_add_f32 v[4:5], v[4:5], v[14:15]
	s_waitcnt lgkmcnt(2)
	v_pk_add_f32 v[2:3], v[12:13], v[16:17]
	v_cmp_ne_u32_e32 vcc, 64, v1
	s_waitcnt lgkmcnt(0)
	s_barrier
	s_and_saveexec_b64 s[0:1], vcc
	s_xor_b64 s[0:1], exec, s[0:1]
; %bb.58:
                                        ; implicit-def: $vgpr24
; %bb.59:
	s_or_saveexec_b64 s[0:1], s[0:1]
	v_pk_add_f32 v[8:9], v[8:9], v[10:11]
	s_xor_b64 exec, exec, s[0:1]
	s_cbranch_execz .LBB323_61
; %bb.60:
	v_add_u32_e32 v10, 0x110, v24
	ds_write2_b32 v10, v6, v7 offset1:16
	ds_write2_b32 v10, v4, v5 offset0:32 offset1:48
	ds_write2_b32 v10, v2, v3 offset0:64 offset1:80
	;; [unrolled: 1-line block ×3, first 2 shown]
.LBB323_61:
	s_or_b64 exec, exec, s[0:1]
	v_cmp_gt_u32_e32 vcc, 64, v0
	v_lshrrev_b32_e32 v0, 2, v0
	s_waitcnt lgkmcnt(0)
	s_barrier
	s_and_saveexec_b64 s[0:1], vcc
	s_cbranch_execz .LBB323_72
; %bb.62:
	v_mov_b32_e32 v10, 0x110
	v_cmp_eq_u32_e32 vcc, 0, v27
	v_lshl_add_u32 v10, v0, 2, v10
	s_and_saveexec_b64 s[2:3], vcc
	s_cbranch_execnz .LBB323_75
; %bb.63:
	s_or_b64 exec, exec, s[2:3]
	s_and_saveexec_b64 s[2:3], vcc
	s_cbranch_execnz .LBB323_76
.LBB323_64:
	s_or_b64 exec, exec, s[2:3]
	s_and_saveexec_b64 s[2:3], vcc
	s_cbranch_execnz .LBB323_77
.LBB323_65:
	s_or_b64 exec, exec, s[2:3]
	s_and_saveexec_b64 s[2:3], vcc
	s_cbranch_execnz .LBB323_78
.LBB323_66:
	s_or_b64 exec, exec, s[2:3]
	s_and_saveexec_b64 s[2:3], vcc
	s_cbranch_execnz .LBB323_79
.LBB323_67:
	s_or_b64 exec, exec, s[2:3]
	s_and_saveexec_b64 s[2:3], vcc
	s_cbranch_execnz .LBB323_80
.LBB323_68:
	s_or_b64 exec, exec, s[2:3]
	s_and_saveexec_b64 s[2:3], vcc
	s_cbranch_execnz .LBB323_81
.LBB323_69:
	s_or_b64 exec, exec, s[2:3]
	s_and_saveexec_b64 s[2:3], vcc
	s_cbranch_execz .LBB323_71
.LBB323_70:
	ds_read_b32 v10, v10 offset:448
	s_waitcnt lgkmcnt(0)
	v_add_f32_e32 v9, v9, v10
.LBB323_71:
	s_or_b64 exec, exec, s[2:3]
.LBB323_72:
	s_or_b64 exec, exec, s[0:1]
	v_cmp_eq_u32_e32 vcc, 0, v1
	s_barrier
	s_and_saveexec_b64 s[0:1], vcc
	s_cbranch_execz .LBB323_74
; %bb.73:
	s_mul_i32 s0, s16, s12
	s_mul_i32 s0, s0, s5
	s_lshl_b32 s0, s0, 7
	s_ashr_i32 s1, s0, 31
	s_lshl_b64 s[0:1], s[0:1], 1
	s_add_u32 s2, s20, s0
	s_mul_i32 s0, s12, s18
	s_addc_u32 s3, s21, s1
	s_ashr_i32 s1, s0, 31
	s_lshl_b64 s[0:1], s[0:1], 1
	s_add_u32 s2, s2, s0
	s_addc_u32 s3, s3, s1
	s_lshl_b32 s0, s4, 7
	s_ashr_i32 s1, s0, 31
	s_lshl_b64 s[0:1], s[0:1], 1
	s_add_u32 s0, s2, s0
	s_addc_u32 s1, s3, s1
	v_lshlrev_b32_e32 v0, 1, v0
	v_cvt_pk_bf16_f32 v1, v6, s0
	global_store_short v0, v1, s[0:1]
	v_cvt_pk_bf16_f32 v1, v7, s0
	global_store_short v0, v1, s[0:1] offset:32
	v_cvt_pk_bf16_f32 v1, v4, s0
	global_store_short v0, v1, s[0:1] offset:64
	;; [unrolled: 2-line block ×7, first 2 shown]
.LBB323_74:
	s_endpgm
.LBB323_75:
	ds_read_b32 v11, v10
	s_waitcnt lgkmcnt(0)
	v_add_f32_e32 v6, v6, v11
	s_or_b64 exec, exec, s[2:3]
	s_and_saveexec_b64 s[2:3], vcc
	s_cbranch_execz .LBB323_64
.LBB323_76:
	ds_read_b32 v11, v10 offset:64
	s_waitcnt lgkmcnt(0)
	v_add_f32_e32 v7, v7, v11
	s_or_b64 exec, exec, s[2:3]
	s_and_saveexec_b64 s[2:3], vcc
	s_cbranch_execz .LBB323_65
.LBB323_77:
	ds_read_b32 v11, v10 offset:128
	s_waitcnt lgkmcnt(0)
	v_add_f32_e32 v4, v4, v11
	s_or_b64 exec, exec, s[2:3]
	s_and_saveexec_b64 s[2:3], vcc
	s_cbranch_execz .LBB323_66
.LBB323_78:
	ds_read_b32 v11, v10 offset:192
	s_waitcnt lgkmcnt(0)
	v_add_f32_e32 v5, v5, v11
	s_or_b64 exec, exec, s[2:3]
	s_and_saveexec_b64 s[2:3], vcc
	s_cbranch_execz .LBB323_67
.LBB323_79:
	ds_read_b32 v11, v10 offset:256
	s_waitcnt lgkmcnt(0)
	v_add_f32_e32 v2, v2, v11
	s_or_b64 exec, exec, s[2:3]
	s_and_saveexec_b64 s[2:3], vcc
	s_cbranch_execz .LBB323_68
.LBB323_80:
	ds_read_b32 v11, v10 offset:320
	s_waitcnt lgkmcnt(0)
	v_add_f32_e32 v3, v3, v11
	s_or_b64 exec, exec, s[2:3]
	s_and_saveexec_b64 s[2:3], vcc
	s_cbranch_execz .LBB323_69
.LBB323_81:
	ds_read_b32 v11, v10 offset:384
	s_waitcnt lgkmcnt(0)
	v_add_f32_e32 v8, v8, v11
	s_or_b64 exec, exec, s[2:3]
	s_and_saveexec_b64 s[2:3], vcc
	s_cbranch_execnz .LBB323_70
	s_branch .LBB323_71
	.section	.rodata,"a",@progbits
	.p2align	6, 0x0
	.amdhsa_kernel _ZN4vllm25paged_attention_v1_kernelI14__hip_bfloat16hLi128ELi32ELi128ELNS_18Fp8KVCacheDataTypeE1ELb0EEEvPT_PKS3_PKT0_S9_ifPKiSB_iPKfiiiSD_SD_iiiii
		.amdhsa_group_segment_fixed_size 272
		.amdhsa_private_segment_fixed_size 0
		.amdhsa_kernarg_size 384
		.amdhsa_user_sgpr_count 2
		.amdhsa_user_sgpr_dispatch_ptr 0
		.amdhsa_user_sgpr_queue_ptr 0
		.amdhsa_user_sgpr_kernarg_segment_ptr 1
		.amdhsa_user_sgpr_dispatch_id 0
		.amdhsa_user_sgpr_kernarg_preload_length 0
		.amdhsa_user_sgpr_kernarg_preload_offset 0
		.amdhsa_user_sgpr_private_segment_size 0
		.amdhsa_uses_dynamic_stack 0
		.amdhsa_enable_private_segment 0
		.amdhsa_system_sgpr_workgroup_id_x 1
		.amdhsa_system_sgpr_workgroup_id_y 1
		.amdhsa_system_sgpr_workgroup_id_z 1
		.amdhsa_system_sgpr_workgroup_info 0
		.amdhsa_system_vgpr_workitem_id 0
		.amdhsa_next_free_vgpr 120
		.amdhsa_next_free_sgpr 37
		.amdhsa_accum_offset 120
		.amdhsa_reserve_vcc 1
		.amdhsa_float_round_mode_32 0
		.amdhsa_float_round_mode_16_64 0
		.amdhsa_float_denorm_mode_32 3
		.amdhsa_float_denorm_mode_16_64 3
		.amdhsa_dx10_clamp 1
		.amdhsa_ieee_mode 1
		.amdhsa_fp16_overflow 0
		.amdhsa_tg_split 0
		.amdhsa_exception_fp_ieee_invalid_op 0
		.amdhsa_exception_fp_denorm_src 0
		.amdhsa_exception_fp_ieee_div_zero 0
		.amdhsa_exception_fp_ieee_overflow 0
		.amdhsa_exception_fp_ieee_underflow 0
		.amdhsa_exception_fp_ieee_inexact 0
		.amdhsa_exception_int_div_zero 0
	.end_amdhsa_kernel
	.section	.text._ZN4vllm25paged_attention_v1_kernelI14__hip_bfloat16hLi128ELi32ELi128ELNS_18Fp8KVCacheDataTypeE1ELb0EEEvPT_PKS3_PKT0_S9_ifPKiSB_iPKfiiiSD_SD_iiiii,"axG",@progbits,_ZN4vllm25paged_attention_v1_kernelI14__hip_bfloat16hLi128ELi32ELi128ELNS_18Fp8KVCacheDataTypeE1ELb0EEEvPT_PKS3_PKT0_S9_ifPKiSB_iPKfiiiSD_SD_iiiii,comdat
.Lfunc_end323:
	.size	_ZN4vllm25paged_attention_v1_kernelI14__hip_bfloat16hLi128ELi32ELi128ELNS_18Fp8KVCacheDataTypeE1ELb0EEEvPT_PKS3_PKT0_S9_ifPKiSB_iPKfiiiSD_SD_iiiii, .Lfunc_end323-_ZN4vllm25paged_attention_v1_kernelI14__hip_bfloat16hLi128ELi32ELi128ELNS_18Fp8KVCacheDataTypeE1ELb0EEEvPT_PKS3_PKT0_S9_ifPKiSB_iPKfiiiSD_SD_iiiii
                                        ; -- End function
	.set _ZN4vllm25paged_attention_v1_kernelI14__hip_bfloat16hLi128ELi32ELi128ELNS_18Fp8KVCacheDataTypeE1ELb0EEEvPT_PKS3_PKT0_S9_ifPKiSB_iPKfiiiSD_SD_iiiii.num_vgpr, 120
	.set _ZN4vllm25paged_attention_v1_kernelI14__hip_bfloat16hLi128ELi32ELi128ELNS_18Fp8KVCacheDataTypeE1ELb0EEEvPT_PKS3_PKT0_S9_ifPKiSB_iPKfiiiSD_SD_iiiii.num_agpr, 0
	.set _ZN4vllm25paged_attention_v1_kernelI14__hip_bfloat16hLi128ELi32ELi128ELNS_18Fp8KVCacheDataTypeE1ELb0EEEvPT_PKS3_PKT0_S9_ifPKiSB_iPKfiiiSD_SD_iiiii.numbered_sgpr, 37
	.set _ZN4vllm25paged_attention_v1_kernelI14__hip_bfloat16hLi128ELi32ELi128ELNS_18Fp8KVCacheDataTypeE1ELb0EEEvPT_PKS3_PKT0_S9_ifPKiSB_iPKfiiiSD_SD_iiiii.num_named_barrier, 0
	.set _ZN4vllm25paged_attention_v1_kernelI14__hip_bfloat16hLi128ELi32ELi128ELNS_18Fp8KVCacheDataTypeE1ELb0EEEvPT_PKS3_PKT0_S9_ifPKiSB_iPKfiiiSD_SD_iiiii.private_seg_size, 0
	.set _ZN4vllm25paged_attention_v1_kernelI14__hip_bfloat16hLi128ELi32ELi128ELNS_18Fp8KVCacheDataTypeE1ELb0EEEvPT_PKS3_PKT0_S9_ifPKiSB_iPKfiiiSD_SD_iiiii.uses_vcc, 1
	.set _ZN4vllm25paged_attention_v1_kernelI14__hip_bfloat16hLi128ELi32ELi128ELNS_18Fp8KVCacheDataTypeE1ELb0EEEvPT_PKS3_PKT0_S9_ifPKiSB_iPKfiiiSD_SD_iiiii.uses_flat_scratch, 0
	.set _ZN4vllm25paged_attention_v1_kernelI14__hip_bfloat16hLi128ELi32ELi128ELNS_18Fp8KVCacheDataTypeE1ELb0EEEvPT_PKS3_PKT0_S9_ifPKiSB_iPKfiiiSD_SD_iiiii.has_dyn_sized_stack, 0
	.set _ZN4vllm25paged_attention_v1_kernelI14__hip_bfloat16hLi128ELi32ELi128ELNS_18Fp8KVCacheDataTypeE1ELb0EEEvPT_PKS3_PKT0_S9_ifPKiSB_iPKfiiiSD_SD_iiiii.has_recursion, 0
	.set _ZN4vllm25paged_attention_v1_kernelI14__hip_bfloat16hLi128ELi32ELi128ELNS_18Fp8KVCacheDataTypeE1ELb0EEEvPT_PKS3_PKT0_S9_ifPKiSB_iPKfiiiSD_SD_iiiii.has_indirect_call, 0
	.section	.AMDGPU.csdata,"",@progbits
; Kernel info:
; codeLenInByte = 10680
; TotalNumSgprs: 43
; NumVgprs: 120
; NumAgprs: 0
; TotalNumVgprs: 120
; ScratchSize: 0
; MemoryBound: 0
; FloatMode: 240
; IeeeMode: 1
; LDSByteSize: 272 bytes/workgroup (compile time only)
; SGPRBlocks: 5
; VGPRBlocks: 14
; NumSGPRsForWavesPerEU: 43
; NumVGPRsForWavesPerEU: 120
; AccumOffset: 120
; Occupancy: 4
; WaveLimiterHint : 1
; COMPUTE_PGM_RSRC2:SCRATCH_EN: 0
; COMPUTE_PGM_RSRC2:USER_SGPR: 2
; COMPUTE_PGM_RSRC2:TRAP_HANDLER: 0
; COMPUTE_PGM_RSRC2:TGID_X_EN: 1
; COMPUTE_PGM_RSRC2:TGID_Y_EN: 1
; COMPUTE_PGM_RSRC2:TGID_Z_EN: 1
; COMPUTE_PGM_RSRC2:TIDIG_COMP_CNT: 0
; COMPUTE_PGM_RSRC3_GFX90A:ACCUM_OFFSET: 29
; COMPUTE_PGM_RSRC3_GFX90A:TG_SPLIT: 0
	.section	.text._ZN4vllm25paged_attention_v1_kernelI14__hip_bfloat16hLi192ELi32ELi128ELNS_18Fp8KVCacheDataTypeE1ELb0EEEvPT_PKS3_PKT0_S9_ifPKiSB_iPKfiiiSD_SD_iiiii,"axG",@progbits,_ZN4vllm25paged_attention_v1_kernelI14__hip_bfloat16hLi192ELi32ELi128ELNS_18Fp8KVCacheDataTypeE1ELb0EEEvPT_PKS3_PKT0_S9_ifPKiSB_iPKfiiiSD_SD_iiiii,comdat
	.protected	_ZN4vllm25paged_attention_v1_kernelI14__hip_bfloat16hLi192ELi32ELi128ELNS_18Fp8KVCacheDataTypeE1ELb0EEEvPT_PKS3_PKT0_S9_ifPKiSB_iPKfiiiSD_SD_iiiii ; -- Begin function _ZN4vllm25paged_attention_v1_kernelI14__hip_bfloat16hLi192ELi32ELi128ELNS_18Fp8KVCacheDataTypeE1ELb0EEEvPT_PKS3_PKT0_S9_ifPKiSB_iPKfiiiSD_SD_iiiii
	.globl	_ZN4vllm25paged_attention_v1_kernelI14__hip_bfloat16hLi192ELi32ELi128ELNS_18Fp8KVCacheDataTypeE1ELb0EEEvPT_PKS3_PKT0_S9_ifPKiSB_iPKfiiiSD_SD_iiiii
	.p2align	8
	.type	_ZN4vllm25paged_attention_v1_kernelI14__hip_bfloat16hLi192ELi32ELi128ELNS_18Fp8KVCacheDataTypeE1ELb0EEEvPT_PKS3_PKT0_S9_ifPKiSB_iPKfiiiSD_SD_iiiii,@function
_ZN4vllm25paged_attention_v1_kernelI14__hip_bfloat16hLi192ELi32ELi128ELNS_18Fp8KVCacheDataTypeE1ELb0EEEvPT_PKS3_PKT0_S9_ifPKiSB_iPKfiiiSD_SD_iiiii: ; @_ZN4vllm25paged_attention_v1_kernelI14__hip_bfloat16hLi192ELi32ELi128ELNS_18Fp8KVCacheDataTypeE1ELb0EEEvPT_PKS3_PKT0_S9_ifPKiSB_iPKfiiiSD_SD_iiiii
; %bb.0:
	s_load_dword s5, s[0:1], 0x80
	s_load_dwordx2 s[6:7], s[0:1], 0x30
	s_load_dwordx2 s[28:29], s[0:1], 0x20
	s_mov_b32 s16, s3
	s_ashr_i32 s17, s3, 31
	s_lshl_b64 s[8:9], s[16:17], 2
	s_waitcnt lgkmcnt(0)
	s_add_u32 s6, s6, s8
	s_addc_u32 s7, s7, s9
	s_abs_i32 s3, s28
	v_mov_b32_e32 v24, v0
	v_cvt_f32_u32_e32 v0, s3
	s_sub_i32 s10, 0, s3
	s_abs_i32 s9, s5
	s_xor_b32 s8, s5, s28
	v_rcp_iflag_f32_e32 v0, v0
	s_ashr_i32 s8, s8, 31
	s_mov_b32 s28, 0
	v_mul_f32_e32 v0, 0x4f7ffffe, v0
	v_cvt_u32_f32_e32 v0, v0
	s_nop 0
	v_readfirstlane_b32 s11, v0
	s_mul_i32 s10, s10, s11
	s_mul_hi_u32 s10, s11, s10
	s_add_i32 s11, s11, s10
	s_mul_hi_u32 s10, s9, s11
	s_mul_i32 s11, s10, s3
	s_sub_i32 s9, s9, s11
	s_add_i32 s11, s10, 1
	s_sub_i32 s12, s9, s3
	s_cmp_ge_u32 s9, s3
	s_cselect_b32 s10, s11, s10
	s_cselect_b32 s9, s12, s9
	s_add_i32 s11, s10, 1
	s_cmp_ge_u32 s9, s3
	s_cselect_b32 s3, s11, s10
	s_xor_b32 s3, s3, s8
	s_sub_i32 s12, s3, s8
	s_abs_i32 s10, s12
	v_cvt_f32_u32_e32 v0, s10
	s_load_dwordx2 s[8:9], s[0:1], 0x40
	s_sub_i32 s3, 0, s10
	s_abs_i32 s11, s2
	v_rcp_iflag_f32_e32 v0, v0
	s_nop 0
	v_mul_f32_e32 v0, 0x4f7ffffe, v0
	v_cvt_u32_f32_e32 v0, v0
	s_nop 0
	v_readfirstlane_b32 s13, v0
	s_mul_i32 s3, s3, s13
	s_mul_hi_u32 s3, s13, s3
	s_add_i32 s13, s13, s3
	s_waitcnt lgkmcnt(0)
	s_cmp_eq_u64 s[8:9], 0
	s_mul_hi_u32 s20, s11, s13
	s_cbranch_scc1 .LBB324_2
; %bb.1:
	s_ashr_i32 s3, s2, 31
	s_lshl_b64 s[14:15], s[2:3], 2
	s_add_u32 s8, s8, s14
	s_addc_u32 s9, s9, s15
	s_load_dword s28, s[8:9], 0x0
.LBB324_2:
	s_load_dword s17, s[6:7], 0x0
	s_ashr_i32 s7, s12, 31
	s_load_dwordx4 s[12:15], s[0:1], 0x48
	s_ashr_i32 s6, s2, 31
	v_and_b32_e32 v0, 1, v24
	s_movk_i32 s8, 0xc0
	s_mul_i32 s18, s2, 0xc0
	v_cmp_gt_u32_e32 vcc, 48, v24
	v_lshlrev_b32_e32 v22, 3, v24
	s_and_saveexec_b64 s[2:3], vcc
	s_cbranch_execz .LBB324_4
; %bb.3:
	s_load_dwordx2 s[22:23], s[0:1], 0x8
	s_waitcnt lgkmcnt(0)
	s_mul_i32 s24, s12, s16
	s_ashr_i32 s25, s24, 31
	s_lshl_b64 s[24:25], s[24:25], 1
	v_lshlrev_b32_e32 v1, 2, v24
	s_add_u32 s9, s22, s24
	s_addc_u32 s12, s23, s25
	s_ashr_i32 s19, s18, 31
	s_lshl_b64 s[22:23], s[18:19], 1
	s_add_u32 s22, s9, s22
	s_addc_u32 s23, s12, s23
	global_load_dwordx2 v[2:3], v22, s[22:23]
	v_and_b32_e32 v1, 0xff8, v1
	v_mad_u32_u24 v1, v0, s8, v1
	s_waitcnt vmcnt(0)
	ds_write_b64 v1, v[2:3]
.LBB324_4:
	s_or_b64 exec, exec, s[2:3]
	s_waitcnt lgkmcnt(0)
	s_add_i32 s3, s17, 31
	s_ashr_i32 s8, s3, 31
	s_lshr_b32 s8, s8, 27
	s_add_i32 s3, s3, s8
	s_ashr_i32 s19, s3, 5
	s_xor_b32 s3, s6, s7
	s_mul_i32 s6, s20, s10
	s_sub_i32 s6, s11, s6
	s_add_i32 s7, s20, 1
	s_sub_i32 s8, s6, s10
	s_load_dwordx2 s[22:23], s[0:1], 0x28
	s_load_dword s2, s[0:1], 0x38
	s_cmp_ge_u32 s6, s10
	s_cselect_b32 s7, s7, s20
	s_cselect_b32 s6, s8, s6
	s_add_i32 s8, s7, 1
	s_cmp_ge_u32 s6, s10
	s_cselect_b32 s6, s8, s7
	v_lshrrev_b32_e32 v1, 6, v24
	s_xor_b32 s6, s6, s3
	s_waitcnt lgkmcnt(0)
	s_mul_i32 s24, s2, s16
	s_sub_i32 s33, s6, s3
	s_ashr_i32 s25, s24, 31
	v_cmp_gt_i32_e64 s[6:7], s19, v1
	v_cmp_le_i32_e32 vcc, s19, v1
	v_mbcnt_lo_u32_b32 v6, -1, 0
	s_barrier
                                        ; implicit-def: $vgpr12
                                        ; implicit-def: $vgpr9
                                        ; implicit-def: $vgpr10
	s_and_saveexec_b64 s[2:3], vcc
	s_xor_b64 s[2:3], exec, s[2:3]
; %bb.5:
	v_mbcnt_hi_u32_b32 v12, -1, v6
	v_and_b32_e32 v9, 64, v12
	v_add_u32_e32 v10, 64, v9
                                        ; implicit-def: $vgpr0
                                        ; implicit-def: $vgpr6
; %bb.6:
	s_or_saveexec_b64 s[30:31], s[2:3]
	s_load_dwordx2 s[20:21], s[0:1], 0x0
	s_load_dwordx2 s[26:27], s[0:1], 0x18
	s_load_dword s12, s[0:1], 0x88
	s_load_dwordx4 s[8:11], s[0:1], 0x58
	v_mov_b32_e32 v115, 0xff7fffff
	s_mul_i32 s33, s33, s14
	v_lshrrev_b32_e32 v27, 4, v24
	scratch_store_dword off, v24, off offset:48 ; 4-byte Folded Spill
	s_xor_b64 exec, exec, s[30:31]
	s_cbranch_execz .LBB324_12
; %bb.7:
	scratch_store_dword off, v22, off offset:52 ; 4-byte Folded Spill
	v_mul_u32_u24_e32 v7, 0xc0, v0
	ds_read_b128 v[2:5], v7
	ds_read_b128 v[8:11], v7 offset:16
	ds_read_b128 v[12:15], v7 offset:32
	;; [unrolled: 1-line block ×3, first 2 shown]
	s_load_dwordx2 s[0:1], s[0:1], 0x10
	s_waitcnt lgkmcnt(0)
	v_lshlrev_b32_e32 v20, 16, v2
	v_and_b32_e32 v2, 0xffff0000, v2
	scratch_store_dword off, v2, off offset:4 ; 4-byte Folded Spill
	v_lshlrev_b32_e32 v2, 16, v3
	scratch_store_dword off, v2, off offset:8 ; 4-byte Folded Spill
	v_and_b32_e32 v2, 0xffff0000, v3
	scratch_store_dword off, v2, off offset:12 ; 4-byte Folded Spill
	v_lshlrev_b32_e32 v2, 16, v4
	scratch_store_dword off, v2, off offset:16 ; 4-byte Folded Spill
	;; [unrolled: 4-line block ×5, first 2 shown]
	v_and_b32_e32 v28, 0xffff0000, v9
	v_lshlrev_b32_e32 v29, 16, v10
	v_and_b32_e32 v30, 0xffff0000, v10
	v_lshlrev_b32_e32 v31, 16, v11
	v_and_b32_e32 v32, 0xffff0000, v11
	ds_read_b128 v[2:5], v7 offset:64
	ds_read_b128 v[8:11], v7 offset:80
	s_ashr_i32 s2, s33, 31
	s_add_u32 s0, s0, s33
	v_mbcnt_hi_u32_b32 v6, -1, v6
	s_waitcnt lgkmcnt(1)
	v_lshlrev_b32_e32 v51, 16, v2
	v_and_b32_e32 v52, 0xffff0000, v2
	v_lshlrev_b32_e32 v53, 16, v3
	v_and_b32_e32 v54, 0xffff0000, v3
	v_lshlrev_b32_e32 v55, 16, v4
	v_and_b32_e32 v56, 0xffff0000, v4
	v_lshlrev_b32_e32 v57, 16, v5
	v_and_b32_e32 v58, 0xffff0000, v5
	s_waitcnt lgkmcnt(0)
	v_lshlrev_b32_e32 v59, 16, v8
	v_and_b32_e32 v60, 0xffff0000, v8
	v_lshlrev_b32_e32 v61, 16, v9
	v_and_b32_e32 v62, 0xffff0000, v9
	v_lshlrev_b32_e32 v63, 16, v10
	ds_read_b128 v[2:5], v7 offset:96
	v_and_b32_e32 v64, 0xffff0000, v10
	v_lshlrev_b32_e32 v65, 16, v11
	v_and_b32_e32 v66, 0xffff0000, v11
	ds_read_b128 v[8:11], v7 offset:112
	s_waitcnt lgkmcnt(1)
	v_lshlrev_b32_e32 v67, 16, v2
	v_and_b32_e32 v68, 0xffff0000, v2
	v_lshlrev_b32_e32 v69, 16, v3
	v_and_b32_e32 v70, 0xffff0000, v3
	v_lshlrev_b32_e32 v71, 16, v4
	v_and_b32_e32 v72, 0xffff0000, v4
	v_lshlrev_b32_e32 v73, 16, v5
	v_and_b32_e32 v74, 0xffff0000, v5
	s_waitcnt lgkmcnt(0)
	v_lshlrev_b32_e32 v75, 16, v8
	v_and_b32_e32 v76, 0xffff0000, v8
	v_lshlrev_b32_e32 v77, 16, v9
	v_and_b32_e32 v78, 0xffff0000, v9
	v_lshlrev_b32_e32 v79, 16, v10
	ds_read_b128 v[2:5], v7 offset:128
	v_and_b32_e32 v80, 0xffff0000, v10
	v_lshlrev_b32_e32 v81, 16, v11
	v_and_b32_e32 v82, 0xffff0000, v11
	ds_read_b128 v[8:11], v7 offset:144
	;; [unrolled: 20-line block ×3, first 2 shown]
	s_waitcnt lgkmcnt(1)
	v_lshlrev_b32_e32 v99, 16, v2
	v_and_b32_e32 v100, 0xffff0000, v2
	v_lshlrev_b32_e32 v101, 16, v3
	v_and_b32_e32 v102, 0xffff0000, v3
	s_waitcnt lgkmcnt(0)
	v_lshlrev_b32_e32 v107, 16, v8
	v_and_b32_e32 v108, 0xffff0000, v8
	v_bfe_u32 v8, v24, 1, 5
	s_addc_u32 s1, s1, s2
	v_lshlrev_b32_e32 v2, 4, v8
	v_mov_b32_e32 v3, 0
	v_and_b32_e32 v7, 64, v6
	v_lshlrev_b32_e32 v103, 16, v4
	v_and_b32_e32 v104, 0xffff0000, v4
	v_lshlrev_b32_e32 v105, 16, v5
	v_and_b32_e32 v106, 0xffff0000, v5
	v_lshl_add_u64 v[4:5], s[0:1], 0, v[2:3]
	v_lshlrev_b32_e32 v2, 2, v0
	v_cmp_eq_u32_e32 vcc, 0, v0
	v_xor_b32_e32 v0, 1, v6
	scratch_store_dword off, v7, off offset:64 ; 4-byte Folded Spill
	v_add_u32_e32 v7, 64, v7
	v_cmp_lt_i32_e64 s[0:1], v0, v7
	s_load_dword s43, s[8:9], 0x0
	s_sub_i32 s44, 1, s17
	v_cndmask_b32_e64 v0, v6, v0, s[0:1]
	s_lshl_b64 s[0:1], s[24:25], 2
	v_lshlrev_b32_e32 v116, 2, v0
	v_lshlrev_b32_e32 v0, 2, v8
	s_add_u32 s0, s22, s0
	v_lshlrev_b32_e32 v109, 16, v9
	v_and_b32_e32 v110, 0xffff0000, v9
	v_lshl_or_b32 v117, v1, 5, v8
	v_lshl_or_b32 v0, v1, 7, v0
	v_and_b32_e32 v8, 60, v27
	v_mov_b32_e32 v9, v3
	s_addc_u32 s1, s23, s1
	v_lshlrev_b32_e32 v33, 16, v12
	v_and_b32_e32 v34, 0xffff0000, v12
	v_lshlrev_b32_e32 v35, 16, v13
	v_and_b32_e32 v36, 0xffff0000, v13
	;; [unrolled: 2-line block ×10, first 2 shown]
	s_mov_b32 s42, s13
	scratch_store_dword off, v7, off offset:68 ; 4-byte Folded Spill
	scratch_store_dword off, v6, off offset:60 ; 4-byte Folded Spill
	v_cmp_neq_f32_e64 s[2:3], s28, 0
	v_or_b32_e32 v6, 8, v2
	v_mov_b32_e32 v7, v3
	v_add_u32_e32 v118, 0x190, v0
	v_lshl_add_u64 v[8:9], s[0:1], 0, v[8:9]
	s_mov_b64 s[8:9], 0
	s_mov_b64 s[14:15], 0x1000
	;; [unrolled: 1-line block ×5, first 2 shown]
	v_mov_b32_e32 v115, 0xff7fffff
	v_mov_b32_e32 v119, v1
	scratch_store_dword off, v20, off       ; 4-byte Folded Spill
	scratch_store_dword off, v27, off offset:56 ; 4-byte Folded Spill
	s_branch .LBB324_9
.LBB324_8:                              ;   in Loop: Header=BB324_9 Depth=1
	s_or_b64 exec, exec, s[40:41]
	v_add_u32_e32 v119, 2, v119
	v_cmp_le_i32_e64 s[0:1], s19, v119
	v_add_u32_e32 v117, 64, v117
	v_add_u32_e32 v118, 0x100, v118
	s_or_b64 s[8:9], s[0:1], s[8:9]
	v_lshl_add_u64 v[8:9], v[8:9], 0, 8
	s_andn2_b64 exec, exec, s[8:9]
	s_cbranch_execz .LBB324_11
.LBB324_9:                              ; =>This Inner Loop Header: Depth=1
	global_load_dword v0, v[8:9], off
	s_waitcnt vmcnt(0) lgkmcnt(0)
	v_mad_i64_i32 v[10:11], s[0:1], v0, s42, v[4:5]
	v_lshl_add_u64 v[12:13], v[10:11], 0, v[2:3]
	global_load_dword v25, v[12:13], off
	global_load_dword v26, v[12:13], off offset:8
	global_load_dword v23, v[12:13], off offset:512
	;; [unrolled: 1-line block ×15, first 2 shown]
	v_lshl_add_u64 v[12:13], v[10:11], 0, s[14:15]
	v_lshl_add_u64 v[120:121], v[12:13], 0, v[2:3]
	;; [unrolled: 1-line block ×3, first 2 shown]
	global_load_dword v127, v[120:121], off
	global_load_dword v126, v[12:13], off
	v_lshl_add_u64 v[12:13], v[10:11], 0, s[34:35]
	v_lshl_add_u64 v[120:121], v[12:13], 0, v[2:3]
	;; [unrolled: 1-line block ×3, first 2 shown]
	global_load_dword v125, v[120:121], off
	global_load_dword v124, v[12:13], off
	v_lshl_add_u64 v[12:13], v[10:11], 0, s[36:37]
	v_lshl_add_u64 v[120:121], v[12:13], 0, v[2:3]
	;; [unrolled: 1-line block ×4, first 2 shown]
	global_load_dword v123, v[120:121], off
	global_load_dword v122, v[12:13], off
	v_lshl_add_u64 v[12:13], v[10:11], 0, v[2:3]
	v_lshl_add_u64 v[10:11], v[10:11], 0, v[6:7]
	global_load_dword v121, v[12:13], off
	global_load_dword v120, v[10:11], off
	s_waitcnt vmcnt(23)
	v_and_b32_e32 v10, 0xff, v25
	s_waitcnt vmcnt(22)
	v_and_b32_e32 v11, 0xff, v26
	v_cvt_f32_fp8_e32 v10, v10
	v_cvt_f32_fp8_e32 v11, v11
	s_waitcnt lgkmcnt(0)
	v_mul_f32_e32 v10, s43, v10
	v_mul_f32_e32 v11, s43, v11
	v_cvt_pk_bf16_f32 v10, v10, s0
	v_cvt_pk_bf16_f32 v11, v11, s0
	v_lshlrev_b32_e32 v12, 16, v10
	v_lshlrev_b32_e32 v10, 16, v11
	scratch_load_dword v11, off, off offset:16 ; 4-byte Folded Reload
	s_waitcnt vmcnt(0)
	v_mul_f32_e32 v10, v11, v10
	scratch_load_dword v11, off, off        ; 4-byte Folded Reload
	s_waitcnt vmcnt(0)
	v_fmac_f32_e32 v10, v11, v12
	v_bfe_u32 v11, v25, 8, 8
	v_bfe_u32 v12, v26, 8, 8
	v_cvt_f32_fp8_e32 v11, v11
	v_cvt_f32_fp8_e32 v12, v12
	v_mul_f32_e32 v11, s43, v11
	v_mul_f32_e32 v12, s43, v12
	v_cvt_pk_bf16_f32 v11, v11, s0
	v_cvt_pk_bf16_f32 v12, v12, s0
	v_lshlrev_b32_e32 v13, 16, v11
	v_lshlrev_b32_e32 v11, 16, v12
	scratch_load_dword v12, off, off offset:24 ; 4-byte Folded Reload
	s_waitcnt vmcnt(0)
	v_mul_f32_e32 v11, v12, v11
	scratch_load_dword v12, off, off offset:4 ; 4-byte Folded Reload
	s_waitcnt vmcnt(0)
	v_fmac_f32_e32 v11, v12, v13
	v_bfe_u32 v12, v25, 16, 8
	v_bfe_u32 v13, v26, 16, 8
	v_cvt_f32_fp8_e32 v12, v12
	v_cvt_f32_fp8_e32 v13, v13
	v_mul_f32_e32 v12, s43, v12
	v_mul_f32_e32 v13, s43, v13
	v_cvt_pk_bf16_f32 v12, v12, s0
	v_cvt_pk_bf16_f32 v13, v13, s0
	v_lshlrev_b32_e32 v27, 16, v12
	v_lshlrev_b32_e32 v12, 16, v13
	scratch_load_dword v13, off, off offset:28 ; 4-byte Folded Reload
	s_waitcnt vmcnt(0)
	v_mul_f32_e32 v12, v13, v12
	scratch_load_dword v13, off, off offset:8 ; 4-byte Folded Reload
	s_waitcnt vmcnt(0)
	v_fmac_f32_e32 v12, v13, v27
	v_lshrrev_b32_e32 v13, 24, v25
	v_lshrrev_b32_e32 v25, 24, v26
	v_cvt_f32_fp8_e32 v13, v13
	v_cvt_f32_fp8_e32 v25, v25
	v_lshrrev_b32_e32 v27, 24, v120
	v_cvt_f32_fp8_e32 v27, v27
	v_mul_f32_e32 v13, s43, v13
	v_mul_f32_e32 v25, s43, v25
	v_cvt_pk_bf16_f32 v13, v13, s0
	v_cvt_pk_bf16_f32 v25, v25, s0
	v_lshlrev_b32_e32 v26, 16, v13
	v_lshlrev_b32_e32 v13, 16, v25
	scratch_load_dword v25, off, off offset:32 ; 4-byte Folded Reload
	v_mul_f32_e32 v27, s43, v27
	v_cvt_pk_bf16_f32 v27, v27, s0
	s_waitcnt vmcnt(0)
	v_mul_f32_e32 v13, v25, v13
	scratch_load_dword v25, off, off offset:12 ; 4-byte Folded Reload
	s_waitcnt vmcnt(0)
	v_fmac_f32_e32 v13, v25, v26
	scratch_load_dword v26, off, off offset:36 ; 4-byte Folded Reload
	v_and_b32_e32 v25, 0xff, v23
	v_cvt_f32_fp8_e32 v25, v25
	v_mul_f32_e32 v25, s43, v25
	v_cvt_pk_bf16_f32 v25, v25, s0
	v_lshlrev_b32_e32 v25, 16, v25
	s_waitcnt vmcnt(0)
	v_fmac_f32_e32 v10, v26, v25
	scratch_load_dword v26, off, off offset:40 ; 4-byte Folded Reload
	v_bfe_u32 v25, v23, 8, 8
	v_cvt_f32_fp8_e32 v25, v25
	v_mul_f32_e32 v25, s43, v25
	v_cvt_pk_bf16_f32 v25, v25, s0
	v_lshlrev_b32_e32 v25, 16, v25
	s_waitcnt vmcnt(0)
	v_fmac_f32_e32 v11, v26, v25
	v_bfe_u32 v25, v23, 16, 8
	v_lshrrev_b32_e32 v23, 24, v23
	v_cvt_f32_fp8_e32 v23, v23
	scratch_load_dword v26, off, off offset:44 ; 4-byte Folded Reload
	v_cvt_f32_fp8_e32 v25, v25
	v_mul_f32_e32 v23, s43, v23
	v_cvt_pk_bf16_f32 v23, v23, s0
	v_lshlrev_b32_e32 v23, 16, v23
	v_fmac_f32_e32 v13, v28, v23
	v_and_b32_e32 v23, 0xff, v21
	v_cvt_f32_fp8_e32 v23, v23
	v_mul_f32_e32 v25, s43, v25
	v_cvt_pk_bf16_f32 v25, v25, s0
	v_lshlrev_b32_e32 v25, 16, v25
	v_mul_f32_e32 v23, s43, v23
	v_cvt_pk_bf16_f32 v23, v23, s0
	v_lshlrev_b32_e32 v23, 16, v23
	v_fmac_f32_e32 v10, v29, v23
	v_bfe_u32 v23, v21, 8, 8
	v_cvt_f32_fp8_e32 v23, v23
	v_mul_f32_e32 v23, s43, v23
	v_cvt_pk_bf16_f32 v23, v23, s0
	v_lshlrev_b32_e32 v23, 16, v23
	v_fmac_f32_e32 v11, v30, v23
	v_bfe_u32 v23, v21, 16, 8
	v_lshrrev_b32_e32 v21, 24, v21
	v_cvt_f32_fp8_e32 v21, v21
	v_cvt_f32_fp8_e32 v23, v23
	v_mul_f32_e32 v21, s43, v21
	v_cvt_pk_bf16_f32 v21, v21, s0
	v_lshlrev_b32_e32 v21, 16, v21
	v_fmac_f32_e32 v13, v32, v21
	v_and_b32_e32 v21, 0xff, v20
	v_cvt_f32_fp8_e32 v21, v21
	v_mul_f32_e32 v23, s43, v23
	v_cvt_pk_bf16_f32 v23, v23, s0
	v_lshlrev_b32_e32 v23, 16, v23
	v_mul_f32_e32 v21, s43, v21
	v_cvt_pk_bf16_f32 v21, v21, s0
	v_lshlrev_b32_e32 v21, 16, v21
	v_fmac_f32_e32 v10, v33, v21
	v_bfe_u32 v21, v20, 8, 8
	v_cvt_f32_fp8_e32 v21, v21
	v_mul_f32_e32 v21, s43, v21
	v_cvt_pk_bf16_f32 v21, v21, s0
	v_lshlrev_b32_e32 v21, 16, v21
	v_fmac_f32_e32 v11, v34, v21
	v_bfe_u32 v21, v20, 16, 8
	v_lshrrev_b32_e32 v20, 24, v20
	v_cvt_f32_fp8_e32 v20, v20
	;; [unrolled: 23-line block ×3, first 2 shown]
	v_cvt_f32_fp8_e32 v20, v20
	s_waitcnt vmcnt(0)
	v_fmac_f32_e32 v12, v26, v25
	v_fmac_f32_e32 v12, v31, v23
	v_mul_f32_e32 v19, s43, v19
	v_cvt_pk_bf16_f32 v19, v19, s0
	v_lshlrev_b32_e32 v19, 16, v19
	v_fmac_f32_e32 v13, v40, v19
	v_and_b32_e32 v19, 0xff, v18
	v_cvt_f32_fp8_e32 v19, v19
	v_mul_f32_e32 v20, s43, v20
	v_cvt_pk_bf16_f32 v20, v20, s0
	v_fmac_f32_e32 v12, v35, v21
	v_mul_f32_e32 v19, s43, v19
	v_cvt_pk_bf16_f32 v19, v19, s0
	v_lshlrev_b32_e32 v19, 16, v19
	v_fmac_f32_e32 v10, v41, v19
	v_bfe_u32 v19, v18, 8, 8
	v_cvt_f32_fp8_e32 v19, v19
	v_lshlrev_b32_e32 v20, 16, v20
	v_fmac_f32_e32 v12, v39, v20
	v_lshrrev_b32_e32 v20, 24, v127
	v_mul_f32_e32 v19, s43, v19
	v_cvt_pk_bf16_f32 v19, v19, s0
	v_lshlrev_b32_e32 v19, 16, v19
	v_fmac_f32_e32 v11, v42, v19
	v_bfe_u32 v19, v18, 16, 8
	v_lshrrev_b32_e32 v18, 24, v18
	v_cvt_f32_fp8_e32 v18, v18
	v_cvt_f32_fp8_e32 v19, v19
	;; [unrolled: 1-line block ×3, first 2 shown]
	v_lshrrev_b32_e32 v21, 24, v126
	v_mul_f32_e32 v18, s43, v18
	v_cvt_pk_bf16_f32 v18, v18, s0
	v_lshlrev_b32_e32 v18, 16, v18
	v_fmac_f32_e32 v13, v44, v18
	v_and_b32_e32 v18, 0xff, v17
	v_cvt_f32_fp8_e32 v18, v18
	v_mul_f32_e32 v19, s43, v19
	v_cvt_pk_bf16_f32 v19, v19, s0
	v_lshlrev_b32_e32 v19, 16, v19
	v_mul_f32_e32 v18, s43, v18
	v_cvt_pk_bf16_f32 v18, v18, s0
	v_lshlrev_b32_e32 v18, 16, v18
	v_fmac_f32_e32 v10, v45, v18
	v_bfe_u32 v18, v17, 8, 8
	v_cvt_f32_fp8_e32 v18, v18
	v_fmac_f32_e32 v12, v43, v19
	v_lshrrev_b32_e32 v19, 24, v24
	v_cvt_f32_fp8_e32 v19, v19
	v_mul_f32_e32 v18, s43, v18
	v_cvt_pk_bf16_f32 v18, v18, s0
	v_lshlrev_b32_e32 v18, 16, v18
	v_fmac_f32_e32 v11, v47, v18
	v_bfe_u32 v18, v17, 16, 8
	v_lshrrev_b32_e32 v17, 24, v17
	v_cvt_f32_fp8_e32 v17, v17
	v_cvt_f32_fp8_e32 v18, v18
	v_mul_f32_e32 v19, s43, v19
	v_cvt_pk_bf16_f32 v19, v19, s0
	v_mul_f32_e32 v17, s43, v17
	v_cvt_pk_bf16_f32 v17, v17, s0
	v_lshlrev_b32_e32 v17, 16, v17
	v_fmac_f32_e32 v13, v49, v17
	v_and_b32_e32 v17, 0xff, v16
	v_cvt_f32_fp8_e32 v17, v17
	v_mul_f32_e32 v18, s43, v18
	v_cvt_pk_bf16_f32 v18, v18, s0
	v_lshlrev_b32_e32 v18, 16, v18
	v_mul_f32_e32 v17, s43, v17
	v_cvt_pk_bf16_f32 v17, v17, s0
	v_lshlrev_b32_e32 v17, 16, v17
	v_fmac_f32_e32 v10, v51, v17
	v_bfe_u32 v17, v16, 8, 8
	v_cvt_f32_fp8_e32 v17, v17
	v_fmac_f32_e32 v12, v48, v18
	v_lshrrev_b32_e32 v18, 24, v22
	v_cvt_f32_fp8_e32 v18, v18
	v_mul_f32_e32 v17, s43, v17
	v_cvt_pk_bf16_f32 v17, v17, s0
	v_lshlrev_b32_e32 v17, 16, v17
	v_fmac_f32_e32 v11, v52, v17
	v_bfe_u32 v17, v16, 16, 8
	v_lshrrev_b32_e32 v16, 24, v16
	v_cvt_f32_fp8_e32 v16, v16
	v_cvt_f32_fp8_e32 v17, v17
	v_mul_f32_e32 v18, s43, v18
	v_cvt_pk_bf16_f32 v18, v18, s0
	;; [unrolled: 28-line block ×3, first 2 shown]
	v_mul_f32_e32 v15, s43, v15
	v_cvt_pk_bf16_f32 v15, v15, s0
	v_lshlrev_b32_e32 v15, 16, v15
	v_fmac_f32_e32 v13, v58, v15
	v_and_b32_e32 v15, 0xff, v14
	v_cvt_f32_fp8_e32 v15, v15
	v_mul_f32_e32 v16, s43, v16
	v_cvt_pk_bf16_f32 v16, v16, s0
	v_lshlrev_b32_e32 v16, 16, v16
	v_mul_f32_e32 v15, s43, v15
	v_cvt_pk_bf16_f32 v15, v15, s0
	v_lshlrev_b32_e32 v15, 16, v15
	v_fmac_f32_e32 v10, v59, v15
	v_bfe_u32 v15, v14, 8, 8
	v_cvt_f32_fp8_e32 v15, v15
	v_fmac_f32_e32 v12, v57, v16
	v_lshrrev_b32_e32 v16, 24, v50
	v_cvt_f32_fp8_e32 v16, v16
	v_mul_f32_e32 v15, s43, v15
	v_cvt_pk_bf16_f32 v15, v15, s0
	v_lshlrev_b32_e32 v15, 16, v15
	v_fmac_f32_e32 v11, v60, v15
	v_bfe_u32 v15, v14, 16, 8
	v_cvt_f32_fp8_e32 v15, v15
	v_lshrrev_b32_e32 v14, 24, v14
	v_cvt_f32_fp8_e32 v14, v14
	v_mul_f32_e32 v16, s43, v16
	v_mul_f32_e32 v15, s43, v15
	v_cvt_pk_bf16_f32 v15, v15, s0
	v_lshlrev_b32_e32 v15, 16, v15
	v_fmac_f32_e32 v12, v61, v15
	v_and_b32_e32 v15, 0xff, v0
	v_cvt_f32_fp8_e32 v15, v15
	v_mul_f32_e32 v14, s43, v14
	v_cvt_pk_bf16_f32 v14, v14, s0
	v_lshlrev_b32_e32 v14, 16, v14
	v_mul_f32_e32 v15, s43, v15
	v_cvt_pk_bf16_f32 v15, v15, s0
	v_fmac_f32_e32 v13, v62, v14
	v_bfe_u32 v14, v0, 8, 8
	v_lshlrev_b32_e32 v15, 16, v15
	v_cvt_f32_fp8_e32 v14, v14
	v_fmac_f32_e32 v10, v63, v15
	v_bfe_u32 v15, v0, 16, 8
	v_cvt_f32_fp8_e32 v15, v15
	v_lshrrev_b32_e32 v0, 24, v0
	v_mul_f32_e32 v14, s43, v14
	v_cvt_f32_fp8_e32 v0, v0
	v_cvt_pk_bf16_f32 v14, v14, s0
	v_mul_f32_e32 v15, s43, v15
	v_cvt_pk_bf16_f32 v15, v15, s0
	v_lshlrev_b32_e32 v14, 16, v14
	v_fmac_f32_e32 v11, v64, v14
	v_and_b32_e32 v14, 0xff, v50
	v_lshlrev_b32_e32 v15, 16, v15
	v_mul_f32_e32 v0, s43, v0
	v_cvt_f32_fp8_e32 v14, v14
	v_fmac_f32_e32 v12, v65, v15
	v_bfe_u32 v15, v50, 8, 8
	v_cvt_f32_fp8_e32 v15, v15
	v_cvt_pk_bf16_f32 v0, v0, s0
	v_lshlrev_b32_e32 v0, 16, v0
	v_fmac_f32_e32 v13, v66, v0
	v_bfe_u32 v0, v50, 16, 8
	v_mul_f32_e32 v14, s43, v14
	v_cvt_f32_fp8_e32 v0, v0
	v_cvt_pk_bf16_f32 v14, v14, s0
	v_mul_f32_e32 v15, s43, v15
	v_cvt_pk_bf16_f32 v15, v15, s0
	v_lshlrev_b32_e32 v14, 16, v14
	v_fmac_f32_e32 v10, v67, v14
	v_and_b32_e32 v14, 0xff, v46
	v_lshlrev_b32_e32 v15, 16, v15
	v_mul_f32_e32 v0, s43, v0
	v_cvt_f32_fp8_e32 v14, v14
	v_fmac_f32_e32 v11, v68, v15
	v_bfe_u32 v15, v46, 8, 8
	v_cvt_pk_bf16_f32 v0, v0, s0
	v_cvt_f32_fp8_e32 v15, v15
	v_lshlrev_b32_e32 v0, 16, v0
	v_fmac_f32_e32 v12, v69, v0
	v_bfe_u32 v0, v46, 16, 8
	v_cvt_pk_bf16_f32 v16, v16, s0
	v_mul_f32_e32 v14, s43, v14
	v_cvt_f32_fp8_e32 v0, v0
	v_cvt_pk_bf16_f32 v14, v14, s0
	v_mul_f32_e32 v15, s43, v15
	v_lshlrev_b32_e32 v16, 16, v16
	v_cvt_pk_bf16_f32 v15, v15, s0
	v_fmac_f32_e32 v13, v70, v16
	v_and_b32_e32 v16, 0xff, v22
	v_lshlrev_b32_e32 v14, 16, v14
	v_cvt_f32_fp8_e32 v16, v16
	v_fmac_f32_e32 v10, v71, v14
	v_bfe_u32 v14, v22, 8, 8
	v_lshlrev_b32_e32 v15, 16, v15
	v_mul_f32_e32 v0, s43, v0
	v_cvt_f32_fp8_e32 v14, v14
	v_fmac_f32_e32 v11, v72, v15
	v_bfe_u32 v15, v22, 16, 8
	v_cvt_pk_bf16_f32 v0, v0, s0
	v_cvt_f32_fp8_e32 v15, v15
	v_lshlrev_b32_e32 v0, 16, v0
	v_mul_f32_e32 v16, s43, v16
	v_fmac_f32_e32 v12, v73, v0
	v_and_b32_e32 v0, 0xff, v24
	v_lshlrev_b32_e32 v17, 16, v17
	v_cvt_pk_bf16_f32 v16, v16, s0
	v_mul_f32_e32 v14, s43, v14
	v_cvt_f32_fp8_e32 v0, v0
	v_fmac_f32_e32 v13, v74, v17
	v_bfe_u32 v17, v24, 8, 8
	v_cvt_pk_bf16_f32 v14, v14, s0
	v_mul_f32_e32 v15, s43, v15
	v_cvt_f32_fp8_e32 v17, v17
	v_lshlrev_b32_e32 v16, 16, v16
	v_cvt_pk_bf16_f32 v15, v15, s0
	v_fmac_f32_e32 v10, v75, v16
	v_bfe_u32 v16, v24, 16, 8
	v_lshlrev_b32_e32 v14, 16, v14
	v_cvt_f32_fp8_e32 v16, v16
	v_fmac_f32_e32 v11, v76, v14
	v_and_b32_e32 v14, 0xff, v127
	v_lshlrev_b32_e32 v15, 16, v15
	v_mul_f32_e32 v0, s43, v0
	v_cvt_f32_fp8_e32 v14, v14
	v_fmac_f32_e32 v12, v77, v15
	v_bfe_u32 v15, v127, 8, 8
	v_cvt_pk_bf16_f32 v0, v0, s0
	v_mul_f32_e32 v17, s43, v17
	v_cvt_f32_fp8_e32 v15, v15
	v_lshlrev_b32_e32 v18, 16, v18
	v_cvt_pk_bf16_f32 v17, v17, s0
	v_fmac_f32_e32 v13, v78, v18
	v_bfe_u32 v18, v127, 16, 8
	v_lshlrev_b32_e32 v0, 16, v0
	v_mul_f32_e32 v16, s43, v16
	v_cvt_f32_fp8_e32 v18, v18
	v_fmac_f32_e32 v10, v79, v0
	v_and_b32_e32 v0, 0xff, v126
	v_lshlrev_b32_e32 v17, 16, v17
	v_cvt_pk_bf16_f32 v16, v16, s0
	v_mul_f32_e32 v14, s43, v14
	v_cvt_f32_fp8_e32 v0, v0
	v_fmac_f32_e32 v11, v80, v17
	v_bfe_u32 v17, v126, 8, 8
	v_cvt_pk_bf16_f32 v14, v14, s0
	v_mul_f32_e32 v15, s43, v15
	v_cvt_f32_fp8_e32 v17, v17
	v_lshlrev_b32_e32 v16, 16, v16
	v_cvt_pk_bf16_f32 v15, v15, s0
	v_fmac_f32_e32 v12, v81, v16
	v_bfe_u32 v16, v126, 16, 8
	v_lshlrev_b32_e32 v14, 16, v14
	v_mul_f32_e32 v18, s43, v18
	v_mul_f32_e32 v20, s43, v20
	v_cvt_f32_fp8_e32 v16, v16
	v_lshlrev_b32_e32 v19, 16, v19
	v_fmac_f32_e32 v10, v83, v14
	v_bfe_u32 v14, v125, 8, 8
	v_lshlrev_b32_e32 v15, 16, v15
	v_cvt_pk_bf16_f32 v18, v18, s0
	v_cvt_pk_bf16_f32 v20, v20, s0
	v_mul_f32_e32 v0, s43, v0
	v_cvt_f32_fp8_e32 v21, v21
	v_fmac_f32_e32 v13, v82, v19
	v_and_b32_e32 v19, 0xff, v125
	v_cvt_f32_fp8_e32 v14, v14
	v_fmac_f32_e32 v11, v84, v15
	v_bfe_u32 v15, v125, 16, 8
	v_cvt_pk_bf16_f32 v0, v0, s0
	v_mul_f32_e32 v17, s43, v17
	v_cvt_f32_fp8_e32 v19, v19
	v_cvt_f32_fp8_e32 v15, v15
	v_lshrrev_b32_e32 v22, 24, v125
	v_lshlrev_b32_e32 v18, 16, v18
	v_lshlrev_b32_e32 v20, 16, v20
	v_cvt_pk_bf16_f32 v17, v17, s0
	v_cvt_f32_fp8_e32 v22, v22
	v_fmac_f32_e32 v12, v85, v18
	v_and_b32_e32 v18, 0xff, v124
	v_fmac_f32_e32 v13, v86, v20
	v_bfe_u32 v20, v124, 8, 8
	v_lshlrev_b32_e32 v0, 16, v0
	v_mul_f32_e32 v16, s43, v16
	v_cvt_f32_fp8_e32 v18, v18
	v_cvt_f32_fp8_e32 v20, v20
	v_fmac_f32_e32 v10, v87, v0
	v_bfe_u32 v0, v124, 16, 8
	v_lshrrev_b32_e32 v23, 24, v124
	v_lshlrev_b32_e32 v17, 16, v17
	v_cvt_pk_bf16_f32 v16, v16, s0
	v_mul_f32_e32 v21, s43, v21
	v_mul_f32_e32 v14, s43, v14
	v_cvt_f32_fp8_e32 v0, v0
	v_cvt_f32_fp8_e32 v23, v23
	v_fmac_f32_e32 v11, v88, v17
	v_and_b32_e32 v17, 0xff, v123
	v_cvt_pk_bf16_f32 v21, v21, s0
	v_mul_f32_e32 v19, s43, v19
	v_cvt_pk_bf16_f32 v14, v14, s0
	v_mul_f32_e32 v15, s43, v15
	v_cvt_f32_fp8_e32 v17, v17
	v_lshlrev_b32_e32 v16, 16, v16
	v_cvt_pk_bf16_f32 v19, v19, s0
	v_cvt_pk_bf16_f32 v15, v15, s0
	v_mul_f32_e32 v22, s43, v22
	v_fmac_f32_e32 v12, v89, v16
	v_bfe_u32 v16, v123, 8, 8
	v_lshlrev_b32_e32 v21, 16, v21
	v_lshlrev_b32_e32 v14, 16, v14
	v_cvt_pk_bf16_f32 v22, v22, s0
	v_mul_f32_e32 v18, s43, v18
	v_mul_f32_e32 v20, s43, v20
	v_cvt_f32_fp8_e32 v16, v16
	v_fmac_f32_e32 v13, v90, v21
	v_bfe_u32 v21, v123, 16, 8
	v_lshlrev_b32_e32 v19, 16, v19
	v_fmac_f32_e32 v11, v92, v14
	v_bfe_u32 v14, v122, 8, 8
	v_lshlrev_b32_e32 v15, 16, v15
	v_cvt_pk_bf16_f32 v18, v18, s0
	v_cvt_pk_bf16_f32 v20, v20, s0
	v_mul_f32_e32 v0, s43, v0
	v_mul_f32_e32 v23, s43, v23
	v_cvt_f32_fp8_e32 v21, v21
	v_lshrrev_b32_e32 v24, 24, v123
	v_fmac_f32_e32 v10, v91, v19
	v_and_b32_e32 v19, 0xff, v122
	v_cvt_f32_fp8_e32 v14, v14
	v_fmac_f32_e32 v12, v93, v15
	v_bfe_u32 v15, v122, 16, 8
	v_lshlrev_b32_e32 v22, 16, v22
	v_cvt_pk_bf16_f32 v0, v0, s0
	v_cvt_pk_bf16_f32 v23, v23, s0
	v_mul_f32_e32 v17, s43, v17
	v_cvt_f32_fp8_e32 v24, v24
	v_cvt_f32_fp8_e32 v19, v19
	;; [unrolled: 1-line block ×3, first 2 shown]
	v_lshrrev_b32_e32 v25, 24, v122
	v_fmac_f32_e32 v13, v94, v22
	v_and_b32_e32 v22, 0xff, v121
	v_lshlrev_b32_e32 v18, 16, v18
	v_lshlrev_b32_e32 v20, 16, v20
	v_cvt_pk_bf16_f32 v17, v17, s0
	v_cvt_f32_fp8_e32 v25, v25
	v_cvt_f32_fp8_e32 v22, v22
	v_fmac_f32_e32 v10, v95, v18
	v_bfe_u32 v18, v121, 8, 8
	v_fmac_f32_e32 v11, v96, v20
	v_bfe_u32 v20, v121, 16, 8
	v_lshlrev_b32_e32 v0, 16, v0
	v_lshlrev_b32_e32 v23, 16, v23
	v_mul_f32_e32 v16, s43, v16
	v_cvt_f32_fp8_e32 v18, v18
	v_cvt_f32_fp8_e32 v20, v20
	v_fmac_f32_e32 v12, v97, v0
	v_and_b32_e32 v0, 0xff, v120
	v_fmac_f32_e32 v13, v98, v23
	v_bfe_u32 v23, v120, 8, 8
	v_lshlrev_b32_e32 v17, 16, v17
	v_cvt_pk_bf16_f32 v16, v16, s0
	v_mul_f32_e32 v21, s43, v21
	v_mul_f32_e32 v14, s43, v14
	v_lshrrev_b32_e32 v26, 24, v121
	v_cvt_f32_fp8_e32 v0, v0
	v_cvt_f32_fp8_e32 v23, v23
	v_fmac_f32_e32 v10, v99, v17
	v_bfe_u32 v17, v120, 16, 8
	v_cvt_pk_bf16_f32 v21, v21, s0
	v_mul_f32_e32 v24, s43, v24
	v_mul_f32_e32 v19, s43, v19
	v_cvt_pk_bf16_f32 v14, v14, s0
	v_mul_f32_e32 v15, s43, v15
	v_cvt_f32_fp8_e32 v26, v26
	v_cvt_f32_fp8_e32 v17, v17
	v_lshlrev_b32_e32 v16, 16, v16
	v_cvt_pk_bf16_f32 v24, v24, s0
	v_cvt_pk_bf16_f32 v19, v19, s0
	;; [unrolled: 1-line block ×3, first 2 shown]
	v_mul_f32_e32 v25, s43, v25
	v_mul_f32_e32 v22, s43, v22
	v_fmac_f32_e32 v11, v100, v16
	v_lshlrev_b32_e32 v16, 16, v21
	v_lshlrev_b32_e32 v14, 16, v14
	v_cvt_pk_bf16_f32 v25, v25, s0
	v_cvt_pk_bf16_f32 v22, v22, s0
	v_mul_f32_e32 v18, s43, v18
	v_mul_f32_e32 v20, s43, v20
	v_lshlrev_b32_e32 v21, 16, v24
	v_fmac_f32_e32 v12, v101, v16
	v_lshlrev_b32_e32 v16, 16, v19
	v_fmac_f32_e32 v11, v104, v14
	v_lshlrev_b32_e32 v14, 16, v15
	v_cvt_pk_bf16_f32 v18, v18, s0
	v_cvt_pk_bf16_f32 v20, v20, s0
	v_mul_f32_e32 v0, s43, v0
	v_mul_f32_e32 v23, s43, v23
	v_fmac_f32_e32 v13, v102, v21
	v_fmac_f32_e32 v10, v103, v16
	v_lshlrev_b32_e32 v15, 16, v25
	v_fmac_f32_e32 v12, v105, v14
	v_lshlrev_b32_e32 v14, 16, v22
	v_mul_f32_e32 v26, s43, v26
	v_cvt_pk_bf16_f32 v0, v0, s0
	v_cvt_pk_bf16_f32 v23, v23, s0
	v_mul_f32_e32 v17, s43, v17
	v_fmac_f32_e32 v13, v106, v15
	v_lshlrev_b32_e32 v15, 16, v18
	v_fmac_f32_e32 v10, v107, v14
	v_lshlrev_b32_e32 v14, 16, v20
	v_cvt_pk_bf16_f32 v26, v26, s0
	v_cvt_pk_bf16_f32 v17, v17, s0
	v_fmac_f32_e32 v11, v108, v15
	v_fmac_f32_e32 v12, v109, v14
	v_lshlrev_b32_e32 v0, 16, v0
	v_lshlrev_b32_e32 v14, 16, v23
	;; [unrolled: 1-line block ×3, first 2 shown]
	v_fmac_f32_e32 v10, v111, v0
	v_fmac_f32_e32 v11, v112, v14
	v_lshlrev_b32_e32 v0, 16, v17
	v_fmac_f32_e32 v13, v110, v15
	v_lshlrev_b32_e32 v14, 16, v27
	v_fmac_f32_e32 v12, v113, v0
	v_add_f32_e32 v0, v10, v11
	v_fmac_f32_e32 v13, v114, v14
	v_add_f32_e32 v0, v0, v12
	v_add_f32_e32 v0, v13, v0
	ds_bpermute_b32 v10, v116, v0
	s_and_saveexec_b64 s[40:41], vcc
	s_cbranch_execz .LBB324_8
; %bb.10:                               ;   in Loop: Header=BB324_9 Depth=1
	v_add_u32_e32 v11, s44, v117
	v_cvt_f32_i32_e32 v11, v11
	s_waitcnt lgkmcnt(0)
	v_add_f32_e32 v0, v0, v10
	v_cmp_gt_i32_e64 s[0:1], s17, v117
	v_max_f32_e32 v10, v115, v115
	v_mul_f32_e32 v11, s28, v11
	v_cndmask_b32_e64 v11, 0, v11, s[2:3]
	v_fmac_f32_e32 v11, s29, v0
	v_cndmask_b32_e64 v0, 0, v11, s[0:1]
	ds_write_b32 v118, v0
	v_max_f32_e32 v0, v10, v11
	v_cndmask_b32_e64 v115, v115, v0, s[0:1]
	s_branch .LBB324_8
.LBB324_11:
	s_or_b64 exec, exec, s[8:9]
	scratch_load_dword v24, off, off offset:48 ; 4-byte Folded Reload
	scratch_load_dword v22, off, off offset:52 ; 4-byte Folded Reload
	;; [unrolled: 1-line block ×5, first 2 shown]
	s_waitcnt lgkmcnt(0)
	scratch_load_dword v10, off, off offset:68 ; 4-byte Folded Reload
.LBB324_12:
	s_or_b64 exec, exec, s[30:31]
	s_waitcnt vmcnt(2)
	v_xor_b32_e32 v0, 32, v12
	s_waitcnt vmcnt(0)
	v_cmp_lt_i32_e32 vcc, v0, v10
	v_xor_b32_e32 v4, 16, v12
	v_max_f32_e32 v3, v115, v115
	v_cndmask_b32_e32 v0, v12, v0, vcc
	v_lshlrev_b32_e32 v0, 2, v0
	ds_bpermute_b32 v2, v0, v115
	v_cmp_lt_i32_e32 vcc, v4, v10
	v_xor_b32_e32 v5, 8, v12
	v_xor_b32_e32 v6, 4, v12
	;; [unrolled: 1-line block ×3, first 2 shown]
	s_waitcnt lgkmcnt(0)
	v_max_f32_e32 v2, v2, v2
	v_max_f32_e32 v3, v3, v2
	v_cndmask_b32_e32 v2, v12, v4, vcc
	v_lshlrev_b32_e32 v2, 2, v2
	ds_bpermute_b32 v4, v2, v3
	v_cmp_lt_i32_e32 vcc, v5, v10
	v_and_b32_e32 v25, 63, v24
	s_waitcnt lgkmcnt(0)
	v_max_f32_e32 v4, v4, v4
	v_max_f32_e32 v4, v3, v4
	v_cndmask_b32_e32 v3, v12, v5, vcc
	v_lshlrev_b32_e32 v3, 2, v3
	ds_bpermute_b32 v5, v3, v4
	v_cmp_lt_i32_e32 vcc, v6, v10
	s_waitcnt lgkmcnt(0)
	v_max_f32_e32 v5, v5, v5
	v_max_f32_e32 v5, v4, v5
	v_cndmask_b32_e32 v4, v12, v6, vcc
	v_lshlrev_b32_e32 v4, 2, v4
	ds_bpermute_b32 v6, v4, v5
	v_cmp_lt_i32_e32 vcc, v7, v10
	s_waitcnt lgkmcnt(0)
	v_max_f32_e32 v6, v6, v6
	v_max_f32_e32 v6, v5, v6
	v_cndmask_b32_e32 v5, v12, v7, vcc
	v_lshlrev_b32_e32 v23, 2, v5
	ds_bpermute_b32 v7, v23, v6
	v_cmp_eq_u32_e32 vcc, 0, v25
	v_lshlrev_b32_e32 v5, 2, v1
	s_and_saveexec_b64 s[0:1], vcc
	s_cbranch_execz .LBB324_14
; %bb.13:
	s_waitcnt lgkmcnt(0)
	v_max_f32_e32 v7, v7, v7
	v_max_f32_e32 v6, v6, v6
	;; [unrolled: 1-line block ×3, first 2 shown]
	ds_write_b32 v5, v6 offset:384
.LBB324_14:
	s_or_b64 exec, exec, s[0:1]
	v_cmp_gt_u32_e64 s[0:1], 2, v25
	s_waitcnt lgkmcnt(0)
	v_mov_b32_e32 v7, 0xff7fffff
	v_lshlrev_b32_e32 v6, 2, v25
	s_barrier
	s_and_saveexec_b64 s[2:3], s[0:1]
; %bb.15:
	ds_read_b32 v7, v6 offset:384
; %bb.16:
	s_or_b64 exec, exec, s[2:3]
	v_xor_b32_e32 v8, 1, v12
	v_cmp_lt_i32_e64 s[2:3], v8, v10
	s_nop 1
	v_cndmask_b32_e64 v8, v12, v8, s[2:3]
	v_lshlrev_b32_e32 v26, 2, v8
	s_waitcnt lgkmcnt(0)
	ds_bpermute_b32 v8, v26, v7
	v_max_f32_e32 v7, v7, v7
	s_lshl_b32 s2, s19, 5
	s_min_i32 s30, s2, s17
	v_cmp_gt_i32_e64 s[2:3], s30, v24
	s_waitcnt lgkmcnt(0)
	v_max_f32_e32 v8, v8, v8
	v_max_f32_e32 v7, v7, v8
	v_lshlrev_b32_e32 v8, 2, v9
	ds_bpermute_b32 v8, v8, v7
	v_mov_b32_e32 v7, 0
	s_and_saveexec_b64 s[14:15], s[2:3]
	s_cbranch_execz .LBB324_20
; %bb.17:
	v_mov_b32_e32 v7, 0x190
	v_lshl_add_u32 v9, v24, 2, v7
	v_mov_b32_e32 v7, 0
	s_mov_b64 s[28:29], 0
	v_mov_b32_e32 v10, v24
.LBB324_18:                             ; =>This Inner Loop Header: Depth=1
	ds_read_b32 v11, v9
	v_add_u32_e32 v10, 0x80, v10
	v_cmp_le_i32_e64 s[8:9], s30, v10
	s_or_b64 s[28:29], s[8:9], s[28:29]
	s_waitcnt lgkmcnt(0)
	v_sub_f32_e32 v11, v11, v8
	v_mul_f32_e32 v11, 0x3fb8aa3b, v11
	v_exp_f32_e32 v11, v11
	ds_write_b32 v9, v11
	v_add_f32_e32 v7, v7, v11
	v_add_u32_e32 v9, 0x200, v9
	s_andn2_b64 exec, exec, s[28:29]
	s_cbranch_execnz .LBB324_18
; %bb.19:
	s_or_b64 exec, exec, s[28:29]
.LBB324_20:
	s_or_b64 exec, exec, s[14:15]
	ds_bpermute_b32 v0, v0, v7
	s_waitcnt lgkmcnt(0)
	v_add_f32_e32 v0, v7, v0
	ds_bpermute_b32 v2, v2, v0
	s_waitcnt lgkmcnt(0)
	v_add_f32_e32 v0, v0, v2
	;; [unrolled: 3-line block ×6, first 2 shown]
	s_and_saveexec_b64 s[8:9], vcc
; %bb.21:
	ds_write_b32 v5, v0 offset:392
; %bb.22:
	s_or_b64 exec, exec, s[8:9]
	s_waitcnt lgkmcnt(0)
	s_barrier
	s_and_saveexec_b64 s[8:9], s[0:1]
; %bb.23:
	ds_read_b32 v0, v6 offset:392
; %bb.24:
	s_or_b64 exec, exec, s[8:9]
	s_waitcnt lgkmcnt(0)
	ds_bpermute_b32 v2, v26, v0
	v_lshlrev_b32_e32 v3, 2, v12
	s_waitcnt lgkmcnt(0)
	v_add_f32_e32 v0, v0, v2
	v_and_b32_e32 v2, 0xffffff00, v3
	ds_bpermute_b32 v0, v2, v0
	s_and_saveexec_b64 s[0:1], s[2:3]
	s_cbranch_execz .LBB324_37
; %bb.25:
	s_waitcnt lgkmcnt(0)
	v_add_f32_e32 v0, 0x358637bd, v0
	v_div_scale_f32 v2, s[2:3], v0, v0, 1.0
	v_rcp_f32_e32 v3, v2
	v_div_scale_f32 v4, vcc, 1.0, v0, 1.0
	s_movk_i32 s2, 0x7f
	v_fma_f32 v5, -v2, v3, 1.0
	v_fmac_f32_e32 v3, v5, v3
	v_mul_f32_e32 v5, v4, v3
	v_fma_f32 v6, -v2, v5, v4
	v_fmac_f32_e32 v5, v6, v3
	v_fma_f32 v2, -v2, v5, v4
	v_div_fmas_f32 v2, v2, v3, v5
	v_xad_u32 v3, v24, -1, s30
	v_div_fixup_f32 v2, v2, v0, 1.0
	v_cmp_lt_u32_e32 vcc, s2, v3
	s_mov_b64 s[8:9], -1
	v_mov_b32_e32 v0, v24
	s_and_saveexec_b64 s[2:3], vcc
	s_cbranch_execz .LBB324_34
; %bb.26:
	v_lshrrev_b32_e32 v0, 7, v3
	v_add_u32_e32 v5, -1, v0
	v_lshrrev_b32_e32 v4, 1, v5
	v_mov_b32_e32 v3, v2
	v_add_u32_e32 v4, 1, v4
	v_cmp_lt_u32_e32 vcc, 13, v5
	v_mov_b32_e32 v7, 0
	s_and_saveexec_b64 s[8:9], vcc
	s_cbranch_execz .LBB324_30
; %bb.27:
	v_mov_b32_e32 v6, 0x190
	v_and_b32_e32 v5, -8, v4
	v_lshl_add_u32 v6, v24, 2, v6
	s_mov_b32 s28, 0
	s_mov_b64 s[14:15], 0
.LBB324_28:                             ; =>This Inner Loop Header: Depth=1
	ds_read2st64_b32 v[8:9], v6 offset1:2
	ds_read2st64_b32 v[10:11], v6 offset0:4 offset1:6
	ds_read2st64_b32 v[12:13], v6 offset0:8 offset1:10
	ds_read2st64_b32 v[14:15], v6 offset0:12 offset1:14
	v_add_u32_e32 v5, -8, v5
	s_waitcnt lgkmcnt(3)
	v_pk_mul_f32 v[8:9], v[2:3], v[8:9]
	s_waitcnt lgkmcnt(2)
	v_pk_mul_f32 v[10:11], v[2:3], v[10:11]
	ds_write2st64_b32 v6, v8, v9 offset1:2
	ds_write2st64_b32 v6, v10, v11 offset0:4 offset1:6
	ds_read2st64_b32 v[10:11], v6 offset0:16 offset1:18
	s_waitcnt lgkmcnt(4)
	v_pk_mul_f32 v[8:9], v[2:3], v[12:13]
	ds_write2st64_b32 v6, v8, v9 offset0:8 offset1:10
	s_waitcnt lgkmcnt(4)
	v_pk_mul_f32 v[8:9], v[2:3], v[14:15]
	ds_write2st64_b32 v6, v8, v9 offset0:12 offset1:14
	ds_read2st64_b32 v[8:9], v6 offset0:20 offset1:22
	s_waitcnt lgkmcnt(3)
	v_pk_mul_f32 v[10:11], v[2:3], v[10:11]
	ds_read2st64_b32 v[12:13], v6 offset0:24 offset1:26
	ds_write2st64_b32 v6, v10, v11 offset0:16 offset1:18
	ds_read2st64_b32 v[10:11], v6 offset0:28 offset1:30
	s_waitcnt lgkmcnt(3)
	v_pk_mul_f32 v[8:9], v[2:3], v[8:9]
	ds_write2st64_b32 v6, v8, v9 offset0:20 offset1:22
	s_waitcnt lgkmcnt(3)
	v_pk_mul_f32 v[8:9], v[2:3], v[12:13]
	ds_write2st64_b32 v6, v8, v9 offset0:24 offset1:26
	s_waitcnt lgkmcnt(2)
	v_pk_mul_f32 v[8:9], v[2:3], v[10:11]
	s_add_i32 s28, s28, 16
	v_cmp_eq_u32_e32 vcc, 0, v5
	ds_write2st64_b32 v6, v8, v9 offset0:28 offset1:30
	v_add_u32_e32 v6, 0x2000, v6
	s_or_b64 s[14:15], vcc, s[14:15]
	v_mov_b32_e32 v7, s28
	s_andn2_b64 exec, exec, s[14:15]
	s_cbranch_execnz .LBB324_28
; %bb.29:
	s_or_b64 exec, exec, s[14:15]
.LBB324_30:
	s_or_b64 exec, exec, s[8:9]
	v_and_b32_e32 v4, 7, v4
	v_cmp_ne_u32_e32 vcc, 0, v4
	s_and_saveexec_b64 s[8:9], vcc
	s_cbranch_execz .LBB324_33
; %bb.31:
	v_lshlrev_b32_e32 v5, 9, v7
	v_lshlrev_b32_e32 v6, 2, v24
	s_movk_i32 s14, 0x190
	v_add3_u32 v5, v5, v6, s14
	s_mov_b64 s[14:15], 0
.LBB324_32:                             ; =>This Inner Loop Header: Depth=1
	ds_read2st64_b32 v[6:7], v5 offset1:2
	v_add_u32_e32 v4, -1, v4
	v_cmp_eq_u32_e32 vcc, 0, v4
	s_or_b64 s[14:15], vcc, s[14:15]
	s_waitcnt lgkmcnt(0)
	v_pk_mul_f32 v[6:7], v[2:3], v[6:7]
	ds_write2st64_b32 v5, v6, v7 offset1:2
	v_add_u32_e32 v5, 0x400, v5
	s_andn2_b64 exec, exec, s[14:15]
	s_cbranch_execnz .LBB324_32
.LBB324_33:
	s_or_b64 exec, exec, s[8:9]
	v_add_u32_e32 v3, 1, v0
	v_and_b32_e32 v4, 0x3fffffe, v3
	v_cmp_ne_u32_e32 vcc, v3, v4
	v_lshl_add_u32 v0, v4, 7, v24
	s_orn2_b64 s[8:9], vcc, exec
.LBB324_34:
	s_or_b64 exec, exec, s[2:3]
	s_and_b64 exec, exec, s[8:9]
	s_cbranch_execz .LBB324_37
; %bb.35:
	v_mov_b32_e32 v3, 0x190
	v_lshl_add_u32 v3, v0, 2, v3
	s_mov_b64 s[2:3], 0
.LBB324_36:                             ; =>This Inner Loop Header: Depth=1
	ds_read_b32 v4, v3
	v_add_u32_e32 v0, 0x80, v0
	v_cmp_le_i32_e32 vcc, s30, v0
	s_or_b64 s[2:3], vcc, s[2:3]
	s_waitcnt lgkmcnt(0)
	v_mul_f32_e32 v4, v2, v4
	ds_write_b32 v3, v4
	v_add_u32_e32 v3, 0x200, v3
	s_andn2_b64 exec, exec, s[2:3]
	s_cbranch_execnz .LBB324_36
.LBB324_37:
	s_or_b64 exec, exec, s[0:1]
	v_mov_b32_e32 v11, 0
	v_and_b32_e32 v28, 3, v24
	v_mov_b32_e32 v10, 0
	v_mov_b32_e32 v13, 0
	;; [unrolled: 1-line block ×11, first 2 shown]
	s_waitcnt lgkmcnt(0)
	s_barrier
	s_and_saveexec_b64 s[2:3], s[6:7]
	s_cbranch_execz .LBB324_65
; %bb.38:
	s_ashr_i32 s1, s33, 31
	s_add_u32 s0, s26, s33
	scratch_store_dword off, v26, off offset:32 ; 4-byte Folded Spill
	scratch_store_dword off, v23, off offset:28 ; 4-byte Folded Spill
	;; [unrolled: 1-line block ×3, first 2 shown]
	s_addc_u32 s1, s27, s1
	v_and_b32_e32 v10, 0x1f8, v22
	v_mov_b32_e32 v11, 0
	s_load_dword s10, s[10:11], 0x0
	v_lshl_add_u64 v[2:3], s[0:1], 0, v[10:11]
	v_and_b32_e32 v0, 24, v22
	s_add_i32 s11, s19, -1
	scratch_store_dwordx2 off, v[2:3], off offset:16 ; 8-byte Folded Spill
	v_lshlrev_b32_e32 v2, 5, v1
	s_lshl_b64 s[0:1], s[24:25], 2
	v_or3_b32 v32, v2, v0, 7
	v_lshlrev_b32_e32 v0, 5, v28
	s_add_u32 s0, s22, s0
	v_lshl_or_b32 v0, v1, 7, v0
	v_and_b32_e32 v10, 60, v27
	s_addc_u32 s1, s23, s1
	v_add_u32_e32 v33, 0x190, v0
	v_lshl_add_u64 v[24:25], s[0:1], 0, v[10:11]
	s_mov_b64 s[6:7], 0
	v_mov_b32_e32 v10, v11
	v_mov_b32_e32 v13, v11
	;; [unrolled: 1-line block ×11, first 2 shown]
	scratch_store_dword off, v28, off offset:36 ; 4-byte Folded Spill
	s_branch .LBB324_40
.LBB324_39:                             ;   in Loop: Header=BB324_40 Depth=1
	s_or_b64 exec, exec, s[8:9]
	v_cvt_pk_bf16_f32 v7, v7, s0
	v_cvt_pk_bf16_f32 v34, v2, s0
	v_cvt_pk_bf16_f32 v35, v3, s0
	v_lshlrev_b32_e32 v2, 16, v7
	v_lshlrev_b32_e32 v3, 16, v23
	v_cvt_pk_bf16_f32 v6, v6, s0
	v_mul_f32_e32 v3, v2, v3
	v_cvt_pk_bf16_f32 v23, v3, s0
	v_lshlrev_b32_e32 v6, 16, v6
	v_lshlrev_b32_e32 v3, 16, v22
	v_cvt_pk_bf16_f32 v9, v9, s0
	v_mul_f32_e32 v3, v6, v3
	v_cvt_pk_bf16_f32 v36, v4, s0
	v_cvt_pk_bf16_f32 v22, v3, s0
	v_lshlrev_b32_e32 v3, 16, v9
	v_lshlrev_b32_e32 v4, 16, v30
	v_cvt_pk_bf16_f32 v8, v8, s0
	v_mul_f32_e32 v4, v3, v4
	v_cvt_pk_bf16_f32 v30, v4, s0
	v_lshlrev_b32_e32 v7, 16, v8
	v_lshlrev_b32_e32 v4, 16, v29
	v_mul_f32_e32 v4, v7, v4
	v_cvt_pk_bf16_f32 v29, v4, s0
	v_lshlrev_b32_e32 v4, 16, v35
	v_lshlrev_b32_e32 v8, 16, v28
	;; [unrolled: 4-line block ×3, first 2 shown]
	v_cvt_pk_bf16_f32 v5, v5, s0
	v_mul_f32_e32 v9, v8, v9
	v_cvt_pk_bf16_f32 v31, v9, s0
	v_lshlrev_b32_e32 v5, 16, v5
	v_lshlrev_b32_e32 v9, 16, v127
	;; [unrolled: 1-line block ×4, first 2 shown]
	v_mul_f32_e32 v9, v5, v9
	v_add_f32_e32 v22, v22, v23
	v_lshlrev_b32_e32 v23, 16, v29
	v_lshlrev_b32_e32 v29, 16, v30
	v_cvt_pk_bf16_f32 v34, v9, s0
	v_lshlrev_b32_e32 v9, 16, v36
	v_lshlrev_b32_e32 v35, 16, v126
	v_add_f32_e32 v23, v23, v29
	v_mul_f32_e32 v35, v9, v35
	v_add_f32_e32 v22, v23, v22
	v_lshlrev_b32_e32 v23, 16, v31
	v_lshlrev_b32_e32 v28, 16, v28
	v_cvt_pk_bf16_f32 v35, v35, s0
	v_add_f32_e32 v23, v23, v28
	v_add_f32_e32 v22, v23, v22
	v_lshlrev_b32_e32 v23, 16, v35
	v_lshlrev_b32_e32 v28, 16, v34
	v_add_f32_e32 v23, v23, v28
	v_add_f32_e32 v22, v23, v22
	v_add_f32_e32 v10, v10, v22
	v_lshlrev_b32_e32 v22, 16, v125
	v_lshlrev_b32_e32 v23, 16, v124
	v_mul_f32_e32 v22, v2, v22
	v_mul_f32_e32 v23, v6, v23
	v_lshlrev_b32_e32 v28, 16, v123
	v_lshlrev_b32_e32 v29, 16, v122
	v_cvt_pk_bf16_f32 v22, v22, s0
	v_cvt_pk_bf16_f32 v23, v23, s0
	v_mul_f32_e32 v28, v3, v28
	v_mul_f32_e32 v29, v7, v29
	v_cvt_pk_bf16_f32 v28, v28, s0
	v_cvt_pk_bf16_f32 v29, v29, s0
	v_lshlrev_b32_e32 v30, 16, v121
	v_lshlrev_b32_e32 v31, 16, v120
	v_lshlrev_b32_e32 v23, 16, v23
	v_lshlrev_b32_e32 v22, 16, v22
	v_mul_f32_e32 v30, v4, v30
	v_mul_f32_e32 v31, v8, v31
	v_add_f32_e32 v22, v23, v22
	v_lshlrev_b32_e32 v23, 16, v29
	v_lshlrev_b32_e32 v28, 16, v28
	v_cvt_pk_bf16_f32 v30, v30, s0
	v_cvt_pk_bf16_f32 v31, v31, s0
	v_lshlrev_b32_e32 v34, 16, v119
	v_lshlrev_b32_e32 v35, 16, v118
	v_add_f32_e32 v23, v23, v28
	v_mul_f32_e32 v34, v5, v34
	v_mul_f32_e32 v35, v9, v35
	v_add_f32_e32 v22, v23, v22
	v_lshlrev_b32_e32 v23, 16, v31
	v_lshlrev_b32_e32 v28, 16, v30
	v_cvt_pk_bf16_f32 v34, v34, s0
	v_cvt_pk_bf16_f32 v35, v35, s0
	v_add_f32_e32 v23, v23, v28
	v_add_f32_e32 v22, v23, v22
	v_lshlrev_b32_e32 v23, 16, v35
	v_lshlrev_b32_e32 v28, 16, v34
	v_add_f32_e32 v23, v23, v28
	v_add_f32_e32 v22, v23, v22
	v_add_f32_e32 v13, v13, v22
	v_lshlrev_b32_e32 v22, 16, v117
	v_lshlrev_b32_e32 v23, 16, v116
	v_mul_f32_e32 v22, v2, v22
	v_mul_f32_e32 v23, v6, v23
	v_lshlrev_b32_e32 v28, 16, v115
	v_lshlrev_b32_e32 v29, 16, v114
	v_cvt_pk_bf16_f32 v22, v22, s0
	v_cvt_pk_bf16_f32 v23, v23, s0
	v_mul_f32_e32 v28, v3, v28
	v_mul_f32_e32 v29, v7, v29
	v_cvt_pk_bf16_f32 v28, v28, s0
	v_cvt_pk_bf16_f32 v29, v29, s0
	v_lshlrev_b32_e32 v30, 16, v113
	v_lshlrev_b32_e32 v31, 16, v112
	v_lshlrev_b32_e32 v23, 16, v23
	v_lshlrev_b32_e32 v22, 16, v22
	v_mul_f32_e32 v30, v4, v30
	v_mul_f32_e32 v31, v8, v31
	v_add_f32_e32 v22, v23, v22
	v_lshlrev_b32_e32 v23, 16, v29
	v_lshlrev_b32_e32 v28, 16, v28
	v_cvt_pk_bf16_f32 v30, v30, s0
	v_cvt_pk_bf16_f32 v31, v31, s0
	v_lshlrev_b32_e32 v34, 16, v111
	v_lshlrev_b32_e32 v35, 16, v110
	v_add_f32_e32 v23, v23, v28
	v_mul_f32_e32 v34, v5, v34
	v_mul_f32_e32 v35, v9, v35
	v_add_f32_e32 v22, v23, v22
	v_lshlrev_b32_e32 v23, 16, v31
	v_lshlrev_b32_e32 v28, 16, v30
	v_cvt_pk_bf16_f32 v34, v34, s0
	;; [unrolled: 40-line block ×8, first 2 shown]
	v_cvt_pk_bf16_f32 v35, v35, s0
	v_add_f32_e32 v23, v23, v28
	v_add_f32_e32 v22, v23, v22
	v_lshlrev_b32_e32 v23, 16, v35
	v_lshlrev_b32_e32 v28, 16, v34
	v_add_f32_e32 v23, v23, v28
	v_add_f32_e32 v22, v23, v22
	;; [unrolled: 1-line block ×3, first 2 shown]
	v_lshlrev_b32_e32 v22, 16, v49
	v_lshlrev_b32_e32 v23, 16, v48
	v_mul_f32_e32 v22, v2, v22
	v_mul_f32_e32 v23, v6, v23
	v_lshlrev_b32_e32 v28, 16, v47
	v_lshlrev_b32_e32 v29, 16, v46
	v_cvt_pk_bf16_f32 v22, v22, s0
	v_cvt_pk_bf16_f32 v23, v23, s0
	v_mul_f32_e32 v28, v3, v28
	v_mul_f32_e32 v29, v7, v29
	v_cvt_pk_bf16_f32 v28, v28, s0
	v_cvt_pk_bf16_f32 v29, v29, s0
	v_lshlrev_b32_e32 v30, 16, v45
	v_lshlrev_b32_e32 v31, 16, v44
	;; [unrolled: 1-line block ×4, first 2 shown]
	v_mul_f32_e32 v30, v4, v30
	v_mul_f32_e32 v31, v8, v31
	v_add_f32_e32 v22, v23, v22
	v_lshlrev_b32_e32 v23, 16, v29
	v_lshlrev_b32_e32 v28, 16, v28
	v_cvt_pk_bf16_f32 v30, v30, s0
	v_cvt_pk_bf16_f32 v31, v31, s0
	v_lshlrev_b32_e32 v34, 16, v43
	v_lshlrev_b32_e32 v35, 16, v42
	v_add_f32_e32 v23, v23, v28
	v_mul_f32_e32 v34, v5, v34
	v_mul_f32_e32 v35, v9, v35
	v_add_f32_e32 v22, v23, v22
	v_lshlrev_b32_e32 v23, 16, v31
	v_lshlrev_b32_e32 v28, 16, v30
	scratch_load_dword v30, off, off offset:12 ; 4-byte Folded Reload
	scratch_load_dword v31, off, off offset:8 ; 4-byte Folded Reload
	v_cvt_pk_bf16_f32 v34, v34, s0
	v_cvt_pk_bf16_f32 v35, v35, s0
	v_add_f32_e32 v23, v23, v28
	v_add_f32_e32 v22, v23, v22
	v_lshlrev_b32_e32 v23, 16, v35
	v_lshlrev_b32_e32 v28, 16, v34
	scratch_load_dword v34, off, off offset:4 ; 4-byte Folded Reload
	scratch_load_dword v35, off, off        ; 4-byte Folded Reload
	v_add_f32_e32 v23, v23, v28
	v_add_f32_e32 v22, v23, v22
	;; [unrolled: 1-line block ×3, first 2 shown]
	v_lshlrev_b32_e32 v22, 16, v41
	v_lshlrev_b32_e32 v23, 16, v40
	v_mul_f32_e32 v22, v2, v22
	v_mul_f32_e32 v23, v6, v23
	v_lshlrev_b32_e32 v28, 16, v39
	v_lshlrev_b32_e32 v29, 16, v38
	v_cvt_pk_bf16_f32 v22, v22, s0
	v_cvt_pk_bf16_f32 v23, v23, s0
	v_mul_f32_e32 v28, v3, v28
	v_mul_f32_e32 v29, v7, v29
	v_cvt_pk_bf16_f32 v28, v28, s0
	v_cvt_pk_bf16_f32 v29, v29, s0
	v_lshlrev_b32_e32 v23, 16, v23
	v_lshlrev_b32_e32 v22, 16, v22
	v_add_f32_e32 v22, v23, v22
	v_lshlrev_b32_e32 v23, 16, v29
	v_lshlrev_b32_e32 v28, 16, v28
	v_add_f32_e32 v23, v23, v28
	v_add_f32_e32 v22, v23, v22
	v_lshlrev_b32_e32 v0, 16, v0
	v_mul_f32_e32 v0, v5, v0
	v_cvt_pk_bf16_f32 v0, v0, s0
	v_add_u32_e32 v1, 2, v1
	v_cmp_le_i32_e32 vcc, s19, v1
	v_add_u32_e32 v32, 64, v32
	v_add_u32_e32 v33, 0x100, v33
	s_or_b64 s[6:7], vcc, s[6:7]
	v_lshl_add_u64 v[24:25], v[24:25], 0, 8
	s_waitcnt vmcnt(3)
	v_lshlrev_b32_e32 v30, 16, v30
	s_waitcnt vmcnt(2)
	v_lshlrev_b32_e32 v31, 16, v31
	v_mul_f32_e32 v30, v4, v30
	v_mul_f32_e32 v31, v8, v31
	v_cvt_pk_bf16_f32 v30, v30, s0
	v_cvt_pk_bf16_f32 v31, v31, s0
	v_lshlrev_b32_e32 v23, 16, v31
	v_lshlrev_b32_e32 v28, 16, v30
	s_waitcnt vmcnt(1)
	v_lshlrev_b32_e32 v34, 16, v34
	s_waitcnt vmcnt(0)
	v_lshlrev_b32_e32 v35, 16, v35
	v_mul_f32_e32 v34, v5, v34
	v_mul_f32_e32 v35, v9, v35
	v_cvt_pk_bf16_f32 v34, v34, s0
	v_cvt_pk_bf16_f32 v35, v35, s0
	v_add_f32_e32 v23, v23, v28
	v_add_f32_e32 v22, v23, v22
	v_lshlrev_b32_e32 v23, 16, v35
	v_lshlrev_b32_e32 v28, 16, v34
	v_add_f32_e32 v23, v23, v28
	v_add_f32_e32 v22, v23, v22
	;; [unrolled: 1-line block ×3, first 2 shown]
	v_lshlrev_b32_e32 v22, 16, v109
	v_mul_f32_e32 v6, v6, v22
	v_lshlrev_b32_e32 v22, 16, v108
	v_mul_f32_e32 v2, v2, v22
	v_lshlrev_b32_e32 v22, 16, v107
	v_mul_f32_e32 v7, v7, v22
	v_lshlrev_b32_e32 v22, 16, v106
	v_mul_f32_e32 v3, v3, v22
	v_cvt_pk_bf16_f32 v22, v3, s0
	v_lshlrev_b32_e32 v3, 16, v105
	v_mul_f32_e32 v3, v8, v3
	v_cvt_pk_bf16_f32 v8, v3, s0
	v_lshlrev_b32_e32 v3, 16, v27
	v_mul_f32_e32 v3, v4, v3
	v_cvt_pk_bf16_f32 v23, v3, s0
	v_lshlrev_b32_e32 v3, 16, v26
	v_cvt_pk_bf16_f32 v6, v6, s0
	v_cvt_pk_bf16_f32 v2, v2, s0
	;; [unrolled: 1-line block ×3, first 2 shown]
	v_mul_f32_e32 v3, v9, v3
	v_cvt_pk_bf16_f32 v9, v3, s0
	v_lshlrev_b32_e32 v3, 16, v2
	v_lshlrev_b32_e32 v5, 16, v6
	;; [unrolled: 1-line block ×4, first 2 shown]
	v_pk_add_f32 v[2:3], v[4:5], v[2:3]
	v_lshlrev_b32_e32 v5, 16, v23
	v_lshlrev_b32_e32 v7, 16, v8
	;; [unrolled: 1-line block ×4, first 2 shown]
	v_pk_add_f32 v[4:5], v[6:7], v[4:5]
	v_add_f32_e32 v0, v2, v3
	v_add_f32_e32 v0, v5, v0
	;; [unrolled: 1-line block ×4, first 2 shown]
	s_andn2_b64 exec, exec, s[6:7]
	s_cbranch_execz .LBB324_64
.LBB324_40:                             ; =>This Inner Loop Header: Depth=1
	global_load_dword v0, v[24:25], off
	scratch_load_dwordx2 v[2:3], off, off offset:16 ; 8-byte Folded Reload
	v_add_u32_e32 v66, -7, v32
	v_add_u32_e32 v71, -6, v32
	;; [unrolled: 1-line block ×7, first 2 shown]
	s_waitcnt vmcnt(0)
	v_mad_i64_i32 v[26:27], s[0:1], v0, s13, v[2:3]
	global_load_dwordx2 v[22:23], v[26:27], off
	ds_read2_b64 v[6:9], v33 offset1:1
	ds_read2_b64 v[2:5], v33 offset0:2 offset1:3
	v_cmp_eq_u32_e64 s[0:1], s11, v1
	s_waitcnt vmcnt(0)
	v_and_b32_e32 v0, 0xff, v22
	v_and_b32_e32 v30, 0xff, v23
	v_bfe_u32 v31, v23, 8, 8
	v_cvt_f32_fp8_e32 v0, v0
	v_cvt_f32_fp8_e32 v30, v30
	v_bfe_u32 v34, v23, 16, 8
	v_cvt_f32_fp8_e32 v31, v31
	v_bfe_u32 v28, v22, 8, 8
	v_bfe_u32 v29, v22, 16, 8
	v_lshrrev_b32_e32 v22, 24, v22
	v_lshrrev_b32_e32 v23, 24, v23
	v_cvt_f32_fp8_e32 v34, v34
	v_cvt_f32_fp8_e32 v28, v28
	;; [unrolled: 1-line block ×5, first 2 shown]
	s_waitcnt lgkmcnt(0)
	v_mul_f32_e32 v0, s10, v0
	v_mul_f32_e32 v30, s10, v30
	;; [unrolled: 1-line block ×3, first 2 shown]
	v_cvt_pk_bf16_f32 v40, v0, s0
	v_cvt_pk_bf16_f32 v0, v30, s0
	v_mul_f32_e32 v34, s10, v34
	scratch_store_dword off, v0, off offset:8 ; 4-byte Folded Spill
	v_cvt_pk_bf16_f32 v0, v31, s0
	v_mul_f32_e32 v28, s10, v28
	v_mul_f32_e32 v29, s10, v29
	;; [unrolled: 1-line block ×4, first 2 shown]
	scratch_store_dword off, v0, off offset:12 ; 4-byte Folded Spill
	v_cvt_pk_bf16_f32 v0, v34, s0
	v_cvt_pk_bf16_f32 v41, v28, s0
	;; [unrolled: 1-line block ×4, first 2 shown]
	scratch_store_dword off, v0, off        ; 4-byte Folded Spill
	v_cvt_pk_bf16_f32 v0, v23, s0
	scratch_store_dword off, v0, off offset:4 ; 4-byte Folded Spill
	s_and_saveexec_b64 s[8:9], s[0:1]
	s_cbranch_execz .LBB324_42
; %bb.41:                               ;   in Loop: Header=BB324_40 Depth=1
	scratch_load_dword v0, off, off offset:8 ; 4-byte Folded Reload
	v_cmp_gt_i32_e32 vcc, s17, v66
	s_nop 1
	v_cndmask_b32_e32 v40, 0, v40, vcc
	v_cmp_gt_i32_e32 vcc, s17, v71
	s_nop 1
	v_cndmask_b32_e32 v41, 0, v41, vcc
	;; [unrolled: 3-line block ×4, first 2 shown]
	v_cmp_gt_i32_e32 vcc, s17, v68
	s_waitcnt vmcnt(0)
	s_nop 0
	v_cndmask_b32_e32 v0, 0, v0, vcc
	scratch_store_dword off, v0, off offset:8 ; 4-byte Folded Spill
	scratch_load_dword v0, off, off offset:12 ; 4-byte Folded Reload
	v_cmp_gt_i32_e32 vcc, s17, v67
	s_waitcnt vmcnt(0)
	s_nop 0
	v_cndmask_b32_e32 v0, 0, v0, vcc
	scratch_store_dword off, v0, off offset:12 ; 4-byte Folded Spill
	scratch_load_dword v0, off, off         ; 4-byte Folded Reload
	v_cmp_gt_i32_e32 vcc, s17, v72
	s_waitcnt vmcnt(0)
	s_nop 0
	v_cndmask_b32_e32 v0, 0, v0, vcc
	scratch_store_dword off, v0, off        ; 4-byte Folded Spill
	scratch_load_dword v0, off, off offset:4 ; 4-byte Folded Reload
	v_cmp_gt_i32_e32 vcc, s17, v32
	s_waitcnt vmcnt(0)
	s_nop 0
	v_cndmask_b32_e32 v0, 0, v0, vcc
	scratch_store_dword off, v0, off offset:4 ; 4-byte Folded Spill
.LBB324_42:                             ;   in Loop: Header=BB324_40 Depth=1
	s_or_b64 exec, exec, s[8:9]
	global_load_dwordx2 v[22:23], v[26:27], off offset:512
	s_waitcnt vmcnt(0)
	v_and_b32_e32 v0, 0xff, v22
	v_bfe_u32 v28, v22, 8, 8
	v_bfe_u32 v29, v22, 16, 8
	v_lshrrev_b32_e32 v22, 24, v22
	v_and_b32_e32 v30, 0xff, v23
	v_bfe_u32 v31, v23, 8, 8
	v_bfe_u32 v42, v23, 16, 8
	v_lshrrev_b32_e32 v23, 24, v23
	v_cvt_f32_fp8_e32 v0, v0
	v_cvt_f32_fp8_e32 v28, v28
	v_cvt_f32_fp8_e32 v29, v29
	v_cvt_f32_fp8_e32 v22, v22
	v_cvt_f32_fp8_e32 v30, v30
	v_cvt_f32_fp8_e32 v31, v31
	v_cvt_f32_fp8_e32 v42, v42
	v_cvt_f32_fp8_e32 v23, v23
	v_mul_f32_e32 v0, s10, v0
	v_mul_f32_e32 v28, s10, v28
	v_mul_f32_e32 v29, s10, v29
	v_mul_f32_e32 v22, s10, v22
	v_mul_f32_e32 v30, s10, v30
	v_mul_f32_e32 v31, s10, v31
	v_mul_f32_e32 v42, s10, v42
	v_mul_f32_e32 v23, s10, v23
	v_cvt_pk_bf16_f32 v48, v0, s0
	v_cvt_pk_bf16_f32 v49, v28, s0
	v_cvt_pk_bf16_f32 v46, v29, s0
	v_cvt_pk_bf16_f32 v47, v22, s0
	v_cvt_pk_bf16_f32 v44, v30, s0
	v_cvt_pk_bf16_f32 v45, v31, s0
	v_cvt_pk_bf16_f32 v42, v42, s0
	v_cvt_pk_bf16_f32 v43, v23, s0
	s_and_saveexec_b64 s[8:9], s[0:1]
	s_cbranch_execz .LBB324_44
; %bb.43:                               ;   in Loop: Header=BB324_40 Depth=1
	v_cmp_gt_i32_e32 vcc, s17, v66
	s_nop 1
	v_cndmask_b32_e32 v48, 0, v48, vcc
	v_cmp_gt_i32_e32 vcc, s17, v71
	s_nop 1
	v_cndmask_b32_e32 v49, 0, v49, vcc
	v_cmp_gt_i32_e32 vcc, s17, v70
	s_nop 1
	v_cndmask_b32_e32 v46, 0, v46, vcc
	v_cmp_gt_i32_e32 vcc, s17, v69
	s_nop 1
	v_cndmask_b32_e32 v47, 0, v47, vcc
	v_cmp_gt_i32_e32 vcc, s17, v68
	s_nop 1
	v_cndmask_b32_e32 v44, 0, v44, vcc
	v_cmp_gt_i32_e32 vcc, s17, v67
	s_nop 1
	v_cndmask_b32_e32 v45, 0, v45, vcc
	v_cmp_gt_i32_e32 vcc, s17, v72
	s_nop 1
	v_cndmask_b32_e32 v42, 0, v42, vcc
	v_cmp_gt_i32_e32 vcc, s17, v32
	s_nop 1
	v_cndmask_b32_e32 v43, 0, v43, vcc
.LBB324_44:                             ;   in Loop: Header=BB324_40 Depth=1
	s_or_b64 exec, exec, s[8:9]
	global_load_dwordx2 v[22:23], v[26:27], off offset:1024
	s_waitcnt vmcnt(0)
	v_and_b32_e32 v0, 0xff, v22
	v_bfe_u32 v28, v22, 8, 8
	v_bfe_u32 v29, v22, 16, 8
	v_lshrrev_b32_e32 v22, 24, v22
	v_and_b32_e32 v30, 0xff, v23
	v_bfe_u32 v31, v23, 8, 8
	v_bfe_u32 v50, v23, 16, 8
	v_lshrrev_b32_e32 v23, 24, v23
	v_cvt_f32_fp8_e32 v0, v0
	v_cvt_f32_fp8_e32 v28, v28
	v_cvt_f32_fp8_e32 v29, v29
	v_cvt_f32_fp8_e32 v22, v22
	v_cvt_f32_fp8_e32 v30, v30
	v_cvt_f32_fp8_e32 v31, v31
	v_cvt_f32_fp8_e32 v50, v50
	v_cvt_f32_fp8_e32 v23, v23
	v_mul_f32_e32 v0, s10, v0
	v_mul_f32_e32 v28, s10, v28
	v_mul_f32_e32 v29, s10, v29
	v_mul_f32_e32 v22, s10, v22
	v_mul_f32_e32 v30, s10, v30
	v_mul_f32_e32 v31, s10, v31
	v_mul_f32_e32 v50, s10, v50
	v_mul_f32_e32 v23, s10, v23
	v_cvt_pk_bf16_f32 v56, v0, s0
	v_cvt_pk_bf16_f32 v57, v28, s0
	v_cvt_pk_bf16_f32 v54, v29, s0
	v_cvt_pk_bf16_f32 v55, v22, s0
	v_cvt_pk_bf16_f32 v52, v30, s0
	v_cvt_pk_bf16_f32 v53, v31, s0
	v_cvt_pk_bf16_f32 v50, v50, s0
	v_cvt_pk_bf16_f32 v51, v23, s0
	s_and_saveexec_b64 s[8:9], s[0:1]
	s_cbranch_execz .LBB324_46
; %bb.45:                               ;   in Loop: Header=BB324_40 Depth=1
	v_cmp_gt_i32_e32 vcc, s17, v66
	s_nop 1
	v_cndmask_b32_e32 v56, 0, v56, vcc
	v_cmp_gt_i32_e32 vcc, s17, v71
	s_nop 1
	v_cndmask_b32_e32 v57, 0, v57, vcc
	v_cmp_gt_i32_e32 vcc, s17, v70
	s_nop 1
	v_cndmask_b32_e32 v54, 0, v54, vcc
	v_cmp_gt_i32_e32 vcc, s17, v69
	s_nop 1
	v_cndmask_b32_e32 v55, 0, v55, vcc
	v_cmp_gt_i32_e32 vcc, s17, v68
	s_nop 1
	v_cndmask_b32_e32 v52, 0, v52, vcc
	v_cmp_gt_i32_e32 vcc, s17, v67
	s_nop 1
	v_cndmask_b32_e32 v53, 0, v53, vcc
	v_cmp_gt_i32_e32 vcc, s17, v72
	s_nop 1
	v_cndmask_b32_e32 v50, 0, v50, vcc
	v_cmp_gt_i32_e32 vcc, s17, v32
	s_nop 1
	v_cndmask_b32_e32 v51, 0, v51, vcc
.LBB324_46:                             ;   in Loop: Header=BB324_40 Depth=1
	;; [unrolled: 63-line block ×7, first 2 shown]
	s_or_b64 exec, exec, s[8:9]
	v_add_co_u32_e32 v22, vcc, 0x1000, v26
	s_nop 1
	v_addc_co_u32_e32 v23, vcc, 0, v27, vcc
	global_load_dwordx2 v[22:23], v[22:23], off
	s_waitcnt vmcnt(0)
	v_and_b32_e32 v0, 0xff, v22
	v_bfe_u32 v28, v22, 8, 8
	v_bfe_u32 v29, v22, 16, 8
	v_lshrrev_b32_e32 v22, 24, v22
	v_and_b32_e32 v30, 0xff, v23
	v_bfe_u32 v31, v23, 8, 8
	v_bfe_u32 v105, v23, 16, 8
	v_lshrrev_b32_e32 v23, 24, v23
	v_cvt_f32_fp8_e32 v0, v0
	v_cvt_f32_fp8_e32 v28, v28
	;; [unrolled: 1-line block ×8, first 2 shown]
	v_mul_f32_e32 v0, s10, v0
	v_mul_f32_e32 v28, s10, v28
	;; [unrolled: 1-line block ×8, first 2 shown]
	v_cvt_pk_bf16_f32 v116, v0, s0
	v_cvt_pk_bf16_f32 v117, v28, s0
	;; [unrolled: 1-line block ×8, first 2 shown]
	s_and_saveexec_b64 s[8:9], s[0:1]
	s_cbranch_execz .LBB324_58
; %bb.57:                               ;   in Loop: Header=BB324_40 Depth=1
	v_cmp_gt_i32_e32 vcc, s17, v66
	s_nop 1
	v_cndmask_b32_e32 v116, 0, v116, vcc
	v_cmp_gt_i32_e32 vcc, s17, v71
	s_nop 1
	v_cndmask_b32_e32 v117, 0, v117, vcc
	;; [unrolled: 3-line block ×8, first 2 shown]
.LBB324_58:                             ;   in Loop: Header=BB324_40 Depth=1
	s_or_b64 exec, exec, s[8:9]
	v_add_co_u32_e32 v22, vcc, 0x1000, v26
	s_nop 1
	v_addc_co_u32_e32 v23, vcc, 0, v27, vcc
	global_load_dwordx2 v[22:23], v[22:23], off offset:512
	s_waitcnt vmcnt(0)
	v_and_b32_e32 v0, 0xff, v22
	v_bfe_u32 v28, v22, 8, 8
	v_bfe_u32 v29, v22, 16, 8
	v_lshrrev_b32_e32 v22, 24, v22
	v_and_b32_e32 v30, 0xff, v23
	v_bfe_u32 v31, v23, 8, 8
	v_bfe_u32 v105, v23, 16, 8
	v_lshrrev_b32_e32 v23, 24, v23
	v_cvt_f32_fp8_e32 v0, v0
	v_cvt_f32_fp8_e32 v28, v28
	;; [unrolled: 1-line block ×8, first 2 shown]
	v_mul_f32_e32 v0, s10, v0
	v_mul_f32_e32 v28, s10, v28
	v_mul_f32_e32 v29, s10, v29
	v_mul_f32_e32 v22, s10, v22
	v_mul_f32_e32 v30, s10, v30
	v_mul_f32_e32 v31, s10, v31
	v_mul_f32_e32 v105, s10, v105
	v_mul_f32_e32 v23, s10, v23
	v_cvt_pk_bf16_f32 v124, v0, s0
	v_cvt_pk_bf16_f32 v125, v28, s0
	;; [unrolled: 1-line block ×8, first 2 shown]
	s_and_saveexec_b64 s[8:9], s[0:1]
	s_cbranch_execz .LBB324_60
; %bb.59:                               ;   in Loop: Header=BB324_40 Depth=1
	v_cmp_gt_i32_e32 vcc, s17, v66
	s_nop 1
	v_cndmask_b32_e32 v124, 0, v124, vcc
	v_cmp_gt_i32_e32 vcc, s17, v71
	s_nop 1
	v_cndmask_b32_e32 v125, 0, v125, vcc
	;; [unrolled: 3-line block ×8, first 2 shown]
.LBB324_60:                             ;   in Loop: Header=BB324_40 Depth=1
	s_or_b64 exec, exec, s[8:9]
	v_add_co_u32_e32 v22, vcc, 0x1000, v26
	s_nop 1
	v_addc_co_u32_e32 v23, vcc, 0, v27, vcc
	global_load_dwordx2 v[22:23], v[22:23], off offset:1024
	s_waitcnt vmcnt(0)
	v_and_b32_e32 v0, 0xff, v22
	v_bfe_u32 v28, v22, 8, 8
	v_bfe_u32 v29, v22, 16, 8
	v_lshrrev_b32_e32 v22, 24, v22
	v_and_b32_e32 v30, 0xff, v23
	v_bfe_u32 v31, v23, 8, 8
	v_bfe_u32 v105, v23, 16, 8
	v_lshrrev_b32_e32 v23, 24, v23
	v_cvt_f32_fp8_e32 v0, v0
	v_cvt_f32_fp8_e32 v28, v28
	;; [unrolled: 1-line block ×8, first 2 shown]
	v_mul_f32_e32 v0, s10, v0
	v_mul_f32_e32 v28, s10, v28
	;; [unrolled: 1-line block ×8, first 2 shown]
	v_cvt_pk_bf16_f32 v22, v0, s0
	v_cvt_pk_bf16_f32 v23, v28, s0
	;; [unrolled: 1-line block ×8, first 2 shown]
	s_and_saveexec_b64 s[8:9], s[0:1]
	s_cbranch_execz .LBB324_62
; %bb.61:                               ;   in Loop: Header=BB324_40 Depth=1
	v_cmp_gt_i32_e32 vcc, s17, v66
	s_nop 1
	v_cndmask_b32_e32 v22, 0, v22, vcc
	v_cmp_gt_i32_e32 vcc, s17, v71
	s_nop 1
	v_cndmask_b32_e32 v23, 0, v23, vcc
	v_cmp_gt_i32_e32 vcc, s17, v70
	s_nop 1
	v_cndmask_b32_e32 v29, 0, v29, vcc
	v_cmp_gt_i32_e32 vcc, s17, v69
	s_nop 1
	v_cndmask_b32_e32 v30, 0, v30, vcc
	v_cmp_gt_i32_e32 vcc, s17, v68
	s_nop 1
	v_cndmask_b32_e32 v31, 0, v31, vcc
	v_cmp_gt_i32_e32 vcc, s17, v67
	s_nop 1
	v_cndmask_b32_e32 v28, 0, v28, vcc
	v_cmp_gt_i32_e32 vcc, s17, v72
	s_nop 1
	v_cndmask_b32_e32 v126, 0, v126, vcc
	v_cmp_gt_i32_e32 vcc, s17, v32
	s_nop 1
	v_cndmask_b32_e32 v127, 0, v127, vcc
.LBB324_62:                             ;   in Loop: Header=BB324_40 Depth=1
	s_or_b64 exec, exec, s[8:9]
	v_add_co_u32_e32 v26, vcc, 0x1000, v26
	s_nop 1
	v_addc_co_u32_e32 v27, vcc, 0, v27, vcc
	global_load_dwordx2 v[26:27], v[26:27], off offset:1536
	s_waitcnt vmcnt(0)
	v_and_b32_e32 v0, 0xff, v26
	v_bfe_u32 v105, v26, 8, 8
	v_bfe_u32 v106, v26, 16, 8
	v_lshrrev_b32_e32 v26, 24, v26
	v_and_b32_e32 v107, 0xff, v27
	v_bfe_u32 v108, v27, 8, 8
	v_bfe_u32 v109, v27, 16, 8
	v_lshrrev_b32_e32 v27, 24, v27
	v_cvt_f32_fp8_e32 v0, v0
	v_cvt_f32_fp8_e32 v105, v105
	;; [unrolled: 1-line block ×8, first 2 shown]
	v_mul_f32_e32 v0, s10, v0
	v_mul_f32_e32 v105, s10, v105
	;; [unrolled: 1-line block ×8, first 2 shown]
	v_cvt_pk_bf16_f32 v109, v0, s0
	v_cvt_pk_bf16_f32 v108, v105, s0
	;; [unrolled: 1-line block ×8, first 2 shown]
	s_and_saveexec_b64 s[8:9], s[0:1]
	s_cbranch_execz .LBB324_39
; %bb.63:                               ;   in Loop: Header=BB324_40 Depth=1
	v_cmp_gt_i32_e32 vcc, s17, v66
	s_nop 1
	v_cndmask_b32_e32 v109, 0, v109, vcc
	v_cmp_gt_i32_e32 vcc, s17, v71
	s_nop 1
	v_cndmask_b32_e32 v108, 0, v108, vcc
	;; [unrolled: 3-line block ×8, first 2 shown]
	s_branch .LBB324_39
.LBB324_64:
	s_or_b64 exec, exec, s[6:7]
	scratch_load_dword v24, off, off offset:48 ; 4-byte Folded Reload
	scratch_load_dword v25, off, off offset:24 ; 4-byte Folded Reload
	scratch_load_dword v23, off, off offset:28 ; 4-byte Folded Reload
	scratch_load_dword v26, off, off offset:32 ; 4-byte Folded Reload
	scratch_load_dword v28, off, off offset:36 ; 4-byte Folded Reload
.LBB324_65:
	s_or_b64 exec, exec, s[2:3]
	s_waitcnt vmcnt(2)
	ds_bpermute_b32 v0, v23, v20
	ds_bpermute_b32 v1, v23, v21
	;; [unrolled: 1-line block ×6, first 2 shown]
	s_waitcnt lgkmcnt(4)
	v_pk_add_f32 v[0:1], v[20:21], v[0:1]
	s_waitcnt vmcnt(1)
	ds_bpermute_b32 v4, v26, v0
	ds_bpermute_b32 v5, v26, v1
	s_waitcnt lgkmcnt(4)
	v_pk_add_f32 v[8:9], v[18:19], v[2:3]
	ds_bpermute_b32 v22, v23, v10
	ds_bpermute_b32 v18, v26, v8
	;; [unrolled: 1-line block ×3, first 2 shown]
	s_waitcnt lgkmcnt(3)
	v_pk_add_f32 v[2:3], v[0:1], v[4:5]
	ds_bpermute_b32 v4, v23, v14
	ds_bpermute_b32 v5, v23, v15
	v_pk_add_f32 v[0:1], v[16:17], v[6:7]
	ds_bpermute_b32 v16, v23, v12
	ds_bpermute_b32 v17, v23, v13
	;; [unrolled: 1-line block ×3, first 2 shown]
	s_waitcnt lgkmcnt(3)
	v_pk_add_f32 v[4:5], v[14:15], v[4:5]
	ds_bpermute_b32 v6, v26, v0
	ds_bpermute_b32 v7, v26, v1
	;; [unrolled: 1-line block ×4, first 2 shown]
	s_waitcnt lgkmcnt(5)
	v_pk_add_f32 v[16:17], v[12:13], v[16:17]
	ds_bpermute_b32 v20, v26, v16
	ds_bpermute_b32 v21, v26, v17
	s_waitcnt lgkmcnt(6)
	v_pk_add_f32 v[10:11], v[10:11], v[22:23]
	v_pk_add_f32 v[12:13], v[8:9], v[18:19]
	s_waitcnt lgkmcnt(4)
	v_pk_add_f32 v[8:9], v[0:1], v[6:7]
	s_waitcnt lgkmcnt(2)
	v_pk_add_f32 v[6:7], v[4:5], v[14:15]
	ds_bpermute_b32 v14, v26, v10
	ds_bpermute_b32 v15, v26, v11
	v_and_b32_e32 v0, 0x3c3, v24
	s_waitcnt lgkmcnt(2)
	v_pk_add_f32 v[4:5], v[16:17], v[20:21]
	v_cmp_ne_u32_e32 vcc, 64, v0
	s_waitcnt lgkmcnt(0)
	s_barrier
	s_and_saveexec_b64 s[0:1], vcc
	s_xor_b64 s[0:1], exec, s[0:1]
; %bb.66:
                                        ; implicit-def: $vgpr25
; %bb.67:
	s_or_saveexec_b64 s[0:1], s[0:1]
	v_pk_add_f32 v[10:11], v[10:11], v[14:15]
	s_xor_b64 exec, exec, s[0:1]
	s_cbranch_execz .LBB324_69
; %bb.68:
	v_add_u32_e32 v1, 0x190, v25
	ds_write2_b32 v1, v2, v3 offset1:16
	ds_write2_b32 v1, v12, v13 offset0:32 offset1:48
	ds_write2_b32 v1, v8, v9 offset0:64 offset1:80
	ds_write2_b32 v1, v6, v7 offset0:96 offset1:112
	ds_write2_b32 v1, v4, v5 offset0:128 offset1:144
	ds_write2_b32 v1, v10, v11 offset0:160 offset1:176
.LBB324_69:
	s_or_b64 exec, exec, s[0:1]
	v_cmp_gt_u32_e32 vcc, 64, v24
	v_lshrrev_b32_e32 v1, 2, v24
	s_waitcnt lgkmcnt(0)
	s_barrier
	s_and_saveexec_b64 s[0:1], vcc
	s_cbranch_execz .LBB324_84
; %bb.70:
	v_mov_b32_e32 v14, 0x190
	s_waitcnt vmcnt(0)
	v_cmp_eq_u32_e32 vcc, 0, v28
	v_lshl_add_u32 v14, v1, 2, v14
	s_and_saveexec_b64 s[2:3], vcc
	s_cbranch_execnz .LBB324_87
; %bb.71:
	s_or_b64 exec, exec, s[2:3]
	s_and_saveexec_b64 s[2:3], vcc
	s_cbranch_execnz .LBB324_88
.LBB324_72:
	s_or_b64 exec, exec, s[2:3]
	s_and_saveexec_b64 s[2:3], vcc
	s_cbranch_execnz .LBB324_89
.LBB324_73:
	s_or_b64 exec, exec, s[2:3]
	s_and_saveexec_b64 s[2:3], vcc
	s_cbranch_execnz .LBB324_90
.LBB324_74:
	s_or_b64 exec, exec, s[2:3]
	s_and_saveexec_b64 s[2:3], vcc
	s_cbranch_execnz .LBB324_91
.LBB324_75:
	s_or_b64 exec, exec, s[2:3]
	s_and_saveexec_b64 s[2:3], vcc
	s_cbranch_execnz .LBB324_92
.LBB324_76:
	s_or_b64 exec, exec, s[2:3]
	s_and_saveexec_b64 s[2:3], vcc
	s_cbranch_execnz .LBB324_93
.LBB324_77:
	s_or_b64 exec, exec, s[2:3]
	s_and_saveexec_b64 s[2:3], vcc
	s_cbranch_execnz .LBB324_94
.LBB324_78:
	s_or_b64 exec, exec, s[2:3]
	s_and_saveexec_b64 s[2:3], vcc
	s_cbranch_execnz .LBB324_95
.LBB324_79:
	s_or_b64 exec, exec, s[2:3]
	s_and_saveexec_b64 s[2:3], vcc
	s_cbranch_execnz .LBB324_96
.LBB324_80:
	s_or_b64 exec, exec, s[2:3]
	s_and_saveexec_b64 s[2:3], vcc
	s_cbranch_execnz .LBB324_97
.LBB324_81:
	s_or_b64 exec, exec, s[2:3]
	s_and_saveexec_b64 s[2:3], vcc
	s_cbranch_execz .LBB324_83
.LBB324_82:
	ds_read_b32 v14, v14 offset:704
	s_waitcnt lgkmcnt(0)
	v_add_f32_e32 v11, v11, v14
.LBB324_83:
	s_or_b64 exec, exec, s[2:3]
.LBB324_84:
	s_or_b64 exec, exec, s[0:1]
	v_cmp_eq_u32_e32 vcc, 0, v0
	s_barrier
	s_and_saveexec_b64 s[0:1], vcc
	s_cbranch_execz .LBB324_86
; %bb.85:
	s_mul_i32 s0, s16, s12
	s_mul_i32 s0, s0, s5
	s_mulk_i32 s0, 0xc0
	s_ashr_i32 s1, s0, 31
	s_lshl_b64 s[0:1], s[0:1], 1
	s_add_u32 s2, s20, s0
	s_mul_i32 s0, s12, s18
	s_addc_u32 s3, s21, s1
	s_ashr_i32 s1, s0, 31
	s_lshl_b64 s[0:1], s[0:1], 1
	s_add_u32 s2, s2, s0
	s_mul_i32 s0, s4, 0xc0
	s_addc_u32 s3, s3, s1
	s_ashr_i32 s1, s0, 31
	s_lshl_b64 s[0:1], s[0:1], 1
	s_add_u32 s0, s2, s0
	s_addc_u32 s1, s3, s1
	v_lshlrev_b32_e32 v0, 1, v1
	v_cvt_pk_bf16_f32 v1, v2, s0
	global_store_short v0, v1, s[0:1]
	v_cvt_pk_bf16_f32 v1, v3, s0
	global_store_short v0, v1, s[0:1] offset:32
	v_cvt_pk_bf16_f32 v1, v12, s0
	global_store_short v0, v1, s[0:1] offset:64
	v_cvt_pk_bf16_f32 v1, v13, s0
	global_store_short v0, v1, s[0:1] offset:96
	v_cvt_pk_bf16_f32 v1, v8, s0
	global_store_short v0, v1, s[0:1] offset:128
	v_cvt_pk_bf16_f32 v1, v9, s0
	global_store_short v0, v1, s[0:1] offset:160
	v_cvt_pk_bf16_f32 v1, v6, s0
	global_store_short v0, v1, s[0:1] offset:192
	v_cvt_pk_bf16_f32 v1, v7, s0
	global_store_short v0, v1, s[0:1] offset:224
	v_cvt_pk_bf16_f32 v1, v4, s0
	global_store_short v0, v1, s[0:1] offset:256
	v_cvt_pk_bf16_f32 v1, v5, s0
	global_store_short v0, v1, s[0:1] offset:288
	v_cvt_pk_bf16_f32 v1, v10, s0
	global_store_short v0, v1, s[0:1] offset:320
	v_cvt_pk_bf16_f32 v1, v11, s0
	global_store_short v0, v1, s[0:1] offset:352
.LBB324_86:
	s_endpgm
.LBB324_87:
	ds_read_b32 v15, v14
	s_waitcnt lgkmcnt(0)
	v_add_f32_e32 v2, v2, v15
	s_or_b64 exec, exec, s[2:3]
	s_and_saveexec_b64 s[2:3], vcc
	s_cbranch_execz .LBB324_72
.LBB324_88:
	ds_read_b32 v15, v14 offset:64
	s_waitcnt lgkmcnt(0)
	v_add_f32_e32 v3, v3, v15
	s_or_b64 exec, exec, s[2:3]
	s_and_saveexec_b64 s[2:3], vcc
	s_cbranch_execz .LBB324_73
.LBB324_89:
	ds_read_b32 v15, v14 offset:128
	s_waitcnt lgkmcnt(0)
	v_add_f32_e32 v12, v12, v15
	s_or_b64 exec, exec, s[2:3]
	s_and_saveexec_b64 s[2:3], vcc
	s_cbranch_execz .LBB324_74
.LBB324_90:
	ds_read_b32 v15, v14 offset:192
	s_waitcnt lgkmcnt(0)
	v_add_f32_e32 v13, v13, v15
	s_or_b64 exec, exec, s[2:3]
	s_and_saveexec_b64 s[2:3], vcc
	s_cbranch_execz .LBB324_75
.LBB324_91:
	ds_read_b32 v15, v14 offset:256
	s_waitcnt lgkmcnt(0)
	v_add_f32_e32 v8, v8, v15
	s_or_b64 exec, exec, s[2:3]
	s_and_saveexec_b64 s[2:3], vcc
	s_cbranch_execz .LBB324_76
.LBB324_92:
	ds_read_b32 v15, v14 offset:320
	s_waitcnt lgkmcnt(0)
	v_add_f32_e32 v9, v9, v15
	s_or_b64 exec, exec, s[2:3]
	s_and_saveexec_b64 s[2:3], vcc
	s_cbranch_execz .LBB324_77
.LBB324_93:
	ds_read_b32 v15, v14 offset:384
	s_waitcnt lgkmcnt(0)
	v_add_f32_e32 v6, v6, v15
	s_or_b64 exec, exec, s[2:3]
	s_and_saveexec_b64 s[2:3], vcc
	s_cbranch_execz .LBB324_78
.LBB324_94:
	ds_read_b32 v15, v14 offset:448
	s_waitcnt lgkmcnt(0)
	v_add_f32_e32 v7, v7, v15
	s_or_b64 exec, exec, s[2:3]
	s_and_saveexec_b64 s[2:3], vcc
	s_cbranch_execz .LBB324_79
.LBB324_95:
	ds_read_b32 v15, v14 offset:512
	s_waitcnt lgkmcnt(0)
	v_add_f32_e32 v4, v4, v15
	s_or_b64 exec, exec, s[2:3]
	s_and_saveexec_b64 s[2:3], vcc
	s_cbranch_execz .LBB324_80
.LBB324_96:
	ds_read_b32 v15, v14 offset:576
	s_waitcnt lgkmcnt(0)
	v_add_f32_e32 v5, v5, v15
	s_or_b64 exec, exec, s[2:3]
	s_and_saveexec_b64 s[2:3], vcc
	s_cbranch_execz .LBB324_81
.LBB324_97:
	ds_read_b32 v15, v14 offset:640
	s_waitcnt lgkmcnt(0)
	v_add_f32_e32 v10, v10, v15
	s_or_b64 exec, exec, s[2:3]
	s_and_saveexec_b64 s[2:3], vcc
	s_cbranch_execnz .LBB324_82
	s_branch .LBB324_83
	.section	.rodata,"a",@progbits
	.p2align	6, 0x0
	.amdhsa_kernel _ZN4vllm25paged_attention_v1_kernelI14__hip_bfloat16hLi192ELi32ELi128ELNS_18Fp8KVCacheDataTypeE1ELb0EEEvPT_PKS3_PKT0_S9_ifPKiSB_iPKfiiiSD_SD_iiiii
		.amdhsa_group_segment_fixed_size 400
		.amdhsa_private_segment_fixed_size 76
		.amdhsa_kernarg_size 384
		.amdhsa_user_sgpr_count 2
		.amdhsa_user_sgpr_dispatch_ptr 0
		.amdhsa_user_sgpr_queue_ptr 0
		.amdhsa_user_sgpr_kernarg_segment_ptr 1
		.amdhsa_user_sgpr_dispatch_id 0
		.amdhsa_user_sgpr_kernarg_preload_length 0
		.amdhsa_user_sgpr_kernarg_preload_offset 0
		.amdhsa_user_sgpr_private_segment_size 0
		.amdhsa_uses_dynamic_stack 0
		.amdhsa_enable_private_segment 1
		.amdhsa_system_sgpr_workgroup_id_x 1
		.amdhsa_system_sgpr_workgroup_id_y 1
		.amdhsa_system_sgpr_workgroup_id_z 1
		.amdhsa_system_sgpr_workgroup_info 0
		.amdhsa_system_vgpr_workitem_id 0
		.amdhsa_next_free_vgpr 128
		.amdhsa_next_free_sgpr 45
		.amdhsa_accum_offset 128
		.amdhsa_reserve_vcc 1
		.amdhsa_float_round_mode_32 0
		.amdhsa_float_round_mode_16_64 0
		.amdhsa_float_denorm_mode_32 3
		.amdhsa_float_denorm_mode_16_64 3
		.amdhsa_dx10_clamp 1
		.amdhsa_ieee_mode 1
		.amdhsa_fp16_overflow 0
		.amdhsa_tg_split 0
		.amdhsa_exception_fp_ieee_invalid_op 0
		.amdhsa_exception_fp_denorm_src 0
		.amdhsa_exception_fp_ieee_div_zero 0
		.amdhsa_exception_fp_ieee_overflow 0
		.amdhsa_exception_fp_ieee_underflow 0
		.amdhsa_exception_fp_ieee_inexact 0
		.amdhsa_exception_int_div_zero 0
	.end_amdhsa_kernel
	.section	.text._ZN4vllm25paged_attention_v1_kernelI14__hip_bfloat16hLi192ELi32ELi128ELNS_18Fp8KVCacheDataTypeE1ELb0EEEvPT_PKS3_PKT0_S9_ifPKiSB_iPKfiiiSD_SD_iiiii,"axG",@progbits,_ZN4vllm25paged_attention_v1_kernelI14__hip_bfloat16hLi192ELi32ELi128ELNS_18Fp8KVCacheDataTypeE1ELb0EEEvPT_PKS3_PKT0_S9_ifPKiSB_iPKfiiiSD_SD_iiiii,comdat
.Lfunc_end324:
	.size	_ZN4vllm25paged_attention_v1_kernelI14__hip_bfloat16hLi192ELi32ELi128ELNS_18Fp8KVCacheDataTypeE1ELb0EEEvPT_PKS3_PKT0_S9_ifPKiSB_iPKfiiiSD_SD_iiiii, .Lfunc_end324-_ZN4vllm25paged_attention_v1_kernelI14__hip_bfloat16hLi192ELi32ELi128ELNS_18Fp8KVCacheDataTypeE1ELb0EEEvPT_PKS3_PKT0_S9_ifPKiSB_iPKfiiiSD_SD_iiiii
                                        ; -- End function
	.set _ZN4vllm25paged_attention_v1_kernelI14__hip_bfloat16hLi192ELi32ELi128ELNS_18Fp8KVCacheDataTypeE1ELb0EEEvPT_PKS3_PKT0_S9_ifPKiSB_iPKfiiiSD_SD_iiiii.num_vgpr, 128
	.set _ZN4vllm25paged_attention_v1_kernelI14__hip_bfloat16hLi192ELi32ELi128ELNS_18Fp8KVCacheDataTypeE1ELb0EEEvPT_PKS3_PKT0_S9_ifPKiSB_iPKfiiiSD_SD_iiiii.num_agpr, 0
	.set _ZN4vllm25paged_attention_v1_kernelI14__hip_bfloat16hLi192ELi32ELi128ELNS_18Fp8KVCacheDataTypeE1ELb0EEEvPT_PKS3_PKT0_S9_ifPKiSB_iPKfiiiSD_SD_iiiii.numbered_sgpr, 45
	.set _ZN4vllm25paged_attention_v1_kernelI14__hip_bfloat16hLi192ELi32ELi128ELNS_18Fp8KVCacheDataTypeE1ELb0EEEvPT_PKS3_PKT0_S9_ifPKiSB_iPKfiiiSD_SD_iiiii.num_named_barrier, 0
	.set _ZN4vllm25paged_attention_v1_kernelI14__hip_bfloat16hLi192ELi32ELi128ELNS_18Fp8KVCacheDataTypeE1ELb0EEEvPT_PKS3_PKT0_S9_ifPKiSB_iPKfiiiSD_SD_iiiii.private_seg_size, 76
	.set _ZN4vllm25paged_attention_v1_kernelI14__hip_bfloat16hLi192ELi32ELi128ELNS_18Fp8KVCacheDataTypeE1ELb0EEEvPT_PKS3_PKT0_S9_ifPKiSB_iPKfiiiSD_SD_iiiii.uses_vcc, 1
	.set _ZN4vllm25paged_attention_v1_kernelI14__hip_bfloat16hLi192ELi32ELi128ELNS_18Fp8KVCacheDataTypeE1ELb0EEEvPT_PKS3_PKT0_S9_ifPKiSB_iPKfiiiSD_SD_iiiii.uses_flat_scratch, 0
	.set _ZN4vllm25paged_attention_v1_kernelI14__hip_bfloat16hLi192ELi32ELi128ELNS_18Fp8KVCacheDataTypeE1ELb0EEEvPT_PKS3_PKT0_S9_ifPKiSB_iPKfiiiSD_SD_iiiii.has_dyn_sized_stack, 0
	.set _ZN4vllm25paged_attention_v1_kernelI14__hip_bfloat16hLi192ELi32ELi128ELNS_18Fp8KVCacheDataTypeE1ELb0EEEvPT_PKS3_PKT0_S9_ifPKiSB_iPKfiiiSD_SD_iiiii.has_recursion, 0
	.set _ZN4vllm25paged_attention_v1_kernelI14__hip_bfloat16hLi192ELi32ELi128ELNS_18Fp8KVCacheDataTypeE1ELb0EEEvPT_PKS3_PKT0_S9_ifPKiSB_iPKfiiiSD_SD_iiiii.has_indirect_call, 0
	.section	.AMDGPU.csdata,"",@progbits
; Kernel info:
; codeLenInByte = 14656
; TotalNumSgprs: 51
; NumVgprs: 128
; NumAgprs: 0
; TotalNumVgprs: 128
; ScratchSize: 76
; MemoryBound: 0
; FloatMode: 240
; IeeeMode: 1
; LDSByteSize: 400 bytes/workgroup (compile time only)
; SGPRBlocks: 6
; VGPRBlocks: 15
; NumSGPRsForWavesPerEU: 51
; NumVGPRsForWavesPerEU: 128
; AccumOffset: 128
; Occupancy: 4
; WaveLimiterHint : 1
; COMPUTE_PGM_RSRC2:SCRATCH_EN: 1
; COMPUTE_PGM_RSRC2:USER_SGPR: 2
; COMPUTE_PGM_RSRC2:TRAP_HANDLER: 0
; COMPUTE_PGM_RSRC2:TGID_X_EN: 1
; COMPUTE_PGM_RSRC2:TGID_Y_EN: 1
; COMPUTE_PGM_RSRC2:TGID_Z_EN: 1
; COMPUTE_PGM_RSRC2:TIDIG_COMP_CNT: 0
; COMPUTE_PGM_RSRC3_GFX90A:ACCUM_OFFSET: 31
; COMPUTE_PGM_RSRC3_GFX90A:TG_SPLIT: 0
	.section	.text._ZN4vllm25paged_attention_v1_kernelI14__hip_bfloat16hLi256ELi32ELi128ELNS_18Fp8KVCacheDataTypeE1ELb0EEEvPT_PKS3_PKT0_S9_ifPKiSB_iPKfiiiSD_SD_iiiii,"axG",@progbits,_ZN4vllm25paged_attention_v1_kernelI14__hip_bfloat16hLi256ELi32ELi128ELNS_18Fp8KVCacheDataTypeE1ELb0EEEvPT_PKS3_PKT0_S9_ifPKiSB_iPKfiiiSD_SD_iiiii,comdat
	.protected	_ZN4vllm25paged_attention_v1_kernelI14__hip_bfloat16hLi256ELi32ELi128ELNS_18Fp8KVCacheDataTypeE1ELb0EEEvPT_PKS3_PKT0_S9_ifPKiSB_iPKfiiiSD_SD_iiiii ; -- Begin function _ZN4vllm25paged_attention_v1_kernelI14__hip_bfloat16hLi256ELi32ELi128ELNS_18Fp8KVCacheDataTypeE1ELb0EEEvPT_PKS3_PKT0_S9_ifPKiSB_iPKfiiiSD_SD_iiiii
	.globl	_ZN4vllm25paged_attention_v1_kernelI14__hip_bfloat16hLi256ELi32ELi128ELNS_18Fp8KVCacheDataTypeE1ELb0EEEvPT_PKS3_PKT0_S9_ifPKiSB_iPKfiiiSD_SD_iiiii
	.p2align	8
	.type	_ZN4vllm25paged_attention_v1_kernelI14__hip_bfloat16hLi256ELi32ELi128ELNS_18Fp8KVCacheDataTypeE1ELb0EEEvPT_PKS3_PKT0_S9_ifPKiSB_iPKfiiiSD_SD_iiiii,@function
_ZN4vllm25paged_attention_v1_kernelI14__hip_bfloat16hLi256ELi32ELi128ELNS_18Fp8KVCacheDataTypeE1ELb0EEEvPT_PKS3_PKT0_S9_ifPKiSB_iPKfiiiSD_SD_iiiii: ; @_ZN4vllm25paged_attention_v1_kernelI14__hip_bfloat16hLi256ELi32ELi128ELNS_18Fp8KVCacheDataTypeE1ELb0EEEvPT_PKS3_PKT0_S9_ifPKiSB_iPKfiiiSD_SD_iiiii
; %bb.0:
	s_load_dword s5, s[0:1], 0x80
	s_load_dwordx2 s[6:7], s[0:1], 0x30
	s_load_dwordx2 s[10:11], s[0:1], 0x20
	s_mov_b32 s20, s3
	s_ashr_i32 s21, s3, 31
	s_lshl_b64 s[8:9], s[20:21], 2
	s_waitcnt lgkmcnt(0)
	s_add_u32 s6, s6, s8
	s_addc_u32 s7, s7, s9
	s_abs_i32 s3, s10
	v_mov_b32_e32 v32, v0
	v_cvt_f32_u32_e32 v0, s3
	s_xor_b32 s8, s5, s10
	s_sub_i32 s10, 0, s3
	s_abs_i32 s9, s5
	v_rcp_iflag_f32_e32 v0, v0
	s_ashr_i32 s8, s8, 31
	v_mul_f32_e32 v0, 0x4f7ffffe, v0
	v_cvt_u32_f32_e32 v0, v0
	s_nop 0
	v_readfirstlane_b32 s12, v0
	s_mul_i32 s10, s10, s12
	s_mul_hi_u32 s10, s12, s10
	s_add_i32 s12, s12, s10
	s_mul_hi_u32 s10, s9, s12
	s_mul_i32 s12, s10, s3
	s_sub_i32 s9, s9, s12
	s_add_i32 s12, s10, 1
	s_sub_i32 s13, s9, s3
	s_cmp_ge_u32 s9, s3
	s_cselect_b32 s10, s12, s10
	s_cselect_b32 s9, s13, s9
	s_add_i32 s12, s10, 1
	s_cmp_ge_u32 s9, s3
	s_cselect_b32 s3, s12, s10
	s_xor_b32 s3, s3, s8
	s_sub_i32 s12, s3, s8
	s_abs_i32 s16, s12
	v_cvt_f32_u32_e32 v0, s16
	s_load_dwordx2 s[8:9], s[0:1], 0x40
	s_sub_i32 s3, 0, s16
	s_abs_i32 s17, s2
	v_rcp_iflag_f32_e32 v0, v0
	s_mov_b32 s10, 0
	v_mul_f32_e32 v0, 0x4f7ffffe, v0
	v_cvt_u32_f32_e32 v0, v0
	s_nop 0
	v_readfirstlane_b32 s13, v0
	s_mul_i32 s3, s3, s13
	s_mul_hi_u32 s3, s13, s3
	s_add_i32 s13, s13, s3
	s_waitcnt lgkmcnt(0)
	s_cmp_eq_u64 s[8:9], 0
	s_mul_hi_u32 s18, s17, s13
	s_cbranch_scc1 .LBB325_2
; %bb.1:
	s_ashr_i32 s3, s2, 31
	s_lshl_b64 s[14:15], s[2:3], 2
	s_add_u32 s8, s8, s14
	s_addc_u32 s9, s9, s15
	s_load_dword s10, s[8:9], 0x0
.LBB325_2:
	s_load_dword s21, s[6:7], 0x0
	s_ashr_i32 s9, s12, 31
	s_load_dwordx4 s[12:15], s[0:1], 0x48
	s_ashr_i32 s8, s2, 31
	v_and_b32_e32 v1, 1, v32
	s_lshl_b32 s22, s2, 8
	v_cmp_gt_u32_e64 s[6:7], 64, v32
	v_lshlrev_b32_e32 v26, 3, v32
	s_and_saveexec_b64 s[2:3], s[6:7]
	s_cbranch_execz .LBB325_4
; %bb.3:
	s_load_dwordx2 s[24:25], s[0:1], 0x8
	s_waitcnt lgkmcnt(0)
	s_mul_i32 s26, s12, s20
	s_ashr_i32 s27, s26, 31
	s_lshl_b64 s[26:27], s[26:27], 1
	v_lshlrev_b32_e32 v0, 2, v32
	s_add_u32 s12, s24, s26
	s_addc_u32 s15, s25, s27
	s_ashr_i32 s23, s22, 31
	s_lshl_b64 s[24:25], s[22:23], 1
	s_add_u32 s24, s12, s24
	s_addc_u32 s25, s15, s25
	global_load_dwordx2 v[2:3], v26, s[24:25]
	v_and_b32_e32 v0, 0xff8, v0
	v_lshl_add_u32 v0, v1, 8, v0
	s_waitcnt vmcnt(0)
	ds_write_b64 v0, v[2:3]
.LBB325_4:
	s_or_b64 exec, exec, s[2:3]
	s_waitcnt lgkmcnt(0)
	s_add_i32 s3, s21, 31
	s_ashr_i32 s12, s3, 31
	s_lshr_b32 s12, s12, 27
	s_add_i32 s3, s3, s12
	s_ashr_i32 s23, s3, 5
	s_xor_b32 s3, s8, s9
	s_mul_i32 s8, s18, s16
	s_sub_i32 s8, s17, s8
	s_add_i32 s9, s18, 1
	s_sub_i32 s12, s8, s16
	s_load_dwordx2 s[26:27], s[0:1], 0x28
	s_load_dword s2, s[0:1], 0x38
	s_cmp_ge_u32 s8, s16
	s_cselect_b32 s9, s9, s18
	s_cselect_b32 s8, s12, s8
	s_add_i32 s12, s9, 1
	s_cmp_ge_u32 s8, s16
	s_cselect_b32 s8, s12, s9
	v_lshrrev_b32_e32 v33, 6, v32
	s_xor_b32 s8, s8, s3
	s_waitcnt lgkmcnt(0)
	s_mul_i32 s28, s2, s20
	s_sub_i32 s33, s8, s3
	s_ashr_i32 s29, s28, 31
	v_cmp_gt_i32_e64 s[2:3], s23, v33
	v_cmp_le_i32_e32 vcc, s23, v33
	v_mbcnt_lo_u32_b32 v6, -1, 0
	s_barrier
                                        ; implicit-def: $vgpr11
                                        ; implicit-def: $vgpr8
                                        ; implicit-def: $vgpr9
	s_and_saveexec_b64 s[8:9], vcc
	s_xor_b64 s[8:9], exec, s[8:9]
; %bb.5:
	v_mbcnt_hi_u32_b32 v11, -1, v6
	v_and_b32_e32 v8, 64, v11
	v_add_u32_e32 v9, 64, v8
                                        ; implicit-def: $vgpr1
                                        ; implicit-def: $vgpr6
; %bb.6:
	s_or_saveexec_b64 s[34:35], s[8:9]
	s_load_dwordx2 s[24:25], s[0:1], 0x0
	s_load_dwordx2 s[30:31], s[0:1], 0x18
	s_load_dword s12, s[0:1], 0x88
	s_load_dwordx4 s[16:19], s[0:1], 0x58
	v_mov_b32_e32 v29, 0xff7fffff
	s_mul_i32 s33, s33, s14
	v_lshrrev_b32_e32 v37, 4, v32
	scratch_store_dword off, v32, off offset:216 ; 4-byte Folded Spill
	s_xor_b64 exec, exec, s[34:35]
	s_cbranch_execz .LBB325_12
; %bb.7:
	scratch_store_dword off, v26, off offset:220 ; 4-byte Folded Spill
	v_lshlrev_b32_e32 v0, 8, v1
	ds_read_b128 v[2:5], v0
	ds_read_b128 v[8:11], v0 offset:16
	ds_read_b128 v[12:15], v0 offset:32
	;; [unrolled: 1-line block ×3, first 2 shown]
	s_load_dwordx2 s[0:1], s[0:1], 0x10
	s_waitcnt lgkmcnt(0)
	v_lshlrev_b32_e32 v7, 16, v2
	v_and_b32_e32 v2, 0xffff0000, v2
	scratch_store_dword off, v2, off offset:4 ; 4-byte Folded Spill
	v_lshlrev_b32_e32 v2, 16, v3
	scratch_store_dword off, v2, off offset:8 ; 4-byte Folded Spill
	v_and_b32_e32 v2, 0xffff0000, v3
	scratch_store_dword off, v2, off offset:12 ; 4-byte Folded Spill
	v_lshlrev_b32_e32 v2, 16, v4
	scratch_store_dword off, v2, off offset:16 ; 4-byte Folded Spill
	;; [unrolled: 4-line block ×14, first 2 shown]
	ds_read_b128 v[2:5], v0 offset:64
	ds_read_b128 v[8:11], v0 offset:80
	scratch_store_dword off, v7, off        ; 4-byte Folded Spill
	v_and_b32_e32 v7, 0xffff0000, v18
	scratch_store_dword off, v7, off offset:116 ; 4-byte Folded Spill
	v_lshlrev_b32_e32 v7, 16, v19
	scratch_store_dword off, v7, off offset:120 ; 4-byte Folded Spill
	v_and_b32_e32 v7, 0xffff0000, v19
	scratch_store_dword off, v7, off offset:124 ; 4-byte Folded Spill
	s_waitcnt lgkmcnt(1)
	v_lshlrev_b32_e32 v7, 16, v2
	v_and_b32_e32 v2, 0xffff0000, v2
	scratch_store_dword off, v2, off offset:132 ; 4-byte Folded Spill
	v_lshlrev_b32_e32 v2, 16, v3
	scratch_store_dword off, v2, off offset:136 ; 4-byte Folded Spill
	v_and_b32_e32 v2, 0xffff0000, v3
	scratch_store_dword off, v2, off offset:140 ; 4-byte Folded Spill
	v_lshlrev_b32_e32 v2, 16, v4
	scratch_store_dword off, v2, off offset:144 ; 4-byte Folded Spill
	;; [unrolled: 4-line block ×3, first 2 shown]
	v_and_b32_e32 v2, 0xffff0000, v5
	scratch_store_dword off, v2, off offset:160 ; 4-byte Folded Spill
	s_waitcnt lgkmcnt(0)
	v_lshlrev_b32_e32 v2, 16, v8
	scratch_store_dword off, v2, off offset:168 ; 4-byte Folded Spill
	v_and_b32_e32 v2, 0xffff0000, v8
	scratch_store_dword off, v2, off offset:176 ; 4-byte Folded Spill
	v_lshlrev_b32_e32 v2, 16, v9
	scratch_store_dword off, v2, off offset:184 ; 4-byte Folded Spill
	v_and_b32_e32 v2, 0xffff0000, v9
	scratch_store_dword off, v7, off offset:128 ; 4-byte Folded Spill
	scratch_store_dword off, v2, off offset:188 ; 4-byte Folded Spill
	v_lshlrev_b32_e32 v2, 16, v10
	v_and_b32_e32 v7, 0xffff0000, v10
	scratch_store_dword off, v2, off offset:192 ; 4-byte Folded Spill
	ds_read_b128 v[2:5], v0 offset:96
	scratch_store_dword off, v7, off offset:196 ; 4-byte Folded Spill
	v_lshlrev_b32_e32 v7, 16, v11
	scratch_store_dword off, v7, off offset:200 ; 4-byte Folded Spill
	v_and_b32_e32 v7, 0xffff0000, v11
	ds_read_b128 v[8:11], v0 offset:112
	scratch_store_dword off, v7, off offset:204 ; 4-byte Folded Spill
	s_waitcnt lgkmcnt(1)
	v_lshlrev_b32_e32 v7, 16, v2
	v_and_b32_e32 v38, 0xffff0000, v2
	v_lshlrev_b32_e32 v2, 16, v3
	scratch_store_dword off, v2, off offset:212 ; 4-byte Folded Spill
	v_and_b32_e32 v68, 0xffff0000, v3
	v_lshlrev_b32_e32 v69, 16, v4
	v_and_b32_e32 v70, 0xffff0000, v4
	v_lshlrev_b32_e32 v71, 16, v5
	v_and_b32_e32 v72, 0xffff0000, v5
	s_waitcnt lgkmcnt(0)
	v_lshlrev_b32_e32 v73, 16, v8
	v_and_b32_e32 v74, 0xffff0000, v8
	v_lshlrev_b32_e32 v75, 16, v9
	v_and_b32_e32 v76, 0xffff0000, v9
	v_lshlrev_b32_e32 v77, 16, v10
	ds_read_b128 v[2:5], v0 offset:128
	v_and_b32_e32 v79, 0xffff0000, v10
	v_lshlrev_b32_e32 v80, 16, v11
	v_and_b32_e32 v81, 0xffff0000, v11
	ds_read_b128 v[8:11], v0 offset:144
	s_waitcnt lgkmcnt(1)
	v_lshlrev_b32_e32 v83, 16, v2
	v_and_b32_e32 v84, 0xffff0000, v2
	v_lshlrev_b32_e32 v85, 16, v3
	v_and_b32_e32 v86, 0xffff0000, v3
	;; [unrolled: 2-line block ×4, first 2 shown]
	s_waitcnt lgkmcnt(0)
	v_lshlrev_b32_e32 v91, 16, v8
	v_and_b32_e32 v92, 0xffff0000, v8
	v_lshlrev_b32_e32 v93, 16, v9
	v_and_b32_e32 v94, 0xffff0000, v9
	v_lshlrev_b32_e32 v95, 16, v10
	ds_read_b128 v[2:5], v0 offset:160
	v_and_b32_e32 v96, 0xffff0000, v10
	v_lshlrev_b32_e32 v97, 16, v11
	v_and_b32_e32 v98, 0xffff0000, v11
	ds_read_b128 v[8:11], v0 offset:176
	s_waitcnt lgkmcnt(1)
	v_lshlrev_b32_e32 v99, 16, v2
	v_and_b32_e32 v100, 0xffff0000, v2
	v_lshlrev_b32_e32 v101, 16, v3
	v_and_b32_e32 v102, 0xffff0000, v3
	;; [unrolled: 2-line block ×4, first 2 shown]
	s_waitcnt lgkmcnt(0)
	v_lshlrev_b32_e32 v107, 16, v8
	v_and_b32_e32 v108, 0xffff0000, v8
	v_lshlrev_b32_e32 v109, 16, v9
	v_and_b32_e32 v110, 0xffff0000, v9
	v_lshlrev_b32_e32 v111, 16, v10
	ds_read_b128 v[2:5], v0 offset:192
	v_and_b32_e32 v112, 0xffff0000, v10
	v_lshlrev_b32_e32 v113, 16, v11
	v_and_b32_e32 v114, 0xffff0000, v11
	ds_read_b128 v[8:11], v0 offset:208
	scratch_store_dword off, v7, off offset:208 ; 4-byte Folded Spill
	s_waitcnt lgkmcnt(1)
	v_lshlrev_b32_e32 v115, 16, v2
	v_and_b32_e32 v116, 0xffff0000, v2
	v_lshlrev_b32_e32 v117, 16, v3
	v_and_b32_e32 v118, 0xffff0000, v3
	;; [unrolled: 2-line block ×4, first 2 shown]
	s_waitcnt lgkmcnt(0)
	v_lshlrev_b32_e32 v123, 16, v8
	v_and_b32_e32 v124, 0xffff0000, v8
	v_lshlrev_b32_e32 v125, 16, v9
	v_and_b32_e32 v126, 0xffff0000, v9
	;; [unrolled: 2-line block ×4, first 2 shown]
	ds_read_b128 v[2:5], v0 offset:224
	ds_read_b128 v[8:11], v0 offset:240
	s_ashr_i32 s8, s33, 31
	s_add_u32 s0, s0, s33
	v_mbcnt_hi_u32_b32 v6, -1, v6
	s_waitcnt lgkmcnt(1)
	v_lshlrev_b32_e32 v82, 16, v2
	s_waitcnt lgkmcnt(0)
	v_lshlrev_b32_e32 v19, 16, v8
	v_and_b32_e32 v20, 0xffff0000, v8
	v_bfe_u32 v8, v32, 1, 5
	v_and_b32_e32 v0, 0xffff0000, v2
	v_lshlrev_b32_e32 v26, 16, v3
	v_and_b32_e32 v14, 0xffff0000, v3
	s_addc_u32 s1, s1, s8
	v_lshlrev_b32_e32 v2, 4, v8
	v_mov_b32_e32 v3, 0
	v_and_b32_e32 v7, 64, v6
	v_lshlrev_b32_e32 v15, 16, v4
	v_and_b32_e32 v16, 0xffff0000, v4
	v_lshlrev_b32_e32 v17, 16, v5
	v_and_b32_e32 v18, 0xffff0000, v5
	v_lshl_add_u64 v[4:5], s[0:1], 0, v[2:3]
	v_lshlrev_b32_e32 v2, 2, v1
	v_cmp_eq_u32_e32 vcc, 0, v1
	v_xor_b32_e32 v1, 1, v6
	scratch_store_dword off, v7, off offset:232 ; 4-byte Folded Spill
	v_add_u32_e32 v7, 64, v7
	v_cmp_lt_i32_e64 s[0:1], v1, v7
	s_load_dword s53, s[16:17], 0x0
	s_sub_i32 s54, 1, s21
	v_cndmask_b32_e64 v1, v6, v1, s[0:1]
	s_lshl_b64 s[8:9], s[28:29], 2
	v_lshlrev_b32_e32 v31, 2, v1
	v_lshlrev_b32_e32 v1, 2, v8
	s_add_u32 s8, s26, s8
	v_lshlrev_b32_e32 v21, 16, v9
	v_and_b32_e32 v22, 0xffff0000, v9
	v_lshlrev_b32_e32 v23, 16, v10
	v_and_b32_e32 v24, 0xffff0000, v10
	v_lshl_or_b32 v32, v33, 5, v8
	v_lshl_or_b32 v1, v33, 7, v1
	v_mov_b32_e32 v10, v33
	v_and_b32_e32 v8, 60, v37
	v_mov_b32_e32 v9, v3
	s_addc_u32 s9, s27, s9
	v_lshlrev_b32_e32 v25, 16, v11
	v_and_b32_e32 v27, 0xffff0000, v11
	s_mov_b32 s52, s13
	scratch_store_dword off, v7, off offset:236 ; 4-byte Folded Spill
	scratch_store_dword off, v6, off offset:228 ; 4-byte Folded Spill
	v_cmp_neq_f32_e64 s[0:1], s10, 0
	v_or_b32_e32 v6, 8, v2
	v_mov_b32_e32 v7, v3
	v_add_u32_e32 v33, 0x210, v1
	v_lshl_add_u64 v[8:9], s[8:9], 0, v[8:9]
	s_mov_b64 s[14:15], 0
	s_mov_b64 s[16:17], 0x1000
	s_mov_b64 s[36:37], 0x1200
	s_mov_b64 s[38:39], 0x1400
	s_mov_b64 s[40:41], 0x1600
	s_mov_b64 s[42:43], 0x1800
	s_mov_b64 s[44:45], 0x1a00
	s_mov_b64 s[46:47], 0x1c00
	s_mov_b64 s[48:49], 0x1e00
	v_mov_b32_e32 v29, 0xff7fffff
	v_mov_b32_e32 v1, v10
	scratch_store_dword off, v37, off offset:224 ; 4-byte Folded Spill
	scratch_store_dword off, v10, off offset:156 ; 4-byte Folded Spill
	s_branch .LBB325_9
.LBB325_8:                              ;   in Loop: Header=BB325_9 Depth=1
	s_or_b64 exec, exec, s[50:51]
	v_add_u32_e32 v1, 2, v1
	v_cmp_le_i32_e64 s[8:9], s23, v1
	v_add_u32_e32 v32, 64, v32
	v_add_u32_e32 v33, 0x100, v33
	s_or_b64 s[14:15], s[8:9], s[14:15]
	v_lshl_add_u64 v[8:9], v[8:9], 0, 8
	s_andn2_b64 exec, exec, s[14:15]
	s_cbranch_execz .LBB325_11
.LBB325_9:                              ; =>This Inner Loop Header: Depth=1
	global_load_dword v10, v[8:9], off
	s_waitcnt vmcnt(0) lgkmcnt(0)
	v_mad_i64_i32 v[10:11], s[8:9], v10, s52, v[4:5]
	v_lshl_add_u64 v[12:13], v[10:11], 0, v[2:3]
	global_load_dword v40, v[12:13], off
	global_load_dword v65, v[12:13], off offset:8
	global_load_dword v64, v[12:13], off offset:512
	;; [unrolled: 1-line block ×15, first 2 shown]
	v_lshl_add_u64 v[12:13], v[10:11], 0, s[16:17]
	v_lshl_add_u64 v[34:35], v[12:13], 0, v[2:3]
	v_lshl_add_u64 v[12:13], v[12:13], 0, v[6:7]
	global_load_dword v50, v[34:35], off
	global_load_dword v49, v[12:13], off
	v_lshl_add_u64 v[12:13], v[10:11], 0, s[36:37]
	v_lshl_add_u64 v[34:35], v[12:13], 0, v[2:3]
	v_lshl_add_u64 v[12:13], v[12:13], 0, v[6:7]
	global_load_dword v48, v[34:35], off
	global_load_dword v47, v[12:13], off
	;; [unrolled: 5-line block ×6, first 2 shown]
	v_lshl_add_u64 v[12:13], v[10:11], 0, s[46:47]
	v_lshl_add_u64 v[66:67], v[10:11], 0, s[48:49]
	;; [unrolled: 1-line block ×5, first 2 shown]
	global_load_dword v35, v[34:35], off
	v_lshl_add_u64 v[66:67], v[66:67], 0, v[6:7]
	global_load_dword v12, v[12:13], off
	s_waitcnt vmcnt(28)
	v_and_b32_e32 v34, 0xff, v65
	global_load_dword v11, v[10:11], off
	v_and_b32_e32 v13, 0xff, v40
	v_cvt_f32_fp8_e32 v13, v13
	v_cvt_f32_fp8_e32 v34, v34
	global_load_dword v10, v[66:67], off
	s_waitcnt lgkmcnt(0)
	v_mul_f32_e32 v13, s53, v13
	v_mul_f32_e32 v34, s53, v34
	v_cvt_pk_bf16_f32 v13, v13, s0
	v_cvt_pk_bf16_f32 v34, v34, s0
	v_lshlrev_b32_e32 v36, 16, v13
	v_lshlrev_b32_e32 v13, 16, v34
	scratch_load_dword v34, off, off offset:16 ; 4-byte Folded Reload
	scratch_load_dword v66, off, off offset:20 ; 4-byte Folded Reload
	s_waitcnt vmcnt(1)
	v_mul_f32_e32 v13, v34, v13
	scratch_load_dword v34, off, off        ; 4-byte Folded Reload
	s_waitcnt vmcnt(0)
	v_fmac_f32_e32 v13, v34, v36
	v_bfe_u32 v36, v65, 8, 8
	v_cvt_f32_fp8_e32 v36, v36
	v_bfe_u32 v34, v40, 8, 8
	v_cvt_f32_fp8_e32 v34, v34
	v_mul_f32_e32 v36, s53, v36
	v_cvt_pk_bf16_f32 v36, v36, s0
	v_lshlrev_b32_e32 v36, 16, v36
	v_mul_f32_e32 v36, v66, v36
	scratch_load_dword v66, off, off offset:4 ; 4-byte Folded Reload
	v_mul_f32_e32 v34, s53, v34
	v_cvt_pk_bf16_f32 v34, v34, s0
	v_lshlrev_b32_e32 v34, 16, v34
	s_waitcnt vmcnt(0)
	v_fmac_f32_e32 v36, v66, v34
	v_bfe_u32 v34, v40, 16, 8
	v_bfe_u32 v66, v65, 16, 8
	v_cvt_f32_fp8_e32 v34, v34
	v_cvt_f32_fp8_e32 v66, v66
	v_lshrrev_b32_e32 v40, 24, v40
	v_lshrrev_b32_e32 v65, 24, v65
	v_mul_f32_e32 v34, s53, v34
	v_mul_f32_e32 v66, s53, v66
	v_cvt_pk_bf16_f32 v34, v34, s0
	v_cvt_pk_bf16_f32 v66, v66, s0
	v_lshlrev_b32_e32 v67, 16, v34
	v_lshlrev_b32_e32 v34, 16, v66
	scratch_load_dword v66, off, off offset:24 ; 4-byte Folded Reload
	v_cvt_f32_fp8_e32 v40, v40
	v_cvt_f32_fp8_e32 v65, v65
	v_mul_f32_e32 v40, s53, v40
	v_mul_f32_e32 v65, s53, v65
	v_cvt_pk_bf16_f32 v40, v40, s0
	v_cvt_pk_bf16_f32 v65, v65, s0
	s_waitcnt vmcnt(0)
	v_mul_f32_e32 v34, v66, v34
	scratch_load_dword v66, off, off offset:8 ; 4-byte Folded Reload
	s_waitcnt vmcnt(0)
	v_fmac_f32_e32 v34, v66, v67
	v_lshlrev_b32_e32 v66, 16, v40
	v_lshlrev_b32_e32 v40, 16, v65
	scratch_load_dword v65, off, off offset:28 ; 4-byte Folded Reload
	s_waitcnt vmcnt(0)
	v_mul_f32_e32 v40, v65, v40
	scratch_load_dword v65, off, off offset:12 ; 4-byte Folded Reload
	s_waitcnt vmcnt(0)
	v_fmac_f32_e32 v40, v65, v66
	scratch_load_dword v66, off, off offset:32 ; 4-byte Folded Reload
	v_and_b32_e32 v65, 0xff, v64
	v_cvt_f32_fp8_e32 v65, v65
	v_mul_f32_e32 v65, s53, v65
	v_cvt_pk_bf16_f32 v65, v65, s0
	v_lshlrev_b32_e32 v65, 16, v65
	s_waitcnt vmcnt(0)
	v_fmac_f32_e32 v13, v66, v65
	scratch_load_dword v66, off, off offset:36 ; 4-byte Folded Reload
	v_bfe_u32 v65, v64, 8, 8
	v_cvt_f32_fp8_e32 v65, v65
	v_mul_f32_e32 v65, s53, v65
	v_cvt_pk_bf16_f32 v65, v65, s0
	v_lshlrev_b32_e32 v65, 16, v65
	s_waitcnt vmcnt(0)
	v_fmac_f32_e32 v36, v66, v65
	scratch_load_dword v66, off, off offset:40 ; 4-byte Folded Reload
	v_bfe_u32 v65, v64, 16, 8
	v_cvt_f32_fp8_e32 v65, v65
	v_lshrrev_b32_e32 v64, 24, v64
	v_cvt_f32_fp8_e32 v64, v64
	v_mul_f32_e32 v65, s53, v65
	v_cvt_pk_bf16_f32 v65, v65, s0
	v_lshlrev_b32_e32 v65, 16, v65
	v_mul_f32_e32 v64, s53, v64
	v_cvt_pk_bf16_f32 v64, v64, s0
	v_lshlrev_b32_e32 v64, 16, v64
	s_waitcnt vmcnt(0)
	v_fmac_f32_e32 v34, v66, v65
	scratch_load_dword v65, off, off offset:44 ; 4-byte Folded Reload
	s_waitcnt vmcnt(0)
	v_fmac_f32_e32 v40, v65, v64
	scratch_load_dword v65, off, off offset:48 ; 4-byte Folded Reload
	v_and_b32_e32 v64, 0xff, v63
	v_cvt_f32_fp8_e32 v64, v64
	v_mul_f32_e32 v64, s53, v64
	v_cvt_pk_bf16_f32 v64, v64, s0
	v_lshlrev_b32_e32 v64, 16, v64
	s_waitcnt vmcnt(0)
	v_fmac_f32_e32 v13, v65, v64
	scratch_load_dword v65, off, off offset:52 ; 4-byte Folded Reload
	v_bfe_u32 v64, v63, 8, 8
	v_cvt_f32_fp8_e32 v64, v64
	v_mul_f32_e32 v64, s53, v64
	v_cvt_pk_bf16_f32 v64, v64, s0
	v_lshlrev_b32_e32 v64, 16, v64
	s_waitcnt vmcnt(0)
	v_fmac_f32_e32 v36, v65, v64
	scratch_load_dword v65, off, off offset:56 ; 4-byte Folded Reload
	v_bfe_u32 v64, v63, 16, 8
	v_cvt_f32_fp8_e32 v64, v64
	v_lshrrev_b32_e32 v63, 24, v63
	v_cvt_f32_fp8_e32 v63, v63
	v_mul_f32_e32 v64, s53, v64
	v_cvt_pk_bf16_f32 v64, v64, s0
	v_lshlrev_b32_e32 v64, 16, v64
	v_mul_f32_e32 v63, s53, v63
	v_cvt_pk_bf16_f32 v63, v63, s0
	v_lshlrev_b32_e32 v63, 16, v63
	s_waitcnt vmcnt(0)
	v_fmac_f32_e32 v34, v65, v64
	;; [unrolled: 32-line block ×10, first 2 shown]
	scratch_load_dword v56, off, off offset:204 ; 4-byte Folded Reload
	s_waitcnt vmcnt(0)
	v_fmac_f32_e32 v40, v56, v55
	scratch_load_dword v56, off, off offset:208 ; 4-byte Folded Reload
	v_and_b32_e32 v55, 0xff, v54
	v_cvt_f32_fp8_e32 v55, v55
	v_mul_f32_e32 v55, s53, v55
	v_cvt_pk_bf16_f32 v55, v55, s0
	v_lshlrev_b32_e32 v55, 16, v55
	s_waitcnt vmcnt(0)
	v_fmac_f32_e32 v13, v56, v55
	v_bfe_u32 v55, v54, 8, 8
	v_cvt_f32_fp8_e32 v55, v55
	scratch_load_dword v56, off, off offset:212 ; 4-byte Folded Reload
	v_mul_f32_e32 v55, s53, v55
	v_cvt_pk_bf16_f32 v55, v55, s0
	v_lshlrev_b32_e32 v55, 16, v55
	v_fmac_f32_e32 v36, v38, v55
	v_bfe_u32 v55, v54, 16, 8
	v_lshrrev_b32_e32 v54, 24, v54
	v_cvt_f32_fp8_e32 v54, v54
	v_cvt_f32_fp8_e32 v55, v55
	v_mul_f32_e32 v54, s53, v54
	v_cvt_pk_bf16_f32 v54, v54, s0
	v_lshlrev_b32_e32 v54, 16, v54
	v_fmac_f32_e32 v40, v68, v54
	v_and_b32_e32 v54, 0xff, v53
	v_cvt_f32_fp8_e32 v54, v54
	v_mul_f32_e32 v55, s53, v55
	v_cvt_pk_bf16_f32 v55, v55, s0
	v_lshlrev_b32_e32 v55, 16, v55
	v_mul_f32_e32 v54, s53, v54
	v_cvt_pk_bf16_f32 v54, v54, s0
	v_lshlrev_b32_e32 v54, 16, v54
	v_fmac_f32_e32 v13, v69, v54
	v_bfe_u32 v54, v53, 8, 8
	v_cvt_f32_fp8_e32 v54, v54
	v_mul_f32_e32 v54, s53, v54
	v_cvt_pk_bf16_f32 v54, v54, s0
	v_lshlrev_b32_e32 v54, 16, v54
	v_fmac_f32_e32 v36, v70, v54
	v_bfe_u32 v54, v53, 16, 8
	v_lshrrev_b32_e32 v53, 24, v53
	v_cvt_f32_fp8_e32 v53, v53
	v_cvt_f32_fp8_e32 v54, v54
	v_mul_f32_e32 v53, s53, v53
	v_cvt_pk_bf16_f32 v53, v53, s0
	v_lshlrev_b32_e32 v53, 16, v53
	v_fmac_f32_e32 v40, v72, v53
	v_and_b32_e32 v53, 0xff, v52
	v_cvt_f32_fp8_e32 v53, v53
	v_mul_f32_e32 v54, s53, v54
	v_cvt_pk_bf16_f32 v54, v54, s0
	v_lshlrev_b32_e32 v54, 16, v54
	v_mul_f32_e32 v53, s53, v53
	v_cvt_pk_bf16_f32 v53, v53, s0
	v_lshlrev_b32_e32 v53, 16, v53
	v_fmac_f32_e32 v13, v73, v53
	v_bfe_u32 v53, v52, 8, 8
	v_cvt_f32_fp8_e32 v53, v53
	;; [unrolled: 23-line block ×3, first 2 shown]
	s_waitcnt vmcnt(0)
	v_fmac_f32_e32 v34, v56, v55
	v_fmac_f32_e32 v34, v71, v54
	;; [unrolled: 1-line block ×3, first 2 shown]
	v_mul_f32_e32 v52, s53, v52
	v_cvt_pk_bf16_f32 v52, v52, s0
	v_lshlrev_b32_e32 v52, 16, v52
	v_fmac_f32_e32 v36, v79, v52
	v_bfe_u32 v52, v51, 16, 8
	v_lshrrev_b32_e32 v51, 24, v51
	v_cvt_f32_fp8_e32 v51, v51
	v_cvt_f32_fp8_e32 v52, v52
	v_mul_f32_e32 v51, s53, v51
	v_cvt_pk_bf16_f32 v51, v51, s0
	v_lshlrev_b32_e32 v51, 16, v51
	v_fmac_f32_e32 v40, v81, v51
	v_and_b32_e32 v51, 0xff, v50
	v_cvt_f32_fp8_e32 v51, v51
	v_mul_f32_e32 v52, s53, v52
	v_cvt_pk_bf16_f32 v52, v52, s0
	v_lshlrev_b32_e32 v52, 16, v52
	v_mul_f32_e32 v51, s53, v51
	v_cvt_pk_bf16_f32 v51, v51, s0
	v_lshlrev_b32_e32 v51, 16, v51
	v_fmac_f32_e32 v13, v83, v51
	v_bfe_u32 v51, v50, 8, 8
	v_cvt_f32_fp8_e32 v51, v51
	v_fmac_f32_e32 v34, v80, v52
	v_mul_f32_e32 v51, s53, v51
	v_cvt_pk_bf16_f32 v51, v51, s0
	v_lshlrev_b32_e32 v51, 16, v51
	v_fmac_f32_e32 v36, v84, v51
	v_bfe_u32 v51, v50, 16, 8
	v_lshrrev_b32_e32 v50, 24, v50
	v_cvt_f32_fp8_e32 v50, v50
	v_cvt_f32_fp8_e32 v51, v51
	v_mul_f32_e32 v50, s53, v50
	v_cvt_pk_bf16_f32 v50, v50, s0
	v_lshlrev_b32_e32 v50, 16, v50
	v_fmac_f32_e32 v40, v86, v50
	v_and_b32_e32 v50, 0xff, v49
	v_cvt_f32_fp8_e32 v50, v50
	v_mul_f32_e32 v51, s53, v51
	v_cvt_pk_bf16_f32 v51, v51, s0
	v_lshlrev_b32_e32 v51, 16, v51
	v_mul_f32_e32 v50, s53, v50
	v_cvt_pk_bf16_f32 v50, v50, s0
	v_lshlrev_b32_e32 v50, 16, v50
	v_fmac_f32_e32 v13, v87, v50
	v_bfe_u32 v50, v49, 8, 8
	v_cvt_f32_fp8_e32 v50, v50
	v_fmac_f32_e32 v34, v85, v51
	;; [unrolled: 24-line block ×16, first 2 shown]
	v_mul_f32_e32 v11, s53, v11
	v_cvt_pk_bf16_f32 v11, v11, s0
	v_lshlrev_b32_e32 v11, 16, v11
	v_fmac_f32_e32 v36, v24, v11
	v_bfe_u32 v11, v10, 16, 8
	v_lshrrev_b32_e32 v10, 24, v10
	v_cvt_f32_fp8_e32 v11, v11
	v_cvt_f32_fp8_e32 v10, v10
	v_mul_f32_e32 v11, s53, v11
	v_mul_f32_e32 v10, s53, v10
	v_cvt_pk_bf16_f32 v11, v11, s0
	v_cvt_pk_bf16_f32 v10, v10, s0
	v_lshlrev_b32_e32 v11, 16, v11
	v_lshlrev_b32_e32 v10, 16, v10
	v_fmac_f32_e32 v34, v25, v11
	v_fmac_f32_e32 v40, v27, v10
	v_add_f32_e32 v10, v13, v36
	v_add_f32_e32 v10, v10, v34
	;; [unrolled: 1-line block ×3, first 2 shown]
	ds_bpermute_b32 v11, v31, v10
	s_and_saveexec_b64 s[50:51], vcc
	s_cbranch_execz .LBB325_8
; %bb.10:                               ;   in Loop: Header=BB325_9 Depth=1
	v_add_u32_e32 v12, s54, v32
	v_cvt_f32_i32_e32 v12, v12
	s_waitcnt lgkmcnt(0)
	v_add_f32_e32 v10, v10, v11
	v_cmp_gt_i32_e64 s[8:9], s21, v32
	v_max_f32_e32 v11, v29, v29
	v_mul_f32_e32 v12, s10, v12
	v_cndmask_b32_e64 v12, 0, v12, s[0:1]
	v_fmac_f32_e32 v12, s11, v10
	v_cndmask_b32_e64 v10, 0, v12, s[8:9]
	ds_write_b32 v33, v10
	v_max_f32_e32 v10, v11, v12
	v_cndmask_b32_e64 v29, v29, v10, s[8:9]
	s_branch .LBB325_8
.LBB325_11:
	s_or_b64 exec, exec, s[14:15]
	scratch_load_dword v32, off, off offset:216 ; 4-byte Folded Reload
	scratch_load_dword v33, off, off offset:156 ; 4-byte Folded Reload
	;; [unrolled: 1-line block ×4, first 2 shown]
	s_waitcnt lgkmcnt(0)
	scratch_load_dword v11, off, off offset:228 ; 4-byte Folded Reload
	scratch_load_dword v8, off, off offset:232 ; 4-byte Folded Reload
	;; [unrolled: 1-line block ×3, first 2 shown]
.LBB325_12:
	s_or_b64 exec, exec, s[34:35]
	s_waitcnt vmcnt(2)
	v_xor_b32_e32 v0, 32, v11
	s_waitcnt vmcnt(0)
	v_cmp_lt_i32_e32 vcc, v0, v9
	v_xor_b32_e32 v3, 16, v11
	v_max_f32_e32 v2, v29, v29
	v_cndmask_b32_e32 v0, v11, v0, vcc
	v_lshlrev_b32_e32 v0, 2, v0
	ds_bpermute_b32 v1, v0, v29
	v_cmp_lt_i32_e32 vcc, v3, v9
	v_xor_b32_e32 v4, 8, v11
	v_xor_b32_e32 v5, 4, v11
	;; [unrolled: 1-line block ×3, first 2 shown]
	s_waitcnt lgkmcnt(0)
	v_max_f32_e32 v1, v1, v1
	v_max_f32_e32 v2, v2, v1
	v_cndmask_b32_e32 v1, v11, v3, vcc
	v_lshlrev_b32_e32 v1, 2, v1
	ds_bpermute_b32 v3, v1, v2
	v_cmp_lt_i32_e32 vcc, v4, v9
	v_and_b32_e32 v34, 63, v32
	s_waitcnt lgkmcnt(0)
	v_max_f32_e32 v3, v3, v3
	v_max_f32_e32 v3, v2, v3
	v_cndmask_b32_e32 v2, v11, v4, vcc
	v_lshlrev_b32_e32 v2, 2, v2
	ds_bpermute_b32 v4, v2, v3
	v_cmp_lt_i32_e32 vcc, v5, v9
	s_waitcnt lgkmcnt(0)
	v_max_f32_e32 v4, v4, v4
	v_max_f32_e32 v4, v3, v4
	v_cndmask_b32_e32 v3, v11, v5, vcc
	v_lshlrev_b32_e32 v3, 2, v3
	ds_bpermute_b32 v5, v3, v4
	v_cmp_lt_i32_e32 vcc, v6, v9
	s_waitcnt lgkmcnt(0)
	v_max_f32_e32 v5, v5, v5
	v_max_f32_e32 v5, v4, v5
	v_cndmask_b32_e32 v4, v11, v6, vcc
	v_lshlrev_b32_e32 v31, 2, v4
	ds_bpermute_b32 v6, v31, v5
	v_cmp_eq_u32_e32 vcc, 0, v34
	v_lshlrev_b32_e32 v4, 2, v33
	s_and_saveexec_b64 s[0:1], vcc
	s_cbranch_execz .LBB325_14
; %bb.13:
	s_waitcnt lgkmcnt(0)
	v_max_f32_e32 v6, v6, v6
	v_max_f32_e32 v5, v5, v5
	;; [unrolled: 1-line block ×3, first 2 shown]
	ds_write_b32 v4, v5 offset:512
.LBB325_14:
	s_or_b64 exec, exec, s[0:1]
	v_cmp_gt_u32_e64 s[0:1], 2, v34
	s_waitcnt lgkmcnt(0)
	v_mov_b32_e32 v6, 0xff7fffff
	v_lshlrev_b32_e32 v5, 2, v34
	s_barrier
	s_and_saveexec_b64 s[8:9], s[0:1]
; %bb.15:
	ds_read_b32 v6, v5 offset:512
; %bb.16:
	s_or_b64 exec, exec, s[8:9]
	v_xor_b32_e32 v7, 1, v11
	v_cmp_lt_i32_e64 s[8:9], v7, v9
	s_nop 1
	v_cndmask_b32_e64 v7, v11, v7, s[8:9]
	v_lshlrev_b32_e32 v35, 2, v7
	s_waitcnt lgkmcnt(0)
	ds_bpermute_b32 v7, v35, v6
	v_max_f32_e32 v6, v6, v6
	s_lshl_b32 s8, s23, 5
	s_min_i32 s34, s8, s21
	v_cmp_gt_i32_e64 s[8:9], s34, v32
	s_waitcnt lgkmcnt(0)
	v_max_f32_e32 v7, v7, v7
	v_max_f32_e32 v6, v6, v7
	v_lshlrev_b32_e32 v7, 2, v8
	ds_bpermute_b32 v7, v7, v6
	v_mov_b32_e32 v6, 0
	s_and_saveexec_b64 s[14:15], s[8:9]
	s_cbranch_execz .LBB325_20
; %bb.17:
	v_mov_b32_e32 v6, 0x210
	v_lshl_add_u32 v8, v32, 2, v6
	v_mov_b32_e32 v6, 0
	s_mov_b64 s[16:17], 0
	v_mov_b32_e32 v9, v32
.LBB325_18:                             ; =>This Inner Loop Header: Depth=1
	ds_read_b32 v10, v8
	v_add_u32_e32 v9, 0x80, v9
	v_cmp_le_i32_e64 s[10:11], s34, v9
	s_or_b64 s[16:17], s[10:11], s[16:17]
	s_waitcnt lgkmcnt(0)
	v_sub_f32_e32 v10, v10, v7
	v_mul_f32_e32 v10, 0x3fb8aa3b, v10
	v_exp_f32_e32 v10, v10
	ds_write_b32 v8, v10
	v_add_f32_e32 v6, v6, v10
	v_add_u32_e32 v8, 0x200, v8
	s_andn2_b64 exec, exec, s[16:17]
	s_cbranch_execnz .LBB325_18
; %bb.19:
	s_or_b64 exec, exec, s[16:17]
.LBB325_20:
	s_or_b64 exec, exec, s[14:15]
	ds_bpermute_b32 v0, v0, v6
	s_waitcnt lgkmcnt(0)
	v_add_f32_e32 v0, v6, v0
	ds_bpermute_b32 v1, v1, v0
	s_waitcnt lgkmcnt(0)
	v_add_f32_e32 v0, v0, v1
	;; [unrolled: 3-line block ×6, first 2 shown]
	s_and_saveexec_b64 s[10:11], vcc
; %bb.21:
	ds_write_b32 v4, v0 offset:520
; %bb.22:
	s_or_b64 exec, exec, s[10:11]
	s_waitcnt lgkmcnt(0)
	s_barrier
	s_and_saveexec_b64 s[10:11], s[0:1]
; %bb.23:
	ds_read_b32 v0, v5 offset:520
; %bb.24:
	s_or_b64 exec, exec, s[10:11]
	s_waitcnt lgkmcnt(0)
	ds_bpermute_b32 v1, v35, v0
	v_lshlrev_b32_e32 v2, 2, v11
	s_waitcnt lgkmcnt(0)
	v_add_f32_e32 v0, v0, v1
	v_and_b32_e32 v1, 0xffffff00, v2
	ds_bpermute_b32 v0, v1, v0
	s_and_saveexec_b64 s[0:1], s[8:9]
	s_cbranch_execz .LBB325_37
; %bb.25:
	s_waitcnt lgkmcnt(0)
	v_add_f32_e32 v0, 0x358637bd, v0
	v_div_scale_f32 v1, s[8:9], v0, v0, 1.0
	v_rcp_f32_e32 v2, v1
	v_div_scale_f32 v3, vcc, 1.0, v0, 1.0
	s_movk_i32 s8, 0x7f
	v_fma_f32 v4, -v1, v2, 1.0
	v_fmac_f32_e32 v2, v4, v2
	v_mul_f32_e32 v4, v3, v2
	v_fma_f32 v5, -v1, v4, v3
	v_fmac_f32_e32 v4, v5, v2
	v_fma_f32 v1, -v1, v4, v3
	v_div_fmas_f32 v1, v1, v2, v4
	v_div_fixup_f32 v2, v1, v0, 1.0
	v_xad_u32 v1, v32, -1, s34
	v_cmp_lt_u32_e32 vcc, s8, v1
	s_mov_b64 s[10:11], -1
	v_mov_b32_e32 v0, v32
	s_and_saveexec_b64 s[8:9], vcc
	s_cbranch_execz .LBB325_34
; %bb.26:
	v_lshrrev_b32_e32 v0, 7, v1
	v_add_u32_e32 v4, -1, v0
	v_lshrrev_b32_e32 v1, 1, v4
	v_mov_b32_e32 v3, v2
	v_add_u32_e32 v1, 1, v1
	v_cmp_lt_u32_e32 vcc, 13, v4
	v_mov_b32_e32 v6, 0
	s_and_saveexec_b64 s[10:11], vcc
	s_cbranch_execz .LBB325_30
; %bb.27:
	v_mov_b32_e32 v5, 0x210
	v_and_b32_e32 v4, -8, v1
	v_lshl_add_u32 v5, v32, 2, v5
	s_mov_b32 s16, 0
	s_mov_b64 s[14:15], 0
.LBB325_28:                             ; =>This Inner Loop Header: Depth=1
	ds_read2st64_b32 v[6:7], v5 offset1:2
	ds_read2st64_b32 v[8:9], v5 offset0:4 offset1:6
	ds_read2st64_b32 v[10:11], v5 offset0:8 offset1:10
	;; [unrolled: 1-line block ×3, first 2 shown]
	v_add_u32_e32 v4, -8, v4
	s_waitcnt lgkmcnt(3)
	v_pk_mul_f32 v[6:7], v[2:3], v[6:7]
	s_waitcnt lgkmcnt(2)
	v_pk_mul_f32 v[8:9], v[2:3], v[8:9]
	ds_write2st64_b32 v5, v6, v7 offset1:2
	ds_write2st64_b32 v5, v8, v9 offset0:4 offset1:6
	ds_read2st64_b32 v[8:9], v5 offset0:16 offset1:18
	s_waitcnt lgkmcnt(4)
	v_pk_mul_f32 v[6:7], v[2:3], v[10:11]
	ds_write2st64_b32 v5, v6, v7 offset0:8 offset1:10
	s_waitcnt lgkmcnt(4)
	v_pk_mul_f32 v[6:7], v[2:3], v[12:13]
	ds_write2st64_b32 v5, v6, v7 offset0:12 offset1:14
	ds_read2st64_b32 v[6:7], v5 offset0:20 offset1:22
	s_waitcnt lgkmcnt(3)
	v_pk_mul_f32 v[8:9], v[2:3], v[8:9]
	ds_read2st64_b32 v[10:11], v5 offset0:24 offset1:26
	ds_write2st64_b32 v5, v8, v9 offset0:16 offset1:18
	ds_read2st64_b32 v[8:9], v5 offset0:28 offset1:30
	s_waitcnt lgkmcnt(3)
	v_pk_mul_f32 v[6:7], v[2:3], v[6:7]
	ds_write2st64_b32 v5, v6, v7 offset0:20 offset1:22
	s_waitcnt lgkmcnt(3)
	v_pk_mul_f32 v[6:7], v[2:3], v[10:11]
	ds_write2st64_b32 v5, v6, v7 offset0:24 offset1:26
	s_waitcnt lgkmcnt(2)
	v_pk_mul_f32 v[6:7], v[2:3], v[8:9]
	s_add_i32 s16, s16, 16
	v_cmp_eq_u32_e32 vcc, 0, v4
	ds_write2st64_b32 v5, v6, v7 offset0:28 offset1:30
	v_add_u32_e32 v5, 0x2000, v5
	s_or_b64 s[14:15], vcc, s[14:15]
	v_mov_b32_e32 v6, s16
	s_andn2_b64 exec, exec, s[14:15]
	s_cbranch_execnz .LBB325_28
; %bb.29:
	s_or_b64 exec, exec, s[14:15]
.LBB325_30:
	s_or_b64 exec, exec, s[10:11]
	v_and_b32_e32 v1, 7, v1
	v_cmp_ne_u32_e32 vcc, 0, v1
	s_and_saveexec_b64 s[10:11], vcc
	s_cbranch_execz .LBB325_33
; %bb.31:
	v_lshlrev_b32_e32 v4, 9, v6
	v_lshlrev_b32_e32 v5, 2, v32
	s_movk_i32 s14, 0x210
	v_add3_u32 v4, v4, v5, s14
	s_mov_b64 s[14:15], 0
.LBB325_32:                             ; =>This Inner Loop Header: Depth=1
	ds_read2st64_b32 v[6:7], v4 offset1:2
	v_add_u32_e32 v1, -1, v1
	v_cmp_eq_u32_e32 vcc, 0, v1
	s_or_b64 s[14:15], vcc, s[14:15]
	s_waitcnt lgkmcnt(0)
	v_pk_mul_f32 v[6:7], v[2:3], v[6:7]
	ds_write2st64_b32 v4, v6, v7 offset1:2
	v_add_u32_e32 v4, 0x400, v4
	s_andn2_b64 exec, exec, s[14:15]
	s_cbranch_execnz .LBB325_32
.LBB325_33:
	s_or_b64 exec, exec, s[10:11]
	v_add_u32_e32 v1, 1, v0
	v_and_b32_e32 v3, 0x3fffffe, v1
	v_cmp_ne_u32_e32 vcc, v1, v3
	v_lshl_add_u32 v0, v3, 7, v32
	s_orn2_b64 s[10:11], vcc, exec
.LBB325_34:
	s_or_b64 exec, exec, s[8:9]
	s_and_b64 exec, exec, s[10:11]
	s_cbranch_execz .LBB325_37
; %bb.35:
	v_mov_b32_e32 v1, 0x210
	v_lshl_add_u32 v1, v0, 2, v1
	s_mov_b64 s[8:9], 0
.LBB325_36:                             ; =>This Inner Loop Header: Depth=1
	ds_read_b32 v3, v1
	v_add_u32_e32 v0, 0x80, v0
	v_cmp_le_i32_e32 vcc, s34, v0
	s_or_b64 s[8:9], vcc, s[8:9]
	s_waitcnt lgkmcnt(0)
	v_mul_f32_e32 v3, v2, v3
	ds_write_b32 v1, v3
	v_add_u32_e32 v1, 0x200, v1
	s_andn2_b64 exec, exec, s[8:9]
	s_cbranch_execnz .LBB325_36
.LBB325_37:
	s_or_b64 exec, exec, s[0:1]
	v_mov_b32_e32 v11, 0
	v_and_b32_e32 v36, 3, v32
	v_mov_b32_e32 v10, 0
	v_mov_b32_e32 v13, 0
	;; [unrolled: 1-line block ×15, first 2 shown]
	s_waitcnt lgkmcnt(0)
	s_barrier
	s_and_saveexec_b64 s[0:1], s[2:3]
	s_cbranch_execz .LBB325_73
; %bb.38:
	scratch_store_dword off, v35, off offset:192 ; 4-byte Folded Spill
	scratch_store_dword off, v31, off offset:188 ; 4-byte Folded Spill
	;; [unrolled: 1-line block ×3, first 2 shown]
	s_ashr_i32 s3, s33, 31
	v_and_b32_e32 v0, 24, v26
	s_add_u32 s2, s30, s33
	s_load_dword s14, s[18:19], 0x0
	v_lshlrev_b32_e32 v1, 5, v33
	s_addc_u32 s3, s31, s3
	s_add_i32 s15, s23, -1
	v_or3_b32 v42, v1, v0, 7
	v_lshlrev_b32_e32 v0, 5, v36
	s_lshl_b64 s[8:9], s[28:29], 2
	v_mov_b32_e32 v3, 0
	v_lshl_or_b32 v0, v33, 7, v0
	s_add_u32 s8, s26, s8
	v_add_u32_e32 v43, 0x210, v0
	v_and_b32_e32 v0, 60, v37
	v_mov_b32_e32 v1, v3
	s_addc_u32 s9, s27, s9
	v_and_b32_e32 v2, 0x1f8, v26
	v_or_b32_e32 v4, 0x1e00, v26
	v_mov_b32_e32 v5, v3
	v_lshl_add_u64 v[30:31], s[8:9], 0, v[0:1]
	s_mov_b64 s[8:9], 0
	v_mov_b64_e32 v[0:1], s[2:3]
	v_mov_b32_e32 v11, v3
	v_mov_b32_e32 v10, v3
	;; [unrolled: 1-line block ×16, first 2 shown]
	scratch_store_dwordx2 off, v[4:5], off offset:168 ; 8-byte Folded Spill
	scratch_store_dword off, v36, off offset:196 ; 4-byte Folded Spill
	scratch_store_dwordx2 off, v[0:1], off offset:176 ; 8-byte Folded Spill
	scratch_store_dwordx2 off, v[2:3], off offset:160 ; 8-byte Folded Spill
	s_branch .LBB325_40
.LBB325_39:                             ;   in Loop: Header=BB325_40 Depth=1
	s_or_b64 exec, exec, s[10:11]
	v_cvt_pk_bf16_f32 v0, v7, s0
	v_cvt_pk_bf16_f32 v7, v8, s0
	;; [unrolled: 1-line block ×4, first 2 shown]
	v_lshlrev_b32_e32 v0, 16, v0
	v_lshlrev_b32_e32 v2, 16, v78
	v_cvt_pk_bf16_f32 v6, v6, s0
	v_mul_f32_e32 v2, v0, v2
	v_cvt_pk_bf16_f32 v79, v3, s0
	v_cvt_pk_bf16_f32 v80, v4, s0
	;; [unrolled: 1-line block ×3, first 2 shown]
	v_lshlrev_b32_e32 v2, 16, v6
	v_lshlrev_b32_e32 v4, 16, v77
	v_mul_f32_e32 v4, v2, v4
	v_cvt_pk_bf16_f32 v4, v4, s0
	v_lshlrev_b32_e32 v4, 16, v4
	v_lshlrev_b32_e32 v3, 16, v3
	v_cvt_pk_bf16_f32 v81, v5, s0
	v_add_f32_e32 v4, v4, v3
	v_lshlrev_b32_e32 v3, 16, v8
	v_lshlrev_b32_e32 v5, 16, v76
	v_mul_f32_e32 v5, v3, v5
	v_cvt_pk_bf16_f32 v6, v5, s0
	v_lshlrev_b32_e32 v5, 16, v7
	v_lshlrev_b32_e32 v7, 16, v38
	v_mul_f32_e32 v7, v5, v7
	v_cvt_pk_bf16_f32 v7, v7, s0
	v_lshlrev_b32_e32 v7, 16, v7
	v_lshlrev_b32_e32 v6, 16, v6
	v_add_f32_e32 v6, v7, v6
	v_add_f32_e32 v6, v6, v4
	v_lshlrev_b32_e32 v4, 16, v79
	v_lshlrev_b32_e32 v7, 16, v75
	v_mul_f32_e32 v7, v4, v7
	v_cvt_pk_bf16_f32 v8, v7, s0
	v_lshlrev_b32_e32 v7, 16, v9
	v_lshlrev_b32_e32 v9, 16, v74
	v_mul_f32_e32 v9, v7, v9
	v_cvt_pk_bf16_f32 v9, v9, s0
	v_lshlrev_b32_e32 v9, 16, v9
	v_lshlrev_b32_e32 v8, 16, v8
	v_add_f32_e32 v8, v9, v8
	;; [unrolled: 12-line block ×3, first 2 shown]
	v_add_f32_e32 v9, v38, v9
	v_add_f32_e32 v10, v10, v9
	v_lshlrev_b32_e32 v9, 16, v71
	v_lshlrev_b32_e32 v38, 16, v70
	v_mul_f32_e32 v9, v0, v9
	v_mul_f32_e32 v38, v2, v38
	v_cvt_pk_bf16_f32 v9, v9, s0
	v_cvt_pk_bf16_f32 v38, v38, s0
	v_lshlrev_b32_e32 v38, 16, v38
	v_lshlrev_b32_e32 v9, 16, v9
	v_add_f32_e32 v9, v38, v9
	v_lshlrev_b32_e32 v38, 16, v69
	v_lshlrev_b32_e32 v68, 16, v68
	v_mul_f32_e32 v38, v3, v38
	v_mul_f32_e32 v68, v5, v68
	v_cvt_pk_bf16_f32 v38, v38, s0
	v_cvt_pk_bf16_f32 v68, v68, s0
	v_lshlrev_b32_e32 v68, 16, v68
	v_lshlrev_b32_e32 v38, 16, v38
	v_add_f32_e32 v38, v68, v38
	v_add_f32_e32 v9, v38, v9
	v_lshlrev_b32_e32 v38, 16, v67
	v_lshlrev_b32_e32 v66, 16, v66
	v_mul_f32_e32 v38, v4, v38
	v_mul_f32_e32 v66, v7, v66
	v_cvt_pk_bf16_f32 v38, v38, s0
	v_cvt_pk_bf16_f32 v66, v66, s0
	v_lshlrev_b32_e32 v66, 16, v66
	v_lshlrev_b32_e32 v38, 16, v38
	v_add_f32_e32 v38, v66, v38
	v_add_f32_e32 v9, v38, v9
	v_lshlrev_b32_e32 v38, 16, v65
	v_lshlrev_b32_e32 v64, 16, v64
	v_mul_f32_e32 v38, v6, v38
	v_mul_f32_e32 v64, v8, v64
	v_cvt_pk_bf16_f32 v38, v38, s0
	v_cvt_pk_bf16_f32 v64, v64, s0
	v_lshlrev_b32_e32 v64, 16, v64
	v_lshlrev_b32_e32 v38, 16, v38
	v_add_f32_e32 v38, v64, v38
	v_add_f32_e32 v9, v38, v9
	v_add_f32_e32 v13, v13, v9
	v_lshlrev_b32_e32 v9, 16, v63
	v_lshlrev_b32_e32 v38, 16, v62
	v_mul_f32_e32 v9, v0, v9
	v_mul_f32_e32 v38, v2, v38
	v_cvt_pk_bf16_f32 v9, v9, s0
	v_cvt_pk_bf16_f32 v38, v38, s0
	v_lshlrev_b32_e32 v38, 16, v38
	v_lshlrev_b32_e32 v9, 16, v9
	v_add_f32_e32 v9, v38, v9
	v_lshlrev_b32_e32 v38, 16, v61
	v_lshlrev_b32_e32 v60, 16, v60
	v_mul_f32_e32 v38, v3, v38
	v_mul_f32_e32 v60, v5, v60
	v_cvt_pk_bf16_f32 v38, v38, s0
	v_cvt_pk_bf16_f32 v60, v60, s0
	v_lshlrev_b32_e32 v60, 16, v60
	v_lshlrev_b32_e32 v38, 16, v38
	v_add_f32_e32 v38, v60, v38
	v_add_f32_e32 v9, v38, v9
	v_lshlrev_b32_e32 v38, 16, v59
	v_lshlrev_b32_e32 v58, 16, v58
	v_mul_f32_e32 v38, v4, v38
	v_mul_f32_e32 v58, v7, v58
	v_cvt_pk_bf16_f32 v38, v38, s0
	v_cvt_pk_bf16_f32 v58, v58, s0
	v_lshlrev_b32_e32 v58, 16, v58
	v_lshlrev_b32_e32 v38, 16, v38
	v_add_f32_e32 v38, v58, v38
	v_add_f32_e32 v9, v38, v9
	v_lshlrev_b32_e32 v38, 16, v57
	v_lshlrev_b32_e32 v56, 16, v56
	v_mul_f32_e32 v38, v6, v38
	v_mul_f32_e32 v56, v8, v56
	v_cvt_pk_bf16_f32 v38, v38, s0
	v_cvt_pk_bf16_f32 v56, v56, s0
	v_lshlrev_b32_e32 v56, 16, v56
	v_lshlrev_b32_e32 v38, 16, v38
	v_add_f32_e32 v38, v56, v38
	;; [unrolled: 40-line block ×3, first 2 shown]
	v_add_f32_e32 v9, v38, v9
	v_add_f32_e32 v15, v15, v9
	v_lshlrev_b32_e32 v9, 16, v27
	v_lshlrev_b32_e32 v26, 16, v26
	v_mul_f32_e32 v9, v0, v9
	v_mul_f32_e32 v26, v2, v26
	v_cvt_pk_bf16_f32 v9, v9, s0
	v_cvt_pk_bf16_f32 v26, v26, s0
	v_lshlrev_b32_e32 v26, 16, v26
	v_lshlrev_b32_e32 v9, 16, v9
	v_add_f32_e32 v9, v26, v9
	v_lshlrev_b32_e32 v26, 16, v29
	v_lshlrev_b32_e32 v27, 16, v28
	v_mul_f32_e32 v26, v3, v26
	v_mul_f32_e32 v27, v5, v27
	v_cvt_pk_bf16_f32 v26, v26, s0
	v_cvt_pk_bf16_f32 v27, v27, s0
	v_lshlrev_b32_e32 v28, 16, v33
	v_lshlrev_b32_e32 v29, 16, v32
	v_mul_f32_e32 v28, v4, v28
	v_mul_f32_e32 v29, v7, v29
	v_lshlrev_b32_e32 v27, 16, v27
	v_lshlrev_b32_e32 v26, 16, v26
	v_cvt_pk_bf16_f32 v28, v28, s0
	v_cvt_pk_bf16_f32 v29, v29, s0
	v_lshlrev_b32_e32 v32, 16, v40
	v_lshlrev_b32_e32 v33, 16, v39
	v_add_f32_e32 v26, v27, v26
	v_mul_f32_e32 v32, v6, v32
	v_mul_f32_e32 v33, v8, v33
	v_add_f32_e32 v9, v26, v9
	v_lshlrev_b32_e32 v26, 16, v29
	v_lshlrev_b32_e32 v27, 16, v28
	v_cvt_pk_bf16_f32 v32, v32, s0
	v_cvt_pk_bf16_f32 v33, v33, s0
	v_add_f32_e32 v26, v26, v27
	v_add_f32_e32 v9, v26, v9
	v_lshlrev_b32_e32 v26, 16, v33
	v_lshlrev_b32_e32 v27, 16, v32
	v_add_f32_e32 v26, v26, v27
	v_add_f32_e32 v9, v26, v9
	v_add_f32_e32 v14, v14, v9
	v_lshlrev_b32_e32 v1, 16, v1
	v_lshlrev_b32_e32 v9, 16, v41
	v_mul_f32_e32 v1, v0, v1
	v_mul_f32_e32 v9, v2, v9
	v_lshlrev_b32_e32 v26, 16, v127
	v_lshlrev_b32_e32 v27, 16, v126
	v_cvt_pk_bf16_f32 v1, v1, s0
	v_cvt_pk_bf16_f32 v9, v9, s0
	v_mul_f32_e32 v26, v3, v26
	v_mul_f32_e32 v27, v5, v27
	v_cvt_pk_bf16_f32 v26, v26, s0
	v_cvt_pk_bf16_f32 v27, v27, s0
	v_lshlrev_b32_e32 v28, 16, v125
	v_lshlrev_b32_e32 v29, 16, v124
	v_lshlrev_b32_e32 v9, 16, v9
	v_lshlrev_b32_e32 v1, 16, v1
	v_mul_f32_e32 v28, v4, v28
	v_mul_f32_e32 v29, v7, v29
	v_add_f32_e32 v1, v9, v1
	v_lshlrev_b32_e32 v9, 16, v27
	v_lshlrev_b32_e32 v26, 16, v26
	v_cvt_pk_bf16_f32 v28, v28, s0
	v_cvt_pk_bf16_f32 v29, v29, s0
	v_lshlrev_b32_e32 v32, 16, v123
	v_lshlrev_b32_e32 v33, 16, v122
	v_add_f32_e32 v9, v9, v26
	v_mul_f32_e32 v32, v6, v32
	v_mul_f32_e32 v33, v8, v33
	v_add_f32_e32 v1, v9, v1
	v_lshlrev_b32_e32 v9, 16, v29
	v_lshlrev_b32_e32 v26, 16, v28
	v_cvt_pk_bf16_f32 v32, v32, s0
	v_cvt_pk_bf16_f32 v33, v33, s0
	v_add_f32_e32 v9, v9, v26
	v_add_f32_e32 v1, v9, v1
	v_lshlrev_b32_e32 v9, 16, v33
	v_lshlrev_b32_e32 v26, 16, v32
	v_add_f32_e32 v9, v9, v26
	v_add_f32_e32 v1, v9, v1
	v_add_f32_e32 v17, v17, v1
	v_lshlrev_b32_e32 v1, 16, v121
	v_lshlrev_b32_e32 v9, 16, v120
	v_mul_f32_e32 v1, v0, v1
	v_mul_f32_e32 v9, v2, v9
	v_lshlrev_b32_e32 v26, 16, v119
	v_lshlrev_b32_e32 v27, 16, v118
	v_cvt_pk_bf16_f32 v1, v1, s0
	v_cvt_pk_bf16_f32 v9, v9, s0
	v_mul_f32_e32 v26, v3, v26
	v_mul_f32_e32 v27, v5, v27
	v_cvt_pk_bf16_f32 v26, v26, s0
	v_cvt_pk_bf16_f32 v27, v27, s0
	v_lshlrev_b32_e32 v28, 16, v117
	v_lshlrev_b32_e32 v29, 16, v116
	v_lshlrev_b32_e32 v9, 16, v9
	v_lshlrev_b32_e32 v1, 16, v1
	v_mul_f32_e32 v28, v4, v28
	v_mul_f32_e32 v29, v7, v29
	v_add_f32_e32 v1, v9, v1
	;; [unrolled: 40-line block ×5, first 2 shown]
	v_lshlrev_b32_e32 v9, 16, v27
	v_lshlrev_b32_e32 v26, 16, v26
	v_cvt_pk_bf16_f32 v28, v28, s0
	v_cvt_pk_bf16_f32 v29, v29, s0
	v_lshlrev_b32_e32 v32, 16, v90
	v_lshlrev_b32_e32 v33, 16, v86
	v_add_f32_e32 v9, v9, v26
	v_mul_f32_e32 v32, v6, v32
	v_mul_f32_e32 v33, v8, v33
	v_add_f32_e32 v1, v9, v1
	v_lshlrev_b32_e32 v9, 16, v29
	v_lshlrev_b32_e32 v26, 16, v28
	v_cvt_pk_bf16_f32 v32, v32, s0
	v_cvt_pk_bf16_f32 v33, v33, s0
	v_add_f32_e32 v9, v9, v26
	v_add_f32_e32 v1, v9, v1
	v_lshlrev_b32_e32 v9, 16, v33
	v_lshlrev_b32_e32 v26, 16, v32
	v_add_f32_e32 v9, v9, v26
	v_add_f32_e32 v1, v9, v1
	scratch_load_dword v9, off, off offset:152 ; 4-byte Folded Reload
	scratch_load_dword v26, off, off offset:148 ; 4-byte Folded Reload
	;; [unrolled: 1-line block ×7, first 2 shown]
	v_add_f32_e32 v21, v21, v1
	v_lshlrev_b32_e32 v1, 16, v83
	v_mul_f32_e32 v1, v0, v1
	v_cvt_pk_bf16_f32 v1, v1, s0
	v_lshlrev_b32_e32 v1, 16, v1
	v_add_u32_e32 v42, 64, v42
	v_add_u32_e32 v43, 0x100, v43
	v_lshl_add_u64 v[30:31], v[30:31], 0, 8
	s_waitcnt vmcnt(6)
	v_lshlrev_b32_e32 v9, 16, v9
	v_mul_f32_e32 v9, v2, v9
	s_waitcnt vmcnt(5)
	v_lshlrev_b32_e32 v26, 16, v26
	s_waitcnt vmcnt(4)
	v_lshlrev_b32_e32 v27, 16, v27
	v_cvt_pk_bf16_f32 v9, v9, s0
	v_mul_f32_e32 v26, v3, v26
	v_mul_f32_e32 v27, v5, v27
	v_cvt_pk_bf16_f32 v26, v26, s0
	v_cvt_pk_bf16_f32 v27, v27, s0
	s_waitcnt vmcnt(3)
	v_lshlrev_b32_e32 v28, 16, v28
	s_waitcnt vmcnt(2)
	v_lshlrev_b32_e32 v29, 16, v29
	v_lshlrev_b32_e32 v9, 16, v9
	v_mul_f32_e32 v28, v4, v28
	v_mul_f32_e32 v29, v7, v29
	v_add_f32_e32 v1, v9, v1
	v_lshlrev_b32_e32 v9, 16, v27
	v_lshlrev_b32_e32 v26, 16, v26
	v_cvt_pk_bf16_f32 v28, v28, s0
	v_cvt_pk_bf16_f32 v29, v29, s0
	s_waitcnt vmcnt(1)
	v_lshlrev_b32_e32 v32, 16, v32
	s_waitcnt vmcnt(0)
	v_lshlrev_b32_e32 v33, 16, v33
	v_add_f32_e32 v9, v9, v26
	v_mul_f32_e32 v32, v6, v32
	v_mul_f32_e32 v33, v8, v33
	v_add_f32_e32 v1, v9, v1
	v_lshlrev_b32_e32 v9, 16, v29
	v_lshlrev_b32_e32 v26, 16, v28
	v_cvt_pk_bf16_f32 v32, v32, s0
	v_cvt_pk_bf16_f32 v33, v33, s0
	v_add_f32_e32 v9, v9, v26
	v_add_f32_e32 v1, v9, v1
	v_lshlrev_b32_e32 v9, 16, v33
	v_lshlrev_b32_e32 v26, 16, v32
	v_add_f32_e32 v9, v9, v26
	v_add_f32_e32 v1, v9, v1
	v_add_f32_e32 v20, v20, v1
	scratch_load_dword v1, off, off offset:124 ; 4-byte Folded Reload
	scratch_load_dword v9, off, off offset:120 ; 4-byte Folded Reload
	scratch_load_dword v26, off, off offset:116 ; 4-byte Folded Reload
	scratch_load_dword v27, off, off offset:112 ; 4-byte Folded Reload
	scratch_load_dword v28, off, off offset:108 ; 4-byte Folded Reload
	scratch_load_dword v29, off, off offset:104 ; 4-byte Folded Reload
	scratch_load_dword v32, off, off offset:100 ; 4-byte Folded Reload
	scratch_load_dword v33, off, off offset:96 ; 4-byte Folded Reload
	s_waitcnt vmcnt(7)
	v_lshlrev_b32_e32 v1, 16, v1
	s_waitcnt vmcnt(6)
	v_lshlrev_b32_e32 v9, 16, v9
	v_mul_f32_e32 v1, v0, v1
	v_mul_f32_e32 v9, v2, v9
	s_waitcnt vmcnt(5)
	v_lshlrev_b32_e32 v26, 16, v26
	s_waitcnt vmcnt(4)
	v_lshlrev_b32_e32 v27, 16, v27
	v_cvt_pk_bf16_f32 v1, v1, s0
	v_cvt_pk_bf16_f32 v9, v9, s0
	v_mul_f32_e32 v26, v3, v26
	v_mul_f32_e32 v27, v5, v27
	v_cvt_pk_bf16_f32 v26, v26, s0
	v_cvt_pk_bf16_f32 v27, v27, s0
	s_waitcnt vmcnt(3)
	v_lshlrev_b32_e32 v28, 16, v28
	s_waitcnt vmcnt(2)
	v_lshlrev_b32_e32 v29, 16, v29
	v_lshlrev_b32_e32 v9, 16, v9
	v_lshlrev_b32_e32 v1, 16, v1
	v_mul_f32_e32 v28, v4, v28
	v_mul_f32_e32 v29, v7, v29
	v_add_f32_e32 v1, v9, v1
	v_lshlrev_b32_e32 v9, 16, v27
	v_lshlrev_b32_e32 v26, 16, v26
	v_cvt_pk_bf16_f32 v28, v28, s0
	v_cvt_pk_bf16_f32 v29, v29, s0
	s_waitcnt vmcnt(1)
	v_lshlrev_b32_e32 v32, 16, v32
	s_waitcnt vmcnt(0)
	v_lshlrev_b32_e32 v33, 16, v33
	v_add_f32_e32 v9, v9, v26
	v_mul_f32_e32 v32, v6, v32
	v_mul_f32_e32 v33, v8, v33
	v_add_f32_e32 v1, v9, v1
	v_lshlrev_b32_e32 v9, 16, v29
	v_lshlrev_b32_e32 v26, 16, v28
	v_cvt_pk_bf16_f32 v32, v32, s0
	v_cvt_pk_bf16_f32 v33, v33, s0
	v_add_f32_e32 v9, v9, v26
	v_add_f32_e32 v1, v9, v1
	v_lshlrev_b32_e32 v9, 16, v33
	v_lshlrev_b32_e32 v26, 16, v32
	v_add_f32_e32 v9, v9, v26
	v_add_f32_e32 v1, v9, v1
	v_add_f32_e32 v23, v23, v1
	scratch_load_dword v1, off, off offset:92 ; 4-byte Folded Reload
	scratch_load_dword v9, off, off offset:88 ; 4-byte Folded Reload
	scratch_load_dword v26, off, off offset:84 ; 4-byte Folded Reload
	scratch_load_dword v27, off, off offset:80 ; 4-byte Folded Reload
	scratch_load_dword v28, off, off offset:76 ; 4-byte Folded Reload
	scratch_load_dword v29, off, off offset:72 ; 4-byte Folded Reload
	scratch_load_dword v32, off, off offset:68 ; 4-byte Folded Reload
	scratch_load_dword v33, off, off offset:64 ; 4-byte Folded Reload
	s_waitcnt vmcnt(7)
	v_lshlrev_b32_e32 v1, 16, v1
	s_waitcnt vmcnt(6)
	v_lshlrev_b32_e32 v9, 16, v9
	v_mul_f32_e32 v1, v0, v1
	v_mul_f32_e32 v9, v2, v9
	s_waitcnt vmcnt(5)
	v_lshlrev_b32_e32 v26, 16, v26
	s_waitcnt vmcnt(4)
	v_lshlrev_b32_e32 v27, 16, v27
	v_cvt_pk_bf16_f32 v1, v1, s0
	v_cvt_pk_bf16_f32 v9, v9, s0
	v_mul_f32_e32 v26, v3, v26
	v_mul_f32_e32 v27, v5, v27
	v_cvt_pk_bf16_f32 v26, v26, s0
	v_cvt_pk_bf16_f32 v27, v27, s0
	s_waitcnt vmcnt(3)
	v_lshlrev_b32_e32 v28, 16, v28
	s_waitcnt vmcnt(2)
	v_lshlrev_b32_e32 v29, 16, v29
	;; [unrolled: 56-line block ×3, first 2 shown]
	v_lshlrev_b32_e32 v9, 16, v9
	v_lshlrev_b32_e32 v1, 16, v1
	v_mul_f32_e32 v28, v4, v28
	v_mul_f32_e32 v29, v7, v29
	v_add_f32_e32 v1, v9, v1
	v_lshlrev_b32_e32 v9, 16, v27
	v_lshlrev_b32_e32 v26, 16, v26
	v_cvt_pk_bf16_f32 v28, v28, s0
	v_cvt_pk_bf16_f32 v29, v29, s0
	s_waitcnt vmcnt(1)
	v_lshlrev_b32_e32 v32, 16, v32
	s_waitcnt vmcnt(0)
	v_lshlrev_b32_e32 v33, 16, v33
	v_add_f32_e32 v9, v9, v26
	v_mul_f32_e32 v32, v6, v32
	v_mul_f32_e32 v33, v8, v33
	v_add_f32_e32 v1, v9, v1
	v_lshlrev_b32_e32 v9, 16, v29
	v_lshlrev_b32_e32 v26, 16, v28
	v_cvt_pk_bf16_f32 v32, v32, s0
	v_cvt_pk_bf16_f32 v33, v33, s0
	v_add_f32_e32 v9, v9, v26
	v_add_f32_e32 v1, v9, v1
	v_lshlrev_b32_e32 v9, 16, v33
	v_lshlrev_b32_e32 v26, 16, v32
	v_add_f32_e32 v9, v9, v26
	v_add_f32_e32 v1, v9, v1
	v_add_f32_e32 v25, v25, v1
	scratch_load_dword v1, off, off offset:28 ; 4-byte Folded Reload
	scratch_load_dword v9, off, off offset:24 ; 4-byte Folded Reload
	;; [unrolled: 1-line block ×7, first 2 shown]
	scratch_load_dword v33, off, off        ; 4-byte Folded Reload
	s_waitcnt vmcnt(7)
	v_lshlrev_b32_e32 v1, 16, v1
	s_waitcnt vmcnt(6)
	v_lshlrev_b32_e32 v9, 16, v9
	v_mul_f32_e32 v1, v0, v1
	v_mul_f32_e32 v9, v2, v9
	s_waitcnt vmcnt(5)
	v_lshlrev_b32_e32 v26, 16, v26
	s_waitcnt vmcnt(4)
	v_lshlrev_b32_e32 v27, 16, v27
	v_cvt_pk_bf16_f32 v1, v1, s0
	v_cvt_pk_bf16_f32 v9, v9, s0
	v_mul_f32_e32 v26, v3, v26
	v_mul_f32_e32 v27, v5, v27
	v_cvt_pk_bf16_f32 v26, v26, s0
	v_cvt_pk_bf16_f32 v27, v27, s0
	s_waitcnt vmcnt(3)
	v_lshlrev_b32_e32 v28, 16, v28
	s_waitcnt vmcnt(2)
	v_lshlrev_b32_e32 v29, 16, v29
	v_lshlrev_b32_e32 v9, 16, v9
	;; [unrolled: 1-line block ×3, first 2 shown]
	v_mul_f32_e32 v28, v4, v28
	v_mul_f32_e32 v29, v7, v29
	v_add_f32_e32 v1, v9, v1
	v_lshlrev_b32_e32 v9, 16, v27
	v_lshlrev_b32_e32 v26, 16, v26
	v_cvt_pk_bf16_f32 v28, v28, s0
	v_cvt_pk_bf16_f32 v29, v29, s0
	s_waitcnt vmcnt(0)
	v_lshlrev_b32_e32 v33, 16, v33
	v_add_f32_e32 v9, v9, v26
	v_mul_f32_e32 v33, v8, v33
	v_add_f32_e32 v1, v9, v1
	v_lshlrev_b32_e32 v9, 16, v29
	v_lshlrev_b32_e32 v26, 16, v28
	v_cvt_pk_bf16_f32 v33, v33, s0
	v_add_f32_e32 v9, v9, v26
	v_add_f32_e32 v1, v9, v1
	v_lshlrev_b32_e32 v9, 16, v33
	scratch_load_dword v33, off, off offset:156 ; 4-byte Folded Reload
	v_lshlrev_b32_e32 v32, 16, v32
	v_mul_f32_e32 v32, v6, v32
	v_cvt_pk_bf16_f32 v32, v32, s0
	v_lshlrev_b32_e32 v26, 16, v32
	v_add_f32_e32 v9, v9, v26
	v_add_f32_e32 v1, v9, v1
	;; [unrolled: 1-line block ×3, first 2 shown]
	v_lshlrev_b32_e32 v1, 16, v47
	v_mul_f32_e32 v1, v2, v1
	v_cvt_pk_bf16_f32 v2, v1, s0
	v_lshlrev_b32_e32 v1, 16, v46
	v_mul_f32_e32 v0, v0, v1
	v_lshlrev_b32_e32 v1, 16, v45
	v_mul_f32_e32 v1, v5, v1
	v_cvt_pk_bf16_f32 v5, v1, s0
	v_lshlrev_b32_e32 v1, 16, v44
	v_mul_f32_e32 v1, v3, v1
	v_cvt_pk_bf16_f32 v9, v1, s0
	;; [unrolled: 3-line block ×5, first 2 shown]
	v_lshlrev_b32_e32 v1, 16, v34
	v_cvt_pk_bf16_f32 v0, v0, s0
	v_mul_f32_e32 v1, v6, v1
	v_cvt_pk_bf16_f32 v6, v1, s0
	v_lshlrev_b32_e32 v1, 16, v0
	v_lshlrev_b32_e32 v3, 16, v2
	;; [unrolled: 1-line block ×4, first 2 shown]
	v_pk_add_f32 v[0:1], v[2:3], v[0:1]
	v_lshlrev_b32_e32 v3, 16, v4
	v_lshlrev_b32_e32 v5, 16, v7
	;; [unrolled: 1-line block ×4, first 2 shown]
	v_pk_add_f32 v[2:3], v[4:5], v[2:3]
	v_add_f32_e32 v0, v0, v1
	v_add_f32_e32 v0, v3, v0
	;; [unrolled: 1-line block ×4, first 2 shown]
	s_waitcnt vmcnt(0)
	v_add_u32_e32 v33, 2, v33
	v_cmp_le_i32_e32 vcc, s23, v33
	s_or_b64 s[8:9], vcc, s[8:9]
	s_andn2_b64 exec, exec, s[8:9]
	s_cbranch_execz .LBB325_72
.LBB325_40:                             ; =>This Inner Loop Header: Depth=1
	global_load_dword v0, v[30:31], off
	scratch_load_dwordx2 v[2:3], off, off offset:176 ; 8-byte Folded Reload
	v_add_u32_e32 v89, -6, v42
	v_add_u32_e32 v88, -5, v42
	;; [unrolled: 1-line block ×6, first 2 shown]
	s_waitcnt vmcnt(0)
	v_mad_i64_i32 v[34:35], s[2:3], v0, s13, v[2:3]
	scratch_load_dwordx2 v[0:1], off, off offset:160 ; 8-byte Folded Reload
	v_cmp_eq_u32_e64 s[2:3], s15, v33
	s_waitcnt vmcnt(0)
	v_lshl_add_u64 v[36:37], v[34:35], 0, v[0:1]
	global_load_dwordx2 v[26:27], v[36:37], off
	ds_read2_b64 v[6:9], v43 offset1:1
	ds_read2_b64 v[2:5], v43 offset0:2 offset1:3
	scratch_store_dword off, v33, off offset:156 ; 4-byte Folded Spill
	v_add_u32_e32 v0, -7, v42
	s_waitcnt vmcnt(1)
	v_and_b32_e32 v1, 0xff, v26
	v_bfe_u32 v28, v26, 8, 8
	v_cvt_f32_fp8_e32 v1, v1
	v_bfe_u32 v29, v26, 16, 8
	v_cvt_f32_fp8_e32 v28, v28
	v_lshrrev_b32_e32 v26, 24, v26
	v_cvt_f32_fp8_e32 v29, v29
	v_and_b32_e32 v32, 0xff, v27
	v_cvt_f32_fp8_e32 v26, v26
	v_bfe_u32 v33, v27, 8, 8
	v_cvt_f32_fp8_e32 v32, v32
	s_waitcnt lgkmcnt(0)
	v_mul_f32_e32 v1, s14, v1
	v_bfe_u32 v38, v27, 16, 8
	v_cvt_f32_fp8_e32 v33, v33
	v_mul_f32_e32 v28, s14, v28
	v_cvt_pk_bf16_f32 v1, v1, s0
	v_lshrrev_b32_e32 v27, 24, v27
	v_cvt_f32_fp8_e32 v38, v38
	v_mul_f32_e32 v29, s14, v29
	scratch_store_dword off, v1, off offset:24 ; 4-byte Folded Spill
	v_cvt_pk_bf16_f32 v1, v28, s0
	v_cvt_f32_fp8_e32 v27, v27
	v_mul_f32_e32 v26, s14, v26
	scratch_store_dword off, v1, off offset:28 ; 4-byte Folded Spill
	v_cvt_pk_bf16_f32 v1, v29, s0
	v_mul_f32_e32 v32, s14, v32
	scratch_store_dword off, v1, off offset:16 ; 4-byte Folded Spill
	v_cvt_pk_bf16_f32 v1, v26, s0
	;; [unrolled: 3-line block ×5, first 2 shown]
	scratch_store_dword off, v1, off        ; 4-byte Folded Spill
	v_cvt_pk_bf16_f32 v1, v27, s0
	scratch_store_dword off, v1, off offset:4 ; 4-byte Folded Spill
	s_and_saveexec_b64 s[10:11], s[2:3]
	s_cbranch_execz .LBB325_42
; %bb.41:                               ;   in Loop: Header=BB325_40 Depth=1
	scratch_load_dword v1, off, off offset:24 ; 4-byte Folded Reload
	v_cmp_gt_i32_e32 vcc, s21, v0
	s_waitcnt vmcnt(0)
	s_nop 0
	v_cndmask_b32_e32 v1, 0, v1, vcc
	scratch_store_dword off, v1, off offset:24 ; 4-byte Folded Spill
	scratch_load_dword v1, off, off offset:28 ; 4-byte Folded Reload
	v_cmp_gt_i32_e32 vcc, s21, v89
	s_waitcnt vmcnt(0)
	s_nop 0
	v_cndmask_b32_e32 v1, 0, v1, vcc
	scratch_store_dword off, v1, off offset:28 ; 4-byte Folded Spill
	scratch_load_dword v1, off, off offset:16 ; 4-byte Folded Reload
	v_cmp_gt_i32_e32 vcc, s21, v88
	s_waitcnt vmcnt(0)
	s_nop 0
	v_cndmask_b32_e32 v1, 0, v1, vcc
	scratch_store_dword off, v1, off offset:16 ; 4-byte Folded Spill
	scratch_load_dword v1, off, off offset:20 ; 4-byte Folded Reload
	v_cmp_gt_i32_e32 vcc, s21, v87
	s_waitcnt vmcnt(0)
	s_nop 0
	v_cndmask_b32_e32 v1, 0, v1, vcc
	scratch_store_dword off, v1, off offset:20 ; 4-byte Folded Spill
	scratch_load_dword v1, off, off offset:8 ; 4-byte Folded Reload
	v_cmp_gt_i32_e32 vcc, s21, v85
	s_waitcnt vmcnt(0)
	s_nop 0
	v_cndmask_b32_e32 v1, 0, v1, vcc
	scratch_store_dword off, v1, off offset:8 ; 4-byte Folded Spill
	scratch_load_dword v1, off, off offset:12 ; 4-byte Folded Reload
	v_cmp_gt_i32_e32 vcc, s21, v84
	s_waitcnt vmcnt(0)
	s_nop 0
	v_cndmask_b32_e32 v1, 0, v1, vcc
	scratch_store_dword off, v1, off offset:12 ; 4-byte Folded Spill
	scratch_load_dword v1, off, off         ; 4-byte Folded Reload
	v_cmp_gt_i32_e32 vcc, s21, v97
	s_waitcnt vmcnt(0)
	s_nop 0
	v_cndmask_b32_e32 v1, 0, v1, vcc
	scratch_store_dword off, v1, off        ; 4-byte Folded Spill
	scratch_load_dword v1, off, off offset:4 ; 4-byte Folded Reload
	v_cmp_gt_i32_e32 vcc, s21, v42
	s_waitcnt vmcnt(0)
	s_nop 0
	v_cndmask_b32_e32 v1, 0, v1, vcc
	scratch_store_dword off, v1, off offset:4 ; 4-byte Folded Spill
.LBB325_42:                             ;   in Loop: Header=BB325_40 Depth=1
	s_or_b64 exec, exec, s[10:11]
	global_load_dwordx2 v[26:27], v[36:37], off offset:512
	s_waitcnt vmcnt(0)
	v_and_b32_e32 v1, 0xff, v26
	v_bfe_u32 v28, v26, 8, 8
	v_cvt_f32_fp8_e32 v1, v1
	v_bfe_u32 v29, v26, 16, 8
	v_cvt_f32_fp8_e32 v28, v28
	v_lshrrev_b32_e32 v26, 24, v26
	v_cvt_f32_fp8_e32 v29, v29
	v_and_b32_e32 v32, 0xff, v27
	v_cvt_f32_fp8_e32 v26, v26
	v_bfe_u32 v33, v27, 8, 8
	v_cvt_f32_fp8_e32 v32, v32
	v_mul_f32_e32 v1, s14, v1
	v_bfe_u32 v38, v27, 16, 8
	v_cvt_f32_fp8_e32 v33, v33
	v_mul_f32_e32 v28, s14, v28
	v_cvt_pk_bf16_f32 v1, v1, s0
	v_lshrrev_b32_e32 v27, 24, v27
	v_cvt_f32_fp8_e32 v38, v38
	v_mul_f32_e32 v29, s14, v29
	scratch_store_dword off, v1, off offset:56 ; 4-byte Folded Spill
	v_cvt_pk_bf16_f32 v1, v28, s0
	v_cvt_f32_fp8_e32 v27, v27
	v_mul_f32_e32 v26, s14, v26
	scratch_store_dword off, v1, off offset:60 ; 4-byte Folded Spill
	v_cvt_pk_bf16_f32 v1, v29, s0
	v_mul_f32_e32 v32, s14, v32
	scratch_store_dword off, v1, off offset:48 ; 4-byte Folded Spill
	v_cvt_pk_bf16_f32 v1, v26, s0
	;; [unrolled: 3-line block ×5, first 2 shown]
	scratch_store_dword off, v1, off offset:32 ; 4-byte Folded Spill
	v_cvt_pk_bf16_f32 v1, v27, s0
	scratch_store_dword off, v1, off offset:36 ; 4-byte Folded Spill
	s_and_saveexec_b64 s[10:11], s[2:3]
	s_cbranch_execz .LBB325_44
; %bb.43:                               ;   in Loop: Header=BB325_40 Depth=1
	scratch_load_dword v1, off, off offset:56 ; 4-byte Folded Reload
	v_cmp_gt_i32_e32 vcc, s21, v0
	s_waitcnt vmcnt(0)
	s_nop 0
	v_cndmask_b32_e32 v1, 0, v1, vcc
	scratch_store_dword off, v1, off offset:56 ; 4-byte Folded Spill
	scratch_load_dword v1, off, off offset:60 ; 4-byte Folded Reload
	v_cmp_gt_i32_e32 vcc, s21, v89
	s_waitcnt vmcnt(0)
	s_nop 0
	v_cndmask_b32_e32 v1, 0, v1, vcc
	scratch_store_dword off, v1, off offset:60 ; 4-byte Folded Spill
	;; [unrolled: 6-line block ×8, first 2 shown]
.LBB325_44:                             ;   in Loop: Header=BB325_40 Depth=1
	s_or_b64 exec, exec, s[10:11]
	global_load_dwordx2 v[26:27], v[36:37], off offset:1024
	s_waitcnt vmcnt(0)
	v_and_b32_e32 v1, 0xff, v26
	v_bfe_u32 v28, v26, 8, 8
	v_cvt_f32_fp8_e32 v1, v1
	v_bfe_u32 v29, v26, 16, 8
	v_cvt_f32_fp8_e32 v28, v28
	v_lshrrev_b32_e32 v26, 24, v26
	v_cvt_f32_fp8_e32 v29, v29
	v_and_b32_e32 v32, 0xff, v27
	v_cvt_f32_fp8_e32 v26, v26
	v_bfe_u32 v33, v27, 8, 8
	v_cvt_f32_fp8_e32 v32, v32
	v_mul_f32_e32 v1, s14, v1
	v_bfe_u32 v38, v27, 16, 8
	v_cvt_f32_fp8_e32 v33, v33
	v_mul_f32_e32 v28, s14, v28
	v_cvt_pk_bf16_f32 v1, v1, s0
	v_lshrrev_b32_e32 v27, 24, v27
	v_cvt_f32_fp8_e32 v38, v38
	v_mul_f32_e32 v29, s14, v29
	scratch_store_dword off, v1, off offset:88 ; 4-byte Folded Spill
	v_cvt_pk_bf16_f32 v1, v28, s0
	v_cvt_f32_fp8_e32 v27, v27
	v_mul_f32_e32 v26, s14, v26
	scratch_store_dword off, v1, off offset:92 ; 4-byte Folded Spill
	v_cvt_pk_bf16_f32 v1, v29, s0
	v_mul_f32_e32 v32, s14, v32
	scratch_store_dword off, v1, off offset:80 ; 4-byte Folded Spill
	v_cvt_pk_bf16_f32 v1, v26, s0
	v_mul_f32_e32 v33, s14, v33
	scratch_store_dword off, v1, off offset:84 ; 4-byte Folded Spill
	v_cvt_pk_bf16_f32 v1, v32, s0
	v_mul_f32_e32 v38, s14, v38
	scratch_store_dword off, v1, off offset:72 ; 4-byte Folded Spill
	v_cvt_pk_bf16_f32 v1, v33, s0
	v_mul_f32_e32 v27, s14, v27
	scratch_store_dword off, v1, off offset:76 ; 4-byte Folded Spill
	v_cvt_pk_bf16_f32 v1, v38, s0
	scratch_store_dword off, v1, off offset:64 ; 4-byte Folded Spill
	v_cvt_pk_bf16_f32 v1, v27, s0
	scratch_store_dword off, v1, off offset:68 ; 4-byte Folded Spill
	s_and_saveexec_b64 s[10:11], s[2:3]
	s_cbranch_execz .LBB325_46
; %bb.45:                               ;   in Loop: Header=BB325_40 Depth=1
	scratch_load_dword v1, off, off offset:88 ; 4-byte Folded Reload
	v_cmp_gt_i32_e32 vcc, s21, v0
	s_waitcnt vmcnt(0)
	s_nop 0
	v_cndmask_b32_e32 v1, 0, v1, vcc
	scratch_store_dword off, v1, off offset:88 ; 4-byte Folded Spill
	scratch_load_dword v1, off, off offset:92 ; 4-byte Folded Reload
	v_cmp_gt_i32_e32 vcc, s21, v89
	s_waitcnt vmcnt(0)
	s_nop 0
	v_cndmask_b32_e32 v1, 0, v1, vcc
	scratch_store_dword off, v1, off offset:92 ; 4-byte Folded Spill
	;; [unrolled: 6-line block ×8, first 2 shown]
.LBB325_46:                             ;   in Loop: Header=BB325_40 Depth=1
	s_or_b64 exec, exec, s[10:11]
	global_load_dwordx2 v[26:27], v[36:37], off offset:1536
	s_waitcnt vmcnt(0)
	v_and_b32_e32 v1, 0xff, v26
	v_bfe_u32 v28, v26, 8, 8
	v_cvt_f32_fp8_e32 v1, v1
	v_bfe_u32 v29, v26, 16, 8
	v_cvt_f32_fp8_e32 v28, v28
	v_lshrrev_b32_e32 v26, 24, v26
	v_cvt_f32_fp8_e32 v29, v29
	v_and_b32_e32 v32, 0xff, v27
	v_cvt_f32_fp8_e32 v26, v26
	v_bfe_u32 v33, v27, 8, 8
	v_cvt_f32_fp8_e32 v32, v32
	v_mul_f32_e32 v1, s14, v1
	v_bfe_u32 v38, v27, 16, 8
	v_cvt_f32_fp8_e32 v33, v33
	v_mul_f32_e32 v28, s14, v28
	v_cvt_pk_bf16_f32 v1, v1, s0
	v_lshrrev_b32_e32 v27, 24, v27
	v_cvt_f32_fp8_e32 v38, v38
	v_mul_f32_e32 v29, s14, v29
	scratch_store_dword off, v1, off offset:120 ; 4-byte Folded Spill
	v_cvt_pk_bf16_f32 v1, v28, s0
	v_cvt_f32_fp8_e32 v27, v27
	v_mul_f32_e32 v26, s14, v26
	scratch_store_dword off, v1, off offset:124 ; 4-byte Folded Spill
	v_cvt_pk_bf16_f32 v1, v29, s0
	v_mul_f32_e32 v32, s14, v32
	scratch_store_dword off, v1, off offset:112 ; 4-byte Folded Spill
	v_cvt_pk_bf16_f32 v1, v26, s0
	;; [unrolled: 3-line block ×5, first 2 shown]
	scratch_store_dword off, v1, off offset:96 ; 4-byte Folded Spill
	v_cvt_pk_bf16_f32 v1, v27, s0
	scratch_store_dword off, v1, off offset:100 ; 4-byte Folded Spill
	s_and_saveexec_b64 s[10:11], s[2:3]
	s_cbranch_execz .LBB325_48
; %bb.47:                               ;   in Loop: Header=BB325_40 Depth=1
	scratch_load_dword v1, off, off offset:120 ; 4-byte Folded Reload
	v_cmp_gt_i32_e32 vcc, s21, v0
	s_waitcnt vmcnt(0)
	s_nop 0
	v_cndmask_b32_e32 v1, 0, v1, vcc
	scratch_store_dword off, v1, off offset:120 ; 4-byte Folded Spill
	scratch_load_dword v1, off, off offset:124 ; 4-byte Folded Reload
	v_cmp_gt_i32_e32 vcc, s21, v89
	s_waitcnt vmcnt(0)
	s_nop 0
	v_cndmask_b32_e32 v1, 0, v1, vcc
	scratch_store_dword off, v1, off offset:124 ; 4-byte Folded Spill
	;; [unrolled: 6-line block ×8, first 2 shown]
.LBB325_48:                             ;   in Loop: Header=BB325_40 Depth=1
	s_or_b64 exec, exec, s[10:11]
	global_load_dwordx2 v[26:27], v[36:37], off offset:2048
	s_waitcnt vmcnt(0)
	v_and_b32_e32 v1, 0xff, v26
	v_bfe_u32 v29, v26, 16, 8
	v_cvt_f32_fp8_e32 v1, v1
	v_bfe_u32 v28, v26, 8, 8
	v_lshrrev_b32_e32 v26, 24, v26
	v_cvt_f32_fp8_e32 v29, v29
	v_and_b32_e32 v32, 0xff, v27
	v_cvt_f32_fp8_e32 v26, v26
	v_bfe_u32 v33, v27, 8, 8
	v_cvt_f32_fp8_e32 v32, v32
	v_bfe_u32 v38, v27, 16, 8
	v_cvt_f32_fp8_e32 v33, v33
	v_mul_f32_e32 v1, s14, v1
	v_lshrrev_b32_e32 v27, 24, v27
	v_cvt_f32_fp8_e32 v38, v38
	v_mul_f32_e32 v29, s14, v29
	v_cvt_pk_bf16_f32 v1, v1, s0
	v_cvt_f32_fp8_e32 v28, v28
	v_cvt_f32_fp8_e32 v27, v27
	v_mul_f32_e32 v26, s14, v26
	scratch_store_dword off, v1, off offset:152 ; 4-byte Folded Spill
	v_cvt_pk_bf16_f32 v1, v29, s0
	v_mul_f32_e32 v32, s14, v32
	scratch_store_dword off, v1, off offset:144 ; 4-byte Folded Spill
	v_cvt_pk_bf16_f32 v1, v26, s0
	;; [unrolled: 3-line block ×4, first 2 shown]
	v_mul_f32_e32 v28, s14, v28
	v_mul_f32_e32 v27, s14, v27
	scratch_store_dword off, v1, off offset:140 ; 4-byte Folded Spill
	v_cvt_pk_bf16_f32 v1, v38, s0
	v_cvt_pk_bf16_f32 v83, v28, s0
	scratch_store_dword off, v1, off offset:128 ; 4-byte Folded Spill
	v_cvt_pk_bf16_f32 v1, v27, s0
	scratch_store_dword off, v1, off offset:132 ; 4-byte Folded Spill
	s_and_saveexec_b64 s[10:11], s[2:3]
	s_cbranch_execz .LBB325_50
; %bb.49:                               ;   in Loop: Header=BB325_40 Depth=1
	scratch_load_dword v1, off, off offset:152 ; 4-byte Folded Reload
	v_cmp_gt_i32_e32 vcc, s21, v0
	s_waitcnt vmcnt(0)
	s_nop 0
	v_cndmask_b32_e32 v1, 0, v1, vcc
	scratch_store_dword off, v1, off offset:152 ; 4-byte Folded Spill
	scratch_load_dword v1, off, off offset:144 ; 4-byte Folded Reload
	v_cmp_gt_i32_e32 vcc, s21, v89
	s_nop 1
	v_cndmask_b32_e32 v83, 0, v83, vcc
	v_cmp_gt_i32_e32 vcc, s21, v88
	s_waitcnt vmcnt(0)
	s_nop 0
	v_cndmask_b32_e32 v1, 0, v1, vcc
	scratch_store_dword off, v1, off offset:144 ; 4-byte Folded Spill
	scratch_load_dword v1, off, off offset:148 ; 4-byte Folded Reload
	v_cmp_gt_i32_e32 vcc, s21, v87
	s_waitcnt vmcnt(0)
	s_nop 0
	v_cndmask_b32_e32 v1, 0, v1, vcc
	scratch_store_dword off, v1, off offset:148 ; 4-byte Folded Spill
	scratch_load_dword v1, off, off offset:136 ; 4-byte Folded Reload
	;; [unrolled: 6-line block ×5, first 2 shown]
	v_cmp_gt_i32_e32 vcc, s21, v42
	s_waitcnt vmcnt(0)
	s_nop 0
	v_cndmask_b32_e32 v1, 0, v1, vcc
	scratch_store_dword off, v1, off offset:132 ; 4-byte Folded Spill
.LBB325_50:                             ;   in Loop: Header=BB325_40 Depth=1
	s_or_b64 exec, exec, s[10:11]
	global_load_dwordx2 v[26:27], v[36:37], off offset:2560
	s_waitcnt vmcnt(0)
	v_and_b32_e32 v1, 0xff, v26
	v_bfe_u32 v28, v26, 8, 8
	v_bfe_u32 v29, v26, 16, 8
	v_lshrrev_b32_e32 v26, 24, v26
	v_and_b32_e32 v32, 0xff, v27
	v_bfe_u32 v33, v27, 8, 8
	v_bfe_u32 v38, v27, 16, 8
	v_lshrrev_b32_e32 v27, 24, v27
	v_cvt_f32_fp8_e32 v1, v1
	v_cvt_f32_fp8_e32 v28, v28
	v_cvt_f32_fp8_e32 v29, v29
	v_cvt_f32_fp8_e32 v26, v26
	v_cvt_f32_fp8_e32 v32, v32
	v_cvt_f32_fp8_e32 v33, v33
	v_cvt_f32_fp8_e32 v38, v38
	v_cvt_f32_fp8_e32 v27, v27
	v_mul_f32_e32 v1, s14, v1
	v_mul_f32_e32 v28, s14, v28
	v_mul_f32_e32 v29, s14, v29
	v_mul_f32_e32 v26, s14, v26
	v_mul_f32_e32 v32, s14, v32
	v_mul_f32_e32 v33, s14, v33
	v_mul_f32_e32 v38, s14, v38
	v_mul_f32_e32 v27, s14, v27
	v_cvt_pk_bf16_f32 v95, v1, s0
	v_cvt_pk_bf16_f32 v96, v28, s0
	v_cvt_pk_bf16_f32 v93, v29, s0
	v_cvt_pk_bf16_f32 v94, v26, s0
	v_cvt_pk_bf16_f32 v91, v32, s0
	v_cvt_pk_bf16_f32 v92, v33, s0
	v_cvt_pk_bf16_f32 v86, v38, s0
	v_cvt_pk_bf16_f32 v90, v27, s0
	s_and_saveexec_b64 s[10:11], s[2:3]
	s_cbranch_execz .LBB325_52
; %bb.51:                               ;   in Loop: Header=BB325_40 Depth=1
	v_cmp_gt_i32_e32 vcc, s21, v0
	s_nop 1
	v_cndmask_b32_e32 v95, 0, v95, vcc
	v_cmp_gt_i32_e32 vcc, s21, v89
	s_nop 1
	v_cndmask_b32_e32 v96, 0, v96, vcc
	v_cmp_gt_i32_e32 vcc, s21, v88
	s_nop 1
	v_cndmask_b32_e32 v93, 0, v93, vcc
	v_cmp_gt_i32_e32 vcc, s21, v87
	s_nop 1
	v_cndmask_b32_e32 v94, 0, v94, vcc
	v_cmp_gt_i32_e32 vcc, s21, v85
	s_nop 1
	v_cndmask_b32_e32 v91, 0, v91, vcc
	v_cmp_gt_i32_e32 vcc, s21, v84
	s_nop 1
	v_cndmask_b32_e32 v92, 0, v92, vcc
	v_cmp_gt_i32_e32 vcc, s21, v97
	s_nop 1
	v_cndmask_b32_e32 v86, 0, v86, vcc
	v_cmp_gt_i32_e32 vcc, s21, v42
	s_nop 1
	v_cndmask_b32_e32 v90, 0, v90, vcc
.LBB325_52:                             ;   in Loop: Header=BB325_40 Depth=1
	s_or_b64 exec, exec, s[10:11]
	global_load_dwordx2 v[26:27], v[36:37], off offset:3072
	s_waitcnt vmcnt(0)
	v_and_b32_e32 v1, 0xff, v26
	v_bfe_u32 v28, v26, 8, 8
	v_bfe_u32 v29, v26, 16, 8
	v_lshrrev_b32_e32 v26, 24, v26
	v_and_b32_e32 v32, 0xff, v27
	v_bfe_u32 v33, v27, 8, 8
	v_bfe_u32 v38, v27, 16, 8
	v_lshrrev_b32_e32 v27, 24, v27
	v_cvt_f32_fp8_e32 v1, v1
	v_cvt_f32_fp8_e32 v28, v28
	v_cvt_f32_fp8_e32 v29, v29
	v_cvt_f32_fp8_e32 v26, v26
	v_cvt_f32_fp8_e32 v32, v32
	v_cvt_f32_fp8_e32 v33, v33
	v_cvt_f32_fp8_e32 v38, v38
	v_cvt_f32_fp8_e32 v27, v27
	v_mul_f32_e32 v1, s14, v1
	v_mul_f32_e32 v28, s14, v28
	v_mul_f32_e32 v29, s14, v29
	v_mul_f32_e32 v26, s14, v26
	v_mul_f32_e32 v32, s14, v32
	v_mul_f32_e32 v33, s14, v33
	v_mul_f32_e32 v38, s14, v38
	v_mul_f32_e32 v27, s14, v27
	v_cvt_pk_bf16_f32 v104, v1, s0
	v_cvt_pk_bf16_f32 v105, v28, s0
	v_cvt_pk_bf16_f32 v102, v29, s0
	v_cvt_pk_bf16_f32 v103, v26, s0
	v_cvt_pk_bf16_f32 v100, v32, s0
	v_cvt_pk_bf16_f32 v101, v33, s0
	v_cvt_pk_bf16_f32 v98, v38, s0
	v_cvt_pk_bf16_f32 v99, v27, s0
	s_and_saveexec_b64 s[10:11], s[2:3]
	s_cbranch_execz .LBB325_54
; %bb.53:                               ;   in Loop: Header=BB325_40 Depth=1
	v_cmp_gt_i32_e32 vcc, s21, v0
	s_nop 1
	v_cndmask_b32_e32 v104, 0, v104, vcc
	v_cmp_gt_i32_e32 vcc, s21, v89
	s_nop 1
	v_cndmask_b32_e32 v105, 0, v105, vcc
	v_cmp_gt_i32_e32 vcc, s21, v88
	s_nop 1
	v_cndmask_b32_e32 v102, 0, v102, vcc
	v_cmp_gt_i32_e32 vcc, s21, v87
	s_nop 1
	v_cndmask_b32_e32 v103, 0, v103, vcc
	v_cmp_gt_i32_e32 vcc, s21, v85
	s_nop 1
	v_cndmask_b32_e32 v100, 0, v100, vcc
	v_cmp_gt_i32_e32 vcc, s21, v84
	s_nop 1
	v_cndmask_b32_e32 v101, 0, v101, vcc
	v_cmp_gt_i32_e32 vcc, s21, v97
	s_nop 1
	v_cndmask_b32_e32 v98, 0, v98, vcc
	v_cmp_gt_i32_e32 vcc, s21, v42
	s_nop 1
	v_cndmask_b32_e32 v99, 0, v99, vcc
.LBB325_54:                             ;   in Loop: Header=BB325_40 Depth=1
	;; [unrolled: 63-line block ×3, first 2 shown]
	s_or_b64 exec, exec, s[10:11]
	v_add_co_u32_e32 v26, vcc, 0x1000, v36
	s_nop 1
	v_addc_co_u32_e32 v27, vcc, 0, v37, vcc
	global_load_dwordx2 v[26:27], v[26:27], off
	s_waitcnt vmcnt(0)
	v_and_b32_e32 v1, 0xff, v26
	v_bfe_u32 v28, v26, 8, 8
	v_bfe_u32 v29, v26, 16, 8
	v_lshrrev_b32_e32 v26, 24, v26
	v_and_b32_e32 v32, 0xff, v27
	v_bfe_u32 v33, v27, 8, 8
	v_bfe_u32 v38, v27, 16, 8
	v_lshrrev_b32_e32 v27, 24, v27
	v_cvt_f32_fp8_e32 v1, v1
	v_cvt_f32_fp8_e32 v28, v28
	;; [unrolled: 1-line block ×8, first 2 shown]
	v_mul_f32_e32 v1, s14, v1
	v_mul_f32_e32 v28, s14, v28
	;; [unrolled: 1-line block ×8, first 2 shown]
	v_cvt_pk_bf16_f32 v120, v1, s0
	v_cvt_pk_bf16_f32 v121, v28, s0
	;; [unrolled: 1-line block ×8, first 2 shown]
	s_and_saveexec_b64 s[10:11], s[2:3]
	s_cbranch_execz .LBB325_58
; %bb.57:                               ;   in Loop: Header=BB325_40 Depth=1
	v_cmp_gt_i32_e32 vcc, s21, v0
	s_nop 1
	v_cndmask_b32_e32 v120, 0, v120, vcc
	v_cmp_gt_i32_e32 vcc, s21, v89
	s_nop 1
	v_cndmask_b32_e32 v121, 0, v121, vcc
	;; [unrolled: 3-line block ×8, first 2 shown]
.LBB325_58:                             ;   in Loop: Header=BB325_40 Depth=1
	s_or_b64 exec, exec, s[10:11]
	v_add_co_u32_e32 v26, vcc, 0x1000, v36
	s_nop 1
	v_addc_co_u32_e32 v27, vcc, 0, v37, vcc
	global_load_dwordx2 v[26:27], v[26:27], off offset:512
	s_waitcnt vmcnt(0)
	v_and_b32_e32 v1, 0xff, v26
	v_bfe_u32 v28, v26, 8, 8
	v_bfe_u32 v29, v26, 16, 8
	v_lshrrev_b32_e32 v26, 24, v26
	v_and_b32_e32 v32, 0xff, v27
	v_bfe_u32 v33, v27, 8, 8
	v_bfe_u32 v38, v27, 16, 8
	v_lshrrev_b32_e32 v27, 24, v27
	v_cvt_f32_fp8_e32 v1, v1
	v_cvt_f32_fp8_e32 v28, v28
	;; [unrolled: 1-line block ×8, first 2 shown]
	v_mul_f32_e32 v1, s14, v1
	v_mul_f32_e32 v28, s14, v28
	;; [unrolled: 1-line block ×8, first 2 shown]
	v_cvt_pk_bf16_f32 v41, v1, s0
	v_cvt_pk_bf16_f32 v1, v28, s0
	;; [unrolled: 1-line block ×8, first 2 shown]
	s_and_saveexec_b64 s[10:11], s[2:3]
	s_cbranch_execz .LBB325_60
; %bb.59:                               ;   in Loop: Header=BB325_40 Depth=1
	v_cmp_gt_i32_e32 vcc, s21, v0
	s_nop 1
	v_cndmask_b32_e32 v41, 0, v41, vcc
	v_cmp_gt_i32_e32 vcc, s21, v89
	s_nop 1
	v_cndmask_b32_e32 v1, 0, v1, vcc
	;; [unrolled: 3-line block ×8, first 2 shown]
.LBB325_60:                             ;   in Loop: Header=BB325_40 Depth=1
	s_or_b64 exec, exec, s[10:11]
	v_add_co_u32_e32 v26, vcc, 0x1000, v36
	s_nop 1
	v_addc_co_u32_e32 v27, vcc, 0, v37, vcc
	global_load_dwordx2 v[26:27], v[26:27], off offset:1024
	s_waitcnt vmcnt(0)
	v_and_b32_e32 v28, 0xff, v26
	v_bfe_u32 v29, v26, 8, 8
	v_bfe_u32 v32, v26, 16, 8
	v_lshrrev_b32_e32 v26, 24, v26
	v_and_b32_e32 v33, 0xff, v27
	v_bfe_u32 v38, v27, 8, 8
	v_bfe_u32 v39, v27, 16, 8
	v_lshrrev_b32_e32 v27, 24, v27
	v_cvt_f32_fp8_e32 v28, v28
	v_cvt_f32_fp8_e32 v29, v29
	;; [unrolled: 1-line block ×8, first 2 shown]
	v_mul_f32_e32 v28, s14, v28
	v_mul_f32_e32 v29, s14, v29
	;; [unrolled: 1-line block ×8, first 2 shown]
	v_cvt_pk_bf16_f32 v26, v28, s0
	v_cvt_pk_bf16_f32 v27, v29, s0
	;; [unrolled: 1-line block ×8, first 2 shown]
	s_and_saveexec_b64 s[10:11], s[2:3]
	s_cbranch_execz .LBB325_62
; %bb.61:                               ;   in Loop: Header=BB325_40 Depth=1
	v_cmp_gt_i32_e32 vcc, s21, v0
	s_nop 1
	v_cndmask_b32_e32 v26, 0, v26, vcc
	v_cmp_gt_i32_e32 vcc, s21, v89
	s_nop 1
	v_cndmask_b32_e32 v27, 0, v27, vcc
	;; [unrolled: 3-line block ×8, first 2 shown]
.LBB325_62:                             ;   in Loop: Header=BB325_40 Depth=1
	s_or_b64 exec, exec, s[10:11]
	v_add_co_u32_e32 v44, vcc, 0x1000, v36
	s_nop 1
	v_addc_co_u32_e32 v45, vcc, 0, v37, vcc
	global_load_dwordx2 v[44:45], v[44:45], off offset:1536
	s_waitcnt vmcnt(0)
	v_and_b32_e32 v38, 0xff, v44
	v_bfe_u32 v46, v44, 8, 8
	v_bfe_u32 v47, v44, 16, 8
	v_lshrrev_b32_e32 v44, 24, v44
	v_and_b32_e32 v48, 0xff, v45
	v_bfe_u32 v49, v45, 8, 8
	v_bfe_u32 v50, v45, 16, 8
	v_lshrrev_b32_e32 v45, 24, v45
	v_cvt_f32_fp8_e32 v38, v38
	v_cvt_f32_fp8_e32 v46, v46
	;; [unrolled: 1-line block ×8, first 2 shown]
	v_mul_f32_e32 v38, s14, v38
	v_mul_f32_e32 v46, s14, v46
	v_mul_f32_e32 v47, s14, v47
	v_mul_f32_e32 v44, s14, v44
	v_mul_f32_e32 v48, s14, v48
	v_mul_f32_e32 v49, s14, v49
	v_mul_f32_e32 v56, s14, v50
	v_mul_f32_e32 v45, s14, v45
	v_cvt_pk_bf16_f32 v54, v38, s0
	v_cvt_pk_bf16_f32 v55, v46, s0
	;; [unrolled: 1-line block ×8, first 2 shown]
	s_and_saveexec_b64 s[10:11], s[2:3]
	s_cbranch_execz .LBB325_64
; %bb.63:                               ;   in Loop: Header=BB325_40 Depth=1
	v_cmp_gt_i32_e32 vcc, s21, v0
	s_nop 1
	v_cndmask_b32_e32 v54, 0, v54, vcc
	v_cmp_gt_i32_e32 vcc, s21, v89
	s_nop 1
	v_cndmask_b32_e32 v55, 0, v55, vcc
	v_cmp_gt_i32_e32 vcc, s21, v88
	s_nop 1
	v_cndmask_b32_e32 v52, 0, v52, vcc
	v_cmp_gt_i32_e32 vcc, s21, v87
	s_nop 1
	v_cndmask_b32_e32 v53, 0, v53, vcc
	v_cmp_gt_i32_e32 vcc, s21, v85
	s_nop 1
	v_cndmask_b32_e32 v50, 0, v50, vcc
	v_cmp_gt_i32_e32 vcc, s21, v84
	s_nop 1
	v_cndmask_b32_e32 v51, 0, v51, vcc
	v_cmp_gt_i32_e32 vcc, s21, v97
	s_nop 1
	v_cndmask_b32_e32 v48, 0, v48, vcc
	v_cmp_gt_i32_e32 vcc, s21, v42
	s_nop 1
	v_cndmask_b32_e32 v49, 0, v49, vcc
.LBB325_64:                             ;   in Loop: Header=BB325_40 Depth=1
	s_or_b64 exec, exec, s[10:11]
	v_add_co_u32_e32 v44, vcc, 0x1000, v36
	s_nop 1
	v_addc_co_u32_e32 v45, vcc, 0, v37, vcc
	global_load_dwordx2 v[44:45], v[44:45], off offset:2048
	s_waitcnt vmcnt(0)
	v_and_b32_e32 v38, 0xff, v44
	v_bfe_u32 v46, v44, 8, 8
	v_bfe_u32 v47, v44, 16, 8
	v_lshrrev_b32_e32 v44, 24, v44
	v_and_b32_e32 v56, 0xff, v45
	v_bfe_u32 v57, v45, 8, 8
	v_bfe_u32 v58, v45, 16, 8
	v_lshrrev_b32_e32 v45, 24, v45
	v_cvt_f32_fp8_e32 v38, v38
	v_cvt_f32_fp8_e32 v46, v46
	;; [unrolled: 1-line block ×8, first 2 shown]
	v_mul_f32_e32 v38, s14, v38
	v_mul_f32_e32 v46, s14, v46
	;; [unrolled: 1-line block ×8, first 2 shown]
	v_cvt_pk_bf16_f32 v62, v38, s0
	v_cvt_pk_bf16_f32 v63, v46, s0
	v_cvt_pk_bf16_f32 v60, v47, s0
	v_cvt_pk_bf16_f32 v61, v44, s0
	v_cvt_pk_bf16_f32 v58, v56, s0
	v_cvt_pk_bf16_f32 v59, v57, s0
	v_cvt_pk_bf16_f32 v56, v64, s0
	v_cvt_pk_bf16_f32 v57, v45, s0
	s_and_saveexec_b64 s[10:11], s[2:3]
	s_cbranch_execz .LBB325_66
; %bb.65:                               ;   in Loop: Header=BB325_40 Depth=1
	v_cmp_gt_i32_e32 vcc, s21, v0
	s_nop 1
	v_cndmask_b32_e32 v62, 0, v62, vcc
	v_cmp_gt_i32_e32 vcc, s21, v89
	s_nop 1
	v_cndmask_b32_e32 v63, 0, v63, vcc
	;; [unrolled: 3-line block ×8, first 2 shown]
.LBB325_66:                             ;   in Loop: Header=BB325_40 Depth=1
	s_or_b64 exec, exec, s[10:11]
	v_add_co_u32_e32 v44, vcc, 0x1000, v36
	s_nop 1
	v_addc_co_u32_e32 v45, vcc, 0, v37, vcc
	global_load_dwordx2 v[44:45], v[44:45], off offset:2560
	s_waitcnt vmcnt(0)
	v_and_b32_e32 v38, 0xff, v44
	v_bfe_u32 v46, v44, 8, 8
	v_bfe_u32 v47, v44, 16, 8
	v_lshrrev_b32_e32 v44, 24, v44
	v_and_b32_e32 v64, 0xff, v45
	v_bfe_u32 v65, v45, 8, 8
	v_bfe_u32 v66, v45, 16, 8
	v_lshrrev_b32_e32 v45, 24, v45
	v_cvt_f32_fp8_e32 v38, v38
	v_cvt_f32_fp8_e32 v46, v46
	;; [unrolled: 1-line block ×8, first 2 shown]
	v_mul_f32_e32 v38, s14, v38
	v_mul_f32_e32 v46, s14, v46
	;; [unrolled: 1-line block ×8, first 2 shown]
	v_cvt_pk_bf16_f32 v70, v38, s0
	v_cvt_pk_bf16_f32 v71, v46, s0
	;; [unrolled: 1-line block ×8, first 2 shown]
	s_and_saveexec_b64 s[10:11], s[2:3]
	s_cbranch_execz .LBB325_68
; %bb.67:                               ;   in Loop: Header=BB325_40 Depth=1
	v_cmp_gt_i32_e32 vcc, s21, v0
	s_nop 1
	v_cndmask_b32_e32 v70, 0, v70, vcc
	v_cmp_gt_i32_e32 vcc, s21, v89
	s_nop 1
	v_cndmask_b32_e32 v71, 0, v71, vcc
	;; [unrolled: 3-line block ×8, first 2 shown]
.LBB325_68:                             ;   in Loop: Header=BB325_40 Depth=1
	s_or_b64 exec, exec, s[10:11]
	v_add_co_u32_e32 v36, vcc, 0x1000, v36
	s_nop 1
	v_addc_co_u32_e32 v37, vcc, 0, v37, vcc
	global_load_dwordx2 v[36:37], v[36:37], off offset:3072
	s_waitcnt vmcnt(0)
	v_and_b32_e32 v38, 0xff, v36
	v_bfe_u32 v44, v36, 8, 8
	v_bfe_u32 v45, v36, 16, 8
	v_lshrrev_b32_e32 v36, 24, v36
	v_and_b32_e32 v46, 0xff, v37
	v_bfe_u32 v47, v37, 8, 8
	v_bfe_u32 v72, v37, 16, 8
	v_lshrrev_b32_e32 v37, 24, v37
	v_cvt_f32_fp8_e32 v38, v38
	v_cvt_f32_fp8_e32 v44, v44
	;; [unrolled: 1-line block ×8, first 2 shown]
	v_mul_f32_e32 v38, s14, v38
	v_mul_f32_e32 v44, s14, v44
	;; [unrolled: 1-line block ×8, first 2 shown]
	v_cvt_pk_bf16_f32 v77, v38, s0
	v_cvt_pk_bf16_f32 v78, v44, s0
	v_cvt_pk_bf16_f32 v38, v45, s0
	v_cvt_pk_bf16_f32 v76, v36, s0
	v_cvt_pk_bf16_f32 v74, v46, s0
	v_cvt_pk_bf16_f32 v75, v47, s0
	v_cvt_pk_bf16_f32 v72, v72, s0
	v_cvt_pk_bf16_f32 v73, v37, s0
	s_and_saveexec_b64 s[10:11], s[2:3]
	s_cbranch_execz .LBB325_70
; %bb.69:                               ;   in Loop: Header=BB325_40 Depth=1
	v_cmp_gt_i32_e32 vcc, s21, v0
	s_nop 1
	v_cndmask_b32_e32 v77, 0, v77, vcc
	v_cmp_gt_i32_e32 vcc, s21, v89
	s_nop 1
	v_cndmask_b32_e32 v78, 0, v78, vcc
	;; [unrolled: 3-line block ×8, first 2 shown]
.LBB325_70:                             ;   in Loop: Header=BB325_40 Depth=1
	s_or_b64 exec, exec, s[10:11]
	scratch_load_dwordx2 v[36:37], off, off offset:168 ; 8-byte Folded Reload
	s_waitcnt vmcnt(0)
	v_lshl_add_u64 v[34:35], v[34:35], 0, v[36:37]
	global_load_dwordx2 v[34:35], v[34:35], off
	s_waitcnt vmcnt(0)
	v_and_b32_e32 v36, 0xff, v34
	v_bfe_u32 v37, v34, 8, 8
	v_bfe_u32 v44, v34, 16, 8
	v_lshrrev_b32_e32 v34, 24, v34
	v_and_b32_e32 v45, 0xff, v35
	v_bfe_u32 v46, v35, 8, 8
	v_bfe_u32 v47, v35, 16, 8
	v_lshrrev_b32_e32 v35, 24, v35
	v_cvt_f32_fp8_e32 v36, v36
	v_cvt_f32_fp8_e32 v37, v37
	;; [unrolled: 1-line block ×8, first 2 shown]
	v_mul_f32_e32 v36, s14, v36
	v_mul_f32_e32 v37, s14, v37
	;; [unrolled: 1-line block ×8, first 2 shown]
	v_cvt_pk_bf16_f32 v47, v36, s0
	v_cvt_pk_bf16_f32 v46, v37, s0
	v_cvt_pk_bf16_f32 v45, v44, s0
	v_cvt_pk_bf16_f32 v44, v34, s0
	v_cvt_pk_bf16_f32 v37, v79, s0
	v_cvt_pk_bf16_f32 v36, v80, s0
	v_cvt_pk_bf16_f32 v35, v81, s0
	v_cvt_pk_bf16_f32 v34, v82, s0
	s_and_saveexec_b64 s[10:11], s[2:3]
	s_cbranch_execz .LBB325_39
; %bb.71:                               ;   in Loop: Header=BB325_40 Depth=1
	v_cmp_gt_i32_e32 vcc, s21, v0
	s_nop 1
	v_cndmask_b32_e32 v47, 0, v47, vcc
	v_cmp_gt_i32_e32 vcc, s21, v89
	s_nop 1
	v_cndmask_b32_e32 v46, 0, v46, vcc
	;; [unrolled: 3-line block ×8, first 2 shown]
	s_branch .LBB325_39
.LBB325_72:
	s_or_b64 exec, exec, s[8:9]
	scratch_load_dword v32, off, off offset:216 ; 4-byte Folded Reload
	scratch_load_dword v34, off, off offset:184 ; 4-byte Folded Reload
	;; [unrolled: 1-line block ×5, first 2 shown]
.LBB325_73:
	s_or_b64 exec, exec, s[0:1]
	s_waitcnt vmcnt(2)
	ds_bpermute_b32 v0, v31, v24
	ds_bpermute_b32 v1, v31, v25
	;; [unrolled: 1-line block ×6, first 2 shown]
	s_waitcnt lgkmcnt(4)
	v_pk_add_f32 v[0:1], v[24:25], v[0:1]
	s_waitcnt vmcnt(1)
	ds_bpermute_b32 v4, v35, v0
	s_waitcnt lgkmcnt(3)
	v_pk_add_f32 v[8:9], v[22:23], v[2:3]
	ds_bpermute_b32 v5, v35, v1
	ds_bpermute_b32 v22, v35, v8
	ds_bpermute_b32 v23, v35, v9
	ds_bpermute_b32 v30, v31, v10
	s_waitcnt lgkmcnt(0)
	v_pk_add_f32 v[2:3], v[0:1], v[4:5]
	v_pk_add_f32 v[0:1], v[20:21], v[6:7]
	;; [unrolled: 1-line block ×3, first 2 shown]
	ds_bpermute_b32 v8, v31, v16
	ds_bpermute_b32 v9, v31, v17
	;; [unrolled: 1-line block ×6, first 2 shown]
	s_waitcnt lgkmcnt(4)
	v_pk_add_f32 v[8:9], v[16:17], v[8:9]
	ds_bpermute_b32 v16, v31, v14
	ds_bpermute_b32 v17, v31, v15
	;; [unrolled: 1-line block ×4, first 2 shown]
	s_waitcnt lgkmcnt(6)
	v_pk_add_f32 v[6:7], v[0:1], v[6:7]
	s_waitcnt lgkmcnt(4)
	v_pk_add_f32 v[0:1], v[18:19], v[20:21]
	ds_bpermute_b32 v31, v31, v11
	ds_bpermute_b32 v18, v35, v0
	;; [unrolled: 1-line block ×3, first 2 shown]
	s_waitcnt lgkmcnt(5)
	v_pk_add_f32 v[24:25], v[14:15], v[16:17]
	s_waitcnt lgkmcnt(3)
	v_pk_add_f32 v[22:23], v[12:13], v[22:23]
	ds_bpermute_b32 v20, v35, v8
	ds_bpermute_b32 v21, v35, v9
	;; [unrolled: 1-line block ×6, first 2 shown]
	s_waitcnt lgkmcnt(8)
	v_pk_add_f32 v[10:11], v[10:11], v[30:31]
	s_waitcnt lgkmcnt(6)
	v_pk_add_f32 v[16:17], v[0:1], v[18:19]
	ds_bpermute_b32 v18, v35, v10
	ds_bpermute_b32 v19, v35, v11
	v_and_b32_e32 v0, 0x3c3, v32
	s_waitcnt lgkmcnt(6)
	v_pk_add_f32 v[14:15], v[8:9], v[20:21]
	s_waitcnt lgkmcnt(4)
	v_pk_add_f32 v[12:13], v[24:25], v[26:27]
	;; [unrolled: 2-line block ×3, first 2 shown]
	v_cmp_ne_u32_e32 vcc, 64, v0
	s_barrier
	s_waitcnt lgkmcnt(0)
	s_and_saveexec_b64 s[0:1], vcc
	s_xor_b64 s[0:1], exec, s[0:1]
; %bb.74:
                                        ; implicit-def: $vgpr34
; %bb.75:
	s_or_saveexec_b64 s[0:1], s[0:1]
	v_pk_add_f32 v[10:11], v[10:11], v[18:19]
	s_xor_b64 exec, exec, s[0:1]
	s_cbranch_execz .LBB325_77
; %bb.76:
	v_add_u32_e32 v1, 0x210, v34
	ds_write2_b32 v1, v2, v3 offset1:16
	ds_write2_b32 v1, v4, v5 offset0:32 offset1:48
	ds_write2_b32 v1, v6, v7 offset0:64 offset1:80
	;; [unrolled: 1-line block ×7, first 2 shown]
.LBB325_77:
	s_or_b64 exec, exec, s[0:1]
	v_lshrrev_b32_e32 v1, 2, v32
	s_waitcnt lgkmcnt(0)
	s_barrier
	s_and_saveexec_b64 s[0:1], s[6:7]
	s_cbranch_execz .LBB325_96
; %bb.78:
	v_mov_b32_e32 v18, 0x210
	s_waitcnt vmcnt(0)
	v_cmp_eq_u32_e32 vcc, 0, v36
	v_lshl_add_u32 v18, v1, 2, v18
	s_and_saveexec_b64 s[2:3], vcc
	s_cbranch_execnz .LBB325_99
; %bb.79:
	s_or_b64 exec, exec, s[2:3]
	s_and_saveexec_b64 s[2:3], vcc
	s_cbranch_execnz .LBB325_100
.LBB325_80:
	s_or_b64 exec, exec, s[2:3]
	s_and_saveexec_b64 s[2:3], vcc
	s_cbranch_execnz .LBB325_101
.LBB325_81:
	s_or_b64 exec, exec, s[2:3]
	s_and_saveexec_b64 s[2:3], vcc
	s_cbranch_execnz .LBB325_102
.LBB325_82:
	s_or_b64 exec, exec, s[2:3]
	s_and_saveexec_b64 s[2:3], vcc
	s_cbranch_execnz .LBB325_103
.LBB325_83:
	s_or_b64 exec, exec, s[2:3]
	s_and_saveexec_b64 s[2:3], vcc
	s_cbranch_execnz .LBB325_104
.LBB325_84:
	s_or_b64 exec, exec, s[2:3]
	s_and_saveexec_b64 s[2:3], vcc
	s_cbranch_execnz .LBB325_105
.LBB325_85:
	s_or_b64 exec, exec, s[2:3]
	s_and_saveexec_b64 s[2:3], vcc
	s_cbranch_execnz .LBB325_106
.LBB325_86:
	s_or_b64 exec, exec, s[2:3]
	s_and_saveexec_b64 s[2:3], vcc
	s_cbranch_execnz .LBB325_107
.LBB325_87:
	s_or_b64 exec, exec, s[2:3]
	s_and_saveexec_b64 s[2:3], vcc
	s_cbranch_execnz .LBB325_108
.LBB325_88:
	s_or_b64 exec, exec, s[2:3]
	s_and_saveexec_b64 s[2:3], vcc
	s_cbranch_execnz .LBB325_109
.LBB325_89:
	s_or_b64 exec, exec, s[2:3]
	s_and_saveexec_b64 s[2:3], vcc
	s_cbranch_execnz .LBB325_110
.LBB325_90:
	s_or_b64 exec, exec, s[2:3]
	s_and_saveexec_b64 s[2:3], vcc
	s_cbranch_execnz .LBB325_111
.LBB325_91:
	s_or_b64 exec, exec, s[2:3]
	s_and_saveexec_b64 s[2:3], vcc
	s_cbranch_execnz .LBB325_112
.LBB325_92:
	s_or_b64 exec, exec, s[2:3]
	s_and_saveexec_b64 s[2:3], vcc
	s_cbranch_execnz .LBB325_113
.LBB325_93:
	s_or_b64 exec, exec, s[2:3]
	s_and_saveexec_b64 s[2:3], vcc
	s_cbranch_execz .LBB325_95
.LBB325_94:
	ds_read_b32 v18, v18 offset:960
	s_waitcnt lgkmcnt(0)
	v_add_f32_e32 v11, v11, v18
.LBB325_95:
	s_or_b64 exec, exec, s[2:3]
.LBB325_96:
	s_or_b64 exec, exec, s[0:1]
	v_cmp_eq_u32_e32 vcc, 0, v0
	s_barrier
	s_and_saveexec_b64 s[0:1], vcc
	s_cbranch_execz .LBB325_98
; %bb.97:
	s_mul_i32 s0, s20, s12
	s_mul_i32 s0, s0, s5
	s_lshl_b32 s0, s0, 8
	s_ashr_i32 s1, s0, 31
	s_lshl_b64 s[0:1], s[0:1], 1
	s_add_u32 s2, s24, s0
	s_mul_i32 s0, s12, s22
	s_addc_u32 s3, s25, s1
	s_ashr_i32 s1, s0, 31
	s_lshl_b64 s[0:1], s[0:1], 1
	s_add_u32 s2, s2, s0
	s_addc_u32 s3, s3, s1
	s_lshl_b32 s0, s4, 8
	s_ashr_i32 s1, s0, 31
	s_lshl_b64 s[0:1], s[0:1], 1
	s_add_u32 s0, s2, s0
	s_addc_u32 s1, s3, s1
	v_lshlrev_b32_e32 v0, 1, v1
	v_cvt_pk_bf16_f32 v1, v2, s0
	global_store_short v0, v1, s[0:1]
	v_cvt_pk_bf16_f32 v1, v3, s0
	global_store_short v0, v1, s[0:1] offset:32
	v_cvt_pk_bf16_f32 v1, v4, s0
	global_store_short v0, v1, s[0:1] offset:64
	;; [unrolled: 2-line block ×15, first 2 shown]
.LBB325_98:
	s_endpgm
.LBB325_99:
	ds_read_b32 v19, v18
	s_waitcnt lgkmcnt(0)
	v_add_f32_e32 v2, v2, v19
	s_or_b64 exec, exec, s[2:3]
	s_and_saveexec_b64 s[2:3], vcc
	s_cbranch_execz .LBB325_80
.LBB325_100:
	ds_read_b32 v19, v18 offset:64
	s_waitcnt lgkmcnt(0)
	v_add_f32_e32 v3, v3, v19
	s_or_b64 exec, exec, s[2:3]
	s_and_saveexec_b64 s[2:3], vcc
	s_cbranch_execz .LBB325_81
.LBB325_101:
	ds_read_b32 v19, v18 offset:128
	s_waitcnt lgkmcnt(0)
	v_add_f32_e32 v4, v4, v19
	s_or_b64 exec, exec, s[2:3]
	s_and_saveexec_b64 s[2:3], vcc
	s_cbranch_execz .LBB325_82
.LBB325_102:
	ds_read_b32 v19, v18 offset:192
	s_waitcnt lgkmcnt(0)
	v_add_f32_e32 v5, v5, v19
	s_or_b64 exec, exec, s[2:3]
	s_and_saveexec_b64 s[2:3], vcc
	s_cbranch_execz .LBB325_83
.LBB325_103:
	ds_read_b32 v19, v18 offset:256
	s_waitcnt lgkmcnt(0)
	v_add_f32_e32 v6, v6, v19
	s_or_b64 exec, exec, s[2:3]
	s_and_saveexec_b64 s[2:3], vcc
	s_cbranch_execz .LBB325_84
.LBB325_104:
	ds_read_b32 v19, v18 offset:320
	s_waitcnt lgkmcnt(0)
	v_add_f32_e32 v7, v7, v19
	s_or_b64 exec, exec, s[2:3]
	s_and_saveexec_b64 s[2:3], vcc
	s_cbranch_execz .LBB325_85
.LBB325_105:
	ds_read_b32 v19, v18 offset:384
	s_waitcnt lgkmcnt(0)
	v_add_f32_e32 v16, v16, v19
	s_or_b64 exec, exec, s[2:3]
	s_and_saveexec_b64 s[2:3], vcc
	s_cbranch_execz .LBB325_86
.LBB325_106:
	ds_read_b32 v19, v18 offset:448
	s_waitcnt lgkmcnt(0)
	v_add_f32_e32 v17, v17, v19
	s_or_b64 exec, exec, s[2:3]
	s_and_saveexec_b64 s[2:3], vcc
	s_cbranch_execz .LBB325_87
.LBB325_107:
	ds_read_b32 v19, v18 offset:512
	s_waitcnt lgkmcnt(0)
	v_add_f32_e32 v14, v14, v19
	s_or_b64 exec, exec, s[2:3]
	s_and_saveexec_b64 s[2:3], vcc
	s_cbranch_execz .LBB325_88
.LBB325_108:
	ds_read_b32 v19, v18 offset:576
	s_waitcnt lgkmcnt(0)
	v_add_f32_e32 v15, v15, v19
	s_or_b64 exec, exec, s[2:3]
	s_and_saveexec_b64 s[2:3], vcc
	s_cbranch_execz .LBB325_89
.LBB325_109:
	ds_read_b32 v19, v18 offset:640
	s_waitcnt lgkmcnt(0)
	v_add_f32_e32 v12, v12, v19
	s_or_b64 exec, exec, s[2:3]
	s_and_saveexec_b64 s[2:3], vcc
	s_cbranch_execz .LBB325_90
.LBB325_110:
	ds_read_b32 v19, v18 offset:704
	s_waitcnt lgkmcnt(0)
	v_add_f32_e32 v13, v13, v19
	s_or_b64 exec, exec, s[2:3]
	s_and_saveexec_b64 s[2:3], vcc
	s_cbranch_execz .LBB325_91
.LBB325_111:
	ds_read_b32 v19, v18 offset:768
	s_waitcnt lgkmcnt(0)
	v_add_f32_e32 v8, v8, v19
	s_or_b64 exec, exec, s[2:3]
	s_and_saveexec_b64 s[2:3], vcc
	s_cbranch_execz .LBB325_92
.LBB325_112:
	ds_read_b32 v19, v18 offset:832
	s_waitcnt lgkmcnt(0)
	v_add_f32_e32 v9, v9, v19
	s_or_b64 exec, exec, s[2:3]
	s_and_saveexec_b64 s[2:3], vcc
	s_cbranch_execz .LBB325_93
.LBB325_113:
	ds_read_b32 v19, v18 offset:896
	s_waitcnt lgkmcnt(0)
	v_add_f32_e32 v10, v10, v19
	s_or_b64 exec, exec, s[2:3]
	s_and_saveexec_b64 s[2:3], vcc
	s_cbranch_execnz .LBB325_94
	s_branch .LBB325_95
	.section	.rodata,"a",@progbits
	.p2align	6, 0x0
	.amdhsa_kernel _ZN4vllm25paged_attention_v1_kernelI14__hip_bfloat16hLi256ELi32ELi128ELNS_18Fp8KVCacheDataTypeE1ELb0EEEvPT_PKS3_PKT0_S9_ifPKiSB_iPKfiiiSD_SD_iiiii
		.amdhsa_group_segment_fixed_size 528
		.amdhsa_private_segment_fixed_size 244
		.amdhsa_kernarg_size 384
		.amdhsa_user_sgpr_count 2
		.amdhsa_user_sgpr_dispatch_ptr 0
		.amdhsa_user_sgpr_queue_ptr 0
		.amdhsa_user_sgpr_kernarg_segment_ptr 1
		.amdhsa_user_sgpr_dispatch_id 0
		.amdhsa_user_sgpr_kernarg_preload_length 0
		.amdhsa_user_sgpr_kernarg_preload_offset 0
		.amdhsa_user_sgpr_private_segment_size 0
		.amdhsa_uses_dynamic_stack 0
		.amdhsa_enable_private_segment 1
		.amdhsa_system_sgpr_workgroup_id_x 1
		.amdhsa_system_sgpr_workgroup_id_y 1
		.amdhsa_system_sgpr_workgroup_id_z 1
		.amdhsa_system_sgpr_workgroup_info 0
		.amdhsa_system_vgpr_workitem_id 0
		.amdhsa_next_free_vgpr 128
		.amdhsa_next_free_sgpr 55
		.amdhsa_accum_offset 128
		.amdhsa_reserve_vcc 1
		.amdhsa_float_round_mode_32 0
		.amdhsa_float_round_mode_16_64 0
		.amdhsa_float_denorm_mode_32 3
		.amdhsa_float_denorm_mode_16_64 3
		.amdhsa_dx10_clamp 1
		.amdhsa_ieee_mode 1
		.amdhsa_fp16_overflow 0
		.amdhsa_tg_split 0
		.amdhsa_exception_fp_ieee_invalid_op 0
		.amdhsa_exception_fp_denorm_src 0
		.amdhsa_exception_fp_ieee_div_zero 0
		.amdhsa_exception_fp_ieee_overflow 0
		.amdhsa_exception_fp_ieee_underflow 0
		.amdhsa_exception_fp_ieee_inexact 0
		.amdhsa_exception_int_div_zero 0
	.end_amdhsa_kernel
	.section	.text._ZN4vllm25paged_attention_v1_kernelI14__hip_bfloat16hLi256ELi32ELi128ELNS_18Fp8KVCacheDataTypeE1ELb0EEEvPT_PKS3_PKT0_S9_ifPKiSB_iPKfiiiSD_SD_iiiii,"axG",@progbits,_ZN4vllm25paged_attention_v1_kernelI14__hip_bfloat16hLi256ELi32ELi128ELNS_18Fp8KVCacheDataTypeE1ELb0EEEvPT_PKS3_PKT0_S9_ifPKiSB_iPKfiiiSD_SD_iiiii,comdat
.Lfunc_end325:
	.size	_ZN4vllm25paged_attention_v1_kernelI14__hip_bfloat16hLi256ELi32ELi128ELNS_18Fp8KVCacheDataTypeE1ELb0EEEvPT_PKS3_PKT0_S9_ifPKiSB_iPKfiiiSD_SD_iiiii, .Lfunc_end325-_ZN4vllm25paged_attention_v1_kernelI14__hip_bfloat16hLi256ELi32ELi128ELNS_18Fp8KVCacheDataTypeE1ELb0EEEvPT_PKS3_PKT0_S9_ifPKiSB_iPKfiiiSD_SD_iiiii
                                        ; -- End function
	.set _ZN4vllm25paged_attention_v1_kernelI14__hip_bfloat16hLi256ELi32ELi128ELNS_18Fp8KVCacheDataTypeE1ELb0EEEvPT_PKS3_PKT0_S9_ifPKiSB_iPKfiiiSD_SD_iiiii.num_vgpr, 128
	.set _ZN4vllm25paged_attention_v1_kernelI14__hip_bfloat16hLi256ELi32ELi128ELNS_18Fp8KVCacheDataTypeE1ELb0EEEvPT_PKS3_PKT0_S9_ifPKiSB_iPKfiiiSD_SD_iiiii.num_agpr, 0
	.set _ZN4vllm25paged_attention_v1_kernelI14__hip_bfloat16hLi256ELi32ELi128ELNS_18Fp8KVCacheDataTypeE1ELb0EEEvPT_PKS3_PKT0_S9_ifPKiSB_iPKfiiiSD_SD_iiiii.numbered_sgpr, 55
	.set _ZN4vllm25paged_attention_v1_kernelI14__hip_bfloat16hLi256ELi32ELi128ELNS_18Fp8KVCacheDataTypeE1ELb0EEEvPT_PKS3_PKT0_S9_ifPKiSB_iPKfiiiSD_SD_iiiii.num_named_barrier, 0
	.set _ZN4vllm25paged_attention_v1_kernelI14__hip_bfloat16hLi256ELi32ELi128ELNS_18Fp8KVCacheDataTypeE1ELb0EEEvPT_PKS3_PKT0_S9_ifPKiSB_iPKfiiiSD_SD_iiiii.private_seg_size, 244
	.set _ZN4vllm25paged_attention_v1_kernelI14__hip_bfloat16hLi256ELi32ELi128ELNS_18Fp8KVCacheDataTypeE1ELb0EEEvPT_PKS3_PKT0_S9_ifPKiSB_iPKfiiiSD_SD_iiiii.uses_vcc, 1
	.set _ZN4vllm25paged_attention_v1_kernelI14__hip_bfloat16hLi256ELi32ELi128ELNS_18Fp8KVCacheDataTypeE1ELb0EEEvPT_PKS3_PKT0_S9_ifPKiSB_iPKfiiiSD_SD_iiiii.uses_flat_scratch, 0
	.set _ZN4vllm25paged_attention_v1_kernelI14__hip_bfloat16hLi256ELi32ELi128ELNS_18Fp8KVCacheDataTypeE1ELb0EEEvPT_PKS3_PKT0_S9_ifPKiSB_iPKfiiiSD_SD_iiiii.has_dyn_sized_stack, 0
	.set _ZN4vllm25paged_attention_v1_kernelI14__hip_bfloat16hLi256ELi32ELi128ELNS_18Fp8KVCacheDataTypeE1ELb0EEEvPT_PKS3_PKT0_S9_ifPKiSB_iPKfiiiSD_SD_iiiii.has_recursion, 0
	.set _ZN4vllm25paged_attention_v1_kernelI14__hip_bfloat16hLi256ELi32ELi128ELNS_18Fp8KVCacheDataTypeE1ELb0EEEvPT_PKS3_PKT0_S9_ifPKiSB_iPKfiiiSD_SD_iiiii.has_indirect_call, 0
	.section	.AMDGPU.csdata,"",@progbits
; Kernel info:
; codeLenInByte = 20756
; TotalNumSgprs: 61
; NumVgprs: 128
; NumAgprs: 0
; TotalNumVgprs: 128
; ScratchSize: 244
; MemoryBound: 0
; FloatMode: 240
; IeeeMode: 1
; LDSByteSize: 528 bytes/workgroup (compile time only)
; SGPRBlocks: 7
; VGPRBlocks: 15
; NumSGPRsForWavesPerEU: 61
; NumVGPRsForWavesPerEU: 128
; AccumOffset: 128
; Occupancy: 4
; WaveLimiterHint : 1
; COMPUTE_PGM_RSRC2:SCRATCH_EN: 1
; COMPUTE_PGM_RSRC2:USER_SGPR: 2
; COMPUTE_PGM_RSRC2:TRAP_HANDLER: 0
; COMPUTE_PGM_RSRC2:TGID_X_EN: 1
; COMPUTE_PGM_RSRC2:TGID_Y_EN: 1
; COMPUTE_PGM_RSRC2:TGID_Z_EN: 1
; COMPUTE_PGM_RSRC2:TIDIG_COMP_CNT: 0
; COMPUTE_PGM_RSRC3_GFX90A:ACCUM_OFFSET: 31
; COMPUTE_PGM_RSRC3_GFX90A:TG_SPLIT: 0
	.text
	.p2alignl 6, 3212836864
	.fill 256, 4, 3212836864
	.section	.AMDGPU.gpr_maximums,"",@progbits
	.set amdgpu.max_num_vgpr, 128
	.set amdgpu.max_num_agpr, 0
	.set amdgpu.max_num_sgpr, 76
	.text
	.type	__hip_cuid_2a8296ccc365fcfc,@object ; @__hip_cuid_2a8296ccc365fcfc
	.section	.bss,"aw",@nobits
	.globl	__hip_cuid_2a8296ccc365fcfc
__hip_cuid_2a8296ccc365fcfc:
	.byte	0                               ; 0x0
	.size	__hip_cuid_2a8296ccc365fcfc, 1

	.type	llvm.amdgcn.dynlds.offset.table,@object ; @llvm.amdgcn.dynlds.offset.table
	.section	.data.rel.ro,"aw",@progbits
	.p2align	2, 0x0
llvm.amdgcn.dynlds.offset.table:
	.long	528
	.long	528
	.size	llvm.amdgcn.dynlds.offset.table, 8

	.ident	"AMD clang version 22.0.0git (https://github.com/RadeonOpenCompute/llvm-project roc-7.2.4 26084 f58b06dce1f9c15707c5f808fd002e18c2accf7e)"
	.section	".note.GNU-stack","",@progbits
	.addrsig
	.addrsig_sym __hip_cuid_2a8296ccc365fcfc
	.amdgpu_metadata
---
amdhsa.kernels:
  - .agpr_count:     0
    .args:
      - .actual_access:  write_only
        .address_space:  global
        .offset:         0
        .size:           8
        .value_kind:     global_buffer
      - .actual_access:  read_only
        .address_space:  global
        .offset:         8
        .size:           8
        .value_kind:     global_buffer
      - .actual_access:  read_only
        .address_space:  global
        .offset:         16
        .size:           8
        .value_kind:     global_buffer
      - .actual_access:  read_only
        .address_space:  global
        .offset:         24
        .size:           8
        .value_kind:     global_buffer
      - .offset:         32
        .size:           4
        .value_kind:     by_value
      - .offset:         36
        .size:           4
        .value_kind:     by_value
      - .actual_access:  read_only
        .address_space:  global
        .offset:         40
        .size:           8
        .value_kind:     global_buffer
      - .actual_access:  read_only
        .address_space:  global
        .offset:         48
        .size:           8
        .value_kind:     global_buffer
      - .offset:         56
        .size:           4
        .value_kind:     by_value
      - .actual_access:  read_only
        .address_space:  global
        .offset:         64
        .size:           8
        .value_kind:     global_buffer
      - .offset:         72
        .size:           4
        .value_kind:     by_value
      - .offset:         76
        .size:           4
        .value_kind:     by_value
      - .offset:         80
        .size:           4
        .value_kind:     by_value
      - .address_space:  global
        .offset:         88
        .size:           8
        .value_kind:     global_buffer
      - .address_space:  global
        .offset:         96
        .size:           8
        .value_kind:     global_buffer
      - .offset:         104
        .size:           4
        .value_kind:     by_value
      - .offset:         108
        .size:           4
        .value_kind:     by_value
      - .offset:         112
        .size:           4
        .value_kind:     by_value
      - .offset:         116
        .size:           4
        .value_kind:     by_value
      - .offset:         120
        .size:           4
        .value_kind:     by_value
      - .offset:         128
        .size:           4
        .value_kind:     hidden_block_count_x
      - .offset:         132
        .size:           4
        .value_kind:     hidden_block_count_y
      - .offset:         136
        .size:           4
        .value_kind:     hidden_block_count_z
      - .offset:         140
        .size:           2
        .value_kind:     hidden_group_size_x
      - .offset:         142
        .size:           2
        .value_kind:     hidden_group_size_y
      - .offset:         144
        .size:           2
        .value_kind:     hidden_group_size_z
      - .offset:         146
        .size:           2
        .value_kind:     hidden_remainder_x
      - .offset:         148
        .size:           2
        .value_kind:     hidden_remainder_y
      - .offset:         150
        .size:           2
        .value_kind:     hidden_remainder_z
      - .offset:         168
        .size:           8
        .value_kind:     hidden_global_offset_x
      - .offset:         176
        .size:           8
        .value_kind:     hidden_global_offset_y
      - .offset:         184
        .size:           8
        .value_kind:     hidden_global_offset_z
      - .offset:         192
        .size:           2
        .value_kind:     hidden_grid_dims
      - .offset:         248
        .size:           4
        .value_kind:     hidden_dynamic_lds_size
    .group_segment_fixed_size: 144
    .kernarg_segment_align: 8
    .kernarg_segment_size: 384
    .language:       OpenCL C
    .language_version:
      - 2
      - 0
    .max_flat_workgroup_size: 1024
    .name:           _ZN4vllm25paged_attention_v1_kernelIffLi32ELi8ELi128ELNS_18Fp8KVCacheDataTypeE0ELb1EEEvPT_PKS2_PKT0_S8_ifPKiSA_iPKfiiiSC_SC_iiiii
    .private_segment_fixed_size: 0
    .sgpr_count:     50
    .sgpr_spill_count: 0
    .symbol:         _ZN4vllm25paged_attention_v1_kernelIffLi32ELi8ELi128ELNS_18Fp8KVCacheDataTypeE0ELb1EEEvPT_PKS2_PKT0_S8_ifPKiSA_iPKfiiiSC_SC_iiiii.kd
    .uniform_work_group_size: 1
    .uses_dynamic_stack: false
    .vgpr_count:     34
    .vgpr_spill_count: 0
    .wavefront_size: 64
  - .agpr_count:     0
    .args:
      - .actual_access:  write_only
        .address_space:  global
        .offset:         0
        .size:           8
        .value_kind:     global_buffer
      - .actual_access:  read_only
        .address_space:  global
        .offset:         8
        .size:           8
        .value_kind:     global_buffer
      - .actual_access:  read_only
        .address_space:  global
        .offset:         16
        .size:           8
        .value_kind:     global_buffer
      - .actual_access:  read_only
        .address_space:  global
        .offset:         24
        .size:           8
        .value_kind:     global_buffer
      - .offset:         32
        .size:           4
        .value_kind:     by_value
      - .offset:         36
        .size:           4
        .value_kind:     by_value
      - .actual_access:  read_only
        .address_space:  global
        .offset:         40
        .size:           8
        .value_kind:     global_buffer
      - .actual_access:  read_only
        .address_space:  global
        .offset:         48
        .size:           8
        .value_kind:     global_buffer
      - .offset:         56
        .size:           4
        .value_kind:     by_value
      - .actual_access:  read_only
        .address_space:  global
        .offset:         64
        .size:           8
        .value_kind:     global_buffer
      - .offset:         72
        .size:           4
        .value_kind:     by_value
      - .offset:         76
        .size:           4
        .value_kind:     by_value
      - .offset:         80
        .size:           4
        .value_kind:     by_value
      - .address_space:  global
        .offset:         88
        .size:           8
        .value_kind:     global_buffer
      - .address_space:  global
        .offset:         96
        .size:           8
        .value_kind:     global_buffer
      - .offset:         104
        .size:           4
        .value_kind:     by_value
      - .offset:         108
        .size:           4
        .value_kind:     by_value
      - .offset:         112
        .size:           4
        .value_kind:     by_value
      - .offset:         116
        .size:           4
        .value_kind:     by_value
      - .offset:         120
        .size:           4
        .value_kind:     by_value
      - .offset:         128
        .size:           4
        .value_kind:     hidden_block_count_x
      - .offset:         132
        .size:           4
        .value_kind:     hidden_block_count_y
      - .offset:         136
        .size:           4
        .value_kind:     hidden_block_count_z
      - .offset:         140
        .size:           2
        .value_kind:     hidden_group_size_x
      - .offset:         142
        .size:           2
        .value_kind:     hidden_group_size_y
      - .offset:         144
        .size:           2
        .value_kind:     hidden_group_size_z
      - .offset:         146
        .size:           2
        .value_kind:     hidden_remainder_x
      - .offset:         148
        .size:           2
        .value_kind:     hidden_remainder_y
      - .offset:         150
        .size:           2
        .value_kind:     hidden_remainder_z
      - .offset:         168
        .size:           8
        .value_kind:     hidden_global_offset_x
      - .offset:         176
        .size:           8
        .value_kind:     hidden_global_offset_y
      - .offset:         184
        .size:           8
        .value_kind:     hidden_global_offset_z
      - .offset:         192
        .size:           2
        .value_kind:     hidden_grid_dims
      - .offset:         248
        .size:           4
        .value_kind:     hidden_dynamic_lds_size
    .group_segment_fixed_size: 272
    .kernarg_segment_align: 8
    .kernarg_segment_size: 384
    .language:       OpenCL C
    .language_version:
      - 2
      - 0
    .max_flat_workgroup_size: 1024
    .name:           _ZN4vllm25paged_attention_v1_kernelIffLi64ELi8ELi128ELNS_18Fp8KVCacheDataTypeE0ELb1EEEvPT_PKS2_PKT0_S8_ifPKiSA_iPKfiiiSC_SC_iiiii
    .private_segment_fixed_size: 0
    .sgpr_count:     52
    .sgpr_spill_count: 0
    .symbol:         _ZN4vllm25paged_attention_v1_kernelIffLi64ELi8ELi128ELNS_18Fp8KVCacheDataTypeE0ELb1EEEvPT_PKS2_PKT0_S8_ifPKiSA_iPKfiiiSC_SC_iiiii.kd
    .uniform_work_group_size: 1
    .uses_dynamic_stack: false
    .vgpr_count:     42
    .vgpr_spill_count: 0
    .wavefront_size: 64
  - .agpr_count:     0
    .args:
      - .actual_access:  write_only
        .address_space:  global
        .offset:         0
        .size:           8
        .value_kind:     global_buffer
      - .actual_access:  read_only
        .address_space:  global
        .offset:         8
        .size:           8
        .value_kind:     global_buffer
      - .actual_access:  read_only
        .address_space:  global
        .offset:         16
        .size:           8
        .value_kind:     global_buffer
      - .actual_access:  read_only
        .address_space:  global
        .offset:         24
        .size:           8
        .value_kind:     global_buffer
      - .offset:         32
        .size:           4
        .value_kind:     by_value
      - .offset:         36
        .size:           4
        .value_kind:     by_value
      - .actual_access:  read_only
        .address_space:  global
        .offset:         40
        .size:           8
        .value_kind:     global_buffer
      - .actual_access:  read_only
        .address_space:  global
        .offset:         48
        .size:           8
        .value_kind:     global_buffer
      - .offset:         56
        .size:           4
        .value_kind:     by_value
      - .actual_access:  read_only
        .address_space:  global
        .offset:         64
        .size:           8
        .value_kind:     global_buffer
      - .offset:         72
        .size:           4
        .value_kind:     by_value
      - .offset:         76
        .size:           4
        .value_kind:     by_value
      - .offset:         80
        .size:           4
        .value_kind:     by_value
      - .address_space:  global
        .offset:         88
        .size:           8
        .value_kind:     global_buffer
      - .address_space:  global
        .offset:         96
        .size:           8
        .value_kind:     global_buffer
      - .offset:         104
        .size:           4
        .value_kind:     by_value
      - .offset:         108
        .size:           4
        .value_kind:     by_value
      - .offset:         112
        .size:           4
        .value_kind:     by_value
      - .offset:         116
        .size:           4
        .value_kind:     by_value
      - .offset:         120
        .size:           4
        .value_kind:     by_value
      - .offset:         128
        .size:           4
        .value_kind:     hidden_block_count_x
      - .offset:         132
        .size:           4
        .value_kind:     hidden_block_count_y
      - .offset:         136
        .size:           4
        .value_kind:     hidden_block_count_z
      - .offset:         140
        .size:           2
        .value_kind:     hidden_group_size_x
      - .offset:         142
        .size:           2
        .value_kind:     hidden_group_size_y
      - .offset:         144
        .size:           2
        .value_kind:     hidden_group_size_z
      - .offset:         146
        .size:           2
        .value_kind:     hidden_remainder_x
      - .offset:         148
        .size:           2
        .value_kind:     hidden_remainder_y
      - .offset:         150
        .size:           2
        .value_kind:     hidden_remainder_z
      - .offset:         168
        .size:           8
        .value_kind:     hidden_global_offset_x
      - .offset:         176
        .size:           8
        .value_kind:     hidden_global_offset_y
      - .offset:         184
        .size:           8
        .value_kind:     hidden_global_offset_z
      - .offset:         192
        .size:           2
        .value_kind:     hidden_grid_dims
      - .offset:         248
        .size:           4
        .value_kind:     hidden_dynamic_lds_size
    .group_segment_fixed_size: 336
    .kernarg_segment_align: 8
    .kernarg_segment_size: 384
    .language:       OpenCL C
    .language_version:
      - 2
      - 0
    .max_flat_workgroup_size: 1024
    .name:           _ZN4vllm25paged_attention_v1_kernelIffLi80ELi8ELi128ELNS_18Fp8KVCacheDataTypeE0ELb1EEEvPT_PKS2_PKT0_S8_ifPKiSA_iPKfiiiSC_SC_iiiii
    .private_segment_fixed_size: 0
    .sgpr_count:     50
    .sgpr_spill_count: 0
    .symbol:         _ZN4vllm25paged_attention_v1_kernelIffLi80ELi8ELi128ELNS_18Fp8KVCacheDataTypeE0ELb1EEEvPT_PKS2_PKT0_S8_ifPKiSA_iPKfiiiSC_SC_iiiii.kd
    .uniform_work_group_size: 1
    .uses_dynamic_stack: false
    .vgpr_count:     46
    .vgpr_spill_count: 0
    .wavefront_size: 64
  - .agpr_count:     0
    .args:
      - .actual_access:  write_only
        .address_space:  global
        .offset:         0
        .size:           8
        .value_kind:     global_buffer
      - .actual_access:  read_only
        .address_space:  global
        .offset:         8
        .size:           8
        .value_kind:     global_buffer
      - .actual_access:  read_only
        .address_space:  global
        .offset:         16
        .size:           8
        .value_kind:     global_buffer
      - .actual_access:  read_only
        .address_space:  global
        .offset:         24
        .size:           8
        .value_kind:     global_buffer
      - .offset:         32
        .size:           4
        .value_kind:     by_value
      - .offset:         36
        .size:           4
        .value_kind:     by_value
      - .actual_access:  read_only
        .address_space:  global
        .offset:         40
        .size:           8
        .value_kind:     global_buffer
      - .actual_access:  read_only
        .address_space:  global
        .offset:         48
        .size:           8
        .value_kind:     global_buffer
      - .offset:         56
        .size:           4
        .value_kind:     by_value
      - .actual_access:  read_only
        .address_space:  global
        .offset:         64
        .size:           8
        .value_kind:     global_buffer
      - .offset:         72
        .size:           4
        .value_kind:     by_value
      - .offset:         76
        .size:           4
        .value_kind:     by_value
      - .offset:         80
        .size:           4
        .value_kind:     by_value
      - .address_space:  global
        .offset:         88
        .size:           8
        .value_kind:     global_buffer
      - .address_space:  global
        .offset:         96
        .size:           8
        .value_kind:     global_buffer
      - .offset:         104
        .size:           4
        .value_kind:     by_value
      - .offset:         108
        .size:           4
        .value_kind:     by_value
      - .offset:         112
        .size:           4
        .value_kind:     by_value
      - .offset:         116
        .size:           4
        .value_kind:     by_value
      - .offset:         120
        .size:           4
        .value_kind:     by_value
      - .offset:         128
        .size:           4
        .value_kind:     hidden_block_count_x
      - .offset:         132
        .size:           4
        .value_kind:     hidden_block_count_y
      - .offset:         136
        .size:           4
        .value_kind:     hidden_block_count_z
      - .offset:         140
        .size:           2
        .value_kind:     hidden_group_size_x
      - .offset:         142
        .size:           2
        .value_kind:     hidden_group_size_y
      - .offset:         144
        .size:           2
        .value_kind:     hidden_group_size_z
      - .offset:         146
        .size:           2
        .value_kind:     hidden_remainder_x
      - .offset:         148
        .size:           2
        .value_kind:     hidden_remainder_y
      - .offset:         150
        .size:           2
        .value_kind:     hidden_remainder_z
      - .offset:         168
        .size:           8
        .value_kind:     hidden_global_offset_x
      - .offset:         176
        .size:           8
        .value_kind:     hidden_global_offset_y
      - .offset:         184
        .size:           8
        .value_kind:     hidden_global_offset_z
      - .offset:         192
        .size:           2
        .value_kind:     hidden_grid_dims
      - .offset:         248
        .size:           4
        .value_kind:     hidden_dynamic_lds_size
    .group_segment_fixed_size: 400
    .kernarg_segment_align: 8
    .kernarg_segment_size: 384
    .language:       OpenCL C
    .language_version:
      - 2
      - 0
    .max_flat_workgroup_size: 1024
    .name:           _ZN4vllm25paged_attention_v1_kernelIffLi96ELi8ELi128ELNS_18Fp8KVCacheDataTypeE0ELb1EEEvPT_PKS2_PKT0_S8_ifPKiSA_iPKfiiiSC_SC_iiiii
    .private_segment_fixed_size: 0
    .sgpr_count:     50
    .sgpr_spill_count: 0
    .symbol:         _ZN4vllm25paged_attention_v1_kernelIffLi96ELi8ELi128ELNS_18Fp8KVCacheDataTypeE0ELb1EEEvPT_PKS2_PKT0_S8_ifPKiSA_iPKfiiiSC_SC_iiiii.kd
    .uniform_work_group_size: 1
    .uses_dynamic_stack: false
    .vgpr_count:     51
    .vgpr_spill_count: 0
    .wavefront_size: 64
  - .agpr_count:     0
    .args:
      - .actual_access:  write_only
        .address_space:  global
        .offset:         0
        .size:           8
        .value_kind:     global_buffer
      - .actual_access:  read_only
        .address_space:  global
        .offset:         8
        .size:           8
        .value_kind:     global_buffer
      - .actual_access:  read_only
        .address_space:  global
        .offset:         16
        .size:           8
        .value_kind:     global_buffer
      - .actual_access:  read_only
        .address_space:  global
        .offset:         24
        .size:           8
        .value_kind:     global_buffer
      - .offset:         32
        .size:           4
        .value_kind:     by_value
      - .offset:         36
        .size:           4
        .value_kind:     by_value
      - .actual_access:  read_only
        .address_space:  global
        .offset:         40
        .size:           8
        .value_kind:     global_buffer
      - .actual_access:  read_only
        .address_space:  global
        .offset:         48
        .size:           8
        .value_kind:     global_buffer
      - .offset:         56
        .size:           4
        .value_kind:     by_value
      - .actual_access:  read_only
        .address_space:  global
        .offset:         64
        .size:           8
        .value_kind:     global_buffer
      - .offset:         72
        .size:           4
        .value_kind:     by_value
      - .offset:         76
        .size:           4
        .value_kind:     by_value
      - .offset:         80
        .size:           4
        .value_kind:     by_value
      - .address_space:  global
        .offset:         88
        .size:           8
        .value_kind:     global_buffer
      - .address_space:  global
        .offset:         96
        .size:           8
        .value_kind:     global_buffer
      - .offset:         104
        .size:           4
        .value_kind:     by_value
      - .offset:         108
        .size:           4
        .value_kind:     by_value
      - .offset:         112
        .size:           4
        .value_kind:     by_value
      - .offset:         116
        .size:           4
        .value_kind:     by_value
      - .offset:         120
        .size:           4
        .value_kind:     by_value
      - .offset:         128
        .size:           4
        .value_kind:     hidden_block_count_x
      - .offset:         132
        .size:           4
        .value_kind:     hidden_block_count_y
      - .offset:         136
        .size:           4
        .value_kind:     hidden_block_count_z
      - .offset:         140
        .size:           2
        .value_kind:     hidden_group_size_x
      - .offset:         142
        .size:           2
        .value_kind:     hidden_group_size_y
      - .offset:         144
        .size:           2
        .value_kind:     hidden_group_size_z
      - .offset:         146
        .size:           2
        .value_kind:     hidden_remainder_x
      - .offset:         148
        .size:           2
        .value_kind:     hidden_remainder_y
      - .offset:         150
        .size:           2
        .value_kind:     hidden_remainder_z
      - .offset:         168
        .size:           8
        .value_kind:     hidden_global_offset_x
      - .offset:         176
        .size:           8
        .value_kind:     hidden_global_offset_y
      - .offset:         184
        .size:           8
        .value_kind:     hidden_global_offset_z
      - .offset:         192
        .size:           2
        .value_kind:     hidden_grid_dims
      - .offset:         248
        .size:           4
        .value_kind:     hidden_dynamic_lds_size
    .group_segment_fixed_size: 464
    .kernarg_segment_align: 8
    .kernarg_segment_size: 384
    .language:       OpenCL C
    .language_version:
      - 2
      - 0
    .max_flat_workgroup_size: 1024
    .name:           _ZN4vllm25paged_attention_v1_kernelIffLi112ELi8ELi128ELNS_18Fp8KVCacheDataTypeE0ELb1EEEvPT_PKS2_PKT0_S8_ifPKiSA_iPKfiiiSC_SC_iiiii
    .private_segment_fixed_size: 0
    .sgpr_count:     50
    .sgpr_spill_count: 0
    .symbol:         _ZN4vllm25paged_attention_v1_kernelIffLi112ELi8ELi128ELNS_18Fp8KVCacheDataTypeE0ELb1EEEvPT_PKS2_PKT0_S8_ifPKiSA_iPKfiiiSC_SC_iiiii.kd
    .uniform_work_group_size: 1
    .uses_dynamic_stack: false
    .vgpr_count:     54
    .vgpr_spill_count: 0
    .wavefront_size: 64
  - .agpr_count:     0
    .args:
      - .actual_access:  write_only
        .address_space:  global
        .offset:         0
        .size:           8
        .value_kind:     global_buffer
      - .actual_access:  read_only
        .address_space:  global
        .offset:         8
        .size:           8
        .value_kind:     global_buffer
      - .actual_access:  read_only
        .address_space:  global
        .offset:         16
        .size:           8
        .value_kind:     global_buffer
      - .actual_access:  read_only
        .address_space:  global
        .offset:         24
        .size:           8
        .value_kind:     global_buffer
      - .offset:         32
        .size:           4
        .value_kind:     by_value
      - .offset:         36
        .size:           4
        .value_kind:     by_value
      - .actual_access:  read_only
        .address_space:  global
        .offset:         40
        .size:           8
        .value_kind:     global_buffer
      - .actual_access:  read_only
        .address_space:  global
        .offset:         48
        .size:           8
        .value_kind:     global_buffer
      - .offset:         56
        .size:           4
        .value_kind:     by_value
      - .actual_access:  read_only
        .address_space:  global
        .offset:         64
        .size:           8
        .value_kind:     global_buffer
      - .offset:         72
        .size:           4
        .value_kind:     by_value
      - .offset:         76
        .size:           4
        .value_kind:     by_value
      - .offset:         80
        .size:           4
        .value_kind:     by_value
      - .address_space:  global
        .offset:         88
        .size:           8
        .value_kind:     global_buffer
      - .address_space:  global
        .offset:         96
        .size:           8
        .value_kind:     global_buffer
      - .offset:         104
        .size:           4
        .value_kind:     by_value
      - .offset:         108
        .size:           4
        .value_kind:     by_value
      - .offset:         112
        .size:           4
        .value_kind:     by_value
      - .offset:         116
        .size:           4
        .value_kind:     by_value
      - .offset:         120
        .size:           4
        .value_kind:     by_value
      - .offset:         128
        .size:           4
        .value_kind:     hidden_block_count_x
      - .offset:         132
        .size:           4
        .value_kind:     hidden_block_count_y
      - .offset:         136
        .size:           4
        .value_kind:     hidden_block_count_z
      - .offset:         140
        .size:           2
        .value_kind:     hidden_group_size_x
      - .offset:         142
        .size:           2
        .value_kind:     hidden_group_size_y
      - .offset:         144
        .size:           2
        .value_kind:     hidden_group_size_z
      - .offset:         146
        .size:           2
        .value_kind:     hidden_remainder_x
      - .offset:         148
        .size:           2
        .value_kind:     hidden_remainder_y
      - .offset:         150
        .size:           2
        .value_kind:     hidden_remainder_z
      - .offset:         168
        .size:           8
        .value_kind:     hidden_global_offset_x
      - .offset:         176
        .size:           8
        .value_kind:     hidden_global_offset_y
      - .offset:         184
        .size:           8
        .value_kind:     hidden_global_offset_z
      - .offset:         192
        .size:           2
        .value_kind:     hidden_grid_dims
      - .offset:         248
        .size:           4
        .value_kind:     hidden_dynamic_lds_size
    .group_segment_fixed_size: 496
    .kernarg_segment_align: 8
    .kernarg_segment_size: 384
    .language:       OpenCL C
    .language_version:
      - 2
      - 0
    .max_flat_workgroup_size: 1024
    .name:           _ZN4vllm25paged_attention_v1_kernelIffLi120ELi8ELi128ELNS_18Fp8KVCacheDataTypeE0ELb1EEEvPT_PKS2_PKT0_S8_ifPKiSA_iPKfiiiSC_SC_iiiii
    .private_segment_fixed_size: 0
    .sgpr_count:     50
    .sgpr_spill_count: 0
    .symbol:         _ZN4vllm25paged_attention_v1_kernelIffLi120ELi8ELi128ELNS_18Fp8KVCacheDataTypeE0ELb1EEEvPT_PKS2_PKT0_S8_ifPKiSA_iPKfiiiSC_SC_iiiii.kd
    .uniform_work_group_size: 1
    .uses_dynamic_stack: false
    .vgpr_count:     56
    .vgpr_spill_count: 0
    .wavefront_size: 64
  - .agpr_count:     0
    .args:
      - .actual_access:  write_only
        .address_space:  global
        .offset:         0
        .size:           8
        .value_kind:     global_buffer
      - .actual_access:  read_only
        .address_space:  global
        .offset:         8
        .size:           8
        .value_kind:     global_buffer
      - .actual_access:  read_only
        .address_space:  global
        .offset:         16
        .size:           8
        .value_kind:     global_buffer
      - .actual_access:  read_only
        .address_space:  global
        .offset:         24
        .size:           8
        .value_kind:     global_buffer
      - .offset:         32
        .size:           4
        .value_kind:     by_value
      - .offset:         36
        .size:           4
        .value_kind:     by_value
      - .actual_access:  read_only
        .address_space:  global
        .offset:         40
        .size:           8
        .value_kind:     global_buffer
      - .actual_access:  read_only
        .address_space:  global
        .offset:         48
        .size:           8
        .value_kind:     global_buffer
      - .offset:         56
        .size:           4
        .value_kind:     by_value
      - .actual_access:  read_only
        .address_space:  global
        .offset:         64
        .size:           8
        .value_kind:     global_buffer
      - .offset:         72
        .size:           4
        .value_kind:     by_value
      - .offset:         76
        .size:           4
        .value_kind:     by_value
      - .offset:         80
        .size:           4
        .value_kind:     by_value
      - .address_space:  global
        .offset:         88
        .size:           8
        .value_kind:     global_buffer
      - .address_space:  global
        .offset:         96
        .size:           8
        .value_kind:     global_buffer
      - .offset:         104
        .size:           4
        .value_kind:     by_value
      - .offset:         108
        .size:           4
        .value_kind:     by_value
      - .offset:         112
        .size:           4
        .value_kind:     by_value
      - .offset:         116
        .size:           4
        .value_kind:     by_value
      - .offset:         120
        .size:           4
        .value_kind:     by_value
      - .offset:         128
        .size:           4
        .value_kind:     hidden_block_count_x
      - .offset:         132
        .size:           4
        .value_kind:     hidden_block_count_y
      - .offset:         136
        .size:           4
        .value_kind:     hidden_block_count_z
      - .offset:         140
        .size:           2
        .value_kind:     hidden_group_size_x
      - .offset:         142
        .size:           2
        .value_kind:     hidden_group_size_y
      - .offset:         144
        .size:           2
        .value_kind:     hidden_group_size_z
      - .offset:         146
        .size:           2
        .value_kind:     hidden_remainder_x
      - .offset:         148
        .size:           2
        .value_kind:     hidden_remainder_y
      - .offset:         150
        .size:           2
        .value_kind:     hidden_remainder_z
      - .offset:         168
        .size:           8
        .value_kind:     hidden_global_offset_x
      - .offset:         176
        .size:           8
        .value_kind:     hidden_global_offset_y
      - .offset:         184
        .size:           8
        .value_kind:     hidden_global_offset_z
      - .offset:         192
        .size:           2
        .value_kind:     hidden_grid_dims
      - .offset:         248
        .size:           4
        .value_kind:     hidden_dynamic_lds_size
    .group_segment_fixed_size: 528
    .kernarg_segment_align: 8
    .kernarg_segment_size: 384
    .language:       OpenCL C
    .language_version:
      - 2
      - 0
    .max_flat_workgroup_size: 1024
    .name:           _ZN4vllm25paged_attention_v1_kernelIffLi128ELi8ELi128ELNS_18Fp8KVCacheDataTypeE0ELb1EEEvPT_PKS2_PKT0_S8_ifPKiSA_iPKfiiiSC_SC_iiiii
    .private_segment_fixed_size: 0
    .sgpr_count:     50
    .sgpr_spill_count: 0
    .symbol:         _ZN4vllm25paged_attention_v1_kernelIffLi128ELi8ELi128ELNS_18Fp8KVCacheDataTypeE0ELb1EEEvPT_PKS2_PKT0_S8_ifPKiSA_iPKfiiiSC_SC_iiiii.kd
    .uniform_work_group_size: 1
    .uses_dynamic_stack: false
    .vgpr_count:     58
    .vgpr_spill_count: 0
    .wavefront_size: 64
  - .agpr_count:     0
    .args:
      - .actual_access:  write_only
        .address_space:  global
        .offset:         0
        .size:           8
        .value_kind:     global_buffer
      - .actual_access:  read_only
        .address_space:  global
        .offset:         8
        .size:           8
        .value_kind:     global_buffer
      - .actual_access:  read_only
        .address_space:  global
        .offset:         16
        .size:           8
        .value_kind:     global_buffer
      - .actual_access:  read_only
        .address_space:  global
        .offset:         24
        .size:           8
        .value_kind:     global_buffer
      - .offset:         32
        .size:           4
        .value_kind:     by_value
      - .offset:         36
        .size:           4
        .value_kind:     by_value
      - .actual_access:  read_only
        .address_space:  global
        .offset:         40
        .size:           8
        .value_kind:     global_buffer
      - .actual_access:  read_only
        .address_space:  global
        .offset:         48
        .size:           8
        .value_kind:     global_buffer
      - .offset:         56
        .size:           4
        .value_kind:     by_value
      - .actual_access:  read_only
        .address_space:  global
        .offset:         64
        .size:           8
        .value_kind:     global_buffer
      - .offset:         72
        .size:           4
        .value_kind:     by_value
      - .offset:         76
        .size:           4
        .value_kind:     by_value
      - .offset:         80
        .size:           4
        .value_kind:     by_value
      - .address_space:  global
        .offset:         88
        .size:           8
        .value_kind:     global_buffer
      - .address_space:  global
        .offset:         96
        .size:           8
        .value_kind:     global_buffer
      - .offset:         104
        .size:           4
        .value_kind:     by_value
      - .offset:         108
        .size:           4
        .value_kind:     by_value
      - .offset:         112
        .size:           4
        .value_kind:     by_value
      - .offset:         116
        .size:           4
        .value_kind:     by_value
      - .offset:         120
        .size:           4
        .value_kind:     by_value
      - .offset:         128
        .size:           4
        .value_kind:     hidden_block_count_x
      - .offset:         132
        .size:           4
        .value_kind:     hidden_block_count_y
      - .offset:         136
        .size:           4
        .value_kind:     hidden_block_count_z
      - .offset:         140
        .size:           2
        .value_kind:     hidden_group_size_x
      - .offset:         142
        .size:           2
        .value_kind:     hidden_group_size_y
      - .offset:         144
        .size:           2
        .value_kind:     hidden_group_size_z
      - .offset:         146
        .size:           2
        .value_kind:     hidden_remainder_x
      - .offset:         148
        .size:           2
        .value_kind:     hidden_remainder_y
      - .offset:         150
        .size:           2
        .value_kind:     hidden_remainder_z
      - .offset:         168
        .size:           8
        .value_kind:     hidden_global_offset_x
      - .offset:         176
        .size:           8
        .value_kind:     hidden_global_offset_y
      - .offset:         184
        .size:           8
        .value_kind:     hidden_global_offset_z
      - .offset:         192
        .size:           2
        .value_kind:     hidden_grid_dims
      - .offset:         248
        .size:           4
        .value_kind:     hidden_dynamic_lds_size
    .group_segment_fixed_size: 784
    .kernarg_segment_align: 8
    .kernarg_segment_size: 384
    .language:       OpenCL C
    .language_version:
      - 2
      - 0
    .max_flat_workgroup_size: 1024
    .name:           _ZN4vllm25paged_attention_v1_kernelIffLi192ELi8ELi128ELNS_18Fp8KVCacheDataTypeE0ELb1EEEvPT_PKS2_PKT0_S8_ifPKiSA_iPKfiiiSC_SC_iiiii
    .private_segment_fixed_size: 0
    .sgpr_count:     51
    .sgpr_spill_count: 0
    .symbol:         _ZN4vllm25paged_attention_v1_kernelIffLi192ELi8ELi128ELNS_18Fp8KVCacheDataTypeE0ELb1EEEvPT_PKS2_PKT0_S8_ifPKiSA_iPKfiiiSC_SC_iiiii.kd
    .uniform_work_group_size: 1
    .uses_dynamic_stack: false
    .vgpr_count:     73
    .vgpr_spill_count: 0
    .wavefront_size: 64
  - .agpr_count:     0
    .args:
      - .actual_access:  write_only
        .address_space:  global
        .offset:         0
        .size:           8
        .value_kind:     global_buffer
      - .actual_access:  read_only
        .address_space:  global
        .offset:         8
        .size:           8
        .value_kind:     global_buffer
      - .actual_access:  read_only
        .address_space:  global
        .offset:         16
        .size:           8
        .value_kind:     global_buffer
      - .actual_access:  read_only
        .address_space:  global
        .offset:         24
        .size:           8
        .value_kind:     global_buffer
      - .offset:         32
        .size:           4
        .value_kind:     by_value
      - .offset:         36
        .size:           4
        .value_kind:     by_value
      - .actual_access:  read_only
        .address_space:  global
        .offset:         40
        .size:           8
        .value_kind:     global_buffer
      - .actual_access:  read_only
        .address_space:  global
        .offset:         48
        .size:           8
        .value_kind:     global_buffer
      - .offset:         56
        .size:           4
        .value_kind:     by_value
      - .actual_access:  read_only
        .address_space:  global
        .offset:         64
        .size:           8
        .value_kind:     global_buffer
      - .offset:         72
        .size:           4
        .value_kind:     by_value
      - .offset:         76
        .size:           4
        .value_kind:     by_value
      - .offset:         80
        .size:           4
        .value_kind:     by_value
      - .address_space:  global
        .offset:         88
        .size:           8
        .value_kind:     global_buffer
      - .address_space:  global
        .offset:         96
        .size:           8
        .value_kind:     global_buffer
      - .offset:         104
        .size:           4
        .value_kind:     by_value
      - .offset:         108
        .size:           4
        .value_kind:     by_value
      - .offset:         112
        .size:           4
        .value_kind:     by_value
      - .offset:         116
        .size:           4
        .value_kind:     by_value
      - .offset:         120
        .size:           4
        .value_kind:     by_value
      - .offset:         128
        .size:           4
        .value_kind:     hidden_block_count_x
      - .offset:         132
        .size:           4
        .value_kind:     hidden_block_count_y
      - .offset:         136
        .size:           4
        .value_kind:     hidden_block_count_z
      - .offset:         140
        .size:           2
        .value_kind:     hidden_group_size_x
      - .offset:         142
        .size:           2
        .value_kind:     hidden_group_size_y
      - .offset:         144
        .size:           2
        .value_kind:     hidden_group_size_z
      - .offset:         146
        .size:           2
        .value_kind:     hidden_remainder_x
      - .offset:         148
        .size:           2
        .value_kind:     hidden_remainder_y
      - .offset:         150
        .size:           2
        .value_kind:     hidden_remainder_z
      - .offset:         168
        .size:           8
        .value_kind:     hidden_global_offset_x
      - .offset:         176
        .size:           8
        .value_kind:     hidden_global_offset_y
      - .offset:         184
        .size:           8
        .value_kind:     hidden_global_offset_z
      - .offset:         192
        .size:           2
        .value_kind:     hidden_grid_dims
      - .offset:         248
        .size:           4
        .value_kind:     hidden_dynamic_lds_size
    .group_segment_fixed_size: 1040
    .kernarg_segment_align: 8
    .kernarg_segment_size: 384
    .language:       OpenCL C
    .language_version:
      - 2
      - 0
    .max_flat_workgroup_size: 1024
    .name:           _ZN4vllm25paged_attention_v1_kernelIffLi256ELi8ELi128ELNS_18Fp8KVCacheDataTypeE0ELb1EEEvPT_PKS2_PKT0_S8_ifPKiSA_iPKfiiiSC_SC_iiiii
    .private_segment_fixed_size: 0
    .sgpr_count:     51
    .sgpr_spill_count: 0
    .symbol:         _ZN4vllm25paged_attention_v1_kernelIffLi256ELi8ELi128ELNS_18Fp8KVCacheDataTypeE0ELb1EEEvPT_PKS2_PKT0_S8_ifPKiSA_iPKfiiiSC_SC_iiiii.kd
    .uniform_work_group_size: 1
    .uses_dynamic_stack: false
    .vgpr_count:     89
    .vgpr_spill_count: 0
    .wavefront_size: 64
  - .agpr_count:     0
    .args:
      - .actual_access:  write_only
        .address_space:  global
        .offset:         0
        .size:           8
        .value_kind:     global_buffer
      - .actual_access:  read_only
        .address_space:  global
        .offset:         8
        .size:           8
        .value_kind:     global_buffer
      - .actual_access:  read_only
        .address_space:  global
        .offset:         16
        .size:           8
        .value_kind:     global_buffer
      - .actual_access:  read_only
        .address_space:  global
        .offset:         24
        .size:           8
        .value_kind:     global_buffer
      - .offset:         32
        .size:           4
        .value_kind:     by_value
      - .offset:         36
        .size:           4
        .value_kind:     by_value
      - .actual_access:  read_only
        .address_space:  global
        .offset:         40
        .size:           8
        .value_kind:     global_buffer
      - .actual_access:  read_only
        .address_space:  global
        .offset:         48
        .size:           8
        .value_kind:     global_buffer
      - .offset:         56
        .size:           4
        .value_kind:     by_value
      - .actual_access:  read_only
        .address_space:  global
        .offset:         64
        .size:           8
        .value_kind:     global_buffer
      - .offset:         72
        .size:           4
        .value_kind:     by_value
      - .offset:         76
        .size:           4
        .value_kind:     by_value
      - .offset:         80
        .size:           4
        .value_kind:     by_value
      - .address_space:  global
        .offset:         88
        .size:           8
        .value_kind:     global_buffer
      - .address_space:  global
        .offset:         96
        .size:           8
        .value_kind:     global_buffer
      - .offset:         104
        .size:           4
        .value_kind:     by_value
      - .offset:         108
        .size:           4
        .value_kind:     by_value
      - .offset:         112
        .size:           4
        .value_kind:     by_value
      - .offset:         116
        .size:           4
        .value_kind:     by_value
      - .offset:         120
        .size:           4
        .value_kind:     by_value
      - .offset:         128
        .size:           4
        .value_kind:     hidden_block_count_x
      - .offset:         132
        .size:           4
        .value_kind:     hidden_block_count_y
      - .offset:         136
        .size:           4
        .value_kind:     hidden_block_count_z
      - .offset:         140
        .size:           2
        .value_kind:     hidden_group_size_x
      - .offset:         142
        .size:           2
        .value_kind:     hidden_group_size_y
      - .offset:         144
        .size:           2
        .value_kind:     hidden_group_size_z
      - .offset:         146
        .size:           2
        .value_kind:     hidden_remainder_x
      - .offset:         148
        .size:           2
        .value_kind:     hidden_remainder_y
      - .offset:         150
        .size:           2
        .value_kind:     hidden_remainder_z
      - .offset:         168
        .size:           8
        .value_kind:     hidden_global_offset_x
      - .offset:         176
        .size:           8
        .value_kind:     hidden_global_offset_y
      - .offset:         184
        .size:           8
        .value_kind:     hidden_global_offset_z
      - .offset:         192
        .size:           2
        .value_kind:     hidden_grid_dims
      - .offset:         248
        .size:           4
        .value_kind:     hidden_dynamic_lds_size
    .group_segment_fixed_size: 144
    .kernarg_segment_align: 8
    .kernarg_segment_size: 384
    .language:       OpenCL C
    .language_version:
      - 2
      - 0
    .max_flat_workgroup_size: 1024
    .name:           _ZN4vllm25paged_attention_v1_kernelIffLi32ELi8ELi128ELNS_18Fp8KVCacheDataTypeE0ELb0EEEvPT_PKS2_PKT0_S8_ifPKiSA_iPKfiiiSC_SC_iiiii
    .private_segment_fixed_size: 0
    .sgpr_count:     40
    .sgpr_spill_count: 0
    .symbol:         _ZN4vllm25paged_attention_v1_kernelIffLi32ELi8ELi128ELNS_18Fp8KVCacheDataTypeE0ELb0EEEvPT_PKS2_PKT0_S8_ifPKiSA_iPKfiiiSC_SC_iiiii.kd
    .uniform_work_group_size: 1
    .uses_dynamic_stack: false
    .vgpr_count:     29
    .vgpr_spill_count: 0
    .wavefront_size: 64
  - .agpr_count:     0
    .args:
      - .actual_access:  write_only
        .address_space:  global
        .offset:         0
        .size:           8
        .value_kind:     global_buffer
      - .actual_access:  read_only
        .address_space:  global
        .offset:         8
        .size:           8
        .value_kind:     global_buffer
      - .actual_access:  read_only
        .address_space:  global
        .offset:         16
        .size:           8
        .value_kind:     global_buffer
      - .actual_access:  read_only
        .address_space:  global
        .offset:         24
        .size:           8
        .value_kind:     global_buffer
      - .offset:         32
        .size:           4
        .value_kind:     by_value
      - .offset:         36
        .size:           4
        .value_kind:     by_value
      - .actual_access:  read_only
        .address_space:  global
        .offset:         40
        .size:           8
        .value_kind:     global_buffer
      - .actual_access:  read_only
        .address_space:  global
        .offset:         48
        .size:           8
        .value_kind:     global_buffer
      - .offset:         56
        .size:           4
        .value_kind:     by_value
      - .actual_access:  read_only
        .address_space:  global
        .offset:         64
        .size:           8
        .value_kind:     global_buffer
      - .offset:         72
        .size:           4
        .value_kind:     by_value
      - .offset:         76
        .size:           4
        .value_kind:     by_value
      - .offset:         80
        .size:           4
        .value_kind:     by_value
      - .address_space:  global
        .offset:         88
        .size:           8
        .value_kind:     global_buffer
      - .address_space:  global
        .offset:         96
        .size:           8
        .value_kind:     global_buffer
      - .offset:         104
        .size:           4
        .value_kind:     by_value
      - .offset:         108
        .size:           4
        .value_kind:     by_value
      - .offset:         112
        .size:           4
        .value_kind:     by_value
      - .offset:         116
        .size:           4
        .value_kind:     by_value
      - .offset:         120
        .size:           4
        .value_kind:     by_value
      - .offset:         128
        .size:           4
        .value_kind:     hidden_block_count_x
      - .offset:         132
        .size:           4
        .value_kind:     hidden_block_count_y
      - .offset:         136
        .size:           4
        .value_kind:     hidden_block_count_z
      - .offset:         140
        .size:           2
        .value_kind:     hidden_group_size_x
      - .offset:         142
        .size:           2
        .value_kind:     hidden_group_size_y
      - .offset:         144
        .size:           2
        .value_kind:     hidden_group_size_z
      - .offset:         146
        .size:           2
        .value_kind:     hidden_remainder_x
      - .offset:         148
        .size:           2
        .value_kind:     hidden_remainder_y
      - .offset:         150
        .size:           2
        .value_kind:     hidden_remainder_z
      - .offset:         168
        .size:           8
        .value_kind:     hidden_global_offset_x
      - .offset:         176
        .size:           8
        .value_kind:     hidden_global_offset_y
      - .offset:         184
        .size:           8
        .value_kind:     hidden_global_offset_z
      - .offset:         192
        .size:           2
        .value_kind:     hidden_grid_dims
      - .offset:         248
        .size:           4
        .value_kind:     hidden_dynamic_lds_size
    .group_segment_fixed_size: 272
    .kernarg_segment_align: 8
    .kernarg_segment_size: 384
    .language:       OpenCL C
    .language_version:
      - 2
      - 0
    .max_flat_workgroup_size: 1024
    .name:           _ZN4vllm25paged_attention_v1_kernelIffLi64ELi8ELi128ELNS_18Fp8KVCacheDataTypeE0ELb0EEEvPT_PKS2_PKT0_S8_ifPKiSA_iPKfiiiSC_SC_iiiii
    .private_segment_fixed_size: 0
    .sgpr_count:     42
    .sgpr_spill_count: 0
    .symbol:         _ZN4vllm25paged_attention_v1_kernelIffLi64ELi8ELi128ELNS_18Fp8KVCacheDataTypeE0ELb0EEEvPT_PKS2_PKT0_S8_ifPKiSA_iPKfiiiSC_SC_iiiii.kd
    .uniform_work_group_size: 1
    .uses_dynamic_stack: false
    .vgpr_count:     37
    .vgpr_spill_count: 0
    .wavefront_size: 64
  - .agpr_count:     0
    .args:
      - .actual_access:  write_only
        .address_space:  global
        .offset:         0
        .size:           8
        .value_kind:     global_buffer
      - .actual_access:  read_only
        .address_space:  global
        .offset:         8
        .size:           8
        .value_kind:     global_buffer
      - .actual_access:  read_only
        .address_space:  global
        .offset:         16
        .size:           8
        .value_kind:     global_buffer
      - .actual_access:  read_only
        .address_space:  global
        .offset:         24
        .size:           8
        .value_kind:     global_buffer
      - .offset:         32
        .size:           4
        .value_kind:     by_value
      - .offset:         36
        .size:           4
        .value_kind:     by_value
      - .actual_access:  read_only
        .address_space:  global
        .offset:         40
        .size:           8
        .value_kind:     global_buffer
      - .actual_access:  read_only
        .address_space:  global
        .offset:         48
        .size:           8
        .value_kind:     global_buffer
      - .offset:         56
        .size:           4
        .value_kind:     by_value
      - .actual_access:  read_only
        .address_space:  global
        .offset:         64
        .size:           8
        .value_kind:     global_buffer
      - .offset:         72
        .size:           4
        .value_kind:     by_value
      - .offset:         76
        .size:           4
        .value_kind:     by_value
      - .offset:         80
        .size:           4
        .value_kind:     by_value
      - .address_space:  global
        .offset:         88
        .size:           8
        .value_kind:     global_buffer
      - .address_space:  global
        .offset:         96
        .size:           8
        .value_kind:     global_buffer
      - .offset:         104
        .size:           4
        .value_kind:     by_value
      - .offset:         108
        .size:           4
        .value_kind:     by_value
      - .offset:         112
        .size:           4
        .value_kind:     by_value
      - .offset:         116
        .size:           4
        .value_kind:     by_value
      - .offset:         120
        .size:           4
        .value_kind:     by_value
      - .offset:         128
        .size:           4
        .value_kind:     hidden_block_count_x
      - .offset:         132
        .size:           4
        .value_kind:     hidden_block_count_y
      - .offset:         136
        .size:           4
        .value_kind:     hidden_block_count_z
      - .offset:         140
        .size:           2
        .value_kind:     hidden_group_size_x
      - .offset:         142
        .size:           2
        .value_kind:     hidden_group_size_y
      - .offset:         144
        .size:           2
        .value_kind:     hidden_group_size_z
      - .offset:         146
        .size:           2
        .value_kind:     hidden_remainder_x
      - .offset:         148
        .size:           2
        .value_kind:     hidden_remainder_y
      - .offset:         150
        .size:           2
        .value_kind:     hidden_remainder_z
      - .offset:         168
        .size:           8
        .value_kind:     hidden_global_offset_x
      - .offset:         176
        .size:           8
        .value_kind:     hidden_global_offset_y
      - .offset:         184
        .size:           8
        .value_kind:     hidden_global_offset_z
      - .offset:         192
        .size:           2
        .value_kind:     hidden_grid_dims
      - .offset:         248
        .size:           4
        .value_kind:     hidden_dynamic_lds_size
    .group_segment_fixed_size: 336
    .kernarg_segment_align: 8
    .kernarg_segment_size: 384
    .language:       OpenCL C
    .language_version:
      - 2
      - 0
    .max_flat_workgroup_size: 1024
    .name:           _ZN4vllm25paged_attention_v1_kernelIffLi80ELi8ELi128ELNS_18Fp8KVCacheDataTypeE0ELb0EEEvPT_PKS2_PKT0_S8_ifPKiSA_iPKfiiiSC_SC_iiiii
    .private_segment_fixed_size: 0
    .sgpr_count:     40
    .sgpr_spill_count: 0
    .symbol:         _ZN4vllm25paged_attention_v1_kernelIffLi80ELi8ELi128ELNS_18Fp8KVCacheDataTypeE0ELb0EEEvPT_PKS2_PKT0_S8_ifPKiSA_iPKfiiiSC_SC_iiiii.kd
    .uniform_work_group_size: 1
    .uses_dynamic_stack: false
    .vgpr_count:     41
    .vgpr_spill_count: 0
    .wavefront_size: 64
  - .agpr_count:     0
    .args:
      - .actual_access:  write_only
        .address_space:  global
        .offset:         0
        .size:           8
        .value_kind:     global_buffer
      - .actual_access:  read_only
        .address_space:  global
        .offset:         8
        .size:           8
        .value_kind:     global_buffer
      - .actual_access:  read_only
        .address_space:  global
        .offset:         16
        .size:           8
        .value_kind:     global_buffer
      - .actual_access:  read_only
        .address_space:  global
        .offset:         24
        .size:           8
        .value_kind:     global_buffer
      - .offset:         32
        .size:           4
        .value_kind:     by_value
      - .offset:         36
        .size:           4
        .value_kind:     by_value
      - .actual_access:  read_only
        .address_space:  global
        .offset:         40
        .size:           8
        .value_kind:     global_buffer
      - .actual_access:  read_only
        .address_space:  global
        .offset:         48
        .size:           8
        .value_kind:     global_buffer
      - .offset:         56
        .size:           4
        .value_kind:     by_value
      - .actual_access:  read_only
        .address_space:  global
        .offset:         64
        .size:           8
        .value_kind:     global_buffer
      - .offset:         72
        .size:           4
        .value_kind:     by_value
      - .offset:         76
        .size:           4
        .value_kind:     by_value
      - .offset:         80
        .size:           4
        .value_kind:     by_value
      - .address_space:  global
        .offset:         88
        .size:           8
        .value_kind:     global_buffer
      - .address_space:  global
        .offset:         96
        .size:           8
        .value_kind:     global_buffer
      - .offset:         104
        .size:           4
        .value_kind:     by_value
      - .offset:         108
        .size:           4
        .value_kind:     by_value
      - .offset:         112
        .size:           4
        .value_kind:     by_value
      - .offset:         116
        .size:           4
        .value_kind:     by_value
      - .offset:         120
        .size:           4
        .value_kind:     by_value
      - .offset:         128
        .size:           4
        .value_kind:     hidden_block_count_x
      - .offset:         132
        .size:           4
        .value_kind:     hidden_block_count_y
      - .offset:         136
        .size:           4
        .value_kind:     hidden_block_count_z
      - .offset:         140
        .size:           2
        .value_kind:     hidden_group_size_x
      - .offset:         142
        .size:           2
        .value_kind:     hidden_group_size_y
      - .offset:         144
        .size:           2
        .value_kind:     hidden_group_size_z
      - .offset:         146
        .size:           2
        .value_kind:     hidden_remainder_x
      - .offset:         148
        .size:           2
        .value_kind:     hidden_remainder_y
      - .offset:         150
        .size:           2
        .value_kind:     hidden_remainder_z
      - .offset:         168
        .size:           8
        .value_kind:     hidden_global_offset_x
      - .offset:         176
        .size:           8
        .value_kind:     hidden_global_offset_y
      - .offset:         184
        .size:           8
        .value_kind:     hidden_global_offset_z
      - .offset:         192
        .size:           2
        .value_kind:     hidden_grid_dims
      - .offset:         248
        .size:           4
        .value_kind:     hidden_dynamic_lds_size
    .group_segment_fixed_size: 400
    .kernarg_segment_align: 8
    .kernarg_segment_size: 384
    .language:       OpenCL C
    .language_version:
      - 2
      - 0
    .max_flat_workgroup_size: 1024
    .name:           _ZN4vllm25paged_attention_v1_kernelIffLi96ELi8ELi128ELNS_18Fp8KVCacheDataTypeE0ELb0EEEvPT_PKS2_PKT0_S8_ifPKiSA_iPKfiiiSC_SC_iiiii
    .private_segment_fixed_size: 0
    .sgpr_count:     40
    .sgpr_spill_count: 0
    .symbol:         _ZN4vllm25paged_attention_v1_kernelIffLi96ELi8ELi128ELNS_18Fp8KVCacheDataTypeE0ELb0EEEvPT_PKS2_PKT0_S8_ifPKiSA_iPKfiiiSC_SC_iiiii.kd
    .uniform_work_group_size: 1
    .uses_dynamic_stack: false
    .vgpr_count:     45
    .vgpr_spill_count: 0
    .wavefront_size: 64
  - .agpr_count:     0
    .args:
      - .actual_access:  write_only
        .address_space:  global
        .offset:         0
        .size:           8
        .value_kind:     global_buffer
      - .actual_access:  read_only
        .address_space:  global
        .offset:         8
        .size:           8
        .value_kind:     global_buffer
      - .actual_access:  read_only
        .address_space:  global
        .offset:         16
        .size:           8
        .value_kind:     global_buffer
      - .actual_access:  read_only
        .address_space:  global
        .offset:         24
        .size:           8
        .value_kind:     global_buffer
      - .offset:         32
        .size:           4
        .value_kind:     by_value
      - .offset:         36
        .size:           4
        .value_kind:     by_value
      - .actual_access:  read_only
        .address_space:  global
        .offset:         40
        .size:           8
        .value_kind:     global_buffer
      - .actual_access:  read_only
        .address_space:  global
        .offset:         48
        .size:           8
        .value_kind:     global_buffer
      - .offset:         56
        .size:           4
        .value_kind:     by_value
      - .actual_access:  read_only
        .address_space:  global
        .offset:         64
        .size:           8
        .value_kind:     global_buffer
      - .offset:         72
        .size:           4
        .value_kind:     by_value
      - .offset:         76
        .size:           4
        .value_kind:     by_value
      - .offset:         80
        .size:           4
        .value_kind:     by_value
      - .address_space:  global
        .offset:         88
        .size:           8
        .value_kind:     global_buffer
      - .address_space:  global
        .offset:         96
        .size:           8
        .value_kind:     global_buffer
      - .offset:         104
        .size:           4
        .value_kind:     by_value
      - .offset:         108
        .size:           4
        .value_kind:     by_value
      - .offset:         112
        .size:           4
        .value_kind:     by_value
      - .offset:         116
        .size:           4
        .value_kind:     by_value
      - .offset:         120
        .size:           4
        .value_kind:     by_value
      - .offset:         128
        .size:           4
        .value_kind:     hidden_block_count_x
      - .offset:         132
        .size:           4
        .value_kind:     hidden_block_count_y
      - .offset:         136
        .size:           4
        .value_kind:     hidden_block_count_z
      - .offset:         140
        .size:           2
        .value_kind:     hidden_group_size_x
      - .offset:         142
        .size:           2
        .value_kind:     hidden_group_size_y
      - .offset:         144
        .size:           2
        .value_kind:     hidden_group_size_z
      - .offset:         146
        .size:           2
        .value_kind:     hidden_remainder_x
      - .offset:         148
        .size:           2
        .value_kind:     hidden_remainder_y
      - .offset:         150
        .size:           2
        .value_kind:     hidden_remainder_z
      - .offset:         168
        .size:           8
        .value_kind:     hidden_global_offset_x
      - .offset:         176
        .size:           8
        .value_kind:     hidden_global_offset_y
      - .offset:         184
        .size:           8
        .value_kind:     hidden_global_offset_z
      - .offset:         192
        .size:           2
        .value_kind:     hidden_grid_dims
      - .offset:         248
        .size:           4
        .value_kind:     hidden_dynamic_lds_size
    .group_segment_fixed_size: 464
    .kernarg_segment_align: 8
    .kernarg_segment_size: 384
    .language:       OpenCL C
    .language_version:
      - 2
      - 0
    .max_flat_workgroup_size: 1024
    .name:           _ZN4vllm25paged_attention_v1_kernelIffLi112ELi8ELi128ELNS_18Fp8KVCacheDataTypeE0ELb0EEEvPT_PKS2_PKT0_S8_ifPKiSA_iPKfiiiSC_SC_iiiii
    .private_segment_fixed_size: 0
    .sgpr_count:     40
    .sgpr_spill_count: 0
    .symbol:         _ZN4vllm25paged_attention_v1_kernelIffLi112ELi8ELi128ELNS_18Fp8KVCacheDataTypeE0ELb0EEEvPT_PKS2_PKT0_S8_ifPKiSA_iPKfiiiSC_SC_iiiii.kd
    .uniform_work_group_size: 1
    .uses_dynamic_stack: false
    .vgpr_count:     49
    .vgpr_spill_count: 0
    .wavefront_size: 64
  - .agpr_count:     0
    .args:
      - .actual_access:  write_only
        .address_space:  global
        .offset:         0
        .size:           8
        .value_kind:     global_buffer
      - .actual_access:  read_only
        .address_space:  global
        .offset:         8
        .size:           8
        .value_kind:     global_buffer
      - .actual_access:  read_only
        .address_space:  global
        .offset:         16
        .size:           8
        .value_kind:     global_buffer
      - .actual_access:  read_only
        .address_space:  global
        .offset:         24
        .size:           8
        .value_kind:     global_buffer
      - .offset:         32
        .size:           4
        .value_kind:     by_value
      - .offset:         36
        .size:           4
        .value_kind:     by_value
      - .actual_access:  read_only
        .address_space:  global
        .offset:         40
        .size:           8
        .value_kind:     global_buffer
      - .actual_access:  read_only
        .address_space:  global
        .offset:         48
        .size:           8
        .value_kind:     global_buffer
      - .offset:         56
        .size:           4
        .value_kind:     by_value
      - .actual_access:  read_only
        .address_space:  global
        .offset:         64
        .size:           8
        .value_kind:     global_buffer
      - .offset:         72
        .size:           4
        .value_kind:     by_value
      - .offset:         76
        .size:           4
        .value_kind:     by_value
      - .offset:         80
        .size:           4
        .value_kind:     by_value
      - .address_space:  global
        .offset:         88
        .size:           8
        .value_kind:     global_buffer
      - .address_space:  global
        .offset:         96
        .size:           8
        .value_kind:     global_buffer
      - .offset:         104
        .size:           4
        .value_kind:     by_value
      - .offset:         108
        .size:           4
        .value_kind:     by_value
      - .offset:         112
        .size:           4
        .value_kind:     by_value
      - .offset:         116
        .size:           4
        .value_kind:     by_value
      - .offset:         120
        .size:           4
        .value_kind:     by_value
      - .offset:         128
        .size:           4
        .value_kind:     hidden_block_count_x
      - .offset:         132
        .size:           4
        .value_kind:     hidden_block_count_y
      - .offset:         136
        .size:           4
        .value_kind:     hidden_block_count_z
      - .offset:         140
        .size:           2
        .value_kind:     hidden_group_size_x
      - .offset:         142
        .size:           2
        .value_kind:     hidden_group_size_y
      - .offset:         144
        .size:           2
        .value_kind:     hidden_group_size_z
      - .offset:         146
        .size:           2
        .value_kind:     hidden_remainder_x
      - .offset:         148
        .size:           2
        .value_kind:     hidden_remainder_y
      - .offset:         150
        .size:           2
        .value_kind:     hidden_remainder_z
      - .offset:         168
        .size:           8
        .value_kind:     hidden_global_offset_x
      - .offset:         176
        .size:           8
        .value_kind:     hidden_global_offset_y
      - .offset:         184
        .size:           8
        .value_kind:     hidden_global_offset_z
      - .offset:         192
        .size:           2
        .value_kind:     hidden_grid_dims
      - .offset:         248
        .size:           4
        .value_kind:     hidden_dynamic_lds_size
    .group_segment_fixed_size: 496
    .kernarg_segment_align: 8
    .kernarg_segment_size: 384
    .language:       OpenCL C
    .language_version:
      - 2
      - 0
    .max_flat_workgroup_size: 1024
    .name:           _ZN4vllm25paged_attention_v1_kernelIffLi120ELi8ELi128ELNS_18Fp8KVCacheDataTypeE0ELb0EEEvPT_PKS2_PKT0_S8_ifPKiSA_iPKfiiiSC_SC_iiiii
    .private_segment_fixed_size: 0
    .sgpr_count:     40
    .sgpr_spill_count: 0
    .symbol:         _ZN4vllm25paged_attention_v1_kernelIffLi120ELi8ELi128ELNS_18Fp8KVCacheDataTypeE0ELb0EEEvPT_PKS2_PKT0_S8_ifPKiSA_iPKfiiiSC_SC_iiiii.kd
    .uniform_work_group_size: 1
    .uses_dynamic_stack: false
    .vgpr_count:     51
    .vgpr_spill_count: 0
    .wavefront_size: 64
  - .agpr_count:     0
    .args:
      - .actual_access:  write_only
        .address_space:  global
        .offset:         0
        .size:           8
        .value_kind:     global_buffer
      - .actual_access:  read_only
        .address_space:  global
        .offset:         8
        .size:           8
        .value_kind:     global_buffer
      - .actual_access:  read_only
        .address_space:  global
        .offset:         16
        .size:           8
        .value_kind:     global_buffer
      - .actual_access:  read_only
        .address_space:  global
        .offset:         24
        .size:           8
        .value_kind:     global_buffer
      - .offset:         32
        .size:           4
        .value_kind:     by_value
      - .offset:         36
        .size:           4
        .value_kind:     by_value
      - .actual_access:  read_only
        .address_space:  global
        .offset:         40
        .size:           8
        .value_kind:     global_buffer
      - .actual_access:  read_only
        .address_space:  global
        .offset:         48
        .size:           8
        .value_kind:     global_buffer
      - .offset:         56
        .size:           4
        .value_kind:     by_value
      - .actual_access:  read_only
        .address_space:  global
        .offset:         64
        .size:           8
        .value_kind:     global_buffer
      - .offset:         72
        .size:           4
        .value_kind:     by_value
      - .offset:         76
        .size:           4
        .value_kind:     by_value
      - .offset:         80
        .size:           4
        .value_kind:     by_value
      - .address_space:  global
        .offset:         88
        .size:           8
        .value_kind:     global_buffer
      - .address_space:  global
        .offset:         96
        .size:           8
        .value_kind:     global_buffer
      - .offset:         104
        .size:           4
        .value_kind:     by_value
      - .offset:         108
        .size:           4
        .value_kind:     by_value
      - .offset:         112
        .size:           4
        .value_kind:     by_value
      - .offset:         116
        .size:           4
        .value_kind:     by_value
      - .offset:         120
        .size:           4
        .value_kind:     by_value
      - .offset:         128
        .size:           4
        .value_kind:     hidden_block_count_x
      - .offset:         132
        .size:           4
        .value_kind:     hidden_block_count_y
      - .offset:         136
        .size:           4
        .value_kind:     hidden_block_count_z
      - .offset:         140
        .size:           2
        .value_kind:     hidden_group_size_x
      - .offset:         142
        .size:           2
        .value_kind:     hidden_group_size_y
      - .offset:         144
        .size:           2
        .value_kind:     hidden_group_size_z
      - .offset:         146
        .size:           2
        .value_kind:     hidden_remainder_x
      - .offset:         148
        .size:           2
        .value_kind:     hidden_remainder_y
      - .offset:         150
        .size:           2
        .value_kind:     hidden_remainder_z
      - .offset:         168
        .size:           8
        .value_kind:     hidden_global_offset_x
      - .offset:         176
        .size:           8
        .value_kind:     hidden_global_offset_y
      - .offset:         184
        .size:           8
        .value_kind:     hidden_global_offset_z
      - .offset:         192
        .size:           2
        .value_kind:     hidden_grid_dims
      - .offset:         248
        .size:           4
        .value_kind:     hidden_dynamic_lds_size
    .group_segment_fixed_size: 528
    .kernarg_segment_align: 8
    .kernarg_segment_size: 384
    .language:       OpenCL C
    .language_version:
      - 2
      - 0
    .max_flat_workgroup_size: 1024
    .name:           _ZN4vllm25paged_attention_v1_kernelIffLi128ELi8ELi128ELNS_18Fp8KVCacheDataTypeE0ELb0EEEvPT_PKS2_PKT0_S8_ifPKiSA_iPKfiiiSC_SC_iiiii
    .private_segment_fixed_size: 0
    .sgpr_count:     40
    .sgpr_spill_count: 0
    .symbol:         _ZN4vllm25paged_attention_v1_kernelIffLi128ELi8ELi128ELNS_18Fp8KVCacheDataTypeE0ELb0EEEvPT_PKS2_PKT0_S8_ifPKiSA_iPKfiiiSC_SC_iiiii.kd
    .uniform_work_group_size: 1
    .uses_dynamic_stack: false
    .vgpr_count:     52
    .vgpr_spill_count: 0
    .wavefront_size: 64
  - .agpr_count:     0
    .args:
      - .actual_access:  write_only
        .address_space:  global
        .offset:         0
        .size:           8
        .value_kind:     global_buffer
      - .actual_access:  read_only
        .address_space:  global
        .offset:         8
        .size:           8
        .value_kind:     global_buffer
      - .actual_access:  read_only
        .address_space:  global
        .offset:         16
        .size:           8
        .value_kind:     global_buffer
      - .actual_access:  read_only
        .address_space:  global
        .offset:         24
        .size:           8
        .value_kind:     global_buffer
      - .offset:         32
        .size:           4
        .value_kind:     by_value
      - .offset:         36
        .size:           4
        .value_kind:     by_value
      - .actual_access:  read_only
        .address_space:  global
        .offset:         40
        .size:           8
        .value_kind:     global_buffer
      - .actual_access:  read_only
        .address_space:  global
        .offset:         48
        .size:           8
        .value_kind:     global_buffer
      - .offset:         56
        .size:           4
        .value_kind:     by_value
      - .actual_access:  read_only
        .address_space:  global
        .offset:         64
        .size:           8
        .value_kind:     global_buffer
      - .offset:         72
        .size:           4
        .value_kind:     by_value
      - .offset:         76
        .size:           4
        .value_kind:     by_value
      - .offset:         80
        .size:           4
        .value_kind:     by_value
      - .address_space:  global
        .offset:         88
        .size:           8
        .value_kind:     global_buffer
      - .address_space:  global
        .offset:         96
        .size:           8
        .value_kind:     global_buffer
      - .offset:         104
        .size:           4
        .value_kind:     by_value
      - .offset:         108
        .size:           4
        .value_kind:     by_value
      - .offset:         112
        .size:           4
        .value_kind:     by_value
      - .offset:         116
        .size:           4
        .value_kind:     by_value
      - .offset:         120
        .size:           4
        .value_kind:     by_value
      - .offset:         128
        .size:           4
        .value_kind:     hidden_block_count_x
      - .offset:         132
        .size:           4
        .value_kind:     hidden_block_count_y
      - .offset:         136
        .size:           4
        .value_kind:     hidden_block_count_z
      - .offset:         140
        .size:           2
        .value_kind:     hidden_group_size_x
      - .offset:         142
        .size:           2
        .value_kind:     hidden_group_size_y
      - .offset:         144
        .size:           2
        .value_kind:     hidden_group_size_z
      - .offset:         146
        .size:           2
        .value_kind:     hidden_remainder_x
      - .offset:         148
        .size:           2
        .value_kind:     hidden_remainder_y
      - .offset:         150
        .size:           2
        .value_kind:     hidden_remainder_z
      - .offset:         168
        .size:           8
        .value_kind:     hidden_global_offset_x
      - .offset:         176
        .size:           8
        .value_kind:     hidden_global_offset_y
      - .offset:         184
        .size:           8
        .value_kind:     hidden_global_offset_z
      - .offset:         192
        .size:           2
        .value_kind:     hidden_grid_dims
      - .offset:         248
        .size:           4
        .value_kind:     hidden_dynamic_lds_size
    .group_segment_fixed_size: 784
    .kernarg_segment_align: 8
    .kernarg_segment_size: 384
    .language:       OpenCL C
    .language_version:
      - 2
      - 0
    .max_flat_workgroup_size: 1024
    .name:           _ZN4vllm25paged_attention_v1_kernelIffLi192ELi8ELi128ELNS_18Fp8KVCacheDataTypeE0ELb0EEEvPT_PKS2_PKT0_S8_ifPKiSA_iPKfiiiSC_SC_iiiii
    .private_segment_fixed_size: 0
    .sgpr_count:     41
    .sgpr_spill_count: 0
    .symbol:         _ZN4vllm25paged_attention_v1_kernelIffLi192ELi8ELi128ELNS_18Fp8KVCacheDataTypeE0ELb0EEEvPT_PKS2_PKT0_S8_ifPKiSA_iPKfiiiSC_SC_iiiii.kd
    .uniform_work_group_size: 1
    .uses_dynamic_stack: false
    .vgpr_count:     67
    .vgpr_spill_count: 0
    .wavefront_size: 64
  - .agpr_count:     0
    .args:
      - .actual_access:  write_only
        .address_space:  global
        .offset:         0
        .size:           8
        .value_kind:     global_buffer
      - .actual_access:  read_only
        .address_space:  global
        .offset:         8
        .size:           8
        .value_kind:     global_buffer
      - .actual_access:  read_only
        .address_space:  global
        .offset:         16
        .size:           8
        .value_kind:     global_buffer
      - .actual_access:  read_only
        .address_space:  global
        .offset:         24
        .size:           8
        .value_kind:     global_buffer
      - .offset:         32
        .size:           4
        .value_kind:     by_value
      - .offset:         36
        .size:           4
        .value_kind:     by_value
      - .actual_access:  read_only
        .address_space:  global
        .offset:         40
        .size:           8
        .value_kind:     global_buffer
      - .actual_access:  read_only
        .address_space:  global
        .offset:         48
        .size:           8
        .value_kind:     global_buffer
      - .offset:         56
        .size:           4
        .value_kind:     by_value
      - .actual_access:  read_only
        .address_space:  global
        .offset:         64
        .size:           8
        .value_kind:     global_buffer
      - .offset:         72
        .size:           4
        .value_kind:     by_value
      - .offset:         76
        .size:           4
        .value_kind:     by_value
      - .offset:         80
        .size:           4
        .value_kind:     by_value
      - .address_space:  global
        .offset:         88
        .size:           8
        .value_kind:     global_buffer
      - .address_space:  global
        .offset:         96
        .size:           8
        .value_kind:     global_buffer
      - .offset:         104
        .size:           4
        .value_kind:     by_value
      - .offset:         108
        .size:           4
        .value_kind:     by_value
      - .offset:         112
        .size:           4
        .value_kind:     by_value
      - .offset:         116
        .size:           4
        .value_kind:     by_value
      - .offset:         120
        .size:           4
        .value_kind:     by_value
      - .offset:         128
        .size:           4
        .value_kind:     hidden_block_count_x
      - .offset:         132
        .size:           4
        .value_kind:     hidden_block_count_y
      - .offset:         136
        .size:           4
        .value_kind:     hidden_block_count_z
      - .offset:         140
        .size:           2
        .value_kind:     hidden_group_size_x
      - .offset:         142
        .size:           2
        .value_kind:     hidden_group_size_y
      - .offset:         144
        .size:           2
        .value_kind:     hidden_group_size_z
      - .offset:         146
        .size:           2
        .value_kind:     hidden_remainder_x
      - .offset:         148
        .size:           2
        .value_kind:     hidden_remainder_y
      - .offset:         150
        .size:           2
        .value_kind:     hidden_remainder_z
      - .offset:         168
        .size:           8
        .value_kind:     hidden_global_offset_x
      - .offset:         176
        .size:           8
        .value_kind:     hidden_global_offset_y
      - .offset:         184
        .size:           8
        .value_kind:     hidden_global_offset_z
      - .offset:         192
        .size:           2
        .value_kind:     hidden_grid_dims
      - .offset:         248
        .size:           4
        .value_kind:     hidden_dynamic_lds_size
    .group_segment_fixed_size: 1040
    .kernarg_segment_align: 8
    .kernarg_segment_size: 384
    .language:       OpenCL C
    .language_version:
      - 2
      - 0
    .max_flat_workgroup_size: 1024
    .name:           _ZN4vllm25paged_attention_v1_kernelIffLi256ELi8ELi128ELNS_18Fp8KVCacheDataTypeE0ELb0EEEvPT_PKS2_PKT0_S8_ifPKiSA_iPKfiiiSC_SC_iiiii
    .private_segment_fixed_size: 0
    .sgpr_count:     41
    .sgpr_spill_count: 0
    .symbol:         _ZN4vllm25paged_attention_v1_kernelIffLi256ELi8ELi128ELNS_18Fp8KVCacheDataTypeE0ELb0EEEvPT_PKS2_PKT0_S8_ifPKiSA_iPKfiiiSC_SC_iiiii.kd
    .uniform_work_group_size: 1
    .uses_dynamic_stack: false
    .vgpr_count:     83
    .vgpr_spill_count: 0
    .wavefront_size: 64
  - .agpr_count:     0
    .args:
      - .actual_access:  write_only
        .address_space:  global
        .offset:         0
        .size:           8
        .value_kind:     global_buffer
      - .actual_access:  read_only
        .address_space:  global
        .offset:         8
        .size:           8
        .value_kind:     global_buffer
      - .actual_access:  read_only
        .address_space:  global
        .offset:         16
        .size:           8
        .value_kind:     global_buffer
      - .actual_access:  read_only
        .address_space:  global
        .offset:         24
        .size:           8
        .value_kind:     global_buffer
      - .offset:         32
        .size:           4
        .value_kind:     by_value
      - .offset:         36
        .size:           4
        .value_kind:     by_value
      - .actual_access:  read_only
        .address_space:  global
        .offset:         40
        .size:           8
        .value_kind:     global_buffer
      - .actual_access:  read_only
        .address_space:  global
        .offset:         48
        .size:           8
        .value_kind:     global_buffer
      - .offset:         56
        .size:           4
        .value_kind:     by_value
      - .actual_access:  read_only
        .address_space:  global
        .offset:         64
        .size:           8
        .value_kind:     global_buffer
      - .offset:         72
        .size:           4
        .value_kind:     by_value
      - .offset:         76
        .size:           4
        .value_kind:     by_value
      - .offset:         80
        .size:           4
        .value_kind:     by_value
      - .address_space:  global
        .offset:         88
        .size:           8
        .value_kind:     global_buffer
      - .address_space:  global
        .offset:         96
        .size:           8
        .value_kind:     global_buffer
      - .offset:         104
        .size:           4
        .value_kind:     by_value
      - .offset:         108
        .size:           4
        .value_kind:     by_value
      - .offset:         112
        .size:           4
        .value_kind:     by_value
      - .offset:         116
        .size:           4
        .value_kind:     by_value
      - .offset:         120
        .size:           4
        .value_kind:     by_value
      - .offset:         128
        .size:           4
        .value_kind:     hidden_block_count_x
      - .offset:         132
        .size:           4
        .value_kind:     hidden_block_count_y
      - .offset:         136
        .size:           4
        .value_kind:     hidden_block_count_z
      - .offset:         140
        .size:           2
        .value_kind:     hidden_group_size_x
      - .offset:         142
        .size:           2
        .value_kind:     hidden_group_size_y
      - .offset:         144
        .size:           2
        .value_kind:     hidden_group_size_z
      - .offset:         146
        .size:           2
        .value_kind:     hidden_remainder_x
      - .offset:         148
        .size:           2
        .value_kind:     hidden_remainder_y
      - .offset:         150
        .size:           2
        .value_kind:     hidden_remainder_z
      - .offset:         168
        .size:           8
        .value_kind:     hidden_global_offset_x
      - .offset:         176
        .size:           8
        .value_kind:     hidden_global_offset_y
      - .offset:         184
        .size:           8
        .value_kind:     hidden_global_offset_z
      - .offset:         192
        .size:           2
        .value_kind:     hidden_grid_dims
      - .offset:         248
        .size:           4
        .value_kind:     hidden_dynamic_lds_size
    .group_segment_fixed_size: 144
    .kernarg_segment_align: 8
    .kernarg_segment_size: 384
    .language:       OpenCL C
    .language_version:
      - 2
      - 0
    .max_flat_workgroup_size: 1024
    .name:           _ZN4vllm25paged_attention_v1_kernelIffLi32ELi16ELi128ELNS_18Fp8KVCacheDataTypeE0ELb1EEEvPT_PKS2_PKT0_S8_ifPKiSA_iPKfiiiSC_SC_iiiii
    .private_segment_fixed_size: 0
    .sgpr_count:     50
    .sgpr_spill_count: 0
    .symbol:         _ZN4vllm25paged_attention_v1_kernelIffLi32ELi16ELi128ELNS_18Fp8KVCacheDataTypeE0ELb1EEEvPT_PKS2_PKT0_S8_ifPKiSA_iPKfiiiSC_SC_iiiii.kd
    .uniform_work_group_size: 1
    .uses_dynamic_stack: false
    .vgpr_count:     43
    .vgpr_spill_count: 0
    .wavefront_size: 64
  - .agpr_count:     0
    .args:
      - .actual_access:  write_only
        .address_space:  global
        .offset:         0
        .size:           8
        .value_kind:     global_buffer
      - .actual_access:  read_only
        .address_space:  global
        .offset:         8
        .size:           8
        .value_kind:     global_buffer
      - .actual_access:  read_only
        .address_space:  global
        .offset:         16
        .size:           8
        .value_kind:     global_buffer
      - .actual_access:  read_only
        .address_space:  global
        .offset:         24
        .size:           8
        .value_kind:     global_buffer
      - .offset:         32
        .size:           4
        .value_kind:     by_value
      - .offset:         36
        .size:           4
        .value_kind:     by_value
      - .actual_access:  read_only
        .address_space:  global
        .offset:         40
        .size:           8
        .value_kind:     global_buffer
      - .actual_access:  read_only
        .address_space:  global
        .offset:         48
        .size:           8
        .value_kind:     global_buffer
      - .offset:         56
        .size:           4
        .value_kind:     by_value
      - .actual_access:  read_only
        .address_space:  global
        .offset:         64
        .size:           8
        .value_kind:     global_buffer
      - .offset:         72
        .size:           4
        .value_kind:     by_value
      - .offset:         76
        .size:           4
        .value_kind:     by_value
      - .offset:         80
        .size:           4
        .value_kind:     by_value
      - .address_space:  global
        .offset:         88
        .size:           8
        .value_kind:     global_buffer
      - .address_space:  global
        .offset:         96
        .size:           8
        .value_kind:     global_buffer
      - .offset:         104
        .size:           4
        .value_kind:     by_value
      - .offset:         108
        .size:           4
        .value_kind:     by_value
      - .offset:         112
        .size:           4
        .value_kind:     by_value
      - .offset:         116
        .size:           4
        .value_kind:     by_value
      - .offset:         120
        .size:           4
        .value_kind:     by_value
      - .offset:         128
        .size:           4
        .value_kind:     hidden_block_count_x
      - .offset:         132
        .size:           4
        .value_kind:     hidden_block_count_y
      - .offset:         136
        .size:           4
        .value_kind:     hidden_block_count_z
      - .offset:         140
        .size:           2
        .value_kind:     hidden_group_size_x
      - .offset:         142
        .size:           2
        .value_kind:     hidden_group_size_y
      - .offset:         144
        .size:           2
        .value_kind:     hidden_group_size_z
      - .offset:         146
        .size:           2
        .value_kind:     hidden_remainder_x
      - .offset:         148
        .size:           2
        .value_kind:     hidden_remainder_y
      - .offset:         150
        .size:           2
        .value_kind:     hidden_remainder_z
      - .offset:         168
        .size:           8
        .value_kind:     hidden_global_offset_x
      - .offset:         176
        .size:           8
        .value_kind:     hidden_global_offset_y
      - .offset:         184
        .size:           8
        .value_kind:     hidden_global_offset_z
      - .offset:         192
        .size:           2
        .value_kind:     hidden_grid_dims
      - .offset:         248
        .size:           4
        .value_kind:     hidden_dynamic_lds_size
    .group_segment_fixed_size: 272
    .kernarg_segment_align: 8
    .kernarg_segment_size: 384
    .language:       OpenCL C
    .language_version:
      - 2
      - 0
    .max_flat_workgroup_size: 1024
    .name:           _ZN4vllm25paged_attention_v1_kernelIffLi64ELi16ELi128ELNS_18Fp8KVCacheDataTypeE0ELb1EEEvPT_PKS2_PKT0_S8_ifPKiSA_iPKfiiiSC_SC_iiiii
    .private_segment_fixed_size: 0
    .sgpr_count:     52
    .sgpr_spill_count: 0
    .symbol:         _ZN4vllm25paged_attention_v1_kernelIffLi64ELi16ELi128ELNS_18Fp8KVCacheDataTypeE0ELb1EEEvPT_PKS2_PKT0_S8_ifPKiSA_iPKfiiiSC_SC_iiiii.kd
    .uniform_work_group_size: 1
    .uses_dynamic_stack: false
    .vgpr_count:     59
    .vgpr_spill_count: 0
    .wavefront_size: 64
  - .agpr_count:     0
    .args:
      - .actual_access:  write_only
        .address_space:  global
        .offset:         0
        .size:           8
        .value_kind:     global_buffer
      - .actual_access:  read_only
        .address_space:  global
        .offset:         8
        .size:           8
        .value_kind:     global_buffer
      - .actual_access:  read_only
        .address_space:  global
        .offset:         16
        .size:           8
        .value_kind:     global_buffer
      - .actual_access:  read_only
        .address_space:  global
        .offset:         24
        .size:           8
        .value_kind:     global_buffer
      - .offset:         32
        .size:           4
        .value_kind:     by_value
      - .offset:         36
        .size:           4
        .value_kind:     by_value
      - .actual_access:  read_only
        .address_space:  global
        .offset:         40
        .size:           8
        .value_kind:     global_buffer
      - .actual_access:  read_only
        .address_space:  global
        .offset:         48
        .size:           8
        .value_kind:     global_buffer
      - .offset:         56
        .size:           4
        .value_kind:     by_value
      - .actual_access:  read_only
        .address_space:  global
        .offset:         64
        .size:           8
        .value_kind:     global_buffer
      - .offset:         72
        .size:           4
        .value_kind:     by_value
      - .offset:         76
        .size:           4
        .value_kind:     by_value
      - .offset:         80
        .size:           4
        .value_kind:     by_value
      - .address_space:  global
        .offset:         88
        .size:           8
        .value_kind:     global_buffer
      - .address_space:  global
        .offset:         96
        .size:           8
        .value_kind:     global_buffer
      - .offset:         104
        .size:           4
        .value_kind:     by_value
      - .offset:         108
        .size:           4
        .value_kind:     by_value
      - .offset:         112
        .size:           4
        .value_kind:     by_value
      - .offset:         116
        .size:           4
        .value_kind:     by_value
      - .offset:         120
        .size:           4
        .value_kind:     by_value
      - .offset:         128
        .size:           4
        .value_kind:     hidden_block_count_x
      - .offset:         132
        .size:           4
        .value_kind:     hidden_block_count_y
      - .offset:         136
        .size:           4
        .value_kind:     hidden_block_count_z
      - .offset:         140
        .size:           2
        .value_kind:     hidden_group_size_x
      - .offset:         142
        .size:           2
        .value_kind:     hidden_group_size_y
      - .offset:         144
        .size:           2
        .value_kind:     hidden_group_size_z
      - .offset:         146
        .size:           2
        .value_kind:     hidden_remainder_x
      - .offset:         148
        .size:           2
        .value_kind:     hidden_remainder_y
      - .offset:         150
        .size:           2
        .value_kind:     hidden_remainder_z
      - .offset:         168
        .size:           8
        .value_kind:     hidden_global_offset_x
      - .offset:         176
        .size:           8
        .value_kind:     hidden_global_offset_y
      - .offset:         184
        .size:           8
        .value_kind:     hidden_global_offset_z
      - .offset:         192
        .size:           2
        .value_kind:     hidden_grid_dims
      - .offset:         248
        .size:           4
        .value_kind:     hidden_dynamic_lds_size
    .group_segment_fixed_size: 336
    .kernarg_segment_align: 8
    .kernarg_segment_size: 384
    .language:       OpenCL C
    .language_version:
      - 2
      - 0
    .max_flat_workgroup_size: 1024
    .name:           _ZN4vllm25paged_attention_v1_kernelIffLi80ELi16ELi128ELNS_18Fp8KVCacheDataTypeE0ELb1EEEvPT_PKS2_PKT0_S8_ifPKiSA_iPKfiiiSC_SC_iiiii
    .private_segment_fixed_size: 0
    .sgpr_count:     51
    .sgpr_spill_count: 0
    .symbol:         _ZN4vllm25paged_attention_v1_kernelIffLi80ELi16ELi128ELNS_18Fp8KVCacheDataTypeE0ELb1EEEvPT_PKS2_PKT0_S8_ifPKiSA_iPKfiiiSC_SC_iiiii.kd
    .uniform_work_group_size: 1
    .uses_dynamic_stack: false
    .vgpr_count:     67
    .vgpr_spill_count: 0
    .wavefront_size: 64
  - .agpr_count:     0
    .args:
      - .actual_access:  write_only
        .address_space:  global
        .offset:         0
        .size:           8
        .value_kind:     global_buffer
      - .actual_access:  read_only
        .address_space:  global
        .offset:         8
        .size:           8
        .value_kind:     global_buffer
      - .actual_access:  read_only
        .address_space:  global
        .offset:         16
        .size:           8
        .value_kind:     global_buffer
      - .actual_access:  read_only
        .address_space:  global
        .offset:         24
        .size:           8
        .value_kind:     global_buffer
      - .offset:         32
        .size:           4
        .value_kind:     by_value
      - .offset:         36
        .size:           4
        .value_kind:     by_value
      - .actual_access:  read_only
        .address_space:  global
        .offset:         40
        .size:           8
        .value_kind:     global_buffer
      - .actual_access:  read_only
        .address_space:  global
        .offset:         48
        .size:           8
        .value_kind:     global_buffer
      - .offset:         56
        .size:           4
        .value_kind:     by_value
      - .actual_access:  read_only
        .address_space:  global
        .offset:         64
        .size:           8
        .value_kind:     global_buffer
      - .offset:         72
        .size:           4
        .value_kind:     by_value
      - .offset:         76
        .size:           4
        .value_kind:     by_value
      - .offset:         80
        .size:           4
        .value_kind:     by_value
      - .address_space:  global
        .offset:         88
        .size:           8
        .value_kind:     global_buffer
      - .address_space:  global
        .offset:         96
        .size:           8
        .value_kind:     global_buffer
      - .offset:         104
        .size:           4
        .value_kind:     by_value
      - .offset:         108
        .size:           4
        .value_kind:     by_value
      - .offset:         112
        .size:           4
        .value_kind:     by_value
      - .offset:         116
        .size:           4
        .value_kind:     by_value
      - .offset:         120
        .size:           4
        .value_kind:     by_value
      - .offset:         128
        .size:           4
        .value_kind:     hidden_block_count_x
      - .offset:         132
        .size:           4
        .value_kind:     hidden_block_count_y
      - .offset:         136
        .size:           4
        .value_kind:     hidden_block_count_z
      - .offset:         140
        .size:           2
        .value_kind:     hidden_group_size_x
      - .offset:         142
        .size:           2
        .value_kind:     hidden_group_size_y
      - .offset:         144
        .size:           2
        .value_kind:     hidden_group_size_z
      - .offset:         146
        .size:           2
        .value_kind:     hidden_remainder_x
      - .offset:         148
        .size:           2
        .value_kind:     hidden_remainder_y
      - .offset:         150
        .size:           2
        .value_kind:     hidden_remainder_z
      - .offset:         168
        .size:           8
        .value_kind:     hidden_global_offset_x
      - .offset:         176
        .size:           8
        .value_kind:     hidden_global_offset_y
      - .offset:         184
        .size:           8
        .value_kind:     hidden_global_offset_z
      - .offset:         192
        .size:           2
        .value_kind:     hidden_grid_dims
      - .offset:         248
        .size:           4
        .value_kind:     hidden_dynamic_lds_size
    .group_segment_fixed_size: 400
    .kernarg_segment_align: 8
    .kernarg_segment_size: 384
    .language:       OpenCL C
    .language_version:
      - 2
      - 0
    .max_flat_workgroup_size: 1024
    .name:           _ZN4vllm25paged_attention_v1_kernelIffLi96ELi16ELi128ELNS_18Fp8KVCacheDataTypeE0ELb1EEEvPT_PKS2_PKT0_S8_ifPKiSA_iPKfiiiSC_SC_iiiii
    .private_segment_fixed_size: 0
    .sgpr_count:     51
    .sgpr_spill_count: 0
    .symbol:         _ZN4vllm25paged_attention_v1_kernelIffLi96ELi16ELi128ELNS_18Fp8KVCacheDataTypeE0ELb1EEEvPT_PKS2_PKT0_S8_ifPKiSA_iPKfiiiSC_SC_iiiii.kd
    .uniform_work_group_size: 1
    .uses_dynamic_stack: false
    .vgpr_count:     75
    .vgpr_spill_count: 0
    .wavefront_size: 64
  - .agpr_count:     0
    .args:
      - .actual_access:  write_only
        .address_space:  global
        .offset:         0
        .size:           8
        .value_kind:     global_buffer
      - .actual_access:  read_only
        .address_space:  global
        .offset:         8
        .size:           8
        .value_kind:     global_buffer
      - .actual_access:  read_only
        .address_space:  global
        .offset:         16
        .size:           8
        .value_kind:     global_buffer
      - .actual_access:  read_only
        .address_space:  global
        .offset:         24
        .size:           8
        .value_kind:     global_buffer
      - .offset:         32
        .size:           4
        .value_kind:     by_value
      - .offset:         36
        .size:           4
        .value_kind:     by_value
      - .actual_access:  read_only
        .address_space:  global
        .offset:         40
        .size:           8
        .value_kind:     global_buffer
      - .actual_access:  read_only
        .address_space:  global
        .offset:         48
        .size:           8
        .value_kind:     global_buffer
      - .offset:         56
        .size:           4
        .value_kind:     by_value
      - .actual_access:  read_only
        .address_space:  global
        .offset:         64
        .size:           8
        .value_kind:     global_buffer
      - .offset:         72
        .size:           4
        .value_kind:     by_value
      - .offset:         76
        .size:           4
        .value_kind:     by_value
      - .offset:         80
        .size:           4
        .value_kind:     by_value
      - .address_space:  global
        .offset:         88
        .size:           8
        .value_kind:     global_buffer
      - .address_space:  global
        .offset:         96
        .size:           8
        .value_kind:     global_buffer
      - .offset:         104
        .size:           4
        .value_kind:     by_value
      - .offset:         108
        .size:           4
        .value_kind:     by_value
      - .offset:         112
        .size:           4
        .value_kind:     by_value
      - .offset:         116
        .size:           4
        .value_kind:     by_value
      - .offset:         120
        .size:           4
        .value_kind:     by_value
      - .offset:         128
        .size:           4
        .value_kind:     hidden_block_count_x
      - .offset:         132
        .size:           4
        .value_kind:     hidden_block_count_y
      - .offset:         136
        .size:           4
        .value_kind:     hidden_block_count_z
      - .offset:         140
        .size:           2
        .value_kind:     hidden_group_size_x
      - .offset:         142
        .size:           2
        .value_kind:     hidden_group_size_y
      - .offset:         144
        .size:           2
        .value_kind:     hidden_group_size_z
      - .offset:         146
        .size:           2
        .value_kind:     hidden_remainder_x
      - .offset:         148
        .size:           2
        .value_kind:     hidden_remainder_y
      - .offset:         150
        .size:           2
        .value_kind:     hidden_remainder_z
      - .offset:         168
        .size:           8
        .value_kind:     hidden_global_offset_x
      - .offset:         176
        .size:           8
        .value_kind:     hidden_global_offset_y
      - .offset:         184
        .size:           8
        .value_kind:     hidden_global_offset_z
      - .offset:         192
        .size:           2
        .value_kind:     hidden_grid_dims
      - .offset:         248
        .size:           4
        .value_kind:     hidden_dynamic_lds_size
    .group_segment_fixed_size: 464
    .kernarg_segment_align: 8
    .kernarg_segment_size: 384
    .language:       OpenCL C
    .language_version:
      - 2
      - 0
    .max_flat_workgroup_size: 1024
    .name:           _ZN4vllm25paged_attention_v1_kernelIffLi112ELi16ELi128ELNS_18Fp8KVCacheDataTypeE0ELb1EEEvPT_PKS2_PKT0_S8_ifPKiSA_iPKfiiiSC_SC_iiiii
    .private_segment_fixed_size: 0
    .sgpr_count:     51
    .sgpr_spill_count: 0
    .symbol:         _ZN4vllm25paged_attention_v1_kernelIffLi112ELi16ELi128ELNS_18Fp8KVCacheDataTypeE0ELb1EEEvPT_PKS2_PKT0_S8_ifPKiSA_iPKfiiiSC_SC_iiiii.kd
    .uniform_work_group_size: 1
    .uses_dynamic_stack: false
    .vgpr_count:     83
    .vgpr_spill_count: 0
    .wavefront_size: 64
  - .agpr_count:     0
    .args:
      - .actual_access:  write_only
        .address_space:  global
        .offset:         0
        .size:           8
        .value_kind:     global_buffer
      - .actual_access:  read_only
        .address_space:  global
        .offset:         8
        .size:           8
        .value_kind:     global_buffer
      - .actual_access:  read_only
        .address_space:  global
        .offset:         16
        .size:           8
        .value_kind:     global_buffer
      - .actual_access:  read_only
        .address_space:  global
        .offset:         24
        .size:           8
        .value_kind:     global_buffer
      - .offset:         32
        .size:           4
        .value_kind:     by_value
      - .offset:         36
        .size:           4
        .value_kind:     by_value
      - .actual_access:  read_only
        .address_space:  global
        .offset:         40
        .size:           8
        .value_kind:     global_buffer
      - .actual_access:  read_only
        .address_space:  global
        .offset:         48
        .size:           8
        .value_kind:     global_buffer
      - .offset:         56
        .size:           4
        .value_kind:     by_value
      - .actual_access:  read_only
        .address_space:  global
        .offset:         64
        .size:           8
        .value_kind:     global_buffer
      - .offset:         72
        .size:           4
        .value_kind:     by_value
      - .offset:         76
        .size:           4
        .value_kind:     by_value
      - .offset:         80
        .size:           4
        .value_kind:     by_value
      - .address_space:  global
        .offset:         88
        .size:           8
        .value_kind:     global_buffer
      - .address_space:  global
        .offset:         96
        .size:           8
        .value_kind:     global_buffer
      - .offset:         104
        .size:           4
        .value_kind:     by_value
      - .offset:         108
        .size:           4
        .value_kind:     by_value
      - .offset:         112
        .size:           4
        .value_kind:     by_value
      - .offset:         116
        .size:           4
        .value_kind:     by_value
      - .offset:         120
        .size:           4
        .value_kind:     by_value
      - .offset:         128
        .size:           4
        .value_kind:     hidden_block_count_x
      - .offset:         132
        .size:           4
        .value_kind:     hidden_block_count_y
      - .offset:         136
        .size:           4
        .value_kind:     hidden_block_count_z
      - .offset:         140
        .size:           2
        .value_kind:     hidden_group_size_x
      - .offset:         142
        .size:           2
        .value_kind:     hidden_group_size_y
      - .offset:         144
        .size:           2
        .value_kind:     hidden_group_size_z
      - .offset:         146
        .size:           2
        .value_kind:     hidden_remainder_x
      - .offset:         148
        .size:           2
        .value_kind:     hidden_remainder_y
      - .offset:         150
        .size:           2
        .value_kind:     hidden_remainder_z
      - .offset:         168
        .size:           8
        .value_kind:     hidden_global_offset_x
      - .offset:         176
        .size:           8
        .value_kind:     hidden_global_offset_y
      - .offset:         184
        .size:           8
        .value_kind:     hidden_global_offset_z
      - .offset:         192
        .size:           2
        .value_kind:     hidden_grid_dims
      - .offset:         248
        .size:           4
        .value_kind:     hidden_dynamic_lds_size
    .group_segment_fixed_size: 496
    .kernarg_segment_align: 8
    .kernarg_segment_size: 384
    .language:       OpenCL C
    .language_version:
      - 2
      - 0
    .max_flat_workgroup_size: 1024
    .name:           _ZN4vllm25paged_attention_v1_kernelIffLi120ELi16ELi128ELNS_18Fp8KVCacheDataTypeE0ELb1EEEvPT_PKS2_PKT0_S8_ifPKiSA_iPKfiiiSC_SC_iiiii
    .private_segment_fixed_size: 0
    .sgpr_count:     51
    .sgpr_spill_count: 0
    .symbol:         _ZN4vllm25paged_attention_v1_kernelIffLi120ELi16ELi128ELNS_18Fp8KVCacheDataTypeE0ELb1EEEvPT_PKS2_PKT0_S8_ifPKiSA_iPKfiiiSC_SC_iiiii.kd
    .uniform_work_group_size: 1
    .uses_dynamic_stack: false
    .vgpr_count:     87
    .vgpr_spill_count: 0
    .wavefront_size: 64
  - .agpr_count:     0
    .args:
      - .actual_access:  write_only
        .address_space:  global
        .offset:         0
        .size:           8
        .value_kind:     global_buffer
      - .actual_access:  read_only
        .address_space:  global
        .offset:         8
        .size:           8
        .value_kind:     global_buffer
      - .actual_access:  read_only
        .address_space:  global
        .offset:         16
        .size:           8
        .value_kind:     global_buffer
      - .actual_access:  read_only
        .address_space:  global
        .offset:         24
        .size:           8
        .value_kind:     global_buffer
      - .offset:         32
        .size:           4
        .value_kind:     by_value
      - .offset:         36
        .size:           4
        .value_kind:     by_value
      - .actual_access:  read_only
        .address_space:  global
        .offset:         40
        .size:           8
        .value_kind:     global_buffer
      - .actual_access:  read_only
        .address_space:  global
        .offset:         48
        .size:           8
        .value_kind:     global_buffer
      - .offset:         56
        .size:           4
        .value_kind:     by_value
      - .actual_access:  read_only
        .address_space:  global
        .offset:         64
        .size:           8
        .value_kind:     global_buffer
      - .offset:         72
        .size:           4
        .value_kind:     by_value
      - .offset:         76
        .size:           4
        .value_kind:     by_value
      - .offset:         80
        .size:           4
        .value_kind:     by_value
      - .address_space:  global
        .offset:         88
        .size:           8
        .value_kind:     global_buffer
      - .address_space:  global
        .offset:         96
        .size:           8
        .value_kind:     global_buffer
      - .offset:         104
        .size:           4
        .value_kind:     by_value
      - .offset:         108
        .size:           4
        .value_kind:     by_value
      - .offset:         112
        .size:           4
        .value_kind:     by_value
      - .offset:         116
        .size:           4
        .value_kind:     by_value
      - .offset:         120
        .size:           4
        .value_kind:     by_value
      - .offset:         128
        .size:           4
        .value_kind:     hidden_block_count_x
      - .offset:         132
        .size:           4
        .value_kind:     hidden_block_count_y
      - .offset:         136
        .size:           4
        .value_kind:     hidden_block_count_z
      - .offset:         140
        .size:           2
        .value_kind:     hidden_group_size_x
      - .offset:         142
        .size:           2
        .value_kind:     hidden_group_size_y
      - .offset:         144
        .size:           2
        .value_kind:     hidden_group_size_z
      - .offset:         146
        .size:           2
        .value_kind:     hidden_remainder_x
      - .offset:         148
        .size:           2
        .value_kind:     hidden_remainder_y
      - .offset:         150
        .size:           2
        .value_kind:     hidden_remainder_z
      - .offset:         168
        .size:           8
        .value_kind:     hidden_global_offset_x
      - .offset:         176
        .size:           8
        .value_kind:     hidden_global_offset_y
      - .offset:         184
        .size:           8
        .value_kind:     hidden_global_offset_z
      - .offset:         192
        .size:           2
        .value_kind:     hidden_grid_dims
      - .offset:         248
        .size:           4
        .value_kind:     hidden_dynamic_lds_size
    .group_segment_fixed_size: 528
    .kernarg_segment_align: 8
    .kernarg_segment_size: 384
    .language:       OpenCL C
    .language_version:
      - 2
      - 0
    .max_flat_workgroup_size: 1024
    .name:           _ZN4vllm25paged_attention_v1_kernelIffLi128ELi16ELi128ELNS_18Fp8KVCacheDataTypeE0ELb1EEEvPT_PKS2_PKT0_S8_ifPKiSA_iPKfiiiSC_SC_iiiii
    .private_segment_fixed_size: 0
    .sgpr_count:     51
    .sgpr_spill_count: 0
    .symbol:         _ZN4vllm25paged_attention_v1_kernelIffLi128ELi16ELi128ELNS_18Fp8KVCacheDataTypeE0ELb1EEEvPT_PKS2_PKT0_S8_ifPKiSA_iPKfiiiSC_SC_iiiii.kd
    .uniform_work_group_size: 1
    .uses_dynamic_stack: false
    .vgpr_count:     91
    .vgpr_spill_count: 0
    .wavefront_size: 64
  - .agpr_count:     0
    .args:
      - .actual_access:  write_only
        .address_space:  global
        .offset:         0
        .size:           8
        .value_kind:     global_buffer
      - .actual_access:  read_only
        .address_space:  global
        .offset:         8
        .size:           8
        .value_kind:     global_buffer
      - .actual_access:  read_only
        .address_space:  global
        .offset:         16
        .size:           8
        .value_kind:     global_buffer
      - .actual_access:  read_only
        .address_space:  global
        .offset:         24
        .size:           8
        .value_kind:     global_buffer
      - .offset:         32
        .size:           4
        .value_kind:     by_value
      - .offset:         36
        .size:           4
        .value_kind:     by_value
      - .actual_access:  read_only
        .address_space:  global
        .offset:         40
        .size:           8
        .value_kind:     global_buffer
      - .actual_access:  read_only
        .address_space:  global
        .offset:         48
        .size:           8
        .value_kind:     global_buffer
      - .offset:         56
        .size:           4
        .value_kind:     by_value
      - .actual_access:  read_only
        .address_space:  global
        .offset:         64
        .size:           8
        .value_kind:     global_buffer
      - .offset:         72
        .size:           4
        .value_kind:     by_value
      - .offset:         76
        .size:           4
        .value_kind:     by_value
      - .offset:         80
        .size:           4
        .value_kind:     by_value
      - .address_space:  global
        .offset:         88
        .size:           8
        .value_kind:     global_buffer
      - .address_space:  global
        .offset:         96
        .size:           8
        .value_kind:     global_buffer
      - .offset:         104
        .size:           4
        .value_kind:     by_value
      - .offset:         108
        .size:           4
        .value_kind:     by_value
      - .offset:         112
        .size:           4
        .value_kind:     by_value
      - .offset:         116
        .size:           4
        .value_kind:     by_value
      - .offset:         120
        .size:           4
        .value_kind:     by_value
      - .offset:         128
        .size:           4
        .value_kind:     hidden_block_count_x
      - .offset:         132
        .size:           4
        .value_kind:     hidden_block_count_y
      - .offset:         136
        .size:           4
        .value_kind:     hidden_block_count_z
      - .offset:         140
        .size:           2
        .value_kind:     hidden_group_size_x
      - .offset:         142
        .size:           2
        .value_kind:     hidden_group_size_y
      - .offset:         144
        .size:           2
        .value_kind:     hidden_group_size_z
      - .offset:         146
        .size:           2
        .value_kind:     hidden_remainder_x
      - .offset:         148
        .size:           2
        .value_kind:     hidden_remainder_y
      - .offset:         150
        .size:           2
        .value_kind:     hidden_remainder_z
      - .offset:         168
        .size:           8
        .value_kind:     hidden_global_offset_x
      - .offset:         176
        .size:           8
        .value_kind:     hidden_global_offset_y
      - .offset:         184
        .size:           8
        .value_kind:     hidden_global_offset_z
      - .offset:         192
        .size:           2
        .value_kind:     hidden_grid_dims
      - .offset:         248
        .size:           4
        .value_kind:     hidden_dynamic_lds_size
    .group_segment_fixed_size: 784
    .kernarg_segment_align: 8
    .kernarg_segment_size: 384
    .language:       OpenCL C
    .language_version:
      - 2
      - 0
    .max_flat_workgroup_size: 1024
    .name:           _ZN4vllm25paged_attention_v1_kernelIffLi192ELi16ELi128ELNS_18Fp8KVCacheDataTypeE0ELb1EEEvPT_PKS2_PKT0_S8_ifPKiSA_iPKfiiiSC_SC_iiiii
    .private_segment_fixed_size: 0
    .sgpr_count:     52
    .sgpr_spill_count: 0
    .symbol:         _ZN4vllm25paged_attention_v1_kernelIffLi192ELi16ELi128ELNS_18Fp8KVCacheDataTypeE0ELb1EEEvPT_PKS2_PKT0_S8_ifPKiSA_iPKfiiiSC_SC_iiiii.kd
    .uniform_work_group_size: 1
    .uses_dynamic_stack: false
    .vgpr_count:     108
    .vgpr_spill_count: 0
    .wavefront_size: 64
  - .agpr_count:     0
    .args:
      - .actual_access:  write_only
        .address_space:  global
        .offset:         0
        .size:           8
        .value_kind:     global_buffer
      - .actual_access:  read_only
        .address_space:  global
        .offset:         8
        .size:           8
        .value_kind:     global_buffer
      - .actual_access:  read_only
        .address_space:  global
        .offset:         16
        .size:           8
        .value_kind:     global_buffer
      - .actual_access:  read_only
        .address_space:  global
        .offset:         24
        .size:           8
        .value_kind:     global_buffer
      - .offset:         32
        .size:           4
        .value_kind:     by_value
      - .offset:         36
        .size:           4
        .value_kind:     by_value
      - .actual_access:  read_only
        .address_space:  global
        .offset:         40
        .size:           8
        .value_kind:     global_buffer
      - .actual_access:  read_only
        .address_space:  global
        .offset:         48
        .size:           8
        .value_kind:     global_buffer
      - .offset:         56
        .size:           4
        .value_kind:     by_value
      - .actual_access:  read_only
        .address_space:  global
        .offset:         64
        .size:           8
        .value_kind:     global_buffer
      - .offset:         72
        .size:           4
        .value_kind:     by_value
      - .offset:         76
        .size:           4
        .value_kind:     by_value
      - .offset:         80
        .size:           4
        .value_kind:     by_value
      - .address_space:  global
        .offset:         88
        .size:           8
        .value_kind:     global_buffer
      - .address_space:  global
        .offset:         96
        .size:           8
        .value_kind:     global_buffer
      - .offset:         104
        .size:           4
        .value_kind:     by_value
      - .offset:         108
        .size:           4
        .value_kind:     by_value
      - .offset:         112
        .size:           4
        .value_kind:     by_value
      - .offset:         116
        .size:           4
        .value_kind:     by_value
      - .offset:         120
        .size:           4
        .value_kind:     by_value
      - .offset:         128
        .size:           4
        .value_kind:     hidden_block_count_x
      - .offset:         132
        .size:           4
        .value_kind:     hidden_block_count_y
      - .offset:         136
        .size:           4
        .value_kind:     hidden_block_count_z
      - .offset:         140
        .size:           2
        .value_kind:     hidden_group_size_x
      - .offset:         142
        .size:           2
        .value_kind:     hidden_group_size_y
      - .offset:         144
        .size:           2
        .value_kind:     hidden_group_size_z
      - .offset:         146
        .size:           2
        .value_kind:     hidden_remainder_x
      - .offset:         148
        .size:           2
        .value_kind:     hidden_remainder_y
      - .offset:         150
        .size:           2
        .value_kind:     hidden_remainder_z
      - .offset:         168
        .size:           8
        .value_kind:     hidden_global_offset_x
      - .offset:         176
        .size:           8
        .value_kind:     hidden_global_offset_y
      - .offset:         184
        .size:           8
        .value_kind:     hidden_global_offset_z
      - .offset:         192
        .size:           2
        .value_kind:     hidden_grid_dims
      - .offset:         248
        .size:           4
        .value_kind:     hidden_dynamic_lds_size
    .group_segment_fixed_size: 1040
    .kernarg_segment_align: 8
    .kernarg_segment_size: 384
    .language:       OpenCL C
    .language_version:
      - 2
      - 0
    .max_flat_workgroup_size: 1024
    .name:           _ZN4vllm25paged_attention_v1_kernelIffLi256ELi16ELi128ELNS_18Fp8KVCacheDataTypeE0ELb1EEEvPT_PKS2_PKT0_S8_ifPKiSA_iPKfiiiSC_SC_iiiii
    .private_segment_fixed_size: 0
    .sgpr_count:     53
    .sgpr_spill_count: 0
    .symbol:         _ZN4vllm25paged_attention_v1_kernelIffLi256ELi16ELi128ELNS_18Fp8KVCacheDataTypeE0ELb1EEEvPT_PKS2_PKT0_S8_ifPKiSA_iPKfiiiSC_SC_iiiii.kd
    .uniform_work_group_size: 1
    .uses_dynamic_stack: false
    .vgpr_count:     105
    .vgpr_spill_count: 0
    .wavefront_size: 64
  - .agpr_count:     0
    .args:
      - .actual_access:  write_only
        .address_space:  global
        .offset:         0
        .size:           8
        .value_kind:     global_buffer
      - .actual_access:  read_only
        .address_space:  global
        .offset:         8
        .size:           8
        .value_kind:     global_buffer
      - .actual_access:  read_only
        .address_space:  global
        .offset:         16
        .size:           8
        .value_kind:     global_buffer
      - .actual_access:  read_only
        .address_space:  global
        .offset:         24
        .size:           8
        .value_kind:     global_buffer
      - .offset:         32
        .size:           4
        .value_kind:     by_value
      - .offset:         36
        .size:           4
        .value_kind:     by_value
      - .actual_access:  read_only
        .address_space:  global
        .offset:         40
        .size:           8
        .value_kind:     global_buffer
      - .actual_access:  read_only
        .address_space:  global
        .offset:         48
        .size:           8
        .value_kind:     global_buffer
      - .offset:         56
        .size:           4
        .value_kind:     by_value
      - .actual_access:  read_only
        .address_space:  global
        .offset:         64
        .size:           8
        .value_kind:     global_buffer
      - .offset:         72
        .size:           4
        .value_kind:     by_value
      - .offset:         76
        .size:           4
        .value_kind:     by_value
      - .offset:         80
        .size:           4
        .value_kind:     by_value
      - .address_space:  global
        .offset:         88
        .size:           8
        .value_kind:     global_buffer
      - .address_space:  global
        .offset:         96
        .size:           8
        .value_kind:     global_buffer
      - .offset:         104
        .size:           4
        .value_kind:     by_value
      - .offset:         108
        .size:           4
        .value_kind:     by_value
      - .offset:         112
        .size:           4
        .value_kind:     by_value
      - .offset:         116
        .size:           4
        .value_kind:     by_value
      - .offset:         120
        .size:           4
        .value_kind:     by_value
      - .offset:         128
        .size:           4
        .value_kind:     hidden_block_count_x
      - .offset:         132
        .size:           4
        .value_kind:     hidden_block_count_y
      - .offset:         136
        .size:           4
        .value_kind:     hidden_block_count_z
      - .offset:         140
        .size:           2
        .value_kind:     hidden_group_size_x
      - .offset:         142
        .size:           2
        .value_kind:     hidden_group_size_y
      - .offset:         144
        .size:           2
        .value_kind:     hidden_group_size_z
      - .offset:         146
        .size:           2
        .value_kind:     hidden_remainder_x
      - .offset:         148
        .size:           2
        .value_kind:     hidden_remainder_y
      - .offset:         150
        .size:           2
        .value_kind:     hidden_remainder_z
      - .offset:         168
        .size:           8
        .value_kind:     hidden_global_offset_x
      - .offset:         176
        .size:           8
        .value_kind:     hidden_global_offset_y
      - .offset:         184
        .size:           8
        .value_kind:     hidden_global_offset_z
      - .offset:         192
        .size:           2
        .value_kind:     hidden_grid_dims
      - .offset:         248
        .size:           4
        .value_kind:     hidden_dynamic_lds_size
    .group_segment_fixed_size: 144
    .kernarg_segment_align: 8
    .kernarg_segment_size: 384
    .language:       OpenCL C
    .language_version:
      - 2
      - 0
    .max_flat_workgroup_size: 1024
    .name:           _ZN4vllm25paged_attention_v1_kernelIffLi32ELi16ELi128ELNS_18Fp8KVCacheDataTypeE0ELb0EEEvPT_PKS2_PKT0_S8_ifPKiSA_iPKfiiiSC_SC_iiiii
    .private_segment_fixed_size: 0
    .sgpr_count:     40
    .sgpr_spill_count: 0
    .symbol:         _ZN4vllm25paged_attention_v1_kernelIffLi32ELi16ELi128ELNS_18Fp8KVCacheDataTypeE0ELb0EEEvPT_PKS2_PKT0_S8_ifPKiSA_iPKfiiiSC_SC_iiiii.kd
    .uniform_work_group_size: 1
    .uses_dynamic_stack: false
    .vgpr_count:     38
    .vgpr_spill_count: 0
    .wavefront_size: 64
  - .agpr_count:     0
    .args:
      - .actual_access:  write_only
        .address_space:  global
        .offset:         0
        .size:           8
        .value_kind:     global_buffer
      - .actual_access:  read_only
        .address_space:  global
        .offset:         8
        .size:           8
        .value_kind:     global_buffer
      - .actual_access:  read_only
        .address_space:  global
        .offset:         16
        .size:           8
        .value_kind:     global_buffer
      - .actual_access:  read_only
        .address_space:  global
        .offset:         24
        .size:           8
        .value_kind:     global_buffer
      - .offset:         32
        .size:           4
        .value_kind:     by_value
      - .offset:         36
        .size:           4
        .value_kind:     by_value
      - .actual_access:  read_only
        .address_space:  global
        .offset:         40
        .size:           8
        .value_kind:     global_buffer
      - .actual_access:  read_only
        .address_space:  global
        .offset:         48
        .size:           8
        .value_kind:     global_buffer
      - .offset:         56
        .size:           4
        .value_kind:     by_value
      - .actual_access:  read_only
        .address_space:  global
        .offset:         64
        .size:           8
        .value_kind:     global_buffer
      - .offset:         72
        .size:           4
        .value_kind:     by_value
      - .offset:         76
        .size:           4
        .value_kind:     by_value
      - .offset:         80
        .size:           4
        .value_kind:     by_value
      - .address_space:  global
        .offset:         88
        .size:           8
        .value_kind:     global_buffer
      - .address_space:  global
        .offset:         96
        .size:           8
        .value_kind:     global_buffer
      - .offset:         104
        .size:           4
        .value_kind:     by_value
      - .offset:         108
        .size:           4
        .value_kind:     by_value
      - .offset:         112
        .size:           4
        .value_kind:     by_value
      - .offset:         116
        .size:           4
        .value_kind:     by_value
      - .offset:         120
        .size:           4
        .value_kind:     by_value
      - .offset:         128
        .size:           4
        .value_kind:     hidden_block_count_x
      - .offset:         132
        .size:           4
        .value_kind:     hidden_block_count_y
      - .offset:         136
        .size:           4
        .value_kind:     hidden_block_count_z
      - .offset:         140
        .size:           2
        .value_kind:     hidden_group_size_x
      - .offset:         142
        .size:           2
        .value_kind:     hidden_group_size_y
      - .offset:         144
        .size:           2
        .value_kind:     hidden_group_size_z
      - .offset:         146
        .size:           2
        .value_kind:     hidden_remainder_x
      - .offset:         148
        .size:           2
        .value_kind:     hidden_remainder_y
      - .offset:         150
        .size:           2
        .value_kind:     hidden_remainder_z
      - .offset:         168
        .size:           8
        .value_kind:     hidden_global_offset_x
      - .offset:         176
        .size:           8
        .value_kind:     hidden_global_offset_y
      - .offset:         184
        .size:           8
        .value_kind:     hidden_global_offset_z
      - .offset:         192
        .size:           2
        .value_kind:     hidden_grid_dims
      - .offset:         248
        .size:           4
        .value_kind:     hidden_dynamic_lds_size
    .group_segment_fixed_size: 272
    .kernarg_segment_align: 8
    .kernarg_segment_size: 384
    .language:       OpenCL C
    .language_version:
      - 2
      - 0
    .max_flat_workgroup_size: 1024
    .name:           _ZN4vllm25paged_attention_v1_kernelIffLi64ELi16ELi128ELNS_18Fp8KVCacheDataTypeE0ELb0EEEvPT_PKS2_PKT0_S8_ifPKiSA_iPKfiiiSC_SC_iiiii
    .private_segment_fixed_size: 0
    .sgpr_count:     42
    .sgpr_spill_count: 0
    .symbol:         _ZN4vllm25paged_attention_v1_kernelIffLi64ELi16ELi128ELNS_18Fp8KVCacheDataTypeE0ELb0EEEvPT_PKS2_PKT0_S8_ifPKiSA_iPKfiiiSC_SC_iiiii.kd
    .uniform_work_group_size: 1
    .uses_dynamic_stack: false
    .vgpr_count:     53
    .vgpr_spill_count: 0
    .wavefront_size: 64
  - .agpr_count:     0
    .args:
      - .actual_access:  write_only
        .address_space:  global
        .offset:         0
        .size:           8
        .value_kind:     global_buffer
      - .actual_access:  read_only
        .address_space:  global
        .offset:         8
        .size:           8
        .value_kind:     global_buffer
      - .actual_access:  read_only
        .address_space:  global
        .offset:         16
        .size:           8
        .value_kind:     global_buffer
      - .actual_access:  read_only
        .address_space:  global
        .offset:         24
        .size:           8
        .value_kind:     global_buffer
      - .offset:         32
        .size:           4
        .value_kind:     by_value
      - .offset:         36
        .size:           4
        .value_kind:     by_value
      - .actual_access:  read_only
        .address_space:  global
        .offset:         40
        .size:           8
        .value_kind:     global_buffer
      - .actual_access:  read_only
        .address_space:  global
        .offset:         48
        .size:           8
        .value_kind:     global_buffer
      - .offset:         56
        .size:           4
        .value_kind:     by_value
      - .actual_access:  read_only
        .address_space:  global
        .offset:         64
        .size:           8
        .value_kind:     global_buffer
      - .offset:         72
        .size:           4
        .value_kind:     by_value
      - .offset:         76
        .size:           4
        .value_kind:     by_value
      - .offset:         80
        .size:           4
        .value_kind:     by_value
      - .address_space:  global
        .offset:         88
        .size:           8
        .value_kind:     global_buffer
      - .address_space:  global
        .offset:         96
        .size:           8
        .value_kind:     global_buffer
      - .offset:         104
        .size:           4
        .value_kind:     by_value
      - .offset:         108
        .size:           4
        .value_kind:     by_value
      - .offset:         112
        .size:           4
        .value_kind:     by_value
      - .offset:         116
        .size:           4
        .value_kind:     by_value
      - .offset:         120
        .size:           4
        .value_kind:     by_value
      - .offset:         128
        .size:           4
        .value_kind:     hidden_block_count_x
      - .offset:         132
        .size:           4
        .value_kind:     hidden_block_count_y
      - .offset:         136
        .size:           4
        .value_kind:     hidden_block_count_z
      - .offset:         140
        .size:           2
        .value_kind:     hidden_group_size_x
      - .offset:         142
        .size:           2
        .value_kind:     hidden_group_size_y
      - .offset:         144
        .size:           2
        .value_kind:     hidden_group_size_z
      - .offset:         146
        .size:           2
        .value_kind:     hidden_remainder_x
      - .offset:         148
        .size:           2
        .value_kind:     hidden_remainder_y
      - .offset:         150
        .size:           2
        .value_kind:     hidden_remainder_z
      - .offset:         168
        .size:           8
        .value_kind:     hidden_global_offset_x
      - .offset:         176
        .size:           8
        .value_kind:     hidden_global_offset_y
      - .offset:         184
        .size:           8
        .value_kind:     hidden_global_offset_z
      - .offset:         192
        .size:           2
        .value_kind:     hidden_grid_dims
      - .offset:         248
        .size:           4
        .value_kind:     hidden_dynamic_lds_size
    .group_segment_fixed_size: 336
    .kernarg_segment_align: 8
    .kernarg_segment_size: 384
    .language:       OpenCL C
    .language_version:
      - 2
      - 0
    .max_flat_workgroup_size: 1024
    .name:           _ZN4vllm25paged_attention_v1_kernelIffLi80ELi16ELi128ELNS_18Fp8KVCacheDataTypeE0ELb0EEEvPT_PKS2_PKT0_S8_ifPKiSA_iPKfiiiSC_SC_iiiii
    .private_segment_fixed_size: 0
    .sgpr_count:     41
    .sgpr_spill_count: 0
    .symbol:         _ZN4vllm25paged_attention_v1_kernelIffLi80ELi16ELi128ELNS_18Fp8KVCacheDataTypeE0ELb0EEEvPT_PKS2_PKT0_S8_ifPKiSA_iPKfiiiSC_SC_iiiii.kd
    .uniform_work_group_size: 1
    .uses_dynamic_stack: false
    .vgpr_count:     62
    .vgpr_spill_count: 0
    .wavefront_size: 64
  - .agpr_count:     0
    .args:
      - .actual_access:  write_only
        .address_space:  global
        .offset:         0
        .size:           8
        .value_kind:     global_buffer
      - .actual_access:  read_only
        .address_space:  global
        .offset:         8
        .size:           8
        .value_kind:     global_buffer
      - .actual_access:  read_only
        .address_space:  global
        .offset:         16
        .size:           8
        .value_kind:     global_buffer
      - .actual_access:  read_only
        .address_space:  global
        .offset:         24
        .size:           8
        .value_kind:     global_buffer
      - .offset:         32
        .size:           4
        .value_kind:     by_value
      - .offset:         36
        .size:           4
        .value_kind:     by_value
      - .actual_access:  read_only
        .address_space:  global
        .offset:         40
        .size:           8
        .value_kind:     global_buffer
      - .actual_access:  read_only
        .address_space:  global
        .offset:         48
        .size:           8
        .value_kind:     global_buffer
      - .offset:         56
        .size:           4
        .value_kind:     by_value
      - .actual_access:  read_only
        .address_space:  global
        .offset:         64
        .size:           8
        .value_kind:     global_buffer
      - .offset:         72
        .size:           4
        .value_kind:     by_value
      - .offset:         76
        .size:           4
        .value_kind:     by_value
      - .offset:         80
        .size:           4
        .value_kind:     by_value
      - .address_space:  global
        .offset:         88
        .size:           8
        .value_kind:     global_buffer
      - .address_space:  global
        .offset:         96
        .size:           8
        .value_kind:     global_buffer
      - .offset:         104
        .size:           4
        .value_kind:     by_value
      - .offset:         108
        .size:           4
        .value_kind:     by_value
      - .offset:         112
        .size:           4
        .value_kind:     by_value
      - .offset:         116
        .size:           4
        .value_kind:     by_value
      - .offset:         120
        .size:           4
        .value_kind:     by_value
      - .offset:         128
        .size:           4
        .value_kind:     hidden_block_count_x
      - .offset:         132
        .size:           4
        .value_kind:     hidden_block_count_y
      - .offset:         136
        .size:           4
        .value_kind:     hidden_block_count_z
      - .offset:         140
        .size:           2
        .value_kind:     hidden_group_size_x
      - .offset:         142
        .size:           2
        .value_kind:     hidden_group_size_y
      - .offset:         144
        .size:           2
        .value_kind:     hidden_group_size_z
      - .offset:         146
        .size:           2
        .value_kind:     hidden_remainder_x
      - .offset:         148
        .size:           2
        .value_kind:     hidden_remainder_y
      - .offset:         150
        .size:           2
        .value_kind:     hidden_remainder_z
      - .offset:         168
        .size:           8
        .value_kind:     hidden_global_offset_x
      - .offset:         176
        .size:           8
        .value_kind:     hidden_global_offset_y
      - .offset:         184
        .size:           8
        .value_kind:     hidden_global_offset_z
      - .offset:         192
        .size:           2
        .value_kind:     hidden_grid_dims
      - .offset:         248
        .size:           4
        .value_kind:     hidden_dynamic_lds_size
    .group_segment_fixed_size: 400
    .kernarg_segment_align: 8
    .kernarg_segment_size: 384
    .language:       OpenCL C
    .language_version:
      - 2
      - 0
    .max_flat_workgroup_size: 1024
    .name:           _ZN4vllm25paged_attention_v1_kernelIffLi96ELi16ELi128ELNS_18Fp8KVCacheDataTypeE0ELb0EEEvPT_PKS2_PKT0_S8_ifPKiSA_iPKfiiiSC_SC_iiiii
    .private_segment_fixed_size: 0
    .sgpr_count:     41
    .sgpr_spill_count: 0
    .symbol:         _ZN4vllm25paged_attention_v1_kernelIffLi96ELi16ELi128ELNS_18Fp8KVCacheDataTypeE0ELb0EEEvPT_PKS2_PKT0_S8_ifPKiSA_iPKfiiiSC_SC_iiiii.kd
    .uniform_work_group_size: 1
    .uses_dynamic_stack: false
    .vgpr_count:     69
    .vgpr_spill_count: 0
    .wavefront_size: 64
  - .agpr_count:     0
    .args:
      - .actual_access:  write_only
        .address_space:  global
        .offset:         0
        .size:           8
        .value_kind:     global_buffer
      - .actual_access:  read_only
        .address_space:  global
        .offset:         8
        .size:           8
        .value_kind:     global_buffer
      - .actual_access:  read_only
        .address_space:  global
        .offset:         16
        .size:           8
        .value_kind:     global_buffer
      - .actual_access:  read_only
        .address_space:  global
        .offset:         24
        .size:           8
        .value_kind:     global_buffer
      - .offset:         32
        .size:           4
        .value_kind:     by_value
      - .offset:         36
        .size:           4
        .value_kind:     by_value
      - .actual_access:  read_only
        .address_space:  global
        .offset:         40
        .size:           8
        .value_kind:     global_buffer
      - .actual_access:  read_only
        .address_space:  global
        .offset:         48
        .size:           8
        .value_kind:     global_buffer
      - .offset:         56
        .size:           4
        .value_kind:     by_value
      - .actual_access:  read_only
        .address_space:  global
        .offset:         64
        .size:           8
        .value_kind:     global_buffer
      - .offset:         72
        .size:           4
        .value_kind:     by_value
      - .offset:         76
        .size:           4
        .value_kind:     by_value
      - .offset:         80
        .size:           4
        .value_kind:     by_value
      - .address_space:  global
        .offset:         88
        .size:           8
        .value_kind:     global_buffer
      - .address_space:  global
        .offset:         96
        .size:           8
        .value_kind:     global_buffer
      - .offset:         104
        .size:           4
        .value_kind:     by_value
      - .offset:         108
        .size:           4
        .value_kind:     by_value
      - .offset:         112
        .size:           4
        .value_kind:     by_value
      - .offset:         116
        .size:           4
        .value_kind:     by_value
      - .offset:         120
        .size:           4
        .value_kind:     by_value
      - .offset:         128
        .size:           4
        .value_kind:     hidden_block_count_x
      - .offset:         132
        .size:           4
        .value_kind:     hidden_block_count_y
      - .offset:         136
        .size:           4
        .value_kind:     hidden_block_count_z
      - .offset:         140
        .size:           2
        .value_kind:     hidden_group_size_x
      - .offset:         142
        .size:           2
        .value_kind:     hidden_group_size_y
      - .offset:         144
        .size:           2
        .value_kind:     hidden_group_size_z
      - .offset:         146
        .size:           2
        .value_kind:     hidden_remainder_x
      - .offset:         148
        .size:           2
        .value_kind:     hidden_remainder_y
      - .offset:         150
        .size:           2
        .value_kind:     hidden_remainder_z
      - .offset:         168
        .size:           8
        .value_kind:     hidden_global_offset_x
      - .offset:         176
        .size:           8
        .value_kind:     hidden_global_offset_y
      - .offset:         184
        .size:           8
        .value_kind:     hidden_global_offset_z
      - .offset:         192
        .size:           2
        .value_kind:     hidden_grid_dims
      - .offset:         248
        .size:           4
        .value_kind:     hidden_dynamic_lds_size
    .group_segment_fixed_size: 464
    .kernarg_segment_align: 8
    .kernarg_segment_size: 384
    .language:       OpenCL C
    .language_version:
      - 2
      - 0
    .max_flat_workgroup_size: 1024
    .name:           _ZN4vllm25paged_attention_v1_kernelIffLi112ELi16ELi128ELNS_18Fp8KVCacheDataTypeE0ELb0EEEvPT_PKS2_PKT0_S8_ifPKiSA_iPKfiiiSC_SC_iiiii
    .private_segment_fixed_size: 0
    .sgpr_count:     41
    .sgpr_spill_count: 0
    .symbol:         _ZN4vllm25paged_attention_v1_kernelIffLi112ELi16ELi128ELNS_18Fp8KVCacheDataTypeE0ELb0EEEvPT_PKS2_PKT0_S8_ifPKiSA_iPKfiiiSC_SC_iiiii.kd
    .uniform_work_group_size: 1
    .uses_dynamic_stack: false
    .vgpr_count:     77
    .vgpr_spill_count: 0
    .wavefront_size: 64
  - .agpr_count:     0
    .args:
      - .actual_access:  write_only
        .address_space:  global
        .offset:         0
        .size:           8
        .value_kind:     global_buffer
      - .actual_access:  read_only
        .address_space:  global
        .offset:         8
        .size:           8
        .value_kind:     global_buffer
      - .actual_access:  read_only
        .address_space:  global
        .offset:         16
        .size:           8
        .value_kind:     global_buffer
      - .actual_access:  read_only
        .address_space:  global
        .offset:         24
        .size:           8
        .value_kind:     global_buffer
      - .offset:         32
        .size:           4
        .value_kind:     by_value
      - .offset:         36
        .size:           4
        .value_kind:     by_value
      - .actual_access:  read_only
        .address_space:  global
        .offset:         40
        .size:           8
        .value_kind:     global_buffer
      - .actual_access:  read_only
        .address_space:  global
        .offset:         48
        .size:           8
        .value_kind:     global_buffer
      - .offset:         56
        .size:           4
        .value_kind:     by_value
      - .actual_access:  read_only
        .address_space:  global
        .offset:         64
        .size:           8
        .value_kind:     global_buffer
      - .offset:         72
        .size:           4
        .value_kind:     by_value
      - .offset:         76
        .size:           4
        .value_kind:     by_value
      - .offset:         80
        .size:           4
        .value_kind:     by_value
      - .address_space:  global
        .offset:         88
        .size:           8
        .value_kind:     global_buffer
      - .address_space:  global
        .offset:         96
        .size:           8
        .value_kind:     global_buffer
      - .offset:         104
        .size:           4
        .value_kind:     by_value
      - .offset:         108
        .size:           4
        .value_kind:     by_value
      - .offset:         112
        .size:           4
        .value_kind:     by_value
      - .offset:         116
        .size:           4
        .value_kind:     by_value
      - .offset:         120
        .size:           4
        .value_kind:     by_value
      - .offset:         128
        .size:           4
        .value_kind:     hidden_block_count_x
      - .offset:         132
        .size:           4
        .value_kind:     hidden_block_count_y
      - .offset:         136
        .size:           4
        .value_kind:     hidden_block_count_z
      - .offset:         140
        .size:           2
        .value_kind:     hidden_group_size_x
      - .offset:         142
        .size:           2
        .value_kind:     hidden_group_size_y
      - .offset:         144
        .size:           2
        .value_kind:     hidden_group_size_z
      - .offset:         146
        .size:           2
        .value_kind:     hidden_remainder_x
      - .offset:         148
        .size:           2
        .value_kind:     hidden_remainder_y
      - .offset:         150
        .size:           2
        .value_kind:     hidden_remainder_z
      - .offset:         168
        .size:           8
        .value_kind:     hidden_global_offset_x
      - .offset:         176
        .size:           8
        .value_kind:     hidden_global_offset_y
      - .offset:         184
        .size:           8
        .value_kind:     hidden_global_offset_z
      - .offset:         192
        .size:           2
        .value_kind:     hidden_grid_dims
      - .offset:         248
        .size:           4
        .value_kind:     hidden_dynamic_lds_size
    .group_segment_fixed_size: 496
    .kernarg_segment_align: 8
    .kernarg_segment_size: 384
    .language:       OpenCL C
    .language_version:
      - 2
      - 0
    .max_flat_workgroup_size: 1024
    .name:           _ZN4vllm25paged_attention_v1_kernelIffLi120ELi16ELi128ELNS_18Fp8KVCacheDataTypeE0ELb0EEEvPT_PKS2_PKT0_S8_ifPKiSA_iPKfiiiSC_SC_iiiii
    .private_segment_fixed_size: 0
    .sgpr_count:     41
    .sgpr_spill_count: 0
    .symbol:         _ZN4vllm25paged_attention_v1_kernelIffLi120ELi16ELi128ELNS_18Fp8KVCacheDataTypeE0ELb0EEEvPT_PKS2_PKT0_S8_ifPKiSA_iPKfiiiSC_SC_iiiii.kd
    .uniform_work_group_size: 1
    .uses_dynamic_stack: false
    .vgpr_count:     81
    .vgpr_spill_count: 0
    .wavefront_size: 64
  - .agpr_count:     0
    .args:
      - .actual_access:  write_only
        .address_space:  global
        .offset:         0
        .size:           8
        .value_kind:     global_buffer
      - .actual_access:  read_only
        .address_space:  global
        .offset:         8
        .size:           8
        .value_kind:     global_buffer
      - .actual_access:  read_only
        .address_space:  global
        .offset:         16
        .size:           8
        .value_kind:     global_buffer
      - .actual_access:  read_only
        .address_space:  global
        .offset:         24
        .size:           8
        .value_kind:     global_buffer
      - .offset:         32
        .size:           4
        .value_kind:     by_value
      - .offset:         36
        .size:           4
        .value_kind:     by_value
      - .actual_access:  read_only
        .address_space:  global
        .offset:         40
        .size:           8
        .value_kind:     global_buffer
      - .actual_access:  read_only
        .address_space:  global
        .offset:         48
        .size:           8
        .value_kind:     global_buffer
      - .offset:         56
        .size:           4
        .value_kind:     by_value
      - .actual_access:  read_only
        .address_space:  global
        .offset:         64
        .size:           8
        .value_kind:     global_buffer
      - .offset:         72
        .size:           4
        .value_kind:     by_value
      - .offset:         76
        .size:           4
        .value_kind:     by_value
      - .offset:         80
        .size:           4
        .value_kind:     by_value
      - .address_space:  global
        .offset:         88
        .size:           8
        .value_kind:     global_buffer
      - .address_space:  global
        .offset:         96
        .size:           8
        .value_kind:     global_buffer
      - .offset:         104
        .size:           4
        .value_kind:     by_value
      - .offset:         108
        .size:           4
        .value_kind:     by_value
      - .offset:         112
        .size:           4
        .value_kind:     by_value
      - .offset:         116
        .size:           4
        .value_kind:     by_value
      - .offset:         120
        .size:           4
        .value_kind:     by_value
      - .offset:         128
        .size:           4
        .value_kind:     hidden_block_count_x
      - .offset:         132
        .size:           4
        .value_kind:     hidden_block_count_y
      - .offset:         136
        .size:           4
        .value_kind:     hidden_block_count_z
      - .offset:         140
        .size:           2
        .value_kind:     hidden_group_size_x
      - .offset:         142
        .size:           2
        .value_kind:     hidden_group_size_y
      - .offset:         144
        .size:           2
        .value_kind:     hidden_group_size_z
      - .offset:         146
        .size:           2
        .value_kind:     hidden_remainder_x
      - .offset:         148
        .size:           2
        .value_kind:     hidden_remainder_y
      - .offset:         150
        .size:           2
        .value_kind:     hidden_remainder_z
      - .offset:         168
        .size:           8
        .value_kind:     hidden_global_offset_x
      - .offset:         176
        .size:           8
        .value_kind:     hidden_global_offset_y
      - .offset:         184
        .size:           8
        .value_kind:     hidden_global_offset_z
      - .offset:         192
        .size:           2
        .value_kind:     hidden_grid_dims
      - .offset:         248
        .size:           4
        .value_kind:     hidden_dynamic_lds_size
    .group_segment_fixed_size: 528
    .kernarg_segment_align: 8
    .kernarg_segment_size: 384
    .language:       OpenCL C
    .language_version:
      - 2
      - 0
    .max_flat_workgroup_size: 1024
    .name:           _ZN4vllm25paged_attention_v1_kernelIffLi128ELi16ELi128ELNS_18Fp8KVCacheDataTypeE0ELb0EEEvPT_PKS2_PKT0_S8_ifPKiSA_iPKfiiiSC_SC_iiiii
    .private_segment_fixed_size: 0
    .sgpr_count:     41
    .sgpr_spill_count: 0
    .symbol:         _ZN4vllm25paged_attention_v1_kernelIffLi128ELi16ELi128ELNS_18Fp8KVCacheDataTypeE0ELb0EEEvPT_PKS2_PKT0_S8_ifPKiSA_iPKfiiiSC_SC_iiiii.kd
    .uniform_work_group_size: 1
    .uses_dynamic_stack: false
    .vgpr_count:     85
    .vgpr_spill_count: 0
    .wavefront_size: 64
  - .agpr_count:     0
    .args:
      - .actual_access:  write_only
        .address_space:  global
        .offset:         0
        .size:           8
        .value_kind:     global_buffer
      - .actual_access:  read_only
        .address_space:  global
        .offset:         8
        .size:           8
        .value_kind:     global_buffer
      - .actual_access:  read_only
        .address_space:  global
        .offset:         16
        .size:           8
        .value_kind:     global_buffer
      - .actual_access:  read_only
        .address_space:  global
        .offset:         24
        .size:           8
        .value_kind:     global_buffer
      - .offset:         32
        .size:           4
        .value_kind:     by_value
      - .offset:         36
        .size:           4
        .value_kind:     by_value
      - .actual_access:  read_only
        .address_space:  global
        .offset:         40
        .size:           8
        .value_kind:     global_buffer
      - .actual_access:  read_only
        .address_space:  global
        .offset:         48
        .size:           8
        .value_kind:     global_buffer
      - .offset:         56
        .size:           4
        .value_kind:     by_value
      - .actual_access:  read_only
        .address_space:  global
        .offset:         64
        .size:           8
        .value_kind:     global_buffer
      - .offset:         72
        .size:           4
        .value_kind:     by_value
      - .offset:         76
        .size:           4
        .value_kind:     by_value
      - .offset:         80
        .size:           4
        .value_kind:     by_value
      - .address_space:  global
        .offset:         88
        .size:           8
        .value_kind:     global_buffer
      - .address_space:  global
        .offset:         96
        .size:           8
        .value_kind:     global_buffer
      - .offset:         104
        .size:           4
        .value_kind:     by_value
      - .offset:         108
        .size:           4
        .value_kind:     by_value
      - .offset:         112
        .size:           4
        .value_kind:     by_value
      - .offset:         116
        .size:           4
        .value_kind:     by_value
      - .offset:         120
        .size:           4
        .value_kind:     by_value
      - .offset:         128
        .size:           4
        .value_kind:     hidden_block_count_x
      - .offset:         132
        .size:           4
        .value_kind:     hidden_block_count_y
      - .offset:         136
        .size:           4
        .value_kind:     hidden_block_count_z
      - .offset:         140
        .size:           2
        .value_kind:     hidden_group_size_x
      - .offset:         142
        .size:           2
        .value_kind:     hidden_group_size_y
      - .offset:         144
        .size:           2
        .value_kind:     hidden_group_size_z
      - .offset:         146
        .size:           2
        .value_kind:     hidden_remainder_x
      - .offset:         148
        .size:           2
        .value_kind:     hidden_remainder_y
      - .offset:         150
        .size:           2
        .value_kind:     hidden_remainder_z
      - .offset:         168
        .size:           8
        .value_kind:     hidden_global_offset_x
      - .offset:         176
        .size:           8
        .value_kind:     hidden_global_offset_y
      - .offset:         184
        .size:           8
        .value_kind:     hidden_global_offset_z
      - .offset:         192
        .size:           2
        .value_kind:     hidden_grid_dims
      - .offset:         248
        .size:           4
        .value_kind:     hidden_dynamic_lds_size
    .group_segment_fixed_size: 784
    .kernarg_segment_align: 8
    .kernarg_segment_size: 384
    .language:       OpenCL C
    .language_version:
      - 2
      - 0
    .max_flat_workgroup_size: 1024
    .name:           _ZN4vllm25paged_attention_v1_kernelIffLi192ELi16ELi128ELNS_18Fp8KVCacheDataTypeE0ELb0EEEvPT_PKS2_PKT0_S8_ifPKiSA_iPKfiiiSC_SC_iiiii
    .private_segment_fixed_size: 0
    .sgpr_count:     42
    .sgpr_spill_count: 0
    .symbol:         _ZN4vllm25paged_attention_v1_kernelIffLi192ELi16ELi128ELNS_18Fp8KVCacheDataTypeE0ELb0EEEvPT_PKS2_PKT0_S8_ifPKiSA_iPKfiiiSC_SC_iiiii.kd
    .uniform_work_group_size: 1
    .uses_dynamic_stack: false
    .vgpr_count:     117
    .vgpr_spill_count: 0
    .wavefront_size: 64
  - .agpr_count:     0
    .args:
      - .actual_access:  write_only
        .address_space:  global
        .offset:         0
        .size:           8
        .value_kind:     global_buffer
      - .actual_access:  read_only
        .address_space:  global
        .offset:         8
        .size:           8
        .value_kind:     global_buffer
      - .actual_access:  read_only
        .address_space:  global
        .offset:         16
        .size:           8
        .value_kind:     global_buffer
      - .actual_access:  read_only
        .address_space:  global
        .offset:         24
        .size:           8
        .value_kind:     global_buffer
      - .offset:         32
        .size:           4
        .value_kind:     by_value
      - .offset:         36
        .size:           4
        .value_kind:     by_value
      - .actual_access:  read_only
        .address_space:  global
        .offset:         40
        .size:           8
        .value_kind:     global_buffer
      - .actual_access:  read_only
        .address_space:  global
        .offset:         48
        .size:           8
        .value_kind:     global_buffer
      - .offset:         56
        .size:           4
        .value_kind:     by_value
      - .actual_access:  read_only
        .address_space:  global
        .offset:         64
        .size:           8
        .value_kind:     global_buffer
      - .offset:         72
        .size:           4
        .value_kind:     by_value
      - .offset:         76
        .size:           4
        .value_kind:     by_value
      - .offset:         80
        .size:           4
        .value_kind:     by_value
      - .address_space:  global
        .offset:         88
        .size:           8
        .value_kind:     global_buffer
      - .address_space:  global
        .offset:         96
        .size:           8
        .value_kind:     global_buffer
      - .offset:         104
        .size:           4
        .value_kind:     by_value
      - .offset:         108
        .size:           4
        .value_kind:     by_value
      - .offset:         112
        .size:           4
        .value_kind:     by_value
      - .offset:         116
        .size:           4
        .value_kind:     by_value
      - .offset:         120
        .size:           4
        .value_kind:     by_value
      - .offset:         128
        .size:           4
        .value_kind:     hidden_block_count_x
      - .offset:         132
        .size:           4
        .value_kind:     hidden_block_count_y
      - .offset:         136
        .size:           4
        .value_kind:     hidden_block_count_z
      - .offset:         140
        .size:           2
        .value_kind:     hidden_group_size_x
      - .offset:         142
        .size:           2
        .value_kind:     hidden_group_size_y
      - .offset:         144
        .size:           2
        .value_kind:     hidden_group_size_z
      - .offset:         146
        .size:           2
        .value_kind:     hidden_remainder_x
      - .offset:         148
        .size:           2
        .value_kind:     hidden_remainder_y
      - .offset:         150
        .size:           2
        .value_kind:     hidden_remainder_z
      - .offset:         168
        .size:           8
        .value_kind:     hidden_global_offset_x
      - .offset:         176
        .size:           8
        .value_kind:     hidden_global_offset_y
      - .offset:         184
        .size:           8
        .value_kind:     hidden_global_offset_z
      - .offset:         192
        .size:           2
        .value_kind:     hidden_grid_dims
      - .offset:         248
        .size:           4
        .value_kind:     hidden_dynamic_lds_size
    .group_segment_fixed_size: 1040
    .kernarg_segment_align: 8
    .kernarg_segment_size: 384
    .language:       OpenCL C
    .language_version:
      - 2
      - 0
    .max_flat_workgroup_size: 1024
    .name:           _ZN4vllm25paged_attention_v1_kernelIffLi256ELi16ELi128ELNS_18Fp8KVCacheDataTypeE0ELb0EEEvPT_PKS2_PKT0_S8_ifPKiSA_iPKfiiiSC_SC_iiiii
    .private_segment_fixed_size: 104
    .sgpr_count:     43
    .sgpr_spill_count: 0
    .symbol:         _ZN4vllm25paged_attention_v1_kernelIffLi256ELi16ELi128ELNS_18Fp8KVCacheDataTypeE0ELb0EEEvPT_PKS2_PKT0_S8_ifPKiSA_iPKfiiiSC_SC_iiiii.kd
    .uniform_work_group_size: 1
    .uses_dynamic_stack: false
    .vgpr_count:     128
    .vgpr_spill_count: 25
    .wavefront_size: 64
  - .agpr_count:     0
    .args:
      - .actual_access:  write_only
        .address_space:  global
        .offset:         0
        .size:           8
        .value_kind:     global_buffer
      - .actual_access:  read_only
        .address_space:  global
        .offset:         8
        .size:           8
        .value_kind:     global_buffer
      - .actual_access:  read_only
        .address_space:  global
        .offset:         16
        .size:           8
        .value_kind:     global_buffer
      - .actual_access:  read_only
        .address_space:  global
        .offset:         24
        .size:           8
        .value_kind:     global_buffer
      - .offset:         32
        .size:           4
        .value_kind:     by_value
      - .offset:         36
        .size:           4
        .value_kind:     by_value
      - .actual_access:  read_only
        .address_space:  global
        .offset:         40
        .size:           8
        .value_kind:     global_buffer
      - .actual_access:  read_only
        .address_space:  global
        .offset:         48
        .size:           8
        .value_kind:     global_buffer
      - .offset:         56
        .size:           4
        .value_kind:     by_value
      - .actual_access:  read_only
        .address_space:  global
        .offset:         64
        .size:           8
        .value_kind:     global_buffer
      - .offset:         72
        .size:           4
        .value_kind:     by_value
      - .offset:         76
        .size:           4
        .value_kind:     by_value
      - .offset:         80
        .size:           4
        .value_kind:     by_value
      - .address_space:  global
        .offset:         88
        .size:           8
        .value_kind:     global_buffer
      - .address_space:  global
        .offset:         96
        .size:           8
        .value_kind:     global_buffer
      - .offset:         104
        .size:           4
        .value_kind:     by_value
      - .offset:         108
        .size:           4
        .value_kind:     by_value
      - .offset:         112
        .size:           4
        .value_kind:     by_value
      - .offset:         116
        .size:           4
        .value_kind:     by_value
      - .offset:         120
        .size:           4
        .value_kind:     by_value
      - .offset:         128
        .size:           4
        .value_kind:     hidden_block_count_x
      - .offset:         132
        .size:           4
        .value_kind:     hidden_block_count_y
      - .offset:         136
        .size:           4
        .value_kind:     hidden_block_count_z
      - .offset:         140
        .size:           2
        .value_kind:     hidden_group_size_x
      - .offset:         142
        .size:           2
        .value_kind:     hidden_group_size_y
      - .offset:         144
        .size:           2
        .value_kind:     hidden_group_size_z
      - .offset:         146
        .size:           2
        .value_kind:     hidden_remainder_x
      - .offset:         148
        .size:           2
        .value_kind:     hidden_remainder_y
      - .offset:         150
        .size:           2
        .value_kind:     hidden_remainder_z
      - .offset:         168
        .size:           8
        .value_kind:     hidden_global_offset_x
      - .offset:         176
        .size:           8
        .value_kind:     hidden_global_offset_y
      - .offset:         184
        .size:           8
        .value_kind:     hidden_global_offset_z
      - .offset:         192
        .size:           2
        .value_kind:     hidden_grid_dims
      - .offset:         248
        .size:           4
        .value_kind:     hidden_dynamic_lds_size
    .group_segment_fixed_size: 144
    .kernarg_segment_align: 8
    .kernarg_segment_size: 384
    .language:       OpenCL C
    .language_version:
      - 2
      - 0
    .max_flat_workgroup_size: 1024
    .name:           _ZN4vllm25paged_attention_v1_kernelIffLi32ELi32ELi128ELNS_18Fp8KVCacheDataTypeE0ELb1EEEvPT_PKS2_PKT0_S8_ifPKiSA_iPKfiiiSC_SC_iiiii
    .private_segment_fixed_size: 0
    .sgpr_count:     50
    .sgpr_spill_count: 0
    .symbol:         _ZN4vllm25paged_attention_v1_kernelIffLi32ELi32ELi128ELNS_18Fp8KVCacheDataTypeE0ELb1EEEvPT_PKS2_PKT0_S8_ifPKiSA_iPKfiiiSC_SC_iiiii.kd
    .uniform_work_group_size: 1
    .uses_dynamic_stack: false
    .vgpr_count:     56
    .vgpr_spill_count: 0
    .wavefront_size: 64
  - .agpr_count:     0
    .args:
      - .actual_access:  write_only
        .address_space:  global
        .offset:         0
        .size:           8
        .value_kind:     global_buffer
      - .actual_access:  read_only
        .address_space:  global
        .offset:         8
        .size:           8
        .value_kind:     global_buffer
      - .actual_access:  read_only
        .address_space:  global
        .offset:         16
        .size:           8
        .value_kind:     global_buffer
      - .actual_access:  read_only
        .address_space:  global
        .offset:         24
        .size:           8
        .value_kind:     global_buffer
      - .offset:         32
        .size:           4
        .value_kind:     by_value
      - .offset:         36
        .size:           4
        .value_kind:     by_value
      - .actual_access:  read_only
        .address_space:  global
        .offset:         40
        .size:           8
        .value_kind:     global_buffer
      - .actual_access:  read_only
        .address_space:  global
        .offset:         48
        .size:           8
        .value_kind:     global_buffer
      - .offset:         56
        .size:           4
        .value_kind:     by_value
      - .actual_access:  read_only
        .address_space:  global
        .offset:         64
        .size:           8
        .value_kind:     global_buffer
      - .offset:         72
        .size:           4
        .value_kind:     by_value
      - .offset:         76
        .size:           4
        .value_kind:     by_value
      - .offset:         80
        .size:           4
        .value_kind:     by_value
      - .address_space:  global
        .offset:         88
        .size:           8
        .value_kind:     global_buffer
      - .address_space:  global
        .offset:         96
        .size:           8
        .value_kind:     global_buffer
      - .offset:         104
        .size:           4
        .value_kind:     by_value
      - .offset:         108
        .size:           4
        .value_kind:     by_value
      - .offset:         112
        .size:           4
        .value_kind:     by_value
      - .offset:         116
        .size:           4
        .value_kind:     by_value
      - .offset:         120
        .size:           4
        .value_kind:     by_value
      - .offset:         128
        .size:           4
        .value_kind:     hidden_block_count_x
      - .offset:         132
        .size:           4
        .value_kind:     hidden_block_count_y
      - .offset:         136
        .size:           4
        .value_kind:     hidden_block_count_z
      - .offset:         140
        .size:           2
        .value_kind:     hidden_group_size_x
      - .offset:         142
        .size:           2
        .value_kind:     hidden_group_size_y
      - .offset:         144
        .size:           2
        .value_kind:     hidden_group_size_z
      - .offset:         146
        .size:           2
        .value_kind:     hidden_remainder_x
      - .offset:         148
        .size:           2
        .value_kind:     hidden_remainder_y
      - .offset:         150
        .size:           2
        .value_kind:     hidden_remainder_z
      - .offset:         168
        .size:           8
        .value_kind:     hidden_global_offset_x
      - .offset:         176
        .size:           8
        .value_kind:     hidden_global_offset_y
      - .offset:         184
        .size:           8
        .value_kind:     hidden_global_offset_z
      - .offset:         192
        .size:           2
        .value_kind:     hidden_grid_dims
      - .offset:         248
        .size:           4
        .value_kind:     hidden_dynamic_lds_size
    .group_segment_fixed_size: 272
    .kernarg_segment_align: 8
    .kernarg_segment_size: 384
    .language:       OpenCL C
    .language_version:
      - 2
      - 0
    .max_flat_workgroup_size: 1024
    .name:           _ZN4vllm25paged_attention_v1_kernelIffLi64ELi32ELi128ELNS_18Fp8KVCacheDataTypeE0ELb1EEEvPT_PKS2_PKT0_S8_ifPKiSA_iPKfiiiSC_SC_iiiii
    .private_segment_fixed_size: 0
    .sgpr_count:     51
    .sgpr_spill_count: 0
    .symbol:         _ZN4vllm25paged_attention_v1_kernelIffLi64ELi32ELi128ELNS_18Fp8KVCacheDataTypeE0ELb1EEEvPT_PKS2_PKT0_S8_ifPKiSA_iPKfiiiSC_SC_iiiii.kd
    .uniform_work_group_size: 1
    .uses_dynamic_stack: false
    .vgpr_count:     88
    .vgpr_spill_count: 0
    .wavefront_size: 64
  - .agpr_count:     0
    .args:
      - .actual_access:  write_only
        .address_space:  global
        .offset:         0
        .size:           8
        .value_kind:     global_buffer
      - .actual_access:  read_only
        .address_space:  global
        .offset:         8
        .size:           8
        .value_kind:     global_buffer
      - .actual_access:  read_only
        .address_space:  global
        .offset:         16
        .size:           8
        .value_kind:     global_buffer
      - .actual_access:  read_only
        .address_space:  global
        .offset:         24
        .size:           8
        .value_kind:     global_buffer
      - .offset:         32
        .size:           4
        .value_kind:     by_value
      - .offset:         36
        .size:           4
        .value_kind:     by_value
      - .actual_access:  read_only
        .address_space:  global
        .offset:         40
        .size:           8
        .value_kind:     global_buffer
      - .actual_access:  read_only
        .address_space:  global
        .offset:         48
        .size:           8
        .value_kind:     global_buffer
      - .offset:         56
        .size:           4
        .value_kind:     by_value
      - .actual_access:  read_only
        .address_space:  global
        .offset:         64
        .size:           8
        .value_kind:     global_buffer
      - .offset:         72
        .size:           4
        .value_kind:     by_value
      - .offset:         76
        .size:           4
        .value_kind:     by_value
      - .offset:         80
        .size:           4
        .value_kind:     by_value
      - .address_space:  global
        .offset:         88
        .size:           8
        .value_kind:     global_buffer
      - .address_space:  global
        .offset:         96
        .size:           8
        .value_kind:     global_buffer
      - .offset:         104
        .size:           4
        .value_kind:     by_value
      - .offset:         108
        .size:           4
        .value_kind:     by_value
      - .offset:         112
        .size:           4
        .value_kind:     by_value
      - .offset:         116
        .size:           4
        .value_kind:     by_value
      - .offset:         120
        .size:           4
        .value_kind:     by_value
      - .offset:         128
        .size:           4
        .value_kind:     hidden_block_count_x
      - .offset:         132
        .size:           4
        .value_kind:     hidden_block_count_y
      - .offset:         136
        .size:           4
        .value_kind:     hidden_block_count_z
      - .offset:         140
        .size:           2
        .value_kind:     hidden_group_size_x
      - .offset:         142
        .size:           2
        .value_kind:     hidden_group_size_y
      - .offset:         144
        .size:           2
        .value_kind:     hidden_group_size_z
      - .offset:         146
        .size:           2
        .value_kind:     hidden_remainder_x
      - .offset:         148
        .size:           2
        .value_kind:     hidden_remainder_y
      - .offset:         150
        .size:           2
        .value_kind:     hidden_remainder_z
      - .offset:         168
        .size:           8
        .value_kind:     hidden_global_offset_x
      - .offset:         176
        .size:           8
        .value_kind:     hidden_global_offset_y
      - .offset:         184
        .size:           8
        .value_kind:     hidden_global_offset_z
      - .offset:         192
        .size:           2
        .value_kind:     hidden_grid_dims
      - .offset:         248
        .size:           4
        .value_kind:     hidden_dynamic_lds_size
    .group_segment_fixed_size: 336
    .kernarg_segment_align: 8
    .kernarg_segment_size: 384
    .language:       OpenCL C
    .language_version:
      - 2
      - 0
    .max_flat_workgroup_size: 1024
    .name:           _ZN4vllm25paged_attention_v1_kernelIffLi80ELi32ELi128ELNS_18Fp8KVCacheDataTypeE0ELb1EEEvPT_PKS2_PKT0_S8_ifPKiSA_iPKfiiiSC_SC_iiiii
    .private_segment_fixed_size: 0
    .sgpr_count:     52
    .sgpr_spill_count: 0
    .symbol:         _ZN4vllm25paged_attention_v1_kernelIffLi80ELi32ELi128ELNS_18Fp8KVCacheDataTypeE0ELb1EEEvPT_PKS2_PKT0_S8_ifPKiSA_iPKfiiiSC_SC_iiiii.kd
    .uniform_work_group_size: 1
    .uses_dynamic_stack: false
    .vgpr_count:     89
    .vgpr_spill_count: 0
    .wavefront_size: 64
  - .agpr_count:     0
    .args:
      - .actual_access:  write_only
        .address_space:  global
        .offset:         0
        .size:           8
        .value_kind:     global_buffer
      - .actual_access:  read_only
        .address_space:  global
        .offset:         8
        .size:           8
        .value_kind:     global_buffer
      - .actual_access:  read_only
        .address_space:  global
        .offset:         16
        .size:           8
        .value_kind:     global_buffer
      - .actual_access:  read_only
        .address_space:  global
        .offset:         24
        .size:           8
        .value_kind:     global_buffer
      - .offset:         32
        .size:           4
        .value_kind:     by_value
      - .offset:         36
        .size:           4
        .value_kind:     by_value
      - .actual_access:  read_only
        .address_space:  global
        .offset:         40
        .size:           8
        .value_kind:     global_buffer
      - .actual_access:  read_only
        .address_space:  global
        .offset:         48
        .size:           8
        .value_kind:     global_buffer
      - .offset:         56
        .size:           4
        .value_kind:     by_value
      - .actual_access:  read_only
        .address_space:  global
        .offset:         64
        .size:           8
        .value_kind:     global_buffer
      - .offset:         72
        .size:           4
        .value_kind:     by_value
      - .offset:         76
        .size:           4
        .value_kind:     by_value
      - .offset:         80
        .size:           4
        .value_kind:     by_value
      - .address_space:  global
        .offset:         88
        .size:           8
        .value_kind:     global_buffer
      - .address_space:  global
        .offset:         96
        .size:           8
        .value_kind:     global_buffer
      - .offset:         104
        .size:           4
        .value_kind:     by_value
      - .offset:         108
        .size:           4
        .value_kind:     by_value
      - .offset:         112
        .size:           4
        .value_kind:     by_value
      - .offset:         116
        .size:           4
        .value_kind:     by_value
      - .offset:         120
        .size:           4
        .value_kind:     by_value
      - .offset:         128
        .size:           4
        .value_kind:     hidden_block_count_x
      - .offset:         132
        .size:           4
        .value_kind:     hidden_block_count_y
      - .offset:         136
        .size:           4
        .value_kind:     hidden_block_count_z
      - .offset:         140
        .size:           2
        .value_kind:     hidden_group_size_x
      - .offset:         142
        .size:           2
        .value_kind:     hidden_group_size_y
      - .offset:         144
        .size:           2
        .value_kind:     hidden_group_size_z
      - .offset:         146
        .size:           2
        .value_kind:     hidden_remainder_x
      - .offset:         148
        .size:           2
        .value_kind:     hidden_remainder_y
      - .offset:         150
        .size:           2
        .value_kind:     hidden_remainder_z
      - .offset:         168
        .size:           8
        .value_kind:     hidden_global_offset_x
      - .offset:         176
        .size:           8
        .value_kind:     hidden_global_offset_y
      - .offset:         184
        .size:           8
        .value_kind:     hidden_global_offset_z
      - .offset:         192
        .size:           2
        .value_kind:     hidden_grid_dims
      - .offset:         248
        .size:           4
        .value_kind:     hidden_dynamic_lds_size
    .group_segment_fixed_size: 400
    .kernarg_segment_align: 8
    .kernarg_segment_size: 384
    .language:       OpenCL C
    .language_version:
      - 2
      - 0
    .max_flat_workgroup_size: 1024
    .name:           _ZN4vllm25paged_attention_v1_kernelIffLi96ELi32ELi128ELNS_18Fp8KVCacheDataTypeE0ELb1EEEvPT_PKS2_PKT0_S8_ifPKiSA_iPKfiiiSC_SC_iiiii
    .private_segment_fixed_size: 0
    .sgpr_count:     52
    .sgpr_spill_count: 0
    .symbol:         _ZN4vllm25paged_attention_v1_kernelIffLi96ELi32ELi128ELNS_18Fp8KVCacheDataTypeE0ELb1EEEvPT_PKS2_PKT0_S8_ifPKiSA_iPKfiiiSC_SC_iiiii.kd
    .uniform_work_group_size: 1
    .uses_dynamic_stack: false
    .vgpr_count:     105
    .vgpr_spill_count: 0
    .wavefront_size: 64
  - .agpr_count:     0
    .args:
      - .actual_access:  write_only
        .address_space:  global
        .offset:         0
        .size:           8
        .value_kind:     global_buffer
      - .actual_access:  read_only
        .address_space:  global
        .offset:         8
        .size:           8
        .value_kind:     global_buffer
      - .actual_access:  read_only
        .address_space:  global
        .offset:         16
        .size:           8
        .value_kind:     global_buffer
      - .actual_access:  read_only
        .address_space:  global
        .offset:         24
        .size:           8
        .value_kind:     global_buffer
      - .offset:         32
        .size:           4
        .value_kind:     by_value
      - .offset:         36
        .size:           4
        .value_kind:     by_value
      - .actual_access:  read_only
        .address_space:  global
        .offset:         40
        .size:           8
        .value_kind:     global_buffer
      - .actual_access:  read_only
        .address_space:  global
        .offset:         48
        .size:           8
        .value_kind:     global_buffer
      - .offset:         56
        .size:           4
        .value_kind:     by_value
      - .actual_access:  read_only
        .address_space:  global
        .offset:         64
        .size:           8
        .value_kind:     global_buffer
      - .offset:         72
        .size:           4
        .value_kind:     by_value
      - .offset:         76
        .size:           4
        .value_kind:     by_value
      - .offset:         80
        .size:           4
        .value_kind:     by_value
      - .address_space:  global
        .offset:         88
        .size:           8
        .value_kind:     global_buffer
      - .address_space:  global
        .offset:         96
        .size:           8
        .value_kind:     global_buffer
      - .offset:         104
        .size:           4
        .value_kind:     by_value
      - .offset:         108
        .size:           4
        .value_kind:     by_value
      - .offset:         112
        .size:           4
        .value_kind:     by_value
      - .offset:         116
        .size:           4
        .value_kind:     by_value
      - .offset:         120
        .size:           4
        .value_kind:     by_value
      - .offset:         128
        .size:           4
        .value_kind:     hidden_block_count_x
      - .offset:         132
        .size:           4
        .value_kind:     hidden_block_count_y
      - .offset:         136
        .size:           4
        .value_kind:     hidden_block_count_z
      - .offset:         140
        .size:           2
        .value_kind:     hidden_group_size_x
      - .offset:         142
        .size:           2
        .value_kind:     hidden_group_size_y
      - .offset:         144
        .size:           2
        .value_kind:     hidden_group_size_z
      - .offset:         146
        .size:           2
        .value_kind:     hidden_remainder_x
      - .offset:         148
        .size:           2
        .value_kind:     hidden_remainder_y
      - .offset:         150
        .size:           2
        .value_kind:     hidden_remainder_z
      - .offset:         168
        .size:           8
        .value_kind:     hidden_global_offset_x
      - .offset:         176
        .size:           8
        .value_kind:     hidden_global_offset_y
      - .offset:         184
        .size:           8
        .value_kind:     hidden_global_offset_z
      - .offset:         192
        .size:           2
        .value_kind:     hidden_grid_dims
      - .offset:         248
        .size:           4
        .value_kind:     hidden_dynamic_lds_size
    .group_segment_fixed_size: 464
    .kernarg_segment_align: 8
    .kernarg_segment_size: 384
    .language:       OpenCL C
    .language_version:
      - 2
      - 0
    .max_flat_workgroup_size: 1024
    .name:           _ZN4vllm25paged_attention_v1_kernelIffLi112ELi32ELi128ELNS_18Fp8KVCacheDataTypeE0ELb1EEEvPT_PKS2_PKT0_S8_ifPKiSA_iPKfiiiSC_SC_iiiii
    .private_segment_fixed_size: 0
    .sgpr_count:     53
    .sgpr_spill_count: 0
    .symbol:         _ZN4vllm25paged_attention_v1_kernelIffLi112ELi32ELi128ELNS_18Fp8KVCacheDataTypeE0ELb1EEEvPT_PKS2_PKT0_S8_ifPKiSA_iPKfiiiSC_SC_iiiii.kd
    .uniform_work_group_size: 1
    .uses_dynamic_stack: false
    .vgpr_count:     106
    .vgpr_spill_count: 0
    .wavefront_size: 64
  - .agpr_count:     0
    .args:
      - .actual_access:  write_only
        .address_space:  global
        .offset:         0
        .size:           8
        .value_kind:     global_buffer
      - .actual_access:  read_only
        .address_space:  global
        .offset:         8
        .size:           8
        .value_kind:     global_buffer
      - .actual_access:  read_only
        .address_space:  global
        .offset:         16
        .size:           8
        .value_kind:     global_buffer
      - .actual_access:  read_only
        .address_space:  global
        .offset:         24
        .size:           8
        .value_kind:     global_buffer
      - .offset:         32
        .size:           4
        .value_kind:     by_value
      - .offset:         36
        .size:           4
        .value_kind:     by_value
      - .actual_access:  read_only
        .address_space:  global
        .offset:         40
        .size:           8
        .value_kind:     global_buffer
      - .actual_access:  read_only
        .address_space:  global
        .offset:         48
        .size:           8
        .value_kind:     global_buffer
      - .offset:         56
        .size:           4
        .value_kind:     by_value
      - .actual_access:  read_only
        .address_space:  global
        .offset:         64
        .size:           8
        .value_kind:     global_buffer
      - .offset:         72
        .size:           4
        .value_kind:     by_value
      - .offset:         76
        .size:           4
        .value_kind:     by_value
      - .offset:         80
        .size:           4
        .value_kind:     by_value
      - .address_space:  global
        .offset:         88
        .size:           8
        .value_kind:     global_buffer
      - .address_space:  global
        .offset:         96
        .size:           8
        .value_kind:     global_buffer
      - .offset:         104
        .size:           4
        .value_kind:     by_value
      - .offset:         108
        .size:           4
        .value_kind:     by_value
      - .offset:         112
        .size:           4
        .value_kind:     by_value
      - .offset:         116
        .size:           4
        .value_kind:     by_value
      - .offset:         120
        .size:           4
        .value_kind:     by_value
      - .offset:         128
        .size:           4
        .value_kind:     hidden_block_count_x
      - .offset:         132
        .size:           4
        .value_kind:     hidden_block_count_y
      - .offset:         136
        .size:           4
        .value_kind:     hidden_block_count_z
      - .offset:         140
        .size:           2
        .value_kind:     hidden_group_size_x
      - .offset:         142
        .size:           2
        .value_kind:     hidden_group_size_y
      - .offset:         144
        .size:           2
        .value_kind:     hidden_group_size_z
      - .offset:         146
        .size:           2
        .value_kind:     hidden_remainder_x
      - .offset:         148
        .size:           2
        .value_kind:     hidden_remainder_y
      - .offset:         150
        .size:           2
        .value_kind:     hidden_remainder_z
      - .offset:         168
        .size:           8
        .value_kind:     hidden_global_offset_x
      - .offset:         176
        .size:           8
        .value_kind:     hidden_global_offset_y
      - .offset:         184
        .size:           8
        .value_kind:     hidden_global_offset_z
      - .offset:         192
        .size:           2
        .value_kind:     hidden_grid_dims
      - .offset:         248
        .size:           4
        .value_kind:     hidden_dynamic_lds_size
    .group_segment_fixed_size: 496
    .kernarg_segment_align: 8
    .kernarg_segment_size: 384
    .language:       OpenCL C
    .language_version:
      - 2
      - 0
    .max_flat_workgroup_size: 1024
    .name:           _ZN4vllm25paged_attention_v1_kernelIffLi120ELi32ELi128ELNS_18Fp8KVCacheDataTypeE0ELb1EEEvPT_PKS2_PKT0_S8_ifPKiSA_iPKfiiiSC_SC_iiiii
    .private_segment_fixed_size: 0
    .sgpr_count:     53
    .sgpr_spill_count: 0
    .symbol:         _ZN4vllm25paged_attention_v1_kernelIffLi120ELi32ELi128ELNS_18Fp8KVCacheDataTypeE0ELb1EEEvPT_PKS2_PKT0_S8_ifPKiSA_iPKfiiiSC_SC_iiiii.kd
    .uniform_work_group_size: 1
    .uses_dynamic_stack: false
    .vgpr_count:     98
    .vgpr_spill_count: 0
    .wavefront_size: 64
  - .agpr_count:     0
    .args:
      - .actual_access:  write_only
        .address_space:  global
        .offset:         0
        .size:           8
        .value_kind:     global_buffer
      - .actual_access:  read_only
        .address_space:  global
        .offset:         8
        .size:           8
        .value_kind:     global_buffer
      - .actual_access:  read_only
        .address_space:  global
        .offset:         16
        .size:           8
        .value_kind:     global_buffer
      - .actual_access:  read_only
        .address_space:  global
        .offset:         24
        .size:           8
        .value_kind:     global_buffer
      - .offset:         32
        .size:           4
        .value_kind:     by_value
      - .offset:         36
        .size:           4
        .value_kind:     by_value
      - .actual_access:  read_only
        .address_space:  global
        .offset:         40
        .size:           8
        .value_kind:     global_buffer
      - .actual_access:  read_only
        .address_space:  global
        .offset:         48
        .size:           8
        .value_kind:     global_buffer
      - .offset:         56
        .size:           4
        .value_kind:     by_value
      - .actual_access:  read_only
        .address_space:  global
        .offset:         64
        .size:           8
        .value_kind:     global_buffer
      - .offset:         72
        .size:           4
        .value_kind:     by_value
      - .offset:         76
        .size:           4
        .value_kind:     by_value
      - .offset:         80
        .size:           4
        .value_kind:     by_value
      - .address_space:  global
        .offset:         88
        .size:           8
        .value_kind:     global_buffer
      - .address_space:  global
        .offset:         96
        .size:           8
        .value_kind:     global_buffer
      - .offset:         104
        .size:           4
        .value_kind:     by_value
      - .offset:         108
        .size:           4
        .value_kind:     by_value
      - .offset:         112
        .size:           4
        .value_kind:     by_value
      - .offset:         116
        .size:           4
        .value_kind:     by_value
      - .offset:         120
        .size:           4
        .value_kind:     by_value
      - .offset:         128
        .size:           4
        .value_kind:     hidden_block_count_x
      - .offset:         132
        .size:           4
        .value_kind:     hidden_block_count_y
      - .offset:         136
        .size:           4
        .value_kind:     hidden_block_count_z
      - .offset:         140
        .size:           2
        .value_kind:     hidden_group_size_x
      - .offset:         142
        .size:           2
        .value_kind:     hidden_group_size_y
      - .offset:         144
        .size:           2
        .value_kind:     hidden_group_size_z
      - .offset:         146
        .size:           2
        .value_kind:     hidden_remainder_x
      - .offset:         148
        .size:           2
        .value_kind:     hidden_remainder_y
      - .offset:         150
        .size:           2
        .value_kind:     hidden_remainder_z
      - .offset:         168
        .size:           8
        .value_kind:     hidden_global_offset_x
      - .offset:         176
        .size:           8
        .value_kind:     hidden_global_offset_y
      - .offset:         184
        .size:           8
        .value_kind:     hidden_global_offset_z
      - .offset:         192
        .size:           2
        .value_kind:     hidden_grid_dims
      - .offset:         248
        .size:           4
        .value_kind:     hidden_dynamic_lds_size
    .group_segment_fixed_size: 528
    .kernarg_segment_align: 8
    .kernarg_segment_size: 384
    .language:       OpenCL C
    .language_version:
      - 2
      - 0
    .max_flat_workgroup_size: 1024
    .name:           _ZN4vllm25paged_attention_v1_kernelIffLi128ELi32ELi128ELNS_18Fp8KVCacheDataTypeE0ELb1EEEvPT_PKS2_PKT0_S8_ifPKiSA_iPKfiiiSC_SC_iiiii
    .private_segment_fixed_size: 0
    .sgpr_count:     55
    .sgpr_spill_count: 0
    .symbol:         _ZN4vllm25paged_attention_v1_kernelIffLi128ELi32ELi128ELNS_18Fp8KVCacheDataTypeE0ELb1EEEvPT_PKS2_PKT0_S8_ifPKiSA_iPKfiiiSC_SC_iiiii.kd
    .uniform_work_group_size: 1
    .uses_dynamic_stack: false
    .vgpr_count:     104
    .vgpr_spill_count: 0
    .wavefront_size: 64
  - .agpr_count:     0
    .args:
      - .actual_access:  write_only
        .address_space:  global
        .offset:         0
        .size:           8
        .value_kind:     global_buffer
      - .actual_access:  read_only
        .address_space:  global
        .offset:         8
        .size:           8
        .value_kind:     global_buffer
      - .actual_access:  read_only
        .address_space:  global
        .offset:         16
        .size:           8
        .value_kind:     global_buffer
      - .actual_access:  read_only
        .address_space:  global
        .offset:         24
        .size:           8
        .value_kind:     global_buffer
      - .offset:         32
        .size:           4
        .value_kind:     by_value
      - .offset:         36
        .size:           4
        .value_kind:     by_value
      - .actual_access:  read_only
        .address_space:  global
        .offset:         40
        .size:           8
        .value_kind:     global_buffer
      - .actual_access:  read_only
        .address_space:  global
        .offset:         48
        .size:           8
        .value_kind:     global_buffer
      - .offset:         56
        .size:           4
        .value_kind:     by_value
      - .actual_access:  read_only
        .address_space:  global
        .offset:         64
        .size:           8
        .value_kind:     global_buffer
      - .offset:         72
        .size:           4
        .value_kind:     by_value
      - .offset:         76
        .size:           4
        .value_kind:     by_value
      - .offset:         80
        .size:           4
        .value_kind:     by_value
      - .address_space:  global
        .offset:         88
        .size:           8
        .value_kind:     global_buffer
      - .address_space:  global
        .offset:         96
        .size:           8
        .value_kind:     global_buffer
      - .offset:         104
        .size:           4
        .value_kind:     by_value
      - .offset:         108
        .size:           4
        .value_kind:     by_value
      - .offset:         112
        .size:           4
        .value_kind:     by_value
      - .offset:         116
        .size:           4
        .value_kind:     by_value
      - .offset:         120
        .size:           4
        .value_kind:     by_value
      - .offset:         128
        .size:           4
        .value_kind:     hidden_block_count_x
      - .offset:         132
        .size:           4
        .value_kind:     hidden_block_count_y
      - .offset:         136
        .size:           4
        .value_kind:     hidden_block_count_z
      - .offset:         140
        .size:           2
        .value_kind:     hidden_group_size_x
      - .offset:         142
        .size:           2
        .value_kind:     hidden_group_size_y
      - .offset:         144
        .size:           2
        .value_kind:     hidden_group_size_z
      - .offset:         146
        .size:           2
        .value_kind:     hidden_remainder_x
      - .offset:         148
        .size:           2
        .value_kind:     hidden_remainder_y
      - .offset:         150
        .size:           2
        .value_kind:     hidden_remainder_z
      - .offset:         168
        .size:           8
        .value_kind:     hidden_global_offset_x
      - .offset:         176
        .size:           8
        .value_kind:     hidden_global_offset_y
      - .offset:         184
        .size:           8
        .value_kind:     hidden_global_offset_z
      - .offset:         192
        .size:           2
        .value_kind:     hidden_grid_dims
      - .offset:         248
        .size:           4
        .value_kind:     hidden_dynamic_lds_size
    .group_segment_fixed_size: 784
    .kernarg_segment_align: 8
    .kernarg_segment_size: 384
    .language:       OpenCL C
    .language_version:
      - 2
      - 0
    .max_flat_workgroup_size: 1024
    .name:           _ZN4vllm25paged_attention_v1_kernelIffLi192ELi32ELi128ELNS_18Fp8KVCacheDataTypeE0ELb1EEEvPT_PKS2_PKT0_S8_ifPKiSA_iPKfiiiSC_SC_iiiii
    .private_segment_fixed_size: 68
    .sgpr_count:     55
    .sgpr_spill_count: 0
    .symbol:         _ZN4vllm25paged_attention_v1_kernelIffLi192ELi32ELi128ELNS_18Fp8KVCacheDataTypeE0ELb1EEEvPT_PKS2_PKT0_S8_ifPKiSA_iPKfiiiSC_SC_iiiii.kd
    .uniform_work_group_size: 1
    .uses_dynamic_stack: false
    .vgpr_count:     128
    .vgpr_spill_count: 24
    .wavefront_size: 64
  - .agpr_count:     0
    .args:
      - .actual_access:  write_only
        .address_space:  global
        .offset:         0
        .size:           8
        .value_kind:     global_buffer
      - .actual_access:  read_only
        .address_space:  global
        .offset:         8
        .size:           8
        .value_kind:     global_buffer
      - .actual_access:  read_only
        .address_space:  global
        .offset:         16
        .size:           8
        .value_kind:     global_buffer
      - .actual_access:  read_only
        .address_space:  global
        .offset:         24
        .size:           8
        .value_kind:     global_buffer
      - .offset:         32
        .size:           4
        .value_kind:     by_value
      - .offset:         36
        .size:           4
        .value_kind:     by_value
      - .actual_access:  read_only
        .address_space:  global
        .offset:         40
        .size:           8
        .value_kind:     global_buffer
      - .actual_access:  read_only
        .address_space:  global
        .offset:         48
        .size:           8
        .value_kind:     global_buffer
      - .offset:         56
        .size:           4
        .value_kind:     by_value
      - .actual_access:  read_only
        .address_space:  global
        .offset:         64
        .size:           8
        .value_kind:     global_buffer
      - .offset:         72
        .size:           4
        .value_kind:     by_value
      - .offset:         76
        .size:           4
        .value_kind:     by_value
      - .offset:         80
        .size:           4
        .value_kind:     by_value
      - .address_space:  global
        .offset:         88
        .size:           8
        .value_kind:     global_buffer
      - .address_space:  global
        .offset:         96
        .size:           8
        .value_kind:     global_buffer
      - .offset:         104
        .size:           4
        .value_kind:     by_value
      - .offset:         108
        .size:           4
        .value_kind:     by_value
      - .offset:         112
        .size:           4
        .value_kind:     by_value
      - .offset:         116
        .size:           4
        .value_kind:     by_value
      - .offset:         120
        .size:           4
        .value_kind:     by_value
      - .offset:         128
        .size:           4
        .value_kind:     hidden_block_count_x
      - .offset:         132
        .size:           4
        .value_kind:     hidden_block_count_y
      - .offset:         136
        .size:           4
        .value_kind:     hidden_block_count_z
      - .offset:         140
        .size:           2
        .value_kind:     hidden_group_size_x
      - .offset:         142
        .size:           2
        .value_kind:     hidden_group_size_y
      - .offset:         144
        .size:           2
        .value_kind:     hidden_group_size_z
      - .offset:         146
        .size:           2
        .value_kind:     hidden_remainder_x
      - .offset:         148
        .size:           2
        .value_kind:     hidden_remainder_y
      - .offset:         150
        .size:           2
        .value_kind:     hidden_remainder_z
      - .offset:         168
        .size:           8
        .value_kind:     hidden_global_offset_x
      - .offset:         176
        .size:           8
        .value_kind:     hidden_global_offset_y
      - .offset:         184
        .size:           8
        .value_kind:     hidden_global_offset_z
      - .offset:         192
        .size:           2
        .value_kind:     hidden_grid_dims
      - .offset:         248
        .size:           4
        .value_kind:     hidden_dynamic_lds_size
    .group_segment_fixed_size: 1040
    .kernarg_segment_align: 8
    .kernarg_segment_size: 384
    .language:       OpenCL C
    .language_version:
      - 2
      - 0
    .max_flat_workgroup_size: 1024
    .name:           _ZN4vllm25paged_attention_v1_kernelIffLi256ELi32ELi128ELNS_18Fp8KVCacheDataTypeE0ELb1EEEvPT_PKS2_PKT0_S8_ifPKiSA_iPKfiiiSC_SC_iiiii
    .private_segment_fixed_size: 248
    .sgpr_count:     57
    .sgpr_spill_count: 0
    .symbol:         _ZN4vllm25paged_attention_v1_kernelIffLi256ELi32ELi128ELNS_18Fp8KVCacheDataTypeE0ELb1EEEvPT_PKS2_PKT0_S8_ifPKiSA_iPKfiiiSC_SC_iiiii.kd
    .uniform_work_group_size: 1
    .uses_dynamic_stack: false
    .vgpr_count:     128
    .vgpr_spill_count: 106
    .wavefront_size: 64
  - .agpr_count:     0
    .args:
      - .actual_access:  write_only
        .address_space:  global
        .offset:         0
        .size:           8
        .value_kind:     global_buffer
      - .actual_access:  read_only
        .address_space:  global
        .offset:         8
        .size:           8
        .value_kind:     global_buffer
      - .actual_access:  read_only
        .address_space:  global
        .offset:         16
        .size:           8
        .value_kind:     global_buffer
      - .actual_access:  read_only
        .address_space:  global
        .offset:         24
        .size:           8
        .value_kind:     global_buffer
      - .offset:         32
        .size:           4
        .value_kind:     by_value
      - .offset:         36
        .size:           4
        .value_kind:     by_value
      - .actual_access:  read_only
        .address_space:  global
        .offset:         40
        .size:           8
        .value_kind:     global_buffer
      - .actual_access:  read_only
        .address_space:  global
        .offset:         48
        .size:           8
        .value_kind:     global_buffer
      - .offset:         56
        .size:           4
        .value_kind:     by_value
      - .actual_access:  read_only
        .address_space:  global
        .offset:         64
        .size:           8
        .value_kind:     global_buffer
      - .offset:         72
        .size:           4
        .value_kind:     by_value
      - .offset:         76
        .size:           4
        .value_kind:     by_value
      - .offset:         80
        .size:           4
        .value_kind:     by_value
      - .address_space:  global
        .offset:         88
        .size:           8
        .value_kind:     global_buffer
      - .address_space:  global
        .offset:         96
        .size:           8
        .value_kind:     global_buffer
      - .offset:         104
        .size:           4
        .value_kind:     by_value
      - .offset:         108
        .size:           4
        .value_kind:     by_value
      - .offset:         112
        .size:           4
        .value_kind:     by_value
      - .offset:         116
        .size:           4
        .value_kind:     by_value
      - .offset:         120
        .size:           4
        .value_kind:     by_value
      - .offset:         128
        .size:           4
        .value_kind:     hidden_block_count_x
      - .offset:         132
        .size:           4
        .value_kind:     hidden_block_count_y
      - .offset:         136
        .size:           4
        .value_kind:     hidden_block_count_z
      - .offset:         140
        .size:           2
        .value_kind:     hidden_group_size_x
      - .offset:         142
        .size:           2
        .value_kind:     hidden_group_size_y
      - .offset:         144
        .size:           2
        .value_kind:     hidden_group_size_z
      - .offset:         146
        .size:           2
        .value_kind:     hidden_remainder_x
      - .offset:         148
        .size:           2
        .value_kind:     hidden_remainder_y
      - .offset:         150
        .size:           2
        .value_kind:     hidden_remainder_z
      - .offset:         168
        .size:           8
        .value_kind:     hidden_global_offset_x
      - .offset:         176
        .size:           8
        .value_kind:     hidden_global_offset_y
      - .offset:         184
        .size:           8
        .value_kind:     hidden_global_offset_z
      - .offset:         192
        .size:           2
        .value_kind:     hidden_grid_dims
      - .offset:         248
        .size:           4
        .value_kind:     hidden_dynamic_lds_size
    .group_segment_fixed_size: 144
    .kernarg_segment_align: 8
    .kernarg_segment_size: 384
    .language:       OpenCL C
    .language_version:
      - 2
      - 0
    .max_flat_workgroup_size: 1024
    .name:           _ZN4vllm25paged_attention_v1_kernelIffLi32ELi32ELi128ELNS_18Fp8KVCacheDataTypeE0ELb0EEEvPT_PKS2_PKT0_S8_ifPKiSA_iPKfiiiSC_SC_iiiii
    .private_segment_fixed_size: 0
    .sgpr_count:     40
    .sgpr_spill_count: 0
    .symbol:         _ZN4vllm25paged_attention_v1_kernelIffLi32ELi32ELi128ELNS_18Fp8KVCacheDataTypeE0ELb0EEEvPT_PKS2_PKT0_S8_ifPKiSA_iPKfiiiSC_SC_iiiii.kd
    .uniform_work_group_size: 1
    .uses_dynamic_stack: false
    .vgpr_count:     50
    .vgpr_spill_count: 0
    .wavefront_size: 64
  - .agpr_count:     0
    .args:
      - .actual_access:  write_only
        .address_space:  global
        .offset:         0
        .size:           8
        .value_kind:     global_buffer
      - .actual_access:  read_only
        .address_space:  global
        .offset:         8
        .size:           8
        .value_kind:     global_buffer
      - .actual_access:  read_only
        .address_space:  global
        .offset:         16
        .size:           8
        .value_kind:     global_buffer
      - .actual_access:  read_only
        .address_space:  global
        .offset:         24
        .size:           8
        .value_kind:     global_buffer
      - .offset:         32
        .size:           4
        .value_kind:     by_value
      - .offset:         36
        .size:           4
        .value_kind:     by_value
      - .actual_access:  read_only
        .address_space:  global
        .offset:         40
        .size:           8
        .value_kind:     global_buffer
      - .actual_access:  read_only
        .address_space:  global
        .offset:         48
        .size:           8
        .value_kind:     global_buffer
      - .offset:         56
        .size:           4
        .value_kind:     by_value
      - .actual_access:  read_only
        .address_space:  global
        .offset:         64
        .size:           8
        .value_kind:     global_buffer
      - .offset:         72
        .size:           4
        .value_kind:     by_value
      - .offset:         76
        .size:           4
        .value_kind:     by_value
      - .offset:         80
        .size:           4
        .value_kind:     by_value
      - .address_space:  global
        .offset:         88
        .size:           8
        .value_kind:     global_buffer
      - .address_space:  global
        .offset:         96
        .size:           8
        .value_kind:     global_buffer
      - .offset:         104
        .size:           4
        .value_kind:     by_value
      - .offset:         108
        .size:           4
        .value_kind:     by_value
      - .offset:         112
        .size:           4
        .value_kind:     by_value
      - .offset:         116
        .size:           4
        .value_kind:     by_value
      - .offset:         120
        .size:           4
        .value_kind:     by_value
      - .offset:         128
        .size:           4
        .value_kind:     hidden_block_count_x
      - .offset:         132
        .size:           4
        .value_kind:     hidden_block_count_y
      - .offset:         136
        .size:           4
        .value_kind:     hidden_block_count_z
      - .offset:         140
        .size:           2
        .value_kind:     hidden_group_size_x
      - .offset:         142
        .size:           2
        .value_kind:     hidden_group_size_y
      - .offset:         144
        .size:           2
        .value_kind:     hidden_group_size_z
      - .offset:         146
        .size:           2
        .value_kind:     hidden_remainder_x
      - .offset:         148
        .size:           2
        .value_kind:     hidden_remainder_y
      - .offset:         150
        .size:           2
        .value_kind:     hidden_remainder_z
      - .offset:         168
        .size:           8
        .value_kind:     hidden_global_offset_x
      - .offset:         176
        .size:           8
        .value_kind:     hidden_global_offset_y
      - .offset:         184
        .size:           8
        .value_kind:     hidden_global_offset_z
      - .offset:         192
        .size:           2
        .value_kind:     hidden_grid_dims
      - .offset:         248
        .size:           4
        .value_kind:     hidden_dynamic_lds_size
    .group_segment_fixed_size: 272
    .kernarg_segment_align: 8
    .kernarg_segment_size: 384
    .language:       OpenCL C
    .language_version:
      - 2
      - 0
    .max_flat_workgroup_size: 1024
    .name:           _ZN4vllm25paged_attention_v1_kernelIffLi64ELi32ELi128ELNS_18Fp8KVCacheDataTypeE0ELb0EEEvPT_PKS2_PKT0_S8_ifPKiSA_iPKfiiiSC_SC_iiiii
    .private_segment_fixed_size: 0
    .sgpr_count:     41
    .sgpr_spill_count: 0
    .symbol:         _ZN4vllm25paged_attention_v1_kernelIffLi64ELi32ELi128ELNS_18Fp8KVCacheDataTypeE0ELb0EEEvPT_PKS2_PKT0_S8_ifPKiSA_iPKfiiiSC_SC_iiiii.kd
    .uniform_work_group_size: 1
    .uses_dynamic_stack: false
    .vgpr_count:     80
    .vgpr_spill_count: 0
    .wavefront_size: 64
  - .agpr_count:     0
    .args:
      - .actual_access:  write_only
        .address_space:  global
        .offset:         0
        .size:           8
        .value_kind:     global_buffer
      - .actual_access:  read_only
        .address_space:  global
        .offset:         8
        .size:           8
        .value_kind:     global_buffer
      - .actual_access:  read_only
        .address_space:  global
        .offset:         16
        .size:           8
        .value_kind:     global_buffer
      - .actual_access:  read_only
        .address_space:  global
        .offset:         24
        .size:           8
        .value_kind:     global_buffer
      - .offset:         32
        .size:           4
        .value_kind:     by_value
      - .offset:         36
        .size:           4
        .value_kind:     by_value
      - .actual_access:  read_only
        .address_space:  global
        .offset:         40
        .size:           8
        .value_kind:     global_buffer
      - .actual_access:  read_only
        .address_space:  global
        .offset:         48
        .size:           8
        .value_kind:     global_buffer
      - .offset:         56
        .size:           4
        .value_kind:     by_value
      - .actual_access:  read_only
        .address_space:  global
        .offset:         64
        .size:           8
        .value_kind:     global_buffer
      - .offset:         72
        .size:           4
        .value_kind:     by_value
      - .offset:         76
        .size:           4
        .value_kind:     by_value
      - .offset:         80
        .size:           4
        .value_kind:     by_value
      - .address_space:  global
        .offset:         88
        .size:           8
        .value_kind:     global_buffer
      - .address_space:  global
        .offset:         96
        .size:           8
        .value_kind:     global_buffer
      - .offset:         104
        .size:           4
        .value_kind:     by_value
      - .offset:         108
        .size:           4
        .value_kind:     by_value
      - .offset:         112
        .size:           4
        .value_kind:     by_value
      - .offset:         116
        .size:           4
        .value_kind:     by_value
      - .offset:         120
        .size:           4
        .value_kind:     by_value
      - .offset:         128
        .size:           4
        .value_kind:     hidden_block_count_x
      - .offset:         132
        .size:           4
        .value_kind:     hidden_block_count_y
      - .offset:         136
        .size:           4
        .value_kind:     hidden_block_count_z
      - .offset:         140
        .size:           2
        .value_kind:     hidden_group_size_x
      - .offset:         142
        .size:           2
        .value_kind:     hidden_group_size_y
      - .offset:         144
        .size:           2
        .value_kind:     hidden_group_size_z
      - .offset:         146
        .size:           2
        .value_kind:     hidden_remainder_x
      - .offset:         148
        .size:           2
        .value_kind:     hidden_remainder_y
      - .offset:         150
        .size:           2
        .value_kind:     hidden_remainder_z
      - .offset:         168
        .size:           8
        .value_kind:     hidden_global_offset_x
      - .offset:         176
        .size:           8
        .value_kind:     hidden_global_offset_y
      - .offset:         184
        .size:           8
        .value_kind:     hidden_global_offset_z
      - .offset:         192
        .size:           2
        .value_kind:     hidden_grid_dims
      - .offset:         248
        .size:           4
        .value_kind:     hidden_dynamic_lds_size
    .group_segment_fixed_size: 336
    .kernarg_segment_align: 8
    .kernarg_segment_size: 384
    .language:       OpenCL C
    .language_version:
      - 2
      - 0
    .max_flat_workgroup_size: 1024
    .name:           _ZN4vllm25paged_attention_v1_kernelIffLi80ELi32ELi128ELNS_18Fp8KVCacheDataTypeE0ELb0EEEvPT_PKS2_PKT0_S8_ifPKiSA_iPKfiiiSC_SC_iiiii
    .private_segment_fixed_size: 0
    .sgpr_count:     42
    .sgpr_spill_count: 0
    .symbol:         _ZN4vllm25paged_attention_v1_kernelIffLi80ELi32ELi128ELNS_18Fp8KVCacheDataTypeE0ELb0EEEvPT_PKS2_PKT0_S8_ifPKiSA_iPKfiiiSC_SC_iiiii.kd
    .uniform_work_group_size: 1
    .uses_dynamic_stack: false
    .vgpr_count:     80
    .vgpr_spill_count: 0
    .wavefront_size: 64
  - .agpr_count:     0
    .args:
      - .actual_access:  write_only
        .address_space:  global
        .offset:         0
        .size:           8
        .value_kind:     global_buffer
      - .actual_access:  read_only
        .address_space:  global
        .offset:         8
        .size:           8
        .value_kind:     global_buffer
      - .actual_access:  read_only
        .address_space:  global
        .offset:         16
        .size:           8
        .value_kind:     global_buffer
      - .actual_access:  read_only
        .address_space:  global
        .offset:         24
        .size:           8
        .value_kind:     global_buffer
      - .offset:         32
        .size:           4
        .value_kind:     by_value
      - .offset:         36
        .size:           4
        .value_kind:     by_value
      - .actual_access:  read_only
        .address_space:  global
        .offset:         40
        .size:           8
        .value_kind:     global_buffer
      - .actual_access:  read_only
        .address_space:  global
        .offset:         48
        .size:           8
        .value_kind:     global_buffer
      - .offset:         56
        .size:           4
        .value_kind:     by_value
      - .actual_access:  read_only
        .address_space:  global
        .offset:         64
        .size:           8
        .value_kind:     global_buffer
      - .offset:         72
        .size:           4
        .value_kind:     by_value
      - .offset:         76
        .size:           4
        .value_kind:     by_value
      - .offset:         80
        .size:           4
        .value_kind:     by_value
      - .address_space:  global
        .offset:         88
        .size:           8
        .value_kind:     global_buffer
      - .address_space:  global
        .offset:         96
        .size:           8
        .value_kind:     global_buffer
      - .offset:         104
        .size:           4
        .value_kind:     by_value
      - .offset:         108
        .size:           4
        .value_kind:     by_value
      - .offset:         112
        .size:           4
        .value_kind:     by_value
      - .offset:         116
        .size:           4
        .value_kind:     by_value
      - .offset:         120
        .size:           4
        .value_kind:     by_value
      - .offset:         128
        .size:           4
        .value_kind:     hidden_block_count_x
      - .offset:         132
        .size:           4
        .value_kind:     hidden_block_count_y
      - .offset:         136
        .size:           4
        .value_kind:     hidden_block_count_z
      - .offset:         140
        .size:           2
        .value_kind:     hidden_group_size_x
      - .offset:         142
        .size:           2
        .value_kind:     hidden_group_size_y
      - .offset:         144
        .size:           2
        .value_kind:     hidden_group_size_z
      - .offset:         146
        .size:           2
        .value_kind:     hidden_remainder_x
      - .offset:         148
        .size:           2
        .value_kind:     hidden_remainder_y
      - .offset:         150
        .size:           2
        .value_kind:     hidden_remainder_z
      - .offset:         168
        .size:           8
        .value_kind:     hidden_global_offset_x
      - .offset:         176
        .size:           8
        .value_kind:     hidden_global_offset_y
      - .offset:         184
        .size:           8
        .value_kind:     hidden_global_offset_z
      - .offset:         192
        .size:           2
        .value_kind:     hidden_grid_dims
      - .offset:         248
        .size:           4
        .value_kind:     hidden_dynamic_lds_size
    .group_segment_fixed_size: 400
    .kernarg_segment_align: 8
    .kernarg_segment_size: 384
    .language:       OpenCL C
    .language_version:
      - 2
      - 0
    .max_flat_workgroup_size: 1024
    .name:           _ZN4vllm25paged_attention_v1_kernelIffLi96ELi32ELi128ELNS_18Fp8KVCacheDataTypeE0ELb0EEEvPT_PKS2_PKT0_S8_ifPKiSA_iPKfiiiSC_SC_iiiii
    .private_segment_fixed_size: 0
    .sgpr_count:     42
    .sgpr_spill_count: 0
    .symbol:         _ZN4vllm25paged_attention_v1_kernelIffLi96ELi32ELi128ELNS_18Fp8KVCacheDataTypeE0ELb0EEEvPT_PKS2_PKT0_S8_ifPKiSA_iPKfiiiSC_SC_iiiii.kd
    .uniform_work_group_size: 1
    .uses_dynamic_stack: false
    .vgpr_count:     102
    .vgpr_spill_count: 0
    .wavefront_size: 64
  - .agpr_count:     0
    .args:
      - .actual_access:  write_only
        .address_space:  global
        .offset:         0
        .size:           8
        .value_kind:     global_buffer
      - .actual_access:  read_only
        .address_space:  global
        .offset:         8
        .size:           8
        .value_kind:     global_buffer
      - .actual_access:  read_only
        .address_space:  global
        .offset:         16
        .size:           8
        .value_kind:     global_buffer
      - .actual_access:  read_only
        .address_space:  global
        .offset:         24
        .size:           8
        .value_kind:     global_buffer
      - .offset:         32
        .size:           4
        .value_kind:     by_value
      - .offset:         36
        .size:           4
        .value_kind:     by_value
      - .actual_access:  read_only
        .address_space:  global
        .offset:         40
        .size:           8
        .value_kind:     global_buffer
      - .actual_access:  read_only
        .address_space:  global
        .offset:         48
        .size:           8
        .value_kind:     global_buffer
      - .offset:         56
        .size:           4
        .value_kind:     by_value
      - .actual_access:  read_only
        .address_space:  global
        .offset:         64
        .size:           8
        .value_kind:     global_buffer
      - .offset:         72
        .size:           4
        .value_kind:     by_value
      - .offset:         76
        .size:           4
        .value_kind:     by_value
      - .offset:         80
        .size:           4
        .value_kind:     by_value
      - .address_space:  global
        .offset:         88
        .size:           8
        .value_kind:     global_buffer
      - .address_space:  global
        .offset:         96
        .size:           8
        .value_kind:     global_buffer
      - .offset:         104
        .size:           4
        .value_kind:     by_value
      - .offset:         108
        .size:           4
        .value_kind:     by_value
      - .offset:         112
        .size:           4
        .value_kind:     by_value
      - .offset:         116
        .size:           4
        .value_kind:     by_value
      - .offset:         120
        .size:           4
        .value_kind:     by_value
      - .offset:         128
        .size:           4
        .value_kind:     hidden_block_count_x
      - .offset:         132
        .size:           4
        .value_kind:     hidden_block_count_y
      - .offset:         136
        .size:           4
        .value_kind:     hidden_block_count_z
      - .offset:         140
        .size:           2
        .value_kind:     hidden_group_size_x
      - .offset:         142
        .size:           2
        .value_kind:     hidden_group_size_y
      - .offset:         144
        .size:           2
        .value_kind:     hidden_group_size_z
      - .offset:         146
        .size:           2
        .value_kind:     hidden_remainder_x
      - .offset:         148
        .size:           2
        .value_kind:     hidden_remainder_y
      - .offset:         150
        .size:           2
        .value_kind:     hidden_remainder_z
      - .offset:         168
        .size:           8
        .value_kind:     hidden_global_offset_x
      - .offset:         176
        .size:           8
        .value_kind:     hidden_global_offset_y
      - .offset:         184
        .size:           8
        .value_kind:     hidden_global_offset_z
      - .offset:         192
        .size:           2
        .value_kind:     hidden_grid_dims
      - .offset:         248
        .size:           4
        .value_kind:     hidden_dynamic_lds_size
    .group_segment_fixed_size: 464
    .kernarg_segment_align: 8
    .kernarg_segment_size: 384
    .language:       OpenCL C
    .language_version:
      - 2
      - 0
    .max_flat_workgroup_size: 1024
    .name:           _ZN4vllm25paged_attention_v1_kernelIffLi112ELi32ELi128ELNS_18Fp8KVCacheDataTypeE0ELb0EEEvPT_PKS2_PKT0_S8_ifPKiSA_iPKfiiiSC_SC_iiiii
    .private_segment_fixed_size: 0
    .sgpr_count:     43
    .sgpr_spill_count: 0
    .symbol:         _ZN4vllm25paged_attention_v1_kernelIffLi112ELi32ELi128ELNS_18Fp8KVCacheDataTypeE0ELb0EEEvPT_PKS2_PKT0_S8_ifPKiSA_iPKfiiiSC_SC_iiiii.kd
    .uniform_work_group_size: 1
    .uses_dynamic_stack: false
    .vgpr_count:     104
    .vgpr_spill_count: 0
    .wavefront_size: 64
  - .agpr_count:     0
    .args:
      - .actual_access:  write_only
        .address_space:  global
        .offset:         0
        .size:           8
        .value_kind:     global_buffer
      - .actual_access:  read_only
        .address_space:  global
        .offset:         8
        .size:           8
        .value_kind:     global_buffer
      - .actual_access:  read_only
        .address_space:  global
        .offset:         16
        .size:           8
        .value_kind:     global_buffer
      - .actual_access:  read_only
        .address_space:  global
        .offset:         24
        .size:           8
        .value_kind:     global_buffer
      - .offset:         32
        .size:           4
        .value_kind:     by_value
      - .offset:         36
        .size:           4
        .value_kind:     by_value
      - .actual_access:  read_only
        .address_space:  global
        .offset:         40
        .size:           8
        .value_kind:     global_buffer
      - .actual_access:  read_only
        .address_space:  global
        .offset:         48
        .size:           8
        .value_kind:     global_buffer
      - .offset:         56
        .size:           4
        .value_kind:     by_value
      - .actual_access:  read_only
        .address_space:  global
        .offset:         64
        .size:           8
        .value_kind:     global_buffer
      - .offset:         72
        .size:           4
        .value_kind:     by_value
      - .offset:         76
        .size:           4
        .value_kind:     by_value
      - .offset:         80
        .size:           4
        .value_kind:     by_value
      - .address_space:  global
        .offset:         88
        .size:           8
        .value_kind:     global_buffer
      - .address_space:  global
        .offset:         96
        .size:           8
        .value_kind:     global_buffer
      - .offset:         104
        .size:           4
        .value_kind:     by_value
      - .offset:         108
        .size:           4
        .value_kind:     by_value
      - .offset:         112
        .size:           4
        .value_kind:     by_value
      - .offset:         116
        .size:           4
        .value_kind:     by_value
      - .offset:         120
        .size:           4
        .value_kind:     by_value
      - .offset:         128
        .size:           4
        .value_kind:     hidden_block_count_x
      - .offset:         132
        .size:           4
        .value_kind:     hidden_block_count_y
      - .offset:         136
        .size:           4
        .value_kind:     hidden_block_count_z
      - .offset:         140
        .size:           2
        .value_kind:     hidden_group_size_x
      - .offset:         142
        .size:           2
        .value_kind:     hidden_group_size_y
      - .offset:         144
        .size:           2
        .value_kind:     hidden_group_size_z
      - .offset:         146
        .size:           2
        .value_kind:     hidden_remainder_x
      - .offset:         148
        .size:           2
        .value_kind:     hidden_remainder_y
      - .offset:         150
        .size:           2
        .value_kind:     hidden_remainder_z
      - .offset:         168
        .size:           8
        .value_kind:     hidden_global_offset_x
      - .offset:         176
        .size:           8
        .value_kind:     hidden_global_offset_y
      - .offset:         184
        .size:           8
        .value_kind:     hidden_global_offset_z
      - .offset:         192
        .size:           2
        .value_kind:     hidden_grid_dims
      - .offset:         248
        .size:           4
        .value_kind:     hidden_dynamic_lds_size
    .group_segment_fixed_size: 496
    .kernarg_segment_align: 8
    .kernarg_segment_size: 384
    .language:       OpenCL C
    .language_version:
      - 2
      - 0
    .max_flat_workgroup_size: 1024
    .name:           _ZN4vllm25paged_attention_v1_kernelIffLi120ELi32ELi128ELNS_18Fp8KVCacheDataTypeE0ELb0EEEvPT_PKS2_PKT0_S8_ifPKiSA_iPKfiiiSC_SC_iiiii
    .private_segment_fixed_size: 0
    .sgpr_count:     45
    .sgpr_spill_count: 0
    .symbol:         _ZN4vllm25paged_attention_v1_kernelIffLi120ELi32ELi128ELNS_18Fp8KVCacheDataTypeE0ELb0EEEvPT_PKS2_PKT0_S8_ifPKiSA_iPKfiiiSC_SC_iiiii.kd
    .uniform_work_group_size: 1
    .uses_dynamic_stack: false
    .vgpr_count:     98
    .vgpr_spill_count: 0
    .wavefront_size: 64
  - .agpr_count:     0
    .args:
      - .actual_access:  write_only
        .address_space:  global
        .offset:         0
        .size:           8
        .value_kind:     global_buffer
      - .actual_access:  read_only
        .address_space:  global
        .offset:         8
        .size:           8
        .value_kind:     global_buffer
      - .actual_access:  read_only
        .address_space:  global
        .offset:         16
        .size:           8
        .value_kind:     global_buffer
      - .actual_access:  read_only
        .address_space:  global
        .offset:         24
        .size:           8
        .value_kind:     global_buffer
      - .offset:         32
        .size:           4
        .value_kind:     by_value
      - .offset:         36
        .size:           4
        .value_kind:     by_value
      - .actual_access:  read_only
        .address_space:  global
        .offset:         40
        .size:           8
        .value_kind:     global_buffer
      - .actual_access:  read_only
        .address_space:  global
        .offset:         48
        .size:           8
        .value_kind:     global_buffer
      - .offset:         56
        .size:           4
        .value_kind:     by_value
      - .actual_access:  read_only
        .address_space:  global
        .offset:         64
        .size:           8
        .value_kind:     global_buffer
      - .offset:         72
        .size:           4
        .value_kind:     by_value
      - .offset:         76
        .size:           4
        .value_kind:     by_value
      - .offset:         80
        .size:           4
        .value_kind:     by_value
      - .address_space:  global
        .offset:         88
        .size:           8
        .value_kind:     global_buffer
      - .address_space:  global
        .offset:         96
        .size:           8
        .value_kind:     global_buffer
      - .offset:         104
        .size:           4
        .value_kind:     by_value
      - .offset:         108
        .size:           4
        .value_kind:     by_value
      - .offset:         112
        .size:           4
        .value_kind:     by_value
      - .offset:         116
        .size:           4
        .value_kind:     by_value
      - .offset:         120
        .size:           4
        .value_kind:     by_value
      - .offset:         128
        .size:           4
        .value_kind:     hidden_block_count_x
      - .offset:         132
        .size:           4
        .value_kind:     hidden_block_count_y
      - .offset:         136
        .size:           4
        .value_kind:     hidden_block_count_z
      - .offset:         140
        .size:           2
        .value_kind:     hidden_group_size_x
      - .offset:         142
        .size:           2
        .value_kind:     hidden_group_size_y
      - .offset:         144
        .size:           2
        .value_kind:     hidden_group_size_z
      - .offset:         146
        .size:           2
        .value_kind:     hidden_remainder_x
      - .offset:         148
        .size:           2
        .value_kind:     hidden_remainder_y
      - .offset:         150
        .size:           2
        .value_kind:     hidden_remainder_z
      - .offset:         168
        .size:           8
        .value_kind:     hidden_global_offset_x
      - .offset:         176
        .size:           8
        .value_kind:     hidden_global_offset_y
      - .offset:         184
        .size:           8
        .value_kind:     hidden_global_offset_z
      - .offset:         192
        .size:           2
        .value_kind:     hidden_grid_dims
      - .offset:         248
        .size:           4
        .value_kind:     hidden_dynamic_lds_size
    .group_segment_fixed_size: 528
    .kernarg_segment_align: 8
    .kernarg_segment_size: 384
    .language:       OpenCL C
    .language_version:
      - 2
      - 0
    .max_flat_workgroup_size: 1024
    .name:           _ZN4vllm25paged_attention_v1_kernelIffLi128ELi32ELi128ELNS_18Fp8KVCacheDataTypeE0ELb0EEEvPT_PKS2_PKT0_S8_ifPKiSA_iPKfiiiSC_SC_iiiii
    .private_segment_fixed_size: 0
    .sgpr_count:     47
    .sgpr_spill_count: 0
    .symbol:         _ZN4vllm25paged_attention_v1_kernelIffLi128ELi32ELi128ELNS_18Fp8KVCacheDataTypeE0ELb0EEEvPT_PKS2_PKT0_S8_ifPKiSA_iPKfiiiSC_SC_iiiii.kd
    .uniform_work_group_size: 1
    .uses_dynamic_stack: false
    .vgpr_count:     102
    .vgpr_spill_count: 0
    .wavefront_size: 64
  - .agpr_count:     0
    .args:
      - .actual_access:  write_only
        .address_space:  global
        .offset:         0
        .size:           8
        .value_kind:     global_buffer
      - .actual_access:  read_only
        .address_space:  global
        .offset:         8
        .size:           8
        .value_kind:     global_buffer
      - .actual_access:  read_only
        .address_space:  global
        .offset:         16
        .size:           8
        .value_kind:     global_buffer
      - .actual_access:  read_only
        .address_space:  global
        .offset:         24
        .size:           8
        .value_kind:     global_buffer
      - .offset:         32
        .size:           4
        .value_kind:     by_value
      - .offset:         36
        .size:           4
        .value_kind:     by_value
      - .actual_access:  read_only
        .address_space:  global
        .offset:         40
        .size:           8
        .value_kind:     global_buffer
      - .actual_access:  read_only
        .address_space:  global
        .offset:         48
        .size:           8
        .value_kind:     global_buffer
      - .offset:         56
        .size:           4
        .value_kind:     by_value
      - .actual_access:  read_only
        .address_space:  global
        .offset:         64
        .size:           8
        .value_kind:     global_buffer
      - .offset:         72
        .size:           4
        .value_kind:     by_value
      - .offset:         76
        .size:           4
        .value_kind:     by_value
      - .offset:         80
        .size:           4
        .value_kind:     by_value
      - .address_space:  global
        .offset:         88
        .size:           8
        .value_kind:     global_buffer
      - .address_space:  global
        .offset:         96
        .size:           8
        .value_kind:     global_buffer
      - .offset:         104
        .size:           4
        .value_kind:     by_value
      - .offset:         108
        .size:           4
        .value_kind:     by_value
      - .offset:         112
        .size:           4
        .value_kind:     by_value
      - .offset:         116
        .size:           4
        .value_kind:     by_value
      - .offset:         120
        .size:           4
        .value_kind:     by_value
      - .offset:         128
        .size:           4
        .value_kind:     hidden_block_count_x
      - .offset:         132
        .size:           4
        .value_kind:     hidden_block_count_y
      - .offset:         136
        .size:           4
        .value_kind:     hidden_block_count_z
      - .offset:         140
        .size:           2
        .value_kind:     hidden_group_size_x
      - .offset:         142
        .size:           2
        .value_kind:     hidden_group_size_y
      - .offset:         144
        .size:           2
        .value_kind:     hidden_group_size_z
      - .offset:         146
        .size:           2
        .value_kind:     hidden_remainder_x
      - .offset:         148
        .size:           2
        .value_kind:     hidden_remainder_y
      - .offset:         150
        .size:           2
        .value_kind:     hidden_remainder_z
      - .offset:         168
        .size:           8
        .value_kind:     hidden_global_offset_x
      - .offset:         176
        .size:           8
        .value_kind:     hidden_global_offset_y
      - .offset:         184
        .size:           8
        .value_kind:     hidden_global_offset_z
      - .offset:         192
        .size:           2
        .value_kind:     hidden_grid_dims
      - .offset:         248
        .size:           4
        .value_kind:     hidden_dynamic_lds_size
    .group_segment_fixed_size: 784
    .kernarg_segment_align: 8
    .kernarg_segment_size: 384
    .language:       OpenCL C
    .language_version:
      - 2
      - 0
    .max_flat_workgroup_size: 1024
    .name:           _ZN4vllm25paged_attention_v1_kernelIffLi192ELi32ELi128ELNS_18Fp8KVCacheDataTypeE0ELb0EEEvPT_PKS2_PKT0_S8_ifPKiSA_iPKfiiiSC_SC_iiiii
    .private_segment_fixed_size: 60
    .sgpr_count:     51
    .sgpr_spill_count: 0
    .symbol:         _ZN4vllm25paged_attention_v1_kernelIffLi192ELi32ELi128ELNS_18Fp8KVCacheDataTypeE0ELb0EEEvPT_PKS2_PKT0_S8_ifPKiSA_iPKfiiiSC_SC_iiiii.kd
    .uniform_work_group_size: 1
    .uses_dynamic_stack: false
    .vgpr_count:     128
    .vgpr_spill_count: 18
    .wavefront_size: 64
  - .agpr_count:     0
    .args:
      - .actual_access:  write_only
        .address_space:  global
        .offset:         0
        .size:           8
        .value_kind:     global_buffer
      - .actual_access:  read_only
        .address_space:  global
        .offset:         8
        .size:           8
        .value_kind:     global_buffer
      - .actual_access:  read_only
        .address_space:  global
        .offset:         16
        .size:           8
        .value_kind:     global_buffer
      - .actual_access:  read_only
        .address_space:  global
        .offset:         24
        .size:           8
        .value_kind:     global_buffer
      - .offset:         32
        .size:           4
        .value_kind:     by_value
      - .offset:         36
        .size:           4
        .value_kind:     by_value
      - .actual_access:  read_only
        .address_space:  global
        .offset:         40
        .size:           8
        .value_kind:     global_buffer
      - .actual_access:  read_only
        .address_space:  global
        .offset:         48
        .size:           8
        .value_kind:     global_buffer
      - .offset:         56
        .size:           4
        .value_kind:     by_value
      - .actual_access:  read_only
        .address_space:  global
        .offset:         64
        .size:           8
        .value_kind:     global_buffer
      - .offset:         72
        .size:           4
        .value_kind:     by_value
      - .offset:         76
        .size:           4
        .value_kind:     by_value
      - .offset:         80
        .size:           4
        .value_kind:     by_value
      - .address_space:  global
        .offset:         88
        .size:           8
        .value_kind:     global_buffer
      - .address_space:  global
        .offset:         96
        .size:           8
        .value_kind:     global_buffer
      - .offset:         104
        .size:           4
        .value_kind:     by_value
      - .offset:         108
        .size:           4
        .value_kind:     by_value
      - .offset:         112
        .size:           4
        .value_kind:     by_value
      - .offset:         116
        .size:           4
        .value_kind:     by_value
      - .offset:         120
        .size:           4
        .value_kind:     by_value
      - .offset:         128
        .size:           4
        .value_kind:     hidden_block_count_x
      - .offset:         132
        .size:           4
        .value_kind:     hidden_block_count_y
      - .offset:         136
        .size:           4
        .value_kind:     hidden_block_count_z
      - .offset:         140
        .size:           2
        .value_kind:     hidden_group_size_x
      - .offset:         142
        .size:           2
        .value_kind:     hidden_group_size_y
      - .offset:         144
        .size:           2
        .value_kind:     hidden_group_size_z
      - .offset:         146
        .size:           2
        .value_kind:     hidden_remainder_x
      - .offset:         148
        .size:           2
        .value_kind:     hidden_remainder_y
      - .offset:         150
        .size:           2
        .value_kind:     hidden_remainder_z
      - .offset:         168
        .size:           8
        .value_kind:     hidden_global_offset_x
      - .offset:         176
        .size:           8
        .value_kind:     hidden_global_offset_y
      - .offset:         184
        .size:           8
        .value_kind:     hidden_global_offset_z
      - .offset:         192
        .size:           2
        .value_kind:     hidden_grid_dims
      - .offset:         248
        .size:           4
        .value_kind:     hidden_dynamic_lds_size
    .group_segment_fixed_size: 1040
    .kernarg_segment_align: 8
    .kernarg_segment_size: 384
    .language:       OpenCL C
    .language_version:
      - 2
      - 0
    .max_flat_workgroup_size: 1024
    .name:           _ZN4vllm25paged_attention_v1_kernelIffLi256ELi32ELi128ELNS_18Fp8KVCacheDataTypeE0ELb0EEEvPT_PKS2_PKT0_S8_ifPKiSA_iPKfiiiSC_SC_iiiii
    .private_segment_fixed_size: 260
    .sgpr_count:     47
    .sgpr_spill_count: 0
    .symbol:         _ZN4vllm25paged_attention_v1_kernelIffLi256ELi32ELi128ELNS_18Fp8KVCacheDataTypeE0ELb0EEEvPT_PKS2_PKT0_S8_ifPKiSA_iPKfiiiSC_SC_iiiii.kd
    .uniform_work_group_size: 1
    .uses_dynamic_stack: false
    .vgpr_count:     128
    .vgpr_spill_count: 139
    .wavefront_size: 64
  - .agpr_count:     0
    .args:
      - .actual_access:  write_only
        .address_space:  global
        .offset:         0
        .size:           8
        .value_kind:     global_buffer
      - .actual_access:  read_only
        .address_space:  global
        .offset:         8
        .size:           8
        .value_kind:     global_buffer
      - .actual_access:  read_only
        .address_space:  global
        .offset:         16
        .size:           8
        .value_kind:     global_buffer
      - .actual_access:  read_only
        .address_space:  global
        .offset:         24
        .size:           8
        .value_kind:     global_buffer
      - .offset:         32
        .size:           4
        .value_kind:     by_value
      - .offset:         36
        .size:           4
        .value_kind:     by_value
      - .actual_access:  read_only
        .address_space:  global
        .offset:         40
        .size:           8
        .value_kind:     global_buffer
      - .actual_access:  read_only
        .address_space:  global
        .offset:         48
        .size:           8
        .value_kind:     global_buffer
      - .offset:         56
        .size:           4
        .value_kind:     by_value
      - .actual_access:  read_only
        .address_space:  global
        .offset:         64
        .size:           8
        .value_kind:     global_buffer
      - .offset:         72
        .size:           4
        .value_kind:     by_value
      - .offset:         76
        .size:           4
        .value_kind:     by_value
      - .offset:         80
        .size:           4
        .value_kind:     by_value
      - .address_space:  global
        .offset:         88
        .size:           8
        .value_kind:     global_buffer
      - .address_space:  global
        .offset:         96
        .size:           8
        .value_kind:     global_buffer
      - .offset:         104
        .size:           4
        .value_kind:     by_value
      - .offset:         108
        .size:           4
        .value_kind:     by_value
      - .offset:         112
        .size:           4
        .value_kind:     by_value
      - .offset:         116
        .size:           4
        .value_kind:     by_value
      - .offset:         120
        .size:           4
        .value_kind:     by_value
      - .offset:         128
        .size:           4
        .value_kind:     hidden_block_count_x
      - .offset:         132
        .size:           4
        .value_kind:     hidden_block_count_y
      - .offset:         136
        .size:           4
        .value_kind:     hidden_block_count_z
      - .offset:         140
        .size:           2
        .value_kind:     hidden_group_size_x
      - .offset:         142
        .size:           2
        .value_kind:     hidden_group_size_y
      - .offset:         144
        .size:           2
        .value_kind:     hidden_group_size_z
      - .offset:         146
        .size:           2
        .value_kind:     hidden_remainder_x
      - .offset:         148
        .size:           2
        .value_kind:     hidden_remainder_y
      - .offset:         150
        .size:           2
        .value_kind:     hidden_remainder_z
      - .offset:         168
        .size:           8
        .value_kind:     hidden_global_offset_x
      - .offset:         176
        .size:           8
        .value_kind:     hidden_global_offset_y
      - .offset:         184
        .size:           8
        .value_kind:     hidden_global_offset_z
      - .offset:         192
        .size:           2
        .value_kind:     hidden_grid_dims
      - .offset:         248
        .size:           4
        .value_kind:     hidden_dynamic_lds_size
    .group_segment_fixed_size: 80
    .kernarg_segment_align: 8
    .kernarg_segment_size: 384
    .language:       OpenCL C
    .language_version:
      - 2
      - 0
    .max_flat_workgroup_size: 1024
    .name:           _ZN4vllm25paged_attention_v1_kernelIttLi32ELi8ELi128ELNS_18Fp8KVCacheDataTypeE0ELb1EEEvPT_PKS2_PKT0_S8_ifPKiSA_iPKfiiiSC_SC_iiiii
    .private_segment_fixed_size: 0
    .sgpr_count:     50
    .sgpr_spill_count: 0
    .symbol:         _ZN4vllm25paged_attention_v1_kernelIttLi32ELi8ELi128ELNS_18Fp8KVCacheDataTypeE0ELb1EEEvPT_PKS2_PKT0_S8_ifPKiSA_iPKfiiiSC_SC_iiiii.kd
    .uniform_work_group_size: 1
    .uses_dynamic_stack: false
    .vgpr_count:     32
    .vgpr_spill_count: 0
    .wavefront_size: 64
  - .agpr_count:     0
    .args:
      - .actual_access:  write_only
        .address_space:  global
        .offset:         0
        .size:           8
        .value_kind:     global_buffer
      - .actual_access:  read_only
        .address_space:  global
        .offset:         8
        .size:           8
        .value_kind:     global_buffer
      - .actual_access:  read_only
        .address_space:  global
        .offset:         16
        .size:           8
        .value_kind:     global_buffer
      - .actual_access:  read_only
        .address_space:  global
        .offset:         24
        .size:           8
        .value_kind:     global_buffer
      - .offset:         32
        .size:           4
        .value_kind:     by_value
      - .offset:         36
        .size:           4
        .value_kind:     by_value
      - .actual_access:  read_only
        .address_space:  global
        .offset:         40
        .size:           8
        .value_kind:     global_buffer
      - .actual_access:  read_only
        .address_space:  global
        .offset:         48
        .size:           8
        .value_kind:     global_buffer
      - .offset:         56
        .size:           4
        .value_kind:     by_value
      - .actual_access:  read_only
        .address_space:  global
        .offset:         64
        .size:           8
        .value_kind:     global_buffer
      - .offset:         72
        .size:           4
        .value_kind:     by_value
      - .offset:         76
        .size:           4
        .value_kind:     by_value
      - .offset:         80
        .size:           4
        .value_kind:     by_value
      - .address_space:  global
        .offset:         88
        .size:           8
        .value_kind:     global_buffer
      - .address_space:  global
        .offset:         96
        .size:           8
        .value_kind:     global_buffer
      - .offset:         104
        .size:           4
        .value_kind:     by_value
      - .offset:         108
        .size:           4
        .value_kind:     by_value
      - .offset:         112
        .size:           4
        .value_kind:     by_value
      - .offset:         116
        .size:           4
        .value_kind:     by_value
      - .offset:         120
        .size:           4
        .value_kind:     by_value
      - .offset:         128
        .size:           4
        .value_kind:     hidden_block_count_x
      - .offset:         132
        .size:           4
        .value_kind:     hidden_block_count_y
      - .offset:         136
        .size:           4
        .value_kind:     hidden_block_count_z
      - .offset:         140
        .size:           2
        .value_kind:     hidden_group_size_x
      - .offset:         142
        .size:           2
        .value_kind:     hidden_group_size_y
      - .offset:         144
        .size:           2
        .value_kind:     hidden_group_size_z
      - .offset:         146
        .size:           2
        .value_kind:     hidden_remainder_x
      - .offset:         148
        .size:           2
        .value_kind:     hidden_remainder_y
      - .offset:         150
        .size:           2
        .value_kind:     hidden_remainder_z
      - .offset:         168
        .size:           8
        .value_kind:     hidden_global_offset_x
      - .offset:         176
        .size:           8
        .value_kind:     hidden_global_offset_y
      - .offset:         184
        .size:           8
        .value_kind:     hidden_global_offset_z
      - .offset:         192
        .size:           2
        .value_kind:     hidden_grid_dims
      - .offset:         248
        .size:           4
        .value_kind:     hidden_dynamic_lds_size
    .group_segment_fixed_size: 144
    .kernarg_segment_align: 8
    .kernarg_segment_size: 384
    .language:       OpenCL C
    .language_version:
      - 2
      - 0
    .max_flat_workgroup_size: 1024
    .name:           _ZN4vllm25paged_attention_v1_kernelIttLi64ELi8ELi128ELNS_18Fp8KVCacheDataTypeE0ELb1EEEvPT_PKS2_PKT0_S8_ifPKiSA_iPKfiiiSC_SC_iiiii
    .private_segment_fixed_size: 0
    .sgpr_count:     52
    .sgpr_spill_count: 0
    .symbol:         _ZN4vllm25paged_attention_v1_kernelIttLi64ELi8ELi128ELNS_18Fp8KVCacheDataTypeE0ELb1EEEvPT_PKS2_PKT0_S8_ifPKiSA_iPKfiiiSC_SC_iiiii.kd
    .uniform_work_group_size: 1
    .uses_dynamic_stack: false
    .vgpr_count:     39
    .vgpr_spill_count: 0
    .wavefront_size: 64
  - .agpr_count:     0
    .args:
      - .actual_access:  write_only
        .address_space:  global
        .offset:         0
        .size:           8
        .value_kind:     global_buffer
      - .actual_access:  read_only
        .address_space:  global
        .offset:         8
        .size:           8
        .value_kind:     global_buffer
      - .actual_access:  read_only
        .address_space:  global
        .offset:         16
        .size:           8
        .value_kind:     global_buffer
      - .actual_access:  read_only
        .address_space:  global
        .offset:         24
        .size:           8
        .value_kind:     global_buffer
      - .offset:         32
        .size:           4
        .value_kind:     by_value
      - .offset:         36
        .size:           4
        .value_kind:     by_value
      - .actual_access:  read_only
        .address_space:  global
        .offset:         40
        .size:           8
        .value_kind:     global_buffer
      - .actual_access:  read_only
        .address_space:  global
        .offset:         48
        .size:           8
        .value_kind:     global_buffer
      - .offset:         56
        .size:           4
        .value_kind:     by_value
      - .actual_access:  read_only
        .address_space:  global
        .offset:         64
        .size:           8
        .value_kind:     global_buffer
      - .offset:         72
        .size:           4
        .value_kind:     by_value
      - .offset:         76
        .size:           4
        .value_kind:     by_value
      - .offset:         80
        .size:           4
        .value_kind:     by_value
      - .address_space:  global
        .offset:         88
        .size:           8
        .value_kind:     global_buffer
      - .address_space:  global
        .offset:         96
        .size:           8
        .value_kind:     global_buffer
      - .offset:         104
        .size:           4
        .value_kind:     by_value
      - .offset:         108
        .size:           4
        .value_kind:     by_value
      - .offset:         112
        .size:           4
        .value_kind:     by_value
      - .offset:         116
        .size:           4
        .value_kind:     by_value
      - .offset:         120
        .size:           4
        .value_kind:     by_value
      - .offset:         128
        .size:           4
        .value_kind:     hidden_block_count_x
      - .offset:         132
        .size:           4
        .value_kind:     hidden_block_count_y
      - .offset:         136
        .size:           4
        .value_kind:     hidden_block_count_z
      - .offset:         140
        .size:           2
        .value_kind:     hidden_group_size_x
      - .offset:         142
        .size:           2
        .value_kind:     hidden_group_size_y
      - .offset:         144
        .size:           2
        .value_kind:     hidden_group_size_z
      - .offset:         146
        .size:           2
        .value_kind:     hidden_remainder_x
      - .offset:         148
        .size:           2
        .value_kind:     hidden_remainder_y
      - .offset:         150
        .size:           2
        .value_kind:     hidden_remainder_z
      - .offset:         168
        .size:           8
        .value_kind:     hidden_global_offset_x
      - .offset:         176
        .size:           8
        .value_kind:     hidden_global_offset_y
      - .offset:         184
        .size:           8
        .value_kind:     hidden_global_offset_z
      - .offset:         192
        .size:           2
        .value_kind:     hidden_grid_dims
      - .offset:         248
        .size:           4
        .value_kind:     hidden_dynamic_lds_size
    .group_segment_fixed_size: 176
    .kernarg_segment_align: 8
    .kernarg_segment_size: 384
    .language:       OpenCL C
    .language_version:
      - 2
      - 0
    .max_flat_workgroup_size: 1024
    .name:           _ZN4vllm25paged_attention_v1_kernelIttLi80ELi8ELi128ELNS_18Fp8KVCacheDataTypeE0ELb1EEEvPT_PKS2_PKT0_S8_ifPKiSA_iPKfiiiSC_SC_iiiii
    .private_segment_fixed_size: 0
    .sgpr_count:     53
    .sgpr_spill_count: 0
    .symbol:         _ZN4vllm25paged_attention_v1_kernelIttLi80ELi8ELi128ELNS_18Fp8KVCacheDataTypeE0ELb1EEEvPT_PKS2_PKT0_S8_ifPKiSA_iPKfiiiSC_SC_iiiii.kd
    .uniform_work_group_size: 1
    .uses_dynamic_stack: false
    .vgpr_count:     43
    .vgpr_spill_count: 0
    .wavefront_size: 64
  - .agpr_count:     0
    .args:
      - .actual_access:  write_only
        .address_space:  global
        .offset:         0
        .size:           8
        .value_kind:     global_buffer
      - .actual_access:  read_only
        .address_space:  global
        .offset:         8
        .size:           8
        .value_kind:     global_buffer
      - .actual_access:  read_only
        .address_space:  global
        .offset:         16
        .size:           8
        .value_kind:     global_buffer
      - .actual_access:  read_only
        .address_space:  global
        .offset:         24
        .size:           8
        .value_kind:     global_buffer
      - .offset:         32
        .size:           4
        .value_kind:     by_value
      - .offset:         36
        .size:           4
        .value_kind:     by_value
      - .actual_access:  read_only
        .address_space:  global
        .offset:         40
        .size:           8
        .value_kind:     global_buffer
      - .actual_access:  read_only
        .address_space:  global
        .offset:         48
        .size:           8
        .value_kind:     global_buffer
      - .offset:         56
        .size:           4
        .value_kind:     by_value
      - .actual_access:  read_only
        .address_space:  global
        .offset:         64
        .size:           8
        .value_kind:     global_buffer
      - .offset:         72
        .size:           4
        .value_kind:     by_value
      - .offset:         76
        .size:           4
        .value_kind:     by_value
      - .offset:         80
        .size:           4
        .value_kind:     by_value
      - .address_space:  global
        .offset:         88
        .size:           8
        .value_kind:     global_buffer
      - .address_space:  global
        .offset:         96
        .size:           8
        .value_kind:     global_buffer
      - .offset:         104
        .size:           4
        .value_kind:     by_value
      - .offset:         108
        .size:           4
        .value_kind:     by_value
      - .offset:         112
        .size:           4
        .value_kind:     by_value
      - .offset:         116
        .size:           4
        .value_kind:     by_value
      - .offset:         120
        .size:           4
        .value_kind:     by_value
      - .offset:         128
        .size:           4
        .value_kind:     hidden_block_count_x
      - .offset:         132
        .size:           4
        .value_kind:     hidden_block_count_y
      - .offset:         136
        .size:           4
        .value_kind:     hidden_block_count_z
      - .offset:         140
        .size:           2
        .value_kind:     hidden_group_size_x
      - .offset:         142
        .size:           2
        .value_kind:     hidden_group_size_y
      - .offset:         144
        .size:           2
        .value_kind:     hidden_group_size_z
      - .offset:         146
        .size:           2
        .value_kind:     hidden_remainder_x
      - .offset:         148
        .size:           2
        .value_kind:     hidden_remainder_y
      - .offset:         150
        .size:           2
        .value_kind:     hidden_remainder_z
      - .offset:         168
        .size:           8
        .value_kind:     hidden_global_offset_x
      - .offset:         176
        .size:           8
        .value_kind:     hidden_global_offset_y
      - .offset:         184
        .size:           8
        .value_kind:     hidden_global_offset_z
      - .offset:         192
        .size:           2
        .value_kind:     hidden_grid_dims
      - .offset:         248
        .size:           4
        .value_kind:     hidden_dynamic_lds_size
    .group_segment_fixed_size: 208
    .kernarg_segment_align: 8
    .kernarg_segment_size: 384
    .language:       OpenCL C
    .language_version:
      - 2
      - 0
    .max_flat_workgroup_size: 1024
    .name:           _ZN4vllm25paged_attention_v1_kernelIttLi96ELi8ELi128ELNS_18Fp8KVCacheDataTypeE0ELb1EEEvPT_PKS2_PKT0_S8_ifPKiSA_iPKfiiiSC_SC_iiiii
    .private_segment_fixed_size: 0
    .sgpr_count:     53
    .sgpr_spill_count: 0
    .symbol:         _ZN4vllm25paged_attention_v1_kernelIttLi96ELi8ELi128ELNS_18Fp8KVCacheDataTypeE0ELb1EEEvPT_PKS2_PKT0_S8_ifPKiSA_iPKfiiiSC_SC_iiiii.kd
    .uniform_work_group_size: 1
    .uses_dynamic_stack: false
    .vgpr_count:     47
    .vgpr_spill_count: 0
    .wavefront_size: 64
  - .agpr_count:     0
    .args:
      - .actual_access:  write_only
        .address_space:  global
        .offset:         0
        .size:           8
        .value_kind:     global_buffer
      - .actual_access:  read_only
        .address_space:  global
        .offset:         8
        .size:           8
        .value_kind:     global_buffer
      - .actual_access:  read_only
        .address_space:  global
        .offset:         16
        .size:           8
        .value_kind:     global_buffer
      - .actual_access:  read_only
        .address_space:  global
        .offset:         24
        .size:           8
        .value_kind:     global_buffer
      - .offset:         32
        .size:           4
        .value_kind:     by_value
      - .offset:         36
        .size:           4
        .value_kind:     by_value
      - .actual_access:  read_only
        .address_space:  global
        .offset:         40
        .size:           8
        .value_kind:     global_buffer
      - .actual_access:  read_only
        .address_space:  global
        .offset:         48
        .size:           8
        .value_kind:     global_buffer
      - .offset:         56
        .size:           4
        .value_kind:     by_value
      - .actual_access:  read_only
        .address_space:  global
        .offset:         64
        .size:           8
        .value_kind:     global_buffer
      - .offset:         72
        .size:           4
        .value_kind:     by_value
      - .offset:         76
        .size:           4
        .value_kind:     by_value
      - .offset:         80
        .size:           4
        .value_kind:     by_value
      - .address_space:  global
        .offset:         88
        .size:           8
        .value_kind:     global_buffer
      - .address_space:  global
        .offset:         96
        .size:           8
        .value_kind:     global_buffer
      - .offset:         104
        .size:           4
        .value_kind:     by_value
      - .offset:         108
        .size:           4
        .value_kind:     by_value
      - .offset:         112
        .size:           4
        .value_kind:     by_value
      - .offset:         116
        .size:           4
        .value_kind:     by_value
      - .offset:         120
        .size:           4
        .value_kind:     by_value
      - .offset:         128
        .size:           4
        .value_kind:     hidden_block_count_x
      - .offset:         132
        .size:           4
        .value_kind:     hidden_block_count_y
      - .offset:         136
        .size:           4
        .value_kind:     hidden_block_count_z
      - .offset:         140
        .size:           2
        .value_kind:     hidden_group_size_x
      - .offset:         142
        .size:           2
        .value_kind:     hidden_group_size_y
      - .offset:         144
        .size:           2
        .value_kind:     hidden_group_size_z
      - .offset:         146
        .size:           2
        .value_kind:     hidden_remainder_x
      - .offset:         148
        .size:           2
        .value_kind:     hidden_remainder_y
      - .offset:         150
        .size:           2
        .value_kind:     hidden_remainder_z
      - .offset:         168
        .size:           8
        .value_kind:     hidden_global_offset_x
      - .offset:         176
        .size:           8
        .value_kind:     hidden_global_offset_y
      - .offset:         184
        .size:           8
        .value_kind:     hidden_global_offset_z
      - .offset:         192
        .size:           2
        .value_kind:     hidden_grid_dims
      - .offset:         248
        .size:           4
        .value_kind:     hidden_dynamic_lds_size
    .group_segment_fixed_size: 240
    .kernarg_segment_align: 8
    .kernarg_segment_size: 384
    .language:       OpenCL C
    .language_version:
      - 2
      - 0
    .max_flat_workgroup_size: 1024
    .name:           _ZN4vllm25paged_attention_v1_kernelIttLi112ELi8ELi128ELNS_18Fp8KVCacheDataTypeE0ELb1EEEvPT_PKS2_PKT0_S8_ifPKiSA_iPKfiiiSC_SC_iiiii
    .private_segment_fixed_size: 0
    .sgpr_count:     53
    .sgpr_spill_count: 0
    .symbol:         _ZN4vllm25paged_attention_v1_kernelIttLi112ELi8ELi128ELNS_18Fp8KVCacheDataTypeE0ELb1EEEvPT_PKS2_PKT0_S8_ifPKiSA_iPKfiiiSC_SC_iiiii.kd
    .uniform_work_group_size: 1
    .uses_dynamic_stack: false
    .vgpr_count:     50
    .vgpr_spill_count: 0
    .wavefront_size: 64
  - .agpr_count:     0
    .args:
      - .actual_access:  write_only
        .address_space:  global
        .offset:         0
        .size:           8
        .value_kind:     global_buffer
      - .actual_access:  read_only
        .address_space:  global
        .offset:         8
        .size:           8
        .value_kind:     global_buffer
      - .actual_access:  read_only
        .address_space:  global
        .offset:         16
        .size:           8
        .value_kind:     global_buffer
      - .actual_access:  read_only
        .address_space:  global
        .offset:         24
        .size:           8
        .value_kind:     global_buffer
      - .offset:         32
        .size:           4
        .value_kind:     by_value
      - .offset:         36
        .size:           4
        .value_kind:     by_value
      - .actual_access:  read_only
        .address_space:  global
        .offset:         40
        .size:           8
        .value_kind:     global_buffer
      - .actual_access:  read_only
        .address_space:  global
        .offset:         48
        .size:           8
        .value_kind:     global_buffer
      - .offset:         56
        .size:           4
        .value_kind:     by_value
      - .actual_access:  read_only
        .address_space:  global
        .offset:         64
        .size:           8
        .value_kind:     global_buffer
      - .offset:         72
        .size:           4
        .value_kind:     by_value
      - .offset:         76
        .size:           4
        .value_kind:     by_value
      - .offset:         80
        .size:           4
        .value_kind:     by_value
      - .address_space:  global
        .offset:         88
        .size:           8
        .value_kind:     global_buffer
      - .address_space:  global
        .offset:         96
        .size:           8
        .value_kind:     global_buffer
      - .offset:         104
        .size:           4
        .value_kind:     by_value
      - .offset:         108
        .size:           4
        .value_kind:     by_value
      - .offset:         112
        .size:           4
        .value_kind:     by_value
      - .offset:         116
        .size:           4
        .value_kind:     by_value
      - .offset:         120
        .size:           4
        .value_kind:     by_value
      - .offset:         128
        .size:           4
        .value_kind:     hidden_block_count_x
      - .offset:         132
        .size:           4
        .value_kind:     hidden_block_count_y
      - .offset:         136
        .size:           4
        .value_kind:     hidden_block_count_z
      - .offset:         140
        .size:           2
        .value_kind:     hidden_group_size_x
      - .offset:         142
        .size:           2
        .value_kind:     hidden_group_size_y
      - .offset:         144
        .size:           2
        .value_kind:     hidden_group_size_z
      - .offset:         146
        .size:           2
        .value_kind:     hidden_remainder_x
      - .offset:         148
        .size:           2
        .value_kind:     hidden_remainder_y
      - .offset:         150
        .size:           2
        .value_kind:     hidden_remainder_z
      - .offset:         168
        .size:           8
        .value_kind:     hidden_global_offset_x
      - .offset:         176
        .size:           8
        .value_kind:     hidden_global_offset_y
      - .offset:         184
        .size:           8
        .value_kind:     hidden_global_offset_z
      - .offset:         192
        .size:           2
        .value_kind:     hidden_grid_dims
      - .offset:         248
        .size:           4
        .value_kind:     hidden_dynamic_lds_size
    .group_segment_fixed_size: 256
    .kernarg_segment_align: 8
    .kernarg_segment_size: 384
    .language:       OpenCL C
    .language_version:
      - 2
      - 0
    .max_flat_workgroup_size: 1024
    .name:           _ZN4vllm25paged_attention_v1_kernelIttLi120ELi8ELi128ELNS_18Fp8KVCacheDataTypeE0ELb1EEEvPT_PKS2_PKT0_S8_ifPKiSA_iPKfiiiSC_SC_iiiii
    .private_segment_fixed_size: 0
    .sgpr_count:     53
    .sgpr_spill_count: 0
    .symbol:         _ZN4vllm25paged_attention_v1_kernelIttLi120ELi8ELi128ELNS_18Fp8KVCacheDataTypeE0ELb1EEEvPT_PKS2_PKT0_S8_ifPKiSA_iPKfiiiSC_SC_iiiii.kd
    .uniform_work_group_size: 1
    .uses_dynamic_stack: false
    .vgpr_count:     52
    .vgpr_spill_count: 0
    .wavefront_size: 64
  - .agpr_count:     0
    .args:
      - .actual_access:  write_only
        .address_space:  global
        .offset:         0
        .size:           8
        .value_kind:     global_buffer
      - .actual_access:  read_only
        .address_space:  global
        .offset:         8
        .size:           8
        .value_kind:     global_buffer
      - .actual_access:  read_only
        .address_space:  global
        .offset:         16
        .size:           8
        .value_kind:     global_buffer
      - .actual_access:  read_only
        .address_space:  global
        .offset:         24
        .size:           8
        .value_kind:     global_buffer
      - .offset:         32
        .size:           4
        .value_kind:     by_value
      - .offset:         36
        .size:           4
        .value_kind:     by_value
      - .actual_access:  read_only
        .address_space:  global
        .offset:         40
        .size:           8
        .value_kind:     global_buffer
      - .actual_access:  read_only
        .address_space:  global
        .offset:         48
        .size:           8
        .value_kind:     global_buffer
      - .offset:         56
        .size:           4
        .value_kind:     by_value
      - .actual_access:  read_only
        .address_space:  global
        .offset:         64
        .size:           8
        .value_kind:     global_buffer
      - .offset:         72
        .size:           4
        .value_kind:     by_value
      - .offset:         76
        .size:           4
        .value_kind:     by_value
      - .offset:         80
        .size:           4
        .value_kind:     by_value
      - .address_space:  global
        .offset:         88
        .size:           8
        .value_kind:     global_buffer
      - .address_space:  global
        .offset:         96
        .size:           8
        .value_kind:     global_buffer
      - .offset:         104
        .size:           4
        .value_kind:     by_value
      - .offset:         108
        .size:           4
        .value_kind:     by_value
      - .offset:         112
        .size:           4
        .value_kind:     by_value
      - .offset:         116
        .size:           4
        .value_kind:     by_value
      - .offset:         120
        .size:           4
        .value_kind:     by_value
      - .offset:         128
        .size:           4
        .value_kind:     hidden_block_count_x
      - .offset:         132
        .size:           4
        .value_kind:     hidden_block_count_y
      - .offset:         136
        .size:           4
        .value_kind:     hidden_block_count_z
      - .offset:         140
        .size:           2
        .value_kind:     hidden_group_size_x
      - .offset:         142
        .size:           2
        .value_kind:     hidden_group_size_y
      - .offset:         144
        .size:           2
        .value_kind:     hidden_group_size_z
      - .offset:         146
        .size:           2
        .value_kind:     hidden_remainder_x
      - .offset:         148
        .size:           2
        .value_kind:     hidden_remainder_y
      - .offset:         150
        .size:           2
        .value_kind:     hidden_remainder_z
      - .offset:         168
        .size:           8
        .value_kind:     hidden_global_offset_x
      - .offset:         176
        .size:           8
        .value_kind:     hidden_global_offset_y
      - .offset:         184
        .size:           8
        .value_kind:     hidden_global_offset_z
      - .offset:         192
        .size:           2
        .value_kind:     hidden_grid_dims
      - .offset:         248
        .size:           4
        .value_kind:     hidden_dynamic_lds_size
    .group_segment_fixed_size: 272
    .kernarg_segment_align: 8
    .kernarg_segment_size: 384
    .language:       OpenCL C
    .language_version:
      - 2
      - 0
    .max_flat_workgroup_size: 1024
    .name:           _ZN4vllm25paged_attention_v1_kernelIttLi128ELi8ELi128ELNS_18Fp8KVCacheDataTypeE0ELb1EEEvPT_PKS2_PKT0_S8_ifPKiSA_iPKfiiiSC_SC_iiiii
    .private_segment_fixed_size: 0
    .sgpr_count:     50
    .sgpr_spill_count: 0
    .symbol:         _ZN4vllm25paged_attention_v1_kernelIttLi128ELi8ELi128ELNS_18Fp8KVCacheDataTypeE0ELb1EEEvPT_PKS2_PKT0_S8_ifPKiSA_iPKfiiiSC_SC_iiiii.kd
    .uniform_work_group_size: 1
    .uses_dynamic_stack: false
    .vgpr_count:     54
    .vgpr_spill_count: 0
    .wavefront_size: 64
  - .agpr_count:     0
    .args:
      - .actual_access:  write_only
        .address_space:  global
        .offset:         0
        .size:           8
        .value_kind:     global_buffer
      - .actual_access:  read_only
        .address_space:  global
        .offset:         8
        .size:           8
        .value_kind:     global_buffer
      - .actual_access:  read_only
        .address_space:  global
        .offset:         16
        .size:           8
        .value_kind:     global_buffer
      - .actual_access:  read_only
        .address_space:  global
        .offset:         24
        .size:           8
        .value_kind:     global_buffer
      - .offset:         32
        .size:           4
        .value_kind:     by_value
      - .offset:         36
        .size:           4
        .value_kind:     by_value
      - .actual_access:  read_only
        .address_space:  global
        .offset:         40
        .size:           8
        .value_kind:     global_buffer
      - .actual_access:  read_only
        .address_space:  global
        .offset:         48
        .size:           8
        .value_kind:     global_buffer
      - .offset:         56
        .size:           4
        .value_kind:     by_value
      - .actual_access:  read_only
        .address_space:  global
        .offset:         64
        .size:           8
        .value_kind:     global_buffer
      - .offset:         72
        .size:           4
        .value_kind:     by_value
      - .offset:         76
        .size:           4
        .value_kind:     by_value
      - .offset:         80
        .size:           4
        .value_kind:     by_value
      - .address_space:  global
        .offset:         88
        .size:           8
        .value_kind:     global_buffer
      - .address_space:  global
        .offset:         96
        .size:           8
        .value_kind:     global_buffer
      - .offset:         104
        .size:           4
        .value_kind:     by_value
      - .offset:         108
        .size:           4
        .value_kind:     by_value
      - .offset:         112
        .size:           4
        .value_kind:     by_value
      - .offset:         116
        .size:           4
        .value_kind:     by_value
      - .offset:         120
        .size:           4
        .value_kind:     by_value
      - .offset:         128
        .size:           4
        .value_kind:     hidden_block_count_x
      - .offset:         132
        .size:           4
        .value_kind:     hidden_block_count_y
      - .offset:         136
        .size:           4
        .value_kind:     hidden_block_count_z
      - .offset:         140
        .size:           2
        .value_kind:     hidden_group_size_x
      - .offset:         142
        .size:           2
        .value_kind:     hidden_group_size_y
      - .offset:         144
        .size:           2
        .value_kind:     hidden_group_size_z
      - .offset:         146
        .size:           2
        .value_kind:     hidden_remainder_x
      - .offset:         148
        .size:           2
        .value_kind:     hidden_remainder_y
      - .offset:         150
        .size:           2
        .value_kind:     hidden_remainder_z
      - .offset:         168
        .size:           8
        .value_kind:     hidden_global_offset_x
      - .offset:         176
        .size:           8
        .value_kind:     hidden_global_offset_y
      - .offset:         184
        .size:           8
        .value_kind:     hidden_global_offset_z
      - .offset:         192
        .size:           2
        .value_kind:     hidden_grid_dims
      - .offset:         248
        .size:           4
        .value_kind:     hidden_dynamic_lds_size
    .group_segment_fixed_size: 400
    .kernarg_segment_align: 8
    .kernarg_segment_size: 384
    .language:       OpenCL C
    .language_version:
      - 2
      - 0
    .max_flat_workgroup_size: 1024
    .name:           _ZN4vllm25paged_attention_v1_kernelIttLi192ELi8ELi128ELNS_18Fp8KVCacheDataTypeE0ELb1EEEvPT_PKS2_PKT0_S8_ifPKiSA_iPKfiiiSC_SC_iiiii
    .private_segment_fixed_size: 0
    .sgpr_count:     50
    .sgpr_spill_count: 0
    .symbol:         _ZN4vllm25paged_attention_v1_kernelIttLi192ELi8ELi128ELNS_18Fp8KVCacheDataTypeE0ELb1EEEvPT_PKS2_PKT0_S8_ifPKiSA_iPKfiiiSC_SC_iiiii.kd
    .uniform_work_group_size: 1
    .uses_dynamic_stack: false
    .vgpr_count:     68
    .vgpr_spill_count: 0
    .wavefront_size: 64
  - .agpr_count:     0
    .args:
      - .actual_access:  write_only
        .address_space:  global
        .offset:         0
        .size:           8
        .value_kind:     global_buffer
      - .actual_access:  read_only
        .address_space:  global
        .offset:         8
        .size:           8
        .value_kind:     global_buffer
      - .actual_access:  read_only
        .address_space:  global
        .offset:         16
        .size:           8
        .value_kind:     global_buffer
      - .actual_access:  read_only
        .address_space:  global
        .offset:         24
        .size:           8
        .value_kind:     global_buffer
      - .offset:         32
        .size:           4
        .value_kind:     by_value
      - .offset:         36
        .size:           4
        .value_kind:     by_value
      - .actual_access:  read_only
        .address_space:  global
        .offset:         40
        .size:           8
        .value_kind:     global_buffer
      - .actual_access:  read_only
        .address_space:  global
        .offset:         48
        .size:           8
        .value_kind:     global_buffer
      - .offset:         56
        .size:           4
        .value_kind:     by_value
      - .actual_access:  read_only
        .address_space:  global
        .offset:         64
        .size:           8
        .value_kind:     global_buffer
      - .offset:         72
        .size:           4
        .value_kind:     by_value
      - .offset:         76
        .size:           4
        .value_kind:     by_value
      - .offset:         80
        .size:           4
        .value_kind:     by_value
      - .address_space:  global
        .offset:         88
        .size:           8
        .value_kind:     global_buffer
      - .address_space:  global
        .offset:         96
        .size:           8
        .value_kind:     global_buffer
      - .offset:         104
        .size:           4
        .value_kind:     by_value
      - .offset:         108
        .size:           4
        .value_kind:     by_value
      - .offset:         112
        .size:           4
        .value_kind:     by_value
      - .offset:         116
        .size:           4
        .value_kind:     by_value
      - .offset:         120
        .size:           4
        .value_kind:     by_value
      - .offset:         128
        .size:           4
        .value_kind:     hidden_block_count_x
      - .offset:         132
        .size:           4
        .value_kind:     hidden_block_count_y
      - .offset:         136
        .size:           4
        .value_kind:     hidden_block_count_z
      - .offset:         140
        .size:           2
        .value_kind:     hidden_group_size_x
      - .offset:         142
        .size:           2
        .value_kind:     hidden_group_size_y
      - .offset:         144
        .size:           2
        .value_kind:     hidden_group_size_z
      - .offset:         146
        .size:           2
        .value_kind:     hidden_remainder_x
      - .offset:         148
        .size:           2
        .value_kind:     hidden_remainder_y
      - .offset:         150
        .size:           2
        .value_kind:     hidden_remainder_z
      - .offset:         168
        .size:           8
        .value_kind:     hidden_global_offset_x
      - .offset:         176
        .size:           8
        .value_kind:     hidden_global_offset_y
      - .offset:         184
        .size:           8
        .value_kind:     hidden_global_offset_z
      - .offset:         192
        .size:           2
        .value_kind:     hidden_grid_dims
      - .offset:         248
        .size:           4
        .value_kind:     hidden_dynamic_lds_size
    .group_segment_fixed_size: 528
    .kernarg_segment_align: 8
    .kernarg_segment_size: 384
    .language:       OpenCL C
    .language_version:
      - 2
      - 0
    .max_flat_workgroup_size: 1024
    .name:           _ZN4vllm25paged_attention_v1_kernelIttLi256ELi8ELi128ELNS_18Fp8KVCacheDataTypeE0ELb1EEEvPT_PKS2_PKT0_S8_ifPKiSA_iPKfiiiSC_SC_iiiii
    .private_segment_fixed_size: 0
    .sgpr_count:     50
    .sgpr_spill_count: 0
    .symbol:         _ZN4vllm25paged_attention_v1_kernelIttLi256ELi8ELi128ELNS_18Fp8KVCacheDataTypeE0ELb1EEEvPT_PKS2_PKT0_S8_ifPKiSA_iPKfiiiSC_SC_iiiii.kd
    .uniform_work_group_size: 1
    .uses_dynamic_stack: false
    .vgpr_count:     82
    .vgpr_spill_count: 0
    .wavefront_size: 64
  - .agpr_count:     0
    .args:
      - .actual_access:  write_only
        .address_space:  global
        .offset:         0
        .size:           8
        .value_kind:     global_buffer
      - .actual_access:  read_only
        .address_space:  global
        .offset:         8
        .size:           8
        .value_kind:     global_buffer
      - .actual_access:  read_only
        .address_space:  global
        .offset:         16
        .size:           8
        .value_kind:     global_buffer
      - .actual_access:  read_only
        .address_space:  global
        .offset:         24
        .size:           8
        .value_kind:     global_buffer
      - .offset:         32
        .size:           4
        .value_kind:     by_value
      - .offset:         36
        .size:           4
        .value_kind:     by_value
      - .actual_access:  read_only
        .address_space:  global
        .offset:         40
        .size:           8
        .value_kind:     global_buffer
      - .actual_access:  read_only
        .address_space:  global
        .offset:         48
        .size:           8
        .value_kind:     global_buffer
      - .offset:         56
        .size:           4
        .value_kind:     by_value
      - .actual_access:  read_only
        .address_space:  global
        .offset:         64
        .size:           8
        .value_kind:     global_buffer
      - .offset:         72
        .size:           4
        .value_kind:     by_value
      - .offset:         76
        .size:           4
        .value_kind:     by_value
      - .offset:         80
        .size:           4
        .value_kind:     by_value
      - .address_space:  global
        .offset:         88
        .size:           8
        .value_kind:     global_buffer
      - .address_space:  global
        .offset:         96
        .size:           8
        .value_kind:     global_buffer
      - .offset:         104
        .size:           4
        .value_kind:     by_value
      - .offset:         108
        .size:           4
        .value_kind:     by_value
      - .offset:         112
        .size:           4
        .value_kind:     by_value
      - .offset:         116
        .size:           4
        .value_kind:     by_value
      - .offset:         120
        .size:           4
        .value_kind:     by_value
      - .offset:         128
        .size:           4
        .value_kind:     hidden_block_count_x
      - .offset:         132
        .size:           4
        .value_kind:     hidden_block_count_y
      - .offset:         136
        .size:           4
        .value_kind:     hidden_block_count_z
      - .offset:         140
        .size:           2
        .value_kind:     hidden_group_size_x
      - .offset:         142
        .size:           2
        .value_kind:     hidden_group_size_y
      - .offset:         144
        .size:           2
        .value_kind:     hidden_group_size_z
      - .offset:         146
        .size:           2
        .value_kind:     hidden_remainder_x
      - .offset:         148
        .size:           2
        .value_kind:     hidden_remainder_y
      - .offset:         150
        .size:           2
        .value_kind:     hidden_remainder_z
      - .offset:         168
        .size:           8
        .value_kind:     hidden_global_offset_x
      - .offset:         176
        .size:           8
        .value_kind:     hidden_global_offset_y
      - .offset:         184
        .size:           8
        .value_kind:     hidden_global_offset_z
      - .offset:         192
        .size:           2
        .value_kind:     hidden_grid_dims
      - .offset:         248
        .size:           4
        .value_kind:     hidden_dynamic_lds_size
    .group_segment_fixed_size: 80
    .kernarg_segment_align: 8
    .kernarg_segment_size: 384
    .language:       OpenCL C
    .language_version:
      - 2
      - 0
    .max_flat_workgroup_size: 1024
    .name:           _ZN4vllm25paged_attention_v1_kernelIttLi32ELi8ELi128ELNS_18Fp8KVCacheDataTypeE0ELb0EEEvPT_PKS2_PKT0_S8_ifPKiSA_iPKfiiiSC_SC_iiiii
    .private_segment_fixed_size: 0
    .sgpr_count:     40
    .sgpr_spill_count: 0
    .symbol:         _ZN4vllm25paged_attention_v1_kernelIttLi32ELi8ELi128ELNS_18Fp8KVCacheDataTypeE0ELb0EEEvPT_PKS2_PKT0_S8_ifPKiSA_iPKfiiiSC_SC_iiiii.kd
    .uniform_work_group_size: 1
    .uses_dynamic_stack: false
    .vgpr_count:     29
    .vgpr_spill_count: 0
    .wavefront_size: 64
  - .agpr_count:     0
    .args:
      - .actual_access:  write_only
        .address_space:  global
        .offset:         0
        .size:           8
        .value_kind:     global_buffer
      - .actual_access:  read_only
        .address_space:  global
        .offset:         8
        .size:           8
        .value_kind:     global_buffer
      - .actual_access:  read_only
        .address_space:  global
        .offset:         16
        .size:           8
        .value_kind:     global_buffer
      - .actual_access:  read_only
        .address_space:  global
        .offset:         24
        .size:           8
        .value_kind:     global_buffer
      - .offset:         32
        .size:           4
        .value_kind:     by_value
      - .offset:         36
        .size:           4
        .value_kind:     by_value
      - .actual_access:  read_only
        .address_space:  global
        .offset:         40
        .size:           8
        .value_kind:     global_buffer
      - .actual_access:  read_only
        .address_space:  global
        .offset:         48
        .size:           8
        .value_kind:     global_buffer
      - .offset:         56
        .size:           4
        .value_kind:     by_value
      - .actual_access:  read_only
        .address_space:  global
        .offset:         64
        .size:           8
        .value_kind:     global_buffer
      - .offset:         72
        .size:           4
        .value_kind:     by_value
      - .offset:         76
        .size:           4
        .value_kind:     by_value
      - .offset:         80
        .size:           4
        .value_kind:     by_value
      - .address_space:  global
        .offset:         88
        .size:           8
        .value_kind:     global_buffer
      - .address_space:  global
        .offset:         96
        .size:           8
        .value_kind:     global_buffer
      - .offset:         104
        .size:           4
        .value_kind:     by_value
      - .offset:         108
        .size:           4
        .value_kind:     by_value
      - .offset:         112
        .size:           4
        .value_kind:     by_value
      - .offset:         116
        .size:           4
        .value_kind:     by_value
      - .offset:         120
        .size:           4
        .value_kind:     by_value
      - .offset:         128
        .size:           4
        .value_kind:     hidden_block_count_x
      - .offset:         132
        .size:           4
        .value_kind:     hidden_block_count_y
      - .offset:         136
        .size:           4
        .value_kind:     hidden_block_count_z
      - .offset:         140
        .size:           2
        .value_kind:     hidden_group_size_x
      - .offset:         142
        .size:           2
        .value_kind:     hidden_group_size_y
      - .offset:         144
        .size:           2
        .value_kind:     hidden_group_size_z
      - .offset:         146
        .size:           2
        .value_kind:     hidden_remainder_x
      - .offset:         148
        .size:           2
        .value_kind:     hidden_remainder_y
      - .offset:         150
        .size:           2
        .value_kind:     hidden_remainder_z
      - .offset:         168
        .size:           8
        .value_kind:     hidden_global_offset_x
      - .offset:         176
        .size:           8
        .value_kind:     hidden_global_offset_y
      - .offset:         184
        .size:           8
        .value_kind:     hidden_global_offset_z
      - .offset:         192
        .size:           2
        .value_kind:     hidden_grid_dims
      - .offset:         248
        .size:           4
        .value_kind:     hidden_dynamic_lds_size
    .group_segment_fixed_size: 144
    .kernarg_segment_align: 8
    .kernarg_segment_size: 384
    .language:       OpenCL C
    .language_version:
      - 2
      - 0
    .max_flat_workgroup_size: 1024
    .name:           _ZN4vllm25paged_attention_v1_kernelIttLi64ELi8ELi128ELNS_18Fp8KVCacheDataTypeE0ELb0EEEvPT_PKS2_PKT0_S8_ifPKiSA_iPKfiiiSC_SC_iiiii
    .private_segment_fixed_size: 0
    .sgpr_count:     42
    .sgpr_spill_count: 0
    .symbol:         _ZN4vllm25paged_attention_v1_kernelIttLi64ELi8ELi128ELNS_18Fp8KVCacheDataTypeE0ELb0EEEvPT_PKS2_PKT0_S8_ifPKiSA_iPKfiiiSC_SC_iiiii.kd
    .uniform_work_group_size: 1
    .uses_dynamic_stack: false
    .vgpr_count:     34
    .vgpr_spill_count: 0
    .wavefront_size: 64
  - .agpr_count:     0
    .args:
      - .actual_access:  write_only
        .address_space:  global
        .offset:         0
        .size:           8
        .value_kind:     global_buffer
      - .actual_access:  read_only
        .address_space:  global
        .offset:         8
        .size:           8
        .value_kind:     global_buffer
      - .actual_access:  read_only
        .address_space:  global
        .offset:         16
        .size:           8
        .value_kind:     global_buffer
      - .actual_access:  read_only
        .address_space:  global
        .offset:         24
        .size:           8
        .value_kind:     global_buffer
      - .offset:         32
        .size:           4
        .value_kind:     by_value
      - .offset:         36
        .size:           4
        .value_kind:     by_value
      - .actual_access:  read_only
        .address_space:  global
        .offset:         40
        .size:           8
        .value_kind:     global_buffer
      - .actual_access:  read_only
        .address_space:  global
        .offset:         48
        .size:           8
        .value_kind:     global_buffer
      - .offset:         56
        .size:           4
        .value_kind:     by_value
      - .actual_access:  read_only
        .address_space:  global
        .offset:         64
        .size:           8
        .value_kind:     global_buffer
      - .offset:         72
        .size:           4
        .value_kind:     by_value
      - .offset:         76
        .size:           4
        .value_kind:     by_value
      - .offset:         80
        .size:           4
        .value_kind:     by_value
      - .address_space:  global
        .offset:         88
        .size:           8
        .value_kind:     global_buffer
      - .address_space:  global
        .offset:         96
        .size:           8
        .value_kind:     global_buffer
      - .offset:         104
        .size:           4
        .value_kind:     by_value
      - .offset:         108
        .size:           4
        .value_kind:     by_value
      - .offset:         112
        .size:           4
        .value_kind:     by_value
      - .offset:         116
        .size:           4
        .value_kind:     by_value
      - .offset:         120
        .size:           4
        .value_kind:     by_value
      - .offset:         128
        .size:           4
        .value_kind:     hidden_block_count_x
      - .offset:         132
        .size:           4
        .value_kind:     hidden_block_count_y
      - .offset:         136
        .size:           4
        .value_kind:     hidden_block_count_z
      - .offset:         140
        .size:           2
        .value_kind:     hidden_group_size_x
      - .offset:         142
        .size:           2
        .value_kind:     hidden_group_size_y
      - .offset:         144
        .size:           2
        .value_kind:     hidden_group_size_z
      - .offset:         146
        .size:           2
        .value_kind:     hidden_remainder_x
      - .offset:         148
        .size:           2
        .value_kind:     hidden_remainder_y
      - .offset:         150
        .size:           2
        .value_kind:     hidden_remainder_z
      - .offset:         168
        .size:           8
        .value_kind:     hidden_global_offset_x
      - .offset:         176
        .size:           8
        .value_kind:     hidden_global_offset_y
      - .offset:         184
        .size:           8
        .value_kind:     hidden_global_offset_z
      - .offset:         192
        .size:           2
        .value_kind:     hidden_grid_dims
      - .offset:         248
        .size:           4
        .value_kind:     hidden_dynamic_lds_size
    .group_segment_fixed_size: 176
    .kernarg_segment_align: 8
    .kernarg_segment_size: 384
    .language:       OpenCL C
    .language_version:
      - 2
      - 0
    .max_flat_workgroup_size: 1024
    .name:           _ZN4vllm25paged_attention_v1_kernelIttLi80ELi8ELi128ELNS_18Fp8KVCacheDataTypeE0ELb0EEEvPT_PKS2_PKT0_S8_ifPKiSA_iPKfiiiSC_SC_iiiii
    .private_segment_fixed_size: 0
    .sgpr_count:     42
    .sgpr_spill_count: 0
    .symbol:         _ZN4vllm25paged_attention_v1_kernelIttLi80ELi8ELi128ELNS_18Fp8KVCacheDataTypeE0ELb0EEEvPT_PKS2_PKT0_S8_ifPKiSA_iPKfiiiSC_SC_iiiii.kd
    .uniform_work_group_size: 1
    .uses_dynamic_stack: false
    .vgpr_count:     38
    .vgpr_spill_count: 0
    .wavefront_size: 64
  - .agpr_count:     0
    .args:
      - .actual_access:  write_only
        .address_space:  global
        .offset:         0
        .size:           8
        .value_kind:     global_buffer
      - .actual_access:  read_only
        .address_space:  global
        .offset:         8
        .size:           8
        .value_kind:     global_buffer
      - .actual_access:  read_only
        .address_space:  global
        .offset:         16
        .size:           8
        .value_kind:     global_buffer
      - .actual_access:  read_only
        .address_space:  global
        .offset:         24
        .size:           8
        .value_kind:     global_buffer
      - .offset:         32
        .size:           4
        .value_kind:     by_value
      - .offset:         36
        .size:           4
        .value_kind:     by_value
      - .actual_access:  read_only
        .address_space:  global
        .offset:         40
        .size:           8
        .value_kind:     global_buffer
      - .actual_access:  read_only
        .address_space:  global
        .offset:         48
        .size:           8
        .value_kind:     global_buffer
      - .offset:         56
        .size:           4
        .value_kind:     by_value
      - .actual_access:  read_only
        .address_space:  global
        .offset:         64
        .size:           8
        .value_kind:     global_buffer
      - .offset:         72
        .size:           4
        .value_kind:     by_value
      - .offset:         76
        .size:           4
        .value_kind:     by_value
      - .offset:         80
        .size:           4
        .value_kind:     by_value
      - .address_space:  global
        .offset:         88
        .size:           8
        .value_kind:     global_buffer
      - .address_space:  global
        .offset:         96
        .size:           8
        .value_kind:     global_buffer
      - .offset:         104
        .size:           4
        .value_kind:     by_value
      - .offset:         108
        .size:           4
        .value_kind:     by_value
      - .offset:         112
        .size:           4
        .value_kind:     by_value
      - .offset:         116
        .size:           4
        .value_kind:     by_value
      - .offset:         120
        .size:           4
        .value_kind:     by_value
      - .offset:         128
        .size:           4
        .value_kind:     hidden_block_count_x
      - .offset:         132
        .size:           4
        .value_kind:     hidden_block_count_y
      - .offset:         136
        .size:           4
        .value_kind:     hidden_block_count_z
      - .offset:         140
        .size:           2
        .value_kind:     hidden_group_size_x
      - .offset:         142
        .size:           2
        .value_kind:     hidden_group_size_y
      - .offset:         144
        .size:           2
        .value_kind:     hidden_group_size_z
      - .offset:         146
        .size:           2
        .value_kind:     hidden_remainder_x
      - .offset:         148
        .size:           2
        .value_kind:     hidden_remainder_y
      - .offset:         150
        .size:           2
        .value_kind:     hidden_remainder_z
      - .offset:         168
        .size:           8
        .value_kind:     hidden_global_offset_x
      - .offset:         176
        .size:           8
        .value_kind:     hidden_global_offset_y
      - .offset:         184
        .size:           8
        .value_kind:     hidden_global_offset_z
      - .offset:         192
        .size:           2
        .value_kind:     hidden_grid_dims
      - .offset:         248
        .size:           4
        .value_kind:     hidden_dynamic_lds_size
    .group_segment_fixed_size: 208
    .kernarg_segment_align: 8
    .kernarg_segment_size: 384
    .language:       OpenCL C
    .language_version:
      - 2
      - 0
    .max_flat_workgroup_size: 1024
    .name:           _ZN4vllm25paged_attention_v1_kernelIttLi96ELi8ELi128ELNS_18Fp8KVCacheDataTypeE0ELb0EEEvPT_PKS2_PKT0_S8_ifPKiSA_iPKfiiiSC_SC_iiiii
    .private_segment_fixed_size: 0
    .sgpr_count:     42
    .sgpr_spill_count: 0
    .symbol:         _ZN4vllm25paged_attention_v1_kernelIttLi96ELi8ELi128ELNS_18Fp8KVCacheDataTypeE0ELb0EEEvPT_PKS2_PKT0_S8_ifPKiSA_iPKfiiiSC_SC_iiiii.kd
    .uniform_work_group_size: 1
    .uses_dynamic_stack: false
    .vgpr_count:     42
    .vgpr_spill_count: 0
    .wavefront_size: 64
  - .agpr_count:     0
    .args:
      - .actual_access:  write_only
        .address_space:  global
        .offset:         0
        .size:           8
        .value_kind:     global_buffer
      - .actual_access:  read_only
        .address_space:  global
        .offset:         8
        .size:           8
        .value_kind:     global_buffer
      - .actual_access:  read_only
        .address_space:  global
        .offset:         16
        .size:           8
        .value_kind:     global_buffer
      - .actual_access:  read_only
        .address_space:  global
        .offset:         24
        .size:           8
        .value_kind:     global_buffer
      - .offset:         32
        .size:           4
        .value_kind:     by_value
      - .offset:         36
        .size:           4
        .value_kind:     by_value
      - .actual_access:  read_only
        .address_space:  global
        .offset:         40
        .size:           8
        .value_kind:     global_buffer
      - .actual_access:  read_only
        .address_space:  global
        .offset:         48
        .size:           8
        .value_kind:     global_buffer
      - .offset:         56
        .size:           4
        .value_kind:     by_value
      - .actual_access:  read_only
        .address_space:  global
        .offset:         64
        .size:           8
        .value_kind:     global_buffer
      - .offset:         72
        .size:           4
        .value_kind:     by_value
      - .offset:         76
        .size:           4
        .value_kind:     by_value
      - .offset:         80
        .size:           4
        .value_kind:     by_value
      - .address_space:  global
        .offset:         88
        .size:           8
        .value_kind:     global_buffer
      - .address_space:  global
        .offset:         96
        .size:           8
        .value_kind:     global_buffer
      - .offset:         104
        .size:           4
        .value_kind:     by_value
      - .offset:         108
        .size:           4
        .value_kind:     by_value
      - .offset:         112
        .size:           4
        .value_kind:     by_value
      - .offset:         116
        .size:           4
        .value_kind:     by_value
      - .offset:         120
        .size:           4
        .value_kind:     by_value
      - .offset:         128
        .size:           4
        .value_kind:     hidden_block_count_x
      - .offset:         132
        .size:           4
        .value_kind:     hidden_block_count_y
      - .offset:         136
        .size:           4
        .value_kind:     hidden_block_count_z
      - .offset:         140
        .size:           2
        .value_kind:     hidden_group_size_x
      - .offset:         142
        .size:           2
        .value_kind:     hidden_group_size_y
      - .offset:         144
        .size:           2
        .value_kind:     hidden_group_size_z
      - .offset:         146
        .size:           2
        .value_kind:     hidden_remainder_x
      - .offset:         148
        .size:           2
        .value_kind:     hidden_remainder_y
      - .offset:         150
        .size:           2
        .value_kind:     hidden_remainder_z
      - .offset:         168
        .size:           8
        .value_kind:     hidden_global_offset_x
      - .offset:         176
        .size:           8
        .value_kind:     hidden_global_offset_y
      - .offset:         184
        .size:           8
        .value_kind:     hidden_global_offset_z
      - .offset:         192
        .size:           2
        .value_kind:     hidden_grid_dims
      - .offset:         248
        .size:           4
        .value_kind:     hidden_dynamic_lds_size
    .group_segment_fixed_size: 240
    .kernarg_segment_align: 8
    .kernarg_segment_size: 384
    .language:       OpenCL C
    .language_version:
      - 2
      - 0
    .max_flat_workgroup_size: 1024
    .name:           _ZN4vllm25paged_attention_v1_kernelIttLi112ELi8ELi128ELNS_18Fp8KVCacheDataTypeE0ELb0EEEvPT_PKS2_PKT0_S8_ifPKiSA_iPKfiiiSC_SC_iiiii
    .private_segment_fixed_size: 0
    .sgpr_count:     42
    .sgpr_spill_count: 0
    .symbol:         _ZN4vllm25paged_attention_v1_kernelIttLi112ELi8ELi128ELNS_18Fp8KVCacheDataTypeE0ELb0EEEvPT_PKS2_PKT0_S8_ifPKiSA_iPKfiiiSC_SC_iiiii.kd
    .uniform_work_group_size: 1
    .uses_dynamic_stack: false
    .vgpr_count:     45
    .vgpr_spill_count: 0
    .wavefront_size: 64
  - .agpr_count:     0
    .args:
      - .actual_access:  write_only
        .address_space:  global
        .offset:         0
        .size:           8
        .value_kind:     global_buffer
      - .actual_access:  read_only
        .address_space:  global
        .offset:         8
        .size:           8
        .value_kind:     global_buffer
      - .actual_access:  read_only
        .address_space:  global
        .offset:         16
        .size:           8
        .value_kind:     global_buffer
      - .actual_access:  read_only
        .address_space:  global
        .offset:         24
        .size:           8
        .value_kind:     global_buffer
      - .offset:         32
        .size:           4
        .value_kind:     by_value
      - .offset:         36
        .size:           4
        .value_kind:     by_value
      - .actual_access:  read_only
        .address_space:  global
        .offset:         40
        .size:           8
        .value_kind:     global_buffer
      - .actual_access:  read_only
        .address_space:  global
        .offset:         48
        .size:           8
        .value_kind:     global_buffer
      - .offset:         56
        .size:           4
        .value_kind:     by_value
      - .actual_access:  read_only
        .address_space:  global
        .offset:         64
        .size:           8
        .value_kind:     global_buffer
      - .offset:         72
        .size:           4
        .value_kind:     by_value
      - .offset:         76
        .size:           4
        .value_kind:     by_value
      - .offset:         80
        .size:           4
        .value_kind:     by_value
      - .address_space:  global
        .offset:         88
        .size:           8
        .value_kind:     global_buffer
      - .address_space:  global
        .offset:         96
        .size:           8
        .value_kind:     global_buffer
      - .offset:         104
        .size:           4
        .value_kind:     by_value
      - .offset:         108
        .size:           4
        .value_kind:     by_value
      - .offset:         112
        .size:           4
        .value_kind:     by_value
      - .offset:         116
        .size:           4
        .value_kind:     by_value
      - .offset:         120
        .size:           4
        .value_kind:     by_value
      - .offset:         128
        .size:           4
        .value_kind:     hidden_block_count_x
      - .offset:         132
        .size:           4
        .value_kind:     hidden_block_count_y
      - .offset:         136
        .size:           4
        .value_kind:     hidden_block_count_z
      - .offset:         140
        .size:           2
        .value_kind:     hidden_group_size_x
      - .offset:         142
        .size:           2
        .value_kind:     hidden_group_size_y
      - .offset:         144
        .size:           2
        .value_kind:     hidden_group_size_z
      - .offset:         146
        .size:           2
        .value_kind:     hidden_remainder_x
      - .offset:         148
        .size:           2
        .value_kind:     hidden_remainder_y
      - .offset:         150
        .size:           2
        .value_kind:     hidden_remainder_z
      - .offset:         168
        .size:           8
        .value_kind:     hidden_global_offset_x
      - .offset:         176
        .size:           8
        .value_kind:     hidden_global_offset_y
      - .offset:         184
        .size:           8
        .value_kind:     hidden_global_offset_z
      - .offset:         192
        .size:           2
        .value_kind:     hidden_grid_dims
      - .offset:         248
        .size:           4
        .value_kind:     hidden_dynamic_lds_size
    .group_segment_fixed_size: 256
    .kernarg_segment_align: 8
    .kernarg_segment_size: 384
    .language:       OpenCL C
    .language_version:
      - 2
      - 0
    .max_flat_workgroup_size: 1024
    .name:           _ZN4vllm25paged_attention_v1_kernelIttLi120ELi8ELi128ELNS_18Fp8KVCacheDataTypeE0ELb0EEEvPT_PKS2_PKT0_S8_ifPKiSA_iPKfiiiSC_SC_iiiii
    .private_segment_fixed_size: 0
    .sgpr_count:     42
    .sgpr_spill_count: 0
    .symbol:         _ZN4vllm25paged_attention_v1_kernelIttLi120ELi8ELi128ELNS_18Fp8KVCacheDataTypeE0ELb0EEEvPT_PKS2_PKT0_S8_ifPKiSA_iPKfiiiSC_SC_iiiii.kd
    .uniform_work_group_size: 1
    .uses_dynamic_stack: false
    .vgpr_count:     47
    .vgpr_spill_count: 0
    .wavefront_size: 64
  - .agpr_count:     0
    .args:
      - .actual_access:  write_only
        .address_space:  global
        .offset:         0
        .size:           8
        .value_kind:     global_buffer
      - .actual_access:  read_only
        .address_space:  global
        .offset:         8
        .size:           8
        .value_kind:     global_buffer
      - .actual_access:  read_only
        .address_space:  global
        .offset:         16
        .size:           8
        .value_kind:     global_buffer
      - .actual_access:  read_only
        .address_space:  global
        .offset:         24
        .size:           8
        .value_kind:     global_buffer
      - .offset:         32
        .size:           4
        .value_kind:     by_value
      - .offset:         36
        .size:           4
        .value_kind:     by_value
      - .actual_access:  read_only
        .address_space:  global
        .offset:         40
        .size:           8
        .value_kind:     global_buffer
      - .actual_access:  read_only
        .address_space:  global
        .offset:         48
        .size:           8
        .value_kind:     global_buffer
      - .offset:         56
        .size:           4
        .value_kind:     by_value
      - .actual_access:  read_only
        .address_space:  global
        .offset:         64
        .size:           8
        .value_kind:     global_buffer
      - .offset:         72
        .size:           4
        .value_kind:     by_value
      - .offset:         76
        .size:           4
        .value_kind:     by_value
      - .offset:         80
        .size:           4
        .value_kind:     by_value
      - .address_space:  global
        .offset:         88
        .size:           8
        .value_kind:     global_buffer
      - .address_space:  global
        .offset:         96
        .size:           8
        .value_kind:     global_buffer
      - .offset:         104
        .size:           4
        .value_kind:     by_value
      - .offset:         108
        .size:           4
        .value_kind:     by_value
      - .offset:         112
        .size:           4
        .value_kind:     by_value
      - .offset:         116
        .size:           4
        .value_kind:     by_value
      - .offset:         120
        .size:           4
        .value_kind:     by_value
      - .offset:         128
        .size:           4
        .value_kind:     hidden_block_count_x
      - .offset:         132
        .size:           4
        .value_kind:     hidden_block_count_y
      - .offset:         136
        .size:           4
        .value_kind:     hidden_block_count_z
      - .offset:         140
        .size:           2
        .value_kind:     hidden_group_size_x
      - .offset:         142
        .size:           2
        .value_kind:     hidden_group_size_y
      - .offset:         144
        .size:           2
        .value_kind:     hidden_group_size_z
      - .offset:         146
        .size:           2
        .value_kind:     hidden_remainder_x
      - .offset:         148
        .size:           2
        .value_kind:     hidden_remainder_y
      - .offset:         150
        .size:           2
        .value_kind:     hidden_remainder_z
      - .offset:         168
        .size:           8
        .value_kind:     hidden_global_offset_x
      - .offset:         176
        .size:           8
        .value_kind:     hidden_global_offset_y
      - .offset:         184
        .size:           8
        .value_kind:     hidden_global_offset_z
      - .offset:         192
        .size:           2
        .value_kind:     hidden_grid_dims
      - .offset:         248
        .size:           4
        .value_kind:     hidden_dynamic_lds_size
    .group_segment_fixed_size: 272
    .kernarg_segment_align: 8
    .kernarg_segment_size: 384
    .language:       OpenCL C
    .language_version:
      - 2
      - 0
    .max_flat_workgroup_size: 1024
    .name:           _ZN4vllm25paged_attention_v1_kernelIttLi128ELi8ELi128ELNS_18Fp8KVCacheDataTypeE0ELb0EEEvPT_PKS2_PKT0_S8_ifPKiSA_iPKfiiiSC_SC_iiiii
    .private_segment_fixed_size: 0
    .sgpr_count:     40
    .sgpr_spill_count: 0
    .symbol:         _ZN4vllm25paged_attention_v1_kernelIttLi128ELi8ELi128ELNS_18Fp8KVCacheDataTypeE0ELb0EEEvPT_PKS2_PKT0_S8_ifPKiSA_iPKfiiiSC_SC_iiiii.kd
    .uniform_work_group_size: 1
    .uses_dynamic_stack: false
    .vgpr_count:     49
    .vgpr_spill_count: 0
    .wavefront_size: 64
  - .agpr_count:     0
    .args:
      - .actual_access:  write_only
        .address_space:  global
        .offset:         0
        .size:           8
        .value_kind:     global_buffer
      - .actual_access:  read_only
        .address_space:  global
        .offset:         8
        .size:           8
        .value_kind:     global_buffer
      - .actual_access:  read_only
        .address_space:  global
        .offset:         16
        .size:           8
        .value_kind:     global_buffer
      - .actual_access:  read_only
        .address_space:  global
        .offset:         24
        .size:           8
        .value_kind:     global_buffer
      - .offset:         32
        .size:           4
        .value_kind:     by_value
      - .offset:         36
        .size:           4
        .value_kind:     by_value
      - .actual_access:  read_only
        .address_space:  global
        .offset:         40
        .size:           8
        .value_kind:     global_buffer
      - .actual_access:  read_only
        .address_space:  global
        .offset:         48
        .size:           8
        .value_kind:     global_buffer
      - .offset:         56
        .size:           4
        .value_kind:     by_value
      - .actual_access:  read_only
        .address_space:  global
        .offset:         64
        .size:           8
        .value_kind:     global_buffer
      - .offset:         72
        .size:           4
        .value_kind:     by_value
      - .offset:         76
        .size:           4
        .value_kind:     by_value
      - .offset:         80
        .size:           4
        .value_kind:     by_value
      - .address_space:  global
        .offset:         88
        .size:           8
        .value_kind:     global_buffer
      - .address_space:  global
        .offset:         96
        .size:           8
        .value_kind:     global_buffer
      - .offset:         104
        .size:           4
        .value_kind:     by_value
      - .offset:         108
        .size:           4
        .value_kind:     by_value
      - .offset:         112
        .size:           4
        .value_kind:     by_value
      - .offset:         116
        .size:           4
        .value_kind:     by_value
      - .offset:         120
        .size:           4
        .value_kind:     by_value
      - .offset:         128
        .size:           4
        .value_kind:     hidden_block_count_x
      - .offset:         132
        .size:           4
        .value_kind:     hidden_block_count_y
      - .offset:         136
        .size:           4
        .value_kind:     hidden_block_count_z
      - .offset:         140
        .size:           2
        .value_kind:     hidden_group_size_x
      - .offset:         142
        .size:           2
        .value_kind:     hidden_group_size_y
      - .offset:         144
        .size:           2
        .value_kind:     hidden_group_size_z
      - .offset:         146
        .size:           2
        .value_kind:     hidden_remainder_x
      - .offset:         148
        .size:           2
        .value_kind:     hidden_remainder_y
      - .offset:         150
        .size:           2
        .value_kind:     hidden_remainder_z
      - .offset:         168
        .size:           8
        .value_kind:     hidden_global_offset_x
      - .offset:         176
        .size:           8
        .value_kind:     hidden_global_offset_y
      - .offset:         184
        .size:           8
        .value_kind:     hidden_global_offset_z
      - .offset:         192
        .size:           2
        .value_kind:     hidden_grid_dims
      - .offset:         248
        .size:           4
        .value_kind:     hidden_dynamic_lds_size
    .group_segment_fixed_size: 400
    .kernarg_segment_align: 8
    .kernarg_segment_size: 384
    .language:       OpenCL C
    .language_version:
      - 2
      - 0
    .max_flat_workgroup_size: 1024
    .name:           _ZN4vllm25paged_attention_v1_kernelIttLi192ELi8ELi128ELNS_18Fp8KVCacheDataTypeE0ELb0EEEvPT_PKS2_PKT0_S8_ifPKiSA_iPKfiiiSC_SC_iiiii
    .private_segment_fixed_size: 0
    .sgpr_count:     40
    .sgpr_spill_count: 0
    .symbol:         _ZN4vllm25paged_attention_v1_kernelIttLi192ELi8ELi128ELNS_18Fp8KVCacheDataTypeE0ELb0EEEvPT_PKS2_PKT0_S8_ifPKiSA_iPKfiiiSC_SC_iiiii.kd
    .uniform_work_group_size: 1
    .uses_dynamic_stack: false
    .vgpr_count:     63
    .vgpr_spill_count: 0
    .wavefront_size: 64
  - .agpr_count:     0
    .args:
      - .actual_access:  write_only
        .address_space:  global
        .offset:         0
        .size:           8
        .value_kind:     global_buffer
      - .actual_access:  read_only
        .address_space:  global
        .offset:         8
        .size:           8
        .value_kind:     global_buffer
      - .actual_access:  read_only
        .address_space:  global
        .offset:         16
        .size:           8
        .value_kind:     global_buffer
      - .actual_access:  read_only
        .address_space:  global
        .offset:         24
        .size:           8
        .value_kind:     global_buffer
      - .offset:         32
        .size:           4
        .value_kind:     by_value
      - .offset:         36
        .size:           4
        .value_kind:     by_value
      - .actual_access:  read_only
        .address_space:  global
        .offset:         40
        .size:           8
        .value_kind:     global_buffer
      - .actual_access:  read_only
        .address_space:  global
        .offset:         48
        .size:           8
        .value_kind:     global_buffer
      - .offset:         56
        .size:           4
        .value_kind:     by_value
      - .actual_access:  read_only
        .address_space:  global
        .offset:         64
        .size:           8
        .value_kind:     global_buffer
      - .offset:         72
        .size:           4
        .value_kind:     by_value
      - .offset:         76
        .size:           4
        .value_kind:     by_value
      - .offset:         80
        .size:           4
        .value_kind:     by_value
      - .address_space:  global
        .offset:         88
        .size:           8
        .value_kind:     global_buffer
      - .address_space:  global
        .offset:         96
        .size:           8
        .value_kind:     global_buffer
      - .offset:         104
        .size:           4
        .value_kind:     by_value
      - .offset:         108
        .size:           4
        .value_kind:     by_value
      - .offset:         112
        .size:           4
        .value_kind:     by_value
      - .offset:         116
        .size:           4
        .value_kind:     by_value
      - .offset:         120
        .size:           4
        .value_kind:     by_value
      - .offset:         128
        .size:           4
        .value_kind:     hidden_block_count_x
      - .offset:         132
        .size:           4
        .value_kind:     hidden_block_count_y
      - .offset:         136
        .size:           4
        .value_kind:     hidden_block_count_z
      - .offset:         140
        .size:           2
        .value_kind:     hidden_group_size_x
      - .offset:         142
        .size:           2
        .value_kind:     hidden_group_size_y
      - .offset:         144
        .size:           2
        .value_kind:     hidden_group_size_z
      - .offset:         146
        .size:           2
        .value_kind:     hidden_remainder_x
      - .offset:         148
        .size:           2
        .value_kind:     hidden_remainder_y
      - .offset:         150
        .size:           2
        .value_kind:     hidden_remainder_z
      - .offset:         168
        .size:           8
        .value_kind:     hidden_global_offset_x
      - .offset:         176
        .size:           8
        .value_kind:     hidden_global_offset_y
      - .offset:         184
        .size:           8
        .value_kind:     hidden_global_offset_z
      - .offset:         192
        .size:           2
        .value_kind:     hidden_grid_dims
      - .offset:         248
        .size:           4
        .value_kind:     hidden_dynamic_lds_size
    .group_segment_fixed_size: 528
    .kernarg_segment_align: 8
    .kernarg_segment_size: 384
    .language:       OpenCL C
    .language_version:
      - 2
      - 0
    .max_flat_workgroup_size: 1024
    .name:           _ZN4vllm25paged_attention_v1_kernelIttLi256ELi8ELi128ELNS_18Fp8KVCacheDataTypeE0ELb0EEEvPT_PKS2_PKT0_S8_ifPKiSA_iPKfiiiSC_SC_iiiii
    .private_segment_fixed_size: 0
    .sgpr_count:     40
    .sgpr_spill_count: 0
    .symbol:         _ZN4vllm25paged_attention_v1_kernelIttLi256ELi8ELi128ELNS_18Fp8KVCacheDataTypeE0ELb0EEEvPT_PKS2_PKT0_S8_ifPKiSA_iPKfiiiSC_SC_iiiii.kd
    .uniform_work_group_size: 1
    .uses_dynamic_stack: false
    .vgpr_count:     62
    .vgpr_spill_count: 0
    .wavefront_size: 64
  - .agpr_count:     0
    .args:
      - .actual_access:  write_only
        .address_space:  global
        .offset:         0
        .size:           8
        .value_kind:     global_buffer
      - .actual_access:  read_only
        .address_space:  global
        .offset:         8
        .size:           8
        .value_kind:     global_buffer
      - .actual_access:  read_only
        .address_space:  global
        .offset:         16
        .size:           8
        .value_kind:     global_buffer
      - .actual_access:  read_only
        .address_space:  global
        .offset:         24
        .size:           8
        .value_kind:     global_buffer
      - .offset:         32
        .size:           4
        .value_kind:     by_value
      - .offset:         36
        .size:           4
        .value_kind:     by_value
      - .actual_access:  read_only
        .address_space:  global
        .offset:         40
        .size:           8
        .value_kind:     global_buffer
      - .actual_access:  read_only
        .address_space:  global
        .offset:         48
        .size:           8
        .value_kind:     global_buffer
      - .offset:         56
        .size:           4
        .value_kind:     by_value
      - .actual_access:  read_only
        .address_space:  global
        .offset:         64
        .size:           8
        .value_kind:     global_buffer
      - .offset:         72
        .size:           4
        .value_kind:     by_value
      - .offset:         76
        .size:           4
        .value_kind:     by_value
      - .offset:         80
        .size:           4
        .value_kind:     by_value
      - .address_space:  global
        .offset:         88
        .size:           8
        .value_kind:     global_buffer
      - .address_space:  global
        .offset:         96
        .size:           8
        .value_kind:     global_buffer
      - .offset:         104
        .size:           4
        .value_kind:     by_value
      - .offset:         108
        .size:           4
        .value_kind:     by_value
      - .offset:         112
        .size:           4
        .value_kind:     by_value
      - .offset:         116
        .size:           4
        .value_kind:     by_value
      - .offset:         120
        .size:           4
        .value_kind:     by_value
      - .offset:         128
        .size:           4
        .value_kind:     hidden_block_count_x
      - .offset:         132
        .size:           4
        .value_kind:     hidden_block_count_y
      - .offset:         136
        .size:           4
        .value_kind:     hidden_block_count_z
      - .offset:         140
        .size:           2
        .value_kind:     hidden_group_size_x
      - .offset:         142
        .size:           2
        .value_kind:     hidden_group_size_y
      - .offset:         144
        .size:           2
        .value_kind:     hidden_group_size_z
      - .offset:         146
        .size:           2
        .value_kind:     hidden_remainder_x
      - .offset:         148
        .size:           2
        .value_kind:     hidden_remainder_y
      - .offset:         150
        .size:           2
        .value_kind:     hidden_remainder_z
      - .offset:         168
        .size:           8
        .value_kind:     hidden_global_offset_x
      - .offset:         176
        .size:           8
        .value_kind:     hidden_global_offset_y
      - .offset:         184
        .size:           8
        .value_kind:     hidden_global_offset_z
      - .offset:         192
        .size:           2
        .value_kind:     hidden_grid_dims
      - .offset:         248
        .size:           4
        .value_kind:     hidden_dynamic_lds_size
    .group_segment_fixed_size: 80
    .kernarg_segment_align: 8
    .kernarg_segment_size: 384
    .language:       OpenCL C
    .language_version:
      - 2
      - 0
    .max_flat_workgroup_size: 1024
    .name:           _ZN4vllm25paged_attention_v1_kernelIttLi32ELi16ELi128ELNS_18Fp8KVCacheDataTypeE0ELb1EEEvPT_PKS2_PKT0_S8_ifPKiSA_iPKfiiiSC_SC_iiiii
    .private_segment_fixed_size: 0
    .sgpr_count:     50
    .sgpr_spill_count: 0
    .symbol:         _ZN4vllm25paged_attention_v1_kernelIttLi32ELi16ELi128ELNS_18Fp8KVCacheDataTypeE0ELb1EEEvPT_PKS2_PKT0_S8_ifPKiSA_iPKfiiiSC_SC_iiiii.kd
    .uniform_work_group_size: 1
    .uses_dynamic_stack: false
    .vgpr_count:     37
    .vgpr_spill_count: 0
    .wavefront_size: 64
  - .agpr_count:     0
    .args:
      - .actual_access:  write_only
        .address_space:  global
        .offset:         0
        .size:           8
        .value_kind:     global_buffer
      - .actual_access:  read_only
        .address_space:  global
        .offset:         8
        .size:           8
        .value_kind:     global_buffer
      - .actual_access:  read_only
        .address_space:  global
        .offset:         16
        .size:           8
        .value_kind:     global_buffer
      - .actual_access:  read_only
        .address_space:  global
        .offset:         24
        .size:           8
        .value_kind:     global_buffer
      - .offset:         32
        .size:           4
        .value_kind:     by_value
      - .offset:         36
        .size:           4
        .value_kind:     by_value
      - .actual_access:  read_only
        .address_space:  global
        .offset:         40
        .size:           8
        .value_kind:     global_buffer
      - .actual_access:  read_only
        .address_space:  global
        .offset:         48
        .size:           8
        .value_kind:     global_buffer
      - .offset:         56
        .size:           4
        .value_kind:     by_value
      - .actual_access:  read_only
        .address_space:  global
        .offset:         64
        .size:           8
        .value_kind:     global_buffer
      - .offset:         72
        .size:           4
        .value_kind:     by_value
      - .offset:         76
        .size:           4
        .value_kind:     by_value
      - .offset:         80
        .size:           4
        .value_kind:     by_value
      - .address_space:  global
        .offset:         88
        .size:           8
        .value_kind:     global_buffer
      - .address_space:  global
        .offset:         96
        .size:           8
        .value_kind:     global_buffer
      - .offset:         104
        .size:           4
        .value_kind:     by_value
      - .offset:         108
        .size:           4
        .value_kind:     by_value
      - .offset:         112
        .size:           4
        .value_kind:     by_value
      - .offset:         116
        .size:           4
        .value_kind:     by_value
      - .offset:         120
        .size:           4
        .value_kind:     by_value
      - .offset:         128
        .size:           4
        .value_kind:     hidden_block_count_x
      - .offset:         132
        .size:           4
        .value_kind:     hidden_block_count_y
      - .offset:         136
        .size:           4
        .value_kind:     hidden_block_count_z
      - .offset:         140
        .size:           2
        .value_kind:     hidden_group_size_x
      - .offset:         142
        .size:           2
        .value_kind:     hidden_group_size_y
      - .offset:         144
        .size:           2
        .value_kind:     hidden_group_size_z
      - .offset:         146
        .size:           2
        .value_kind:     hidden_remainder_x
      - .offset:         148
        .size:           2
        .value_kind:     hidden_remainder_y
      - .offset:         150
        .size:           2
        .value_kind:     hidden_remainder_z
      - .offset:         168
        .size:           8
        .value_kind:     hidden_global_offset_x
      - .offset:         176
        .size:           8
        .value_kind:     hidden_global_offset_y
      - .offset:         184
        .size:           8
        .value_kind:     hidden_global_offset_z
      - .offset:         192
        .size:           2
        .value_kind:     hidden_grid_dims
      - .offset:         248
        .size:           4
        .value_kind:     hidden_dynamic_lds_size
    .group_segment_fixed_size: 144
    .kernarg_segment_align: 8
    .kernarg_segment_size: 384
    .language:       OpenCL C
    .language_version:
      - 2
      - 0
    .max_flat_workgroup_size: 1024
    .name:           _ZN4vllm25paged_attention_v1_kernelIttLi64ELi16ELi128ELNS_18Fp8KVCacheDataTypeE0ELb1EEEvPT_PKS2_PKT0_S8_ifPKiSA_iPKfiiiSC_SC_iiiii
    .private_segment_fixed_size: 0
    .sgpr_count:     50
    .sgpr_spill_count: 0
    .symbol:         _ZN4vllm25paged_attention_v1_kernelIttLi64ELi16ELi128ELNS_18Fp8KVCacheDataTypeE0ELb1EEEvPT_PKS2_PKT0_S8_ifPKiSA_iPKfiiiSC_SC_iiiii.kd
    .uniform_work_group_size: 1
    .uses_dynamic_stack: false
    .vgpr_count:     49
    .vgpr_spill_count: 0
    .wavefront_size: 64
  - .agpr_count:     0
    .args:
      - .actual_access:  write_only
        .address_space:  global
        .offset:         0
        .size:           8
        .value_kind:     global_buffer
      - .actual_access:  read_only
        .address_space:  global
        .offset:         8
        .size:           8
        .value_kind:     global_buffer
      - .actual_access:  read_only
        .address_space:  global
        .offset:         16
        .size:           8
        .value_kind:     global_buffer
      - .actual_access:  read_only
        .address_space:  global
        .offset:         24
        .size:           8
        .value_kind:     global_buffer
      - .offset:         32
        .size:           4
        .value_kind:     by_value
      - .offset:         36
        .size:           4
        .value_kind:     by_value
      - .actual_access:  read_only
        .address_space:  global
        .offset:         40
        .size:           8
        .value_kind:     global_buffer
      - .actual_access:  read_only
        .address_space:  global
        .offset:         48
        .size:           8
        .value_kind:     global_buffer
      - .offset:         56
        .size:           4
        .value_kind:     by_value
      - .actual_access:  read_only
        .address_space:  global
        .offset:         64
        .size:           8
        .value_kind:     global_buffer
      - .offset:         72
        .size:           4
        .value_kind:     by_value
      - .offset:         76
        .size:           4
        .value_kind:     by_value
      - .offset:         80
        .size:           4
        .value_kind:     by_value
      - .address_space:  global
        .offset:         88
        .size:           8
        .value_kind:     global_buffer
      - .address_space:  global
        .offset:         96
        .size:           8
        .value_kind:     global_buffer
      - .offset:         104
        .size:           4
        .value_kind:     by_value
      - .offset:         108
        .size:           4
        .value_kind:     by_value
      - .offset:         112
        .size:           4
        .value_kind:     by_value
      - .offset:         116
        .size:           4
        .value_kind:     by_value
      - .offset:         120
        .size:           4
        .value_kind:     by_value
      - .offset:         128
        .size:           4
        .value_kind:     hidden_block_count_x
      - .offset:         132
        .size:           4
        .value_kind:     hidden_block_count_y
      - .offset:         136
        .size:           4
        .value_kind:     hidden_block_count_z
      - .offset:         140
        .size:           2
        .value_kind:     hidden_group_size_x
      - .offset:         142
        .size:           2
        .value_kind:     hidden_group_size_y
      - .offset:         144
        .size:           2
        .value_kind:     hidden_group_size_z
      - .offset:         146
        .size:           2
        .value_kind:     hidden_remainder_x
      - .offset:         148
        .size:           2
        .value_kind:     hidden_remainder_y
      - .offset:         150
        .size:           2
        .value_kind:     hidden_remainder_z
      - .offset:         168
        .size:           8
        .value_kind:     hidden_global_offset_x
      - .offset:         176
        .size:           8
        .value_kind:     hidden_global_offset_y
      - .offset:         184
        .size:           8
        .value_kind:     hidden_global_offset_z
      - .offset:         192
        .size:           2
        .value_kind:     hidden_grid_dims
      - .offset:         248
        .size:           4
        .value_kind:     hidden_dynamic_lds_size
    .group_segment_fixed_size: 176
    .kernarg_segment_align: 8
    .kernarg_segment_size: 384
    .language:       OpenCL C
    .language_version:
      - 2
      - 0
    .max_flat_workgroup_size: 1024
    .name:           _ZN4vllm25paged_attention_v1_kernelIttLi80ELi16ELi128ELNS_18Fp8KVCacheDataTypeE0ELb1EEEvPT_PKS2_PKT0_S8_ifPKiSA_iPKfiiiSC_SC_iiiii
    .private_segment_fixed_size: 0
    .sgpr_count:     51
    .sgpr_spill_count: 0
    .symbol:         _ZN4vllm25paged_attention_v1_kernelIttLi80ELi16ELi128ELNS_18Fp8KVCacheDataTypeE0ELb1EEEvPT_PKS2_PKT0_S8_ifPKiSA_iPKfiiiSC_SC_iiiii.kd
    .uniform_work_group_size: 1
    .uses_dynamic_stack: false
    .vgpr_count:     55
    .vgpr_spill_count: 0
    .wavefront_size: 64
  - .agpr_count:     0
    .args:
      - .actual_access:  write_only
        .address_space:  global
        .offset:         0
        .size:           8
        .value_kind:     global_buffer
      - .actual_access:  read_only
        .address_space:  global
        .offset:         8
        .size:           8
        .value_kind:     global_buffer
      - .actual_access:  read_only
        .address_space:  global
        .offset:         16
        .size:           8
        .value_kind:     global_buffer
      - .actual_access:  read_only
        .address_space:  global
        .offset:         24
        .size:           8
        .value_kind:     global_buffer
      - .offset:         32
        .size:           4
        .value_kind:     by_value
      - .offset:         36
        .size:           4
        .value_kind:     by_value
      - .actual_access:  read_only
        .address_space:  global
        .offset:         40
        .size:           8
        .value_kind:     global_buffer
      - .actual_access:  read_only
        .address_space:  global
        .offset:         48
        .size:           8
        .value_kind:     global_buffer
      - .offset:         56
        .size:           4
        .value_kind:     by_value
      - .actual_access:  read_only
        .address_space:  global
        .offset:         64
        .size:           8
        .value_kind:     global_buffer
      - .offset:         72
        .size:           4
        .value_kind:     by_value
      - .offset:         76
        .size:           4
        .value_kind:     by_value
      - .offset:         80
        .size:           4
        .value_kind:     by_value
      - .address_space:  global
        .offset:         88
        .size:           8
        .value_kind:     global_buffer
      - .address_space:  global
        .offset:         96
        .size:           8
        .value_kind:     global_buffer
      - .offset:         104
        .size:           4
        .value_kind:     by_value
      - .offset:         108
        .size:           4
        .value_kind:     by_value
      - .offset:         112
        .size:           4
        .value_kind:     by_value
      - .offset:         116
        .size:           4
        .value_kind:     by_value
      - .offset:         120
        .size:           4
        .value_kind:     by_value
      - .offset:         128
        .size:           4
        .value_kind:     hidden_block_count_x
      - .offset:         132
        .size:           4
        .value_kind:     hidden_block_count_y
      - .offset:         136
        .size:           4
        .value_kind:     hidden_block_count_z
      - .offset:         140
        .size:           2
        .value_kind:     hidden_group_size_x
      - .offset:         142
        .size:           2
        .value_kind:     hidden_group_size_y
      - .offset:         144
        .size:           2
        .value_kind:     hidden_group_size_z
      - .offset:         146
        .size:           2
        .value_kind:     hidden_remainder_x
      - .offset:         148
        .size:           2
        .value_kind:     hidden_remainder_y
      - .offset:         150
        .size:           2
        .value_kind:     hidden_remainder_z
      - .offset:         168
        .size:           8
        .value_kind:     hidden_global_offset_x
      - .offset:         176
        .size:           8
        .value_kind:     hidden_global_offset_y
      - .offset:         184
        .size:           8
        .value_kind:     hidden_global_offset_z
      - .offset:         192
        .size:           2
        .value_kind:     hidden_grid_dims
      - .offset:         248
        .size:           4
        .value_kind:     hidden_dynamic_lds_size
    .group_segment_fixed_size: 208
    .kernarg_segment_align: 8
    .kernarg_segment_size: 384
    .language:       OpenCL C
    .language_version:
      - 2
      - 0
    .max_flat_workgroup_size: 1024
    .name:           _ZN4vllm25paged_attention_v1_kernelIttLi96ELi16ELi128ELNS_18Fp8KVCacheDataTypeE0ELb1EEEvPT_PKS2_PKT0_S8_ifPKiSA_iPKfiiiSC_SC_iiiii
    .private_segment_fixed_size: 0
    .sgpr_count:     50
    .sgpr_spill_count: 0
    .symbol:         _ZN4vllm25paged_attention_v1_kernelIttLi96ELi16ELi128ELNS_18Fp8KVCacheDataTypeE0ELb1EEEvPT_PKS2_PKT0_S8_ifPKiSA_iPKfiiiSC_SC_iiiii.kd
    .uniform_work_group_size: 1
    .uses_dynamic_stack: false
    .vgpr_count:     61
    .vgpr_spill_count: 0
    .wavefront_size: 64
  - .agpr_count:     0
    .args:
      - .actual_access:  write_only
        .address_space:  global
        .offset:         0
        .size:           8
        .value_kind:     global_buffer
      - .actual_access:  read_only
        .address_space:  global
        .offset:         8
        .size:           8
        .value_kind:     global_buffer
      - .actual_access:  read_only
        .address_space:  global
        .offset:         16
        .size:           8
        .value_kind:     global_buffer
      - .actual_access:  read_only
        .address_space:  global
        .offset:         24
        .size:           8
        .value_kind:     global_buffer
      - .offset:         32
        .size:           4
        .value_kind:     by_value
      - .offset:         36
        .size:           4
        .value_kind:     by_value
      - .actual_access:  read_only
        .address_space:  global
        .offset:         40
        .size:           8
        .value_kind:     global_buffer
      - .actual_access:  read_only
        .address_space:  global
        .offset:         48
        .size:           8
        .value_kind:     global_buffer
      - .offset:         56
        .size:           4
        .value_kind:     by_value
      - .actual_access:  read_only
        .address_space:  global
        .offset:         64
        .size:           8
        .value_kind:     global_buffer
      - .offset:         72
        .size:           4
        .value_kind:     by_value
      - .offset:         76
        .size:           4
        .value_kind:     by_value
      - .offset:         80
        .size:           4
        .value_kind:     by_value
      - .address_space:  global
        .offset:         88
        .size:           8
        .value_kind:     global_buffer
      - .address_space:  global
        .offset:         96
        .size:           8
        .value_kind:     global_buffer
      - .offset:         104
        .size:           4
        .value_kind:     by_value
      - .offset:         108
        .size:           4
        .value_kind:     by_value
      - .offset:         112
        .size:           4
        .value_kind:     by_value
      - .offset:         116
        .size:           4
        .value_kind:     by_value
      - .offset:         120
        .size:           4
        .value_kind:     by_value
      - .offset:         128
        .size:           4
        .value_kind:     hidden_block_count_x
      - .offset:         132
        .size:           4
        .value_kind:     hidden_block_count_y
      - .offset:         136
        .size:           4
        .value_kind:     hidden_block_count_z
      - .offset:         140
        .size:           2
        .value_kind:     hidden_group_size_x
      - .offset:         142
        .size:           2
        .value_kind:     hidden_group_size_y
      - .offset:         144
        .size:           2
        .value_kind:     hidden_group_size_z
      - .offset:         146
        .size:           2
        .value_kind:     hidden_remainder_x
      - .offset:         148
        .size:           2
        .value_kind:     hidden_remainder_y
      - .offset:         150
        .size:           2
        .value_kind:     hidden_remainder_z
      - .offset:         168
        .size:           8
        .value_kind:     hidden_global_offset_x
      - .offset:         176
        .size:           8
        .value_kind:     hidden_global_offset_y
      - .offset:         184
        .size:           8
        .value_kind:     hidden_global_offset_z
      - .offset:         192
        .size:           2
        .value_kind:     hidden_grid_dims
      - .offset:         248
        .size:           4
        .value_kind:     hidden_dynamic_lds_size
    .group_segment_fixed_size: 240
    .kernarg_segment_align: 8
    .kernarg_segment_size: 384
    .language:       OpenCL C
    .language_version:
      - 2
      - 0
    .max_flat_workgroup_size: 1024
    .name:           _ZN4vllm25paged_attention_v1_kernelIttLi112ELi16ELi128ELNS_18Fp8KVCacheDataTypeE0ELb1EEEvPT_PKS2_PKT0_S8_ifPKiSA_iPKfiiiSC_SC_iiiii
    .private_segment_fixed_size: 0
    .sgpr_count:     51
    .sgpr_spill_count: 0
    .symbol:         _ZN4vllm25paged_attention_v1_kernelIttLi112ELi16ELi128ELNS_18Fp8KVCacheDataTypeE0ELb1EEEvPT_PKS2_PKT0_S8_ifPKiSA_iPKfiiiSC_SC_iiiii.kd
    .uniform_work_group_size: 1
    .uses_dynamic_stack: false
    .vgpr_count:     67
    .vgpr_spill_count: 0
    .wavefront_size: 64
  - .agpr_count:     0
    .args:
      - .actual_access:  write_only
        .address_space:  global
        .offset:         0
        .size:           8
        .value_kind:     global_buffer
      - .actual_access:  read_only
        .address_space:  global
        .offset:         8
        .size:           8
        .value_kind:     global_buffer
      - .actual_access:  read_only
        .address_space:  global
        .offset:         16
        .size:           8
        .value_kind:     global_buffer
      - .actual_access:  read_only
        .address_space:  global
        .offset:         24
        .size:           8
        .value_kind:     global_buffer
      - .offset:         32
        .size:           4
        .value_kind:     by_value
      - .offset:         36
        .size:           4
        .value_kind:     by_value
      - .actual_access:  read_only
        .address_space:  global
        .offset:         40
        .size:           8
        .value_kind:     global_buffer
      - .actual_access:  read_only
        .address_space:  global
        .offset:         48
        .size:           8
        .value_kind:     global_buffer
      - .offset:         56
        .size:           4
        .value_kind:     by_value
      - .actual_access:  read_only
        .address_space:  global
        .offset:         64
        .size:           8
        .value_kind:     global_buffer
      - .offset:         72
        .size:           4
        .value_kind:     by_value
      - .offset:         76
        .size:           4
        .value_kind:     by_value
      - .offset:         80
        .size:           4
        .value_kind:     by_value
      - .address_space:  global
        .offset:         88
        .size:           8
        .value_kind:     global_buffer
      - .address_space:  global
        .offset:         96
        .size:           8
        .value_kind:     global_buffer
      - .offset:         104
        .size:           4
        .value_kind:     by_value
      - .offset:         108
        .size:           4
        .value_kind:     by_value
      - .offset:         112
        .size:           4
        .value_kind:     by_value
      - .offset:         116
        .size:           4
        .value_kind:     by_value
      - .offset:         120
        .size:           4
        .value_kind:     by_value
      - .offset:         128
        .size:           4
        .value_kind:     hidden_block_count_x
      - .offset:         132
        .size:           4
        .value_kind:     hidden_block_count_y
      - .offset:         136
        .size:           4
        .value_kind:     hidden_block_count_z
      - .offset:         140
        .size:           2
        .value_kind:     hidden_group_size_x
      - .offset:         142
        .size:           2
        .value_kind:     hidden_group_size_y
      - .offset:         144
        .size:           2
        .value_kind:     hidden_group_size_z
      - .offset:         146
        .size:           2
        .value_kind:     hidden_remainder_x
      - .offset:         148
        .size:           2
        .value_kind:     hidden_remainder_y
      - .offset:         150
        .size:           2
        .value_kind:     hidden_remainder_z
      - .offset:         168
        .size:           8
        .value_kind:     hidden_global_offset_x
      - .offset:         176
        .size:           8
        .value_kind:     hidden_global_offset_y
      - .offset:         184
        .size:           8
        .value_kind:     hidden_global_offset_z
      - .offset:         192
        .size:           2
        .value_kind:     hidden_grid_dims
      - .offset:         248
        .size:           4
        .value_kind:     hidden_dynamic_lds_size
    .group_segment_fixed_size: 256
    .kernarg_segment_align: 8
    .kernarg_segment_size: 384
    .language:       OpenCL C
    .language_version:
      - 2
      - 0
    .max_flat_workgroup_size: 1024
    .name:           _ZN4vllm25paged_attention_v1_kernelIttLi120ELi16ELi128ELNS_18Fp8KVCacheDataTypeE0ELb1EEEvPT_PKS2_PKT0_S8_ifPKiSA_iPKfiiiSC_SC_iiiii
    .private_segment_fixed_size: 0
    .sgpr_count:     51
    .sgpr_spill_count: 0
    .symbol:         _ZN4vllm25paged_attention_v1_kernelIttLi120ELi16ELi128ELNS_18Fp8KVCacheDataTypeE0ELb1EEEvPT_PKS2_PKT0_S8_ifPKiSA_iPKfiiiSC_SC_iiiii.kd
    .uniform_work_group_size: 1
    .uses_dynamic_stack: false
    .vgpr_count:     70
    .vgpr_spill_count: 0
    .wavefront_size: 64
  - .agpr_count:     0
    .args:
      - .actual_access:  write_only
        .address_space:  global
        .offset:         0
        .size:           8
        .value_kind:     global_buffer
      - .actual_access:  read_only
        .address_space:  global
        .offset:         8
        .size:           8
        .value_kind:     global_buffer
      - .actual_access:  read_only
        .address_space:  global
        .offset:         16
        .size:           8
        .value_kind:     global_buffer
      - .actual_access:  read_only
        .address_space:  global
        .offset:         24
        .size:           8
        .value_kind:     global_buffer
      - .offset:         32
        .size:           4
        .value_kind:     by_value
      - .offset:         36
        .size:           4
        .value_kind:     by_value
      - .actual_access:  read_only
        .address_space:  global
        .offset:         40
        .size:           8
        .value_kind:     global_buffer
      - .actual_access:  read_only
        .address_space:  global
        .offset:         48
        .size:           8
        .value_kind:     global_buffer
      - .offset:         56
        .size:           4
        .value_kind:     by_value
      - .actual_access:  read_only
        .address_space:  global
        .offset:         64
        .size:           8
        .value_kind:     global_buffer
      - .offset:         72
        .size:           4
        .value_kind:     by_value
      - .offset:         76
        .size:           4
        .value_kind:     by_value
      - .offset:         80
        .size:           4
        .value_kind:     by_value
      - .address_space:  global
        .offset:         88
        .size:           8
        .value_kind:     global_buffer
      - .address_space:  global
        .offset:         96
        .size:           8
        .value_kind:     global_buffer
      - .offset:         104
        .size:           4
        .value_kind:     by_value
      - .offset:         108
        .size:           4
        .value_kind:     by_value
      - .offset:         112
        .size:           4
        .value_kind:     by_value
      - .offset:         116
        .size:           4
        .value_kind:     by_value
      - .offset:         120
        .size:           4
        .value_kind:     by_value
      - .offset:         128
        .size:           4
        .value_kind:     hidden_block_count_x
      - .offset:         132
        .size:           4
        .value_kind:     hidden_block_count_y
      - .offset:         136
        .size:           4
        .value_kind:     hidden_block_count_z
      - .offset:         140
        .size:           2
        .value_kind:     hidden_group_size_x
      - .offset:         142
        .size:           2
        .value_kind:     hidden_group_size_y
      - .offset:         144
        .size:           2
        .value_kind:     hidden_group_size_z
      - .offset:         146
        .size:           2
        .value_kind:     hidden_remainder_x
      - .offset:         148
        .size:           2
        .value_kind:     hidden_remainder_y
      - .offset:         150
        .size:           2
        .value_kind:     hidden_remainder_z
      - .offset:         168
        .size:           8
        .value_kind:     hidden_global_offset_x
      - .offset:         176
        .size:           8
        .value_kind:     hidden_global_offset_y
      - .offset:         184
        .size:           8
        .value_kind:     hidden_global_offset_z
      - .offset:         192
        .size:           2
        .value_kind:     hidden_grid_dims
      - .offset:         248
        .size:           4
        .value_kind:     hidden_dynamic_lds_size
    .group_segment_fixed_size: 272
    .kernarg_segment_align: 8
    .kernarg_segment_size: 384
    .language:       OpenCL C
    .language_version:
      - 2
      - 0
    .max_flat_workgroup_size: 1024
    .name:           _ZN4vllm25paged_attention_v1_kernelIttLi128ELi16ELi128ELNS_18Fp8KVCacheDataTypeE0ELb1EEEvPT_PKS2_PKT0_S8_ifPKiSA_iPKfiiiSC_SC_iiiii
    .private_segment_fixed_size: 0
    .sgpr_count:     52
    .sgpr_spill_count: 0
    .symbol:         _ZN4vllm25paged_attention_v1_kernelIttLi128ELi16ELi128ELNS_18Fp8KVCacheDataTypeE0ELb1EEEvPT_PKS2_PKT0_S8_ifPKiSA_iPKfiiiSC_SC_iiiii.kd
    .uniform_work_group_size: 1
    .uses_dynamic_stack: false
    .vgpr_count:     72
    .vgpr_spill_count: 0
    .wavefront_size: 64
  - .agpr_count:     0
    .args:
      - .actual_access:  write_only
        .address_space:  global
        .offset:         0
        .size:           8
        .value_kind:     global_buffer
      - .actual_access:  read_only
        .address_space:  global
        .offset:         8
        .size:           8
        .value_kind:     global_buffer
      - .actual_access:  read_only
        .address_space:  global
        .offset:         16
        .size:           8
        .value_kind:     global_buffer
      - .actual_access:  read_only
        .address_space:  global
        .offset:         24
        .size:           8
        .value_kind:     global_buffer
      - .offset:         32
        .size:           4
        .value_kind:     by_value
      - .offset:         36
        .size:           4
        .value_kind:     by_value
      - .actual_access:  read_only
        .address_space:  global
        .offset:         40
        .size:           8
        .value_kind:     global_buffer
      - .actual_access:  read_only
        .address_space:  global
        .offset:         48
        .size:           8
        .value_kind:     global_buffer
      - .offset:         56
        .size:           4
        .value_kind:     by_value
      - .actual_access:  read_only
        .address_space:  global
        .offset:         64
        .size:           8
        .value_kind:     global_buffer
      - .offset:         72
        .size:           4
        .value_kind:     by_value
      - .offset:         76
        .size:           4
        .value_kind:     by_value
      - .offset:         80
        .size:           4
        .value_kind:     by_value
      - .address_space:  global
        .offset:         88
        .size:           8
        .value_kind:     global_buffer
      - .address_space:  global
        .offset:         96
        .size:           8
        .value_kind:     global_buffer
      - .offset:         104
        .size:           4
        .value_kind:     by_value
      - .offset:         108
        .size:           4
        .value_kind:     by_value
      - .offset:         112
        .size:           4
        .value_kind:     by_value
      - .offset:         116
        .size:           4
        .value_kind:     by_value
      - .offset:         120
        .size:           4
        .value_kind:     by_value
      - .offset:         128
        .size:           4
        .value_kind:     hidden_block_count_x
      - .offset:         132
        .size:           4
        .value_kind:     hidden_block_count_y
      - .offset:         136
        .size:           4
        .value_kind:     hidden_block_count_z
      - .offset:         140
        .size:           2
        .value_kind:     hidden_group_size_x
      - .offset:         142
        .size:           2
        .value_kind:     hidden_group_size_y
      - .offset:         144
        .size:           2
        .value_kind:     hidden_group_size_z
      - .offset:         146
        .size:           2
        .value_kind:     hidden_remainder_x
      - .offset:         148
        .size:           2
        .value_kind:     hidden_remainder_y
      - .offset:         150
        .size:           2
        .value_kind:     hidden_remainder_z
      - .offset:         168
        .size:           8
        .value_kind:     hidden_global_offset_x
      - .offset:         176
        .size:           8
        .value_kind:     hidden_global_offset_y
      - .offset:         184
        .size:           8
        .value_kind:     hidden_global_offset_z
      - .offset:         192
        .size:           2
        .value_kind:     hidden_grid_dims
      - .offset:         248
        .size:           4
        .value_kind:     hidden_dynamic_lds_size
    .group_segment_fixed_size: 400
    .kernarg_segment_align: 8
    .kernarg_segment_size: 384
    .language:       OpenCL C
    .language_version:
      - 2
      - 0
    .max_flat_workgroup_size: 1024
    .name:           _ZN4vllm25paged_attention_v1_kernelIttLi192ELi16ELi128ELNS_18Fp8KVCacheDataTypeE0ELb1EEEvPT_PKS2_PKT0_S8_ifPKiSA_iPKfiiiSC_SC_iiiii
    .private_segment_fixed_size: 0
    .sgpr_count:     51
    .sgpr_spill_count: 0
    .symbol:         _ZN4vllm25paged_attention_v1_kernelIttLi192ELi16ELi128ELNS_18Fp8KVCacheDataTypeE0ELb1EEEvPT_PKS2_PKT0_S8_ifPKiSA_iPKfiiiSC_SC_iiiii.kd
    .uniform_work_group_size: 1
    .uses_dynamic_stack: false
    .vgpr_count:     91
    .vgpr_spill_count: 0
    .wavefront_size: 64
  - .agpr_count:     0
    .args:
      - .actual_access:  write_only
        .address_space:  global
        .offset:         0
        .size:           8
        .value_kind:     global_buffer
      - .actual_access:  read_only
        .address_space:  global
        .offset:         8
        .size:           8
        .value_kind:     global_buffer
      - .actual_access:  read_only
        .address_space:  global
        .offset:         16
        .size:           8
        .value_kind:     global_buffer
      - .actual_access:  read_only
        .address_space:  global
        .offset:         24
        .size:           8
        .value_kind:     global_buffer
      - .offset:         32
        .size:           4
        .value_kind:     by_value
      - .offset:         36
        .size:           4
        .value_kind:     by_value
      - .actual_access:  read_only
        .address_space:  global
        .offset:         40
        .size:           8
        .value_kind:     global_buffer
      - .actual_access:  read_only
        .address_space:  global
        .offset:         48
        .size:           8
        .value_kind:     global_buffer
      - .offset:         56
        .size:           4
        .value_kind:     by_value
      - .actual_access:  read_only
        .address_space:  global
        .offset:         64
        .size:           8
        .value_kind:     global_buffer
      - .offset:         72
        .size:           4
        .value_kind:     by_value
      - .offset:         76
        .size:           4
        .value_kind:     by_value
      - .offset:         80
        .size:           4
        .value_kind:     by_value
      - .address_space:  global
        .offset:         88
        .size:           8
        .value_kind:     global_buffer
      - .address_space:  global
        .offset:         96
        .size:           8
        .value_kind:     global_buffer
      - .offset:         104
        .size:           4
        .value_kind:     by_value
      - .offset:         108
        .size:           4
        .value_kind:     by_value
      - .offset:         112
        .size:           4
        .value_kind:     by_value
      - .offset:         116
        .size:           4
        .value_kind:     by_value
      - .offset:         120
        .size:           4
        .value_kind:     by_value
      - .offset:         128
        .size:           4
        .value_kind:     hidden_block_count_x
      - .offset:         132
        .size:           4
        .value_kind:     hidden_block_count_y
      - .offset:         136
        .size:           4
        .value_kind:     hidden_block_count_z
      - .offset:         140
        .size:           2
        .value_kind:     hidden_group_size_x
      - .offset:         142
        .size:           2
        .value_kind:     hidden_group_size_y
      - .offset:         144
        .size:           2
        .value_kind:     hidden_group_size_z
      - .offset:         146
        .size:           2
        .value_kind:     hidden_remainder_x
      - .offset:         148
        .size:           2
        .value_kind:     hidden_remainder_y
      - .offset:         150
        .size:           2
        .value_kind:     hidden_remainder_z
      - .offset:         168
        .size:           8
        .value_kind:     hidden_global_offset_x
      - .offset:         176
        .size:           8
        .value_kind:     hidden_global_offset_y
      - .offset:         184
        .size:           8
        .value_kind:     hidden_global_offset_z
      - .offset:         192
        .size:           2
        .value_kind:     hidden_grid_dims
      - .offset:         248
        .size:           4
        .value_kind:     hidden_dynamic_lds_size
    .group_segment_fixed_size: 528
    .kernarg_segment_align: 8
    .kernarg_segment_size: 384
    .language:       OpenCL C
    .language_version:
      - 2
      - 0
    .max_flat_workgroup_size: 1024
    .name:           _ZN4vllm25paged_attention_v1_kernelIttLi256ELi16ELi128ELNS_18Fp8KVCacheDataTypeE0ELb1EEEvPT_PKS2_PKT0_S8_ifPKiSA_iPKfiiiSC_SC_iiiii
    .private_segment_fixed_size: 0
    .sgpr_count:     51
    .sgpr_spill_count: 0
    .symbol:         _ZN4vllm25paged_attention_v1_kernelIttLi256ELi16ELi128ELNS_18Fp8KVCacheDataTypeE0ELb1EEEvPT_PKS2_PKT0_S8_ifPKiSA_iPKfiiiSC_SC_iiiii.kd
    .uniform_work_group_size: 1
    .uses_dynamic_stack: false
    .vgpr_count:     92
    .vgpr_spill_count: 0
    .wavefront_size: 64
  - .agpr_count:     0
    .args:
      - .actual_access:  write_only
        .address_space:  global
        .offset:         0
        .size:           8
        .value_kind:     global_buffer
      - .actual_access:  read_only
        .address_space:  global
        .offset:         8
        .size:           8
        .value_kind:     global_buffer
      - .actual_access:  read_only
        .address_space:  global
        .offset:         16
        .size:           8
        .value_kind:     global_buffer
      - .actual_access:  read_only
        .address_space:  global
        .offset:         24
        .size:           8
        .value_kind:     global_buffer
      - .offset:         32
        .size:           4
        .value_kind:     by_value
      - .offset:         36
        .size:           4
        .value_kind:     by_value
      - .actual_access:  read_only
        .address_space:  global
        .offset:         40
        .size:           8
        .value_kind:     global_buffer
      - .actual_access:  read_only
        .address_space:  global
        .offset:         48
        .size:           8
        .value_kind:     global_buffer
      - .offset:         56
        .size:           4
        .value_kind:     by_value
      - .actual_access:  read_only
        .address_space:  global
        .offset:         64
        .size:           8
        .value_kind:     global_buffer
      - .offset:         72
        .size:           4
        .value_kind:     by_value
      - .offset:         76
        .size:           4
        .value_kind:     by_value
      - .offset:         80
        .size:           4
        .value_kind:     by_value
      - .address_space:  global
        .offset:         88
        .size:           8
        .value_kind:     global_buffer
      - .address_space:  global
        .offset:         96
        .size:           8
        .value_kind:     global_buffer
      - .offset:         104
        .size:           4
        .value_kind:     by_value
      - .offset:         108
        .size:           4
        .value_kind:     by_value
      - .offset:         112
        .size:           4
        .value_kind:     by_value
      - .offset:         116
        .size:           4
        .value_kind:     by_value
      - .offset:         120
        .size:           4
        .value_kind:     by_value
      - .offset:         128
        .size:           4
        .value_kind:     hidden_block_count_x
      - .offset:         132
        .size:           4
        .value_kind:     hidden_block_count_y
      - .offset:         136
        .size:           4
        .value_kind:     hidden_block_count_z
      - .offset:         140
        .size:           2
        .value_kind:     hidden_group_size_x
      - .offset:         142
        .size:           2
        .value_kind:     hidden_group_size_y
      - .offset:         144
        .size:           2
        .value_kind:     hidden_group_size_z
      - .offset:         146
        .size:           2
        .value_kind:     hidden_remainder_x
      - .offset:         148
        .size:           2
        .value_kind:     hidden_remainder_y
      - .offset:         150
        .size:           2
        .value_kind:     hidden_remainder_z
      - .offset:         168
        .size:           8
        .value_kind:     hidden_global_offset_x
      - .offset:         176
        .size:           8
        .value_kind:     hidden_global_offset_y
      - .offset:         184
        .size:           8
        .value_kind:     hidden_global_offset_z
      - .offset:         192
        .size:           2
        .value_kind:     hidden_grid_dims
      - .offset:         248
        .size:           4
        .value_kind:     hidden_dynamic_lds_size
    .group_segment_fixed_size: 80
    .kernarg_segment_align: 8
    .kernarg_segment_size: 384
    .language:       OpenCL C
    .language_version:
      - 2
      - 0
    .max_flat_workgroup_size: 1024
    .name:           _ZN4vllm25paged_attention_v1_kernelIttLi32ELi16ELi128ELNS_18Fp8KVCacheDataTypeE0ELb0EEEvPT_PKS2_PKT0_S8_ifPKiSA_iPKfiiiSC_SC_iiiii
    .private_segment_fixed_size: 0
    .sgpr_count:     40
    .sgpr_spill_count: 0
    .symbol:         _ZN4vllm25paged_attention_v1_kernelIttLi32ELi16ELi128ELNS_18Fp8KVCacheDataTypeE0ELb0EEEvPT_PKS2_PKT0_S8_ifPKiSA_iPKfiiiSC_SC_iiiii.kd
    .uniform_work_group_size: 1
    .uses_dynamic_stack: false
    .vgpr_count:     32
    .vgpr_spill_count: 0
    .wavefront_size: 64
  - .agpr_count:     0
    .args:
      - .actual_access:  write_only
        .address_space:  global
        .offset:         0
        .size:           8
        .value_kind:     global_buffer
      - .actual_access:  read_only
        .address_space:  global
        .offset:         8
        .size:           8
        .value_kind:     global_buffer
      - .actual_access:  read_only
        .address_space:  global
        .offset:         16
        .size:           8
        .value_kind:     global_buffer
      - .actual_access:  read_only
        .address_space:  global
        .offset:         24
        .size:           8
        .value_kind:     global_buffer
      - .offset:         32
        .size:           4
        .value_kind:     by_value
      - .offset:         36
        .size:           4
        .value_kind:     by_value
      - .actual_access:  read_only
        .address_space:  global
        .offset:         40
        .size:           8
        .value_kind:     global_buffer
      - .actual_access:  read_only
        .address_space:  global
        .offset:         48
        .size:           8
        .value_kind:     global_buffer
      - .offset:         56
        .size:           4
        .value_kind:     by_value
      - .actual_access:  read_only
        .address_space:  global
        .offset:         64
        .size:           8
        .value_kind:     global_buffer
      - .offset:         72
        .size:           4
        .value_kind:     by_value
      - .offset:         76
        .size:           4
        .value_kind:     by_value
      - .offset:         80
        .size:           4
        .value_kind:     by_value
      - .address_space:  global
        .offset:         88
        .size:           8
        .value_kind:     global_buffer
      - .address_space:  global
        .offset:         96
        .size:           8
        .value_kind:     global_buffer
      - .offset:         104
        .size:           4
        .value_kind:     by_value
      - .offset:         108
        .size:           4
        .value_kind:     by_value
      - .offset:         112
        .size:           4
        .value_kind:     by_value
      - .offset:         116
        .size:           4
        .value_kind:     by_value
      - .offset:         120
        .size:           4
        .value_kind:     by_value
      - .offset:         128
        .size:           4
        .value_kind:     hidden_block_count_x
      - .offset:         132
        .size:           4
        .value_kind:     hidden_block_count_y
      - .offset:         136
        .size:           4
        .value_kind:     hidden_block_count_z
      - .offset:         140
        .size:           2
        .value_kind:     hidden_group_size_x
      - .offset:         142
        .size:           2
        .value_kind:     hidden_group_size_y
      - .offset:         144
        .size:           2
        .value_kind:     hidden_group_size_z
      - .offset:         146
        .size:           2
        .value_kind:     hidden_remainder_x
      - .offset:         148
        .size:           2
        .value_kind:     hidden_remainder_y
      - .offset:         150
        .size:           2
        .value_kind:     hidden_remainder_z
      - .offset:         168
        .size:           8
        .value_kind:     hidden_global_offset_x
      - .offset:         176
        .size:           8
        .value_kind:     hidden_global_offset_y
      - .offset:         184
        .size:           8
        .value_kind:     hidden_global_offset_z
      - .offset:         192
        .size:           2
        .value_kind:     hidden_grid_dims
      - .offset:         248
        .size:           4
        .value_kind:     hidden_dynamic_lds_size
    .group_segment_fixed_size: 144
    .kernarg_segment_align: 8
    .kernarg_segment_size: 384
    .language:       OpenCL C
    .language_version:
      - 2
      - 0
    .max_flat_workgroup_size: 1024
    .name:           _ZN4vllm25paged_attention_v1_kernelIttLi64ELi16ELi128ELNS_18Fp8KVCacheDataTypeE0ELb0EEEvPT_PKS2_PKT0_S8_ifPKiSA_iPKfiiiSC_SC_iiiii
    .private_segment_fixed_size: 0
    .sgpr_count:     40
    .sgpr_spill_count: 0
    .symbol:         _ZN4vllm25paged_attention_v1_kernelIttLi64ELi16ELi128ELNS_18Fp8KVCacheDataTypeE0ELb0EEEvPT_PKS2_PKT0_S8_ifPKiSA_iPKfiiiSC_SC_iiiii.kd
    .uniform_work_group_size: 1
    .uses_dynamic_stack: false
    .vgpr_count:     44
    .vgpr_spill_count: 0
    .wavefront_size: 64
  - .agpr_count:     0
    .args:
      - .actual_access:  write_only
        .address_space:  global
        .offset:         0
        .size:           8
        .value_kind:     global_buffer
      - .actual_access:  read_only
        .address_space:  global
        .offset:         8
        .size:           8
        .value_kind:     global_buffer
      - .actual_access:  read_only
        .address_space:  global
        .offset:         16
        .size:           8
        .value_kind:     global_buffer
      - .actual_access:  read_only
        .address_space:  global
        .offset:         24
        .size:           8
        .value_kind:     global_buffer
      - .offset:         32
        .size:           4
        .value_kind:     by_value
      - .offset:         36
        .size:           4
        .value_kind:     by_value
      - .actual_access:  read_only
        .address_space:  global
        .offset:         40
        .size:           8
        .value_kind:     global_buffer
      - .actual_access:  read_only
        .address_space:  global
        .offset:         48
        .size:           8
        .value_kind:     global_buffer
      - .offset:         56
        .size:           4
        .value_kind:     by_value
      - .actual_access:  read_only
        .address_space:  global
        .offset:         64
        .size:           8
        .value_kind:     global_buffer
      - .offset:         72
        .size:           4
        .value_kind:     by_value
      - .offset:         76
        .size:           4
        .value_kind:     by_value
      - .offset:         80
        .size:           4
        .value_kind:     by_value
      - .address_space:  global
        .offset:         88
        .size:           8
        .value_kind:     global_buffer
      - .address_space:  global
        .offset:         96
        .size:           8
        .value_kind:     global_buffer
      - .offset:         104
        .size:           4
        .value_kind:     by_value
      - .offset:         108
        .size:           4
        .value_kind:     by_value
      - .offset:         112
        .size:           4
        .value_kind:     by_value
      - .offset:         116
        .size:           4
        .value_kind:     by_value
      - .offset:         120
        .size:           4
        .value_kind:     by_value
      - .offset:         128
        .size:           4
        .value_kind:     hidden_block_count_x
      - .offset:         132
        .size:           4
        .value_kind:     hidden_block_count_y
      - .offset:         136
        .size:           4
        .value_kind:     hidden_block_count_z
      - .offset:         140
        .size:           2
        .value_kind:     hidden_group_size_x
      - .offset:         142
        .size:           2
        .value_kind:     hidden_group_size_y
      - .offset:         144
        .size:           2
        .value_kind:     hidden_group_size_z
      - .offset:         146
        .size:           2
        .value_kind:     hidden_remainder_x
      - .offset:         148
        .size:           2
        .value_kind:     hidden_remainder_y
      - .offset:         150
        .size:           2
        .value_kind:     hidden_remainder_z
      - .offset:         168
        .size:           8
        .value_kind:     hidden_global_offset_x
      - .offset:         176
        .size:           8
        .value_kind:     hidden_global_offset_y
      - .offset:         184
        .size:           8
        .value_kind:     hidden_global_offset_z
      - .offset:         192
        .size:           2
        .value_kind:     hidden_grid_dims
      - .offset:         248
        .size:           4
        .value_kind:     hidden_dynamic_lds_size
    .group_segment_fixed_size: 176
    .kernarg_segment_align: 8
    .kernarg_segment_size: 384
    .language:       OpenCL C
    .language_version:
      - 2
      - 0
    .max_flat_workgroup_size: 1024
    .name:           _ZN4vllm25paged_attention_v1_kernelIttLi80ELi16ELi128ELNS_18Fp8KVCacheDataTypeE0ELb0EEEvPT_PKS2_PKT0_S8_ifPKiSA_iPKfiiiSC_SC_iiiii
    .private_segment_fixed_size: 0
    .sgpr_count:     40
    .sgpr_spill_count: 0
    .symbol:         _ZN4vllm25paged_attention_v1_kernelIttLi80ELi16ELi128ELNS_18Fp8KVCacheDataTypeE0ELb0EEEvPT_PKS2_PKT0_S8_ifPKiSA_iPKfiiiSC_SC_iiiii.kd
    .uniform_work_group_size: 1
    .uses_dynamic_stack: false
    .vgpr_count:     50
    .vgpr_spill_count: 0
    .wavefront_size: 64
  - .agpr_count:     0
    .args:
      - .actual_access:  write_only
        .address_space:  global
        .offset:         0
        .size:           8
        .value_kind:     global_buffer
      - .actual_access:  read_only
        .address_space:  global
        .offset:         8
        .size:           8
        .value_kind:     global_buffer
      - .actual_access:  read_only
        .address_space:  global
        .offset:         16
        .size:           8
        .value_kind:     global_buffer
      - .actual_access:  read_only
        .address_space:  global
        .offset:         24
        .size:           8
        .value_kind:     global_buffer
      - .offset:         32
        .size:           4
        .value_kind:     by_value
      - .offset:         36
        .size:           4
        .value_kind:     by_value
      - .actual_access:  read_only
        .address_space:  global
        .offset:         40
        .size:           8
        .value_kind:     global_buffer
      - .actual_access:  read_only
        .address_space:  global
        .offset:         48
        .size:           8
        .value_kind:     global_buffer
      - .offset:         56
        .size:           4
        .value_kind:     by_value
      - .actual_access:  read_only
        .address_space:  global
        .offset:         64
        .size:           8
        .value_kind:     global_buffer
      - .offset:         72
        .size:           4
        .value_kind:     by_value
      - .offset:         76
        .size:           4
        .value_kind:     by_value
      - .offset:         80
        .size:           4
        .value_kind:     by_value
      - .address_space:  global
        .offset:         88
        .size:           8
        .value_kind:     global_buffer
      - .address_space:  global
        .offset:         96
        .size:           8
        .value_kind:     global_buffer
      - .offset:         104
        .size:           4
        .value_kind:     by_value
      - .offset:         108
        .size:           4
        .value_kind:     by_value
      - .offset:         112
        .size:           4
        .value_kind:     by_value
      - .offset:         116
        .size:           4
        .value_kind:     by_value
      - .offset:         120
        .size:           4
        .value_kind:     by_value
      - .offset:         128
        .size:           4
        .value_kind:     hidden_block_count_x
      - .offset:         132
        .size:           4
        .value_kind:     hidden_block_count_y
      - .offset:         136
        .size:           4
        .value_kind:     hidden_block_count_z
      - .offset:         140
        .size:           2
        .value_kind:     hidden_group_size_x
      - .offset:         142
        .size:           2
        .value_kind:     hidden_group_size_y
      - .offset:         144
        .size:           2
        .value_kind:     hidden_group_size_z
      - .offset:         146
        .size:           2
        .value_kind:     hidden_remainder_x
      - .offset:         148
        .size:           2
        .value_kind:     hidden_remainder_y
      - .offset:         150
        .size:           2
        .value_kind:     hidden_remainder_z
      - .offset:         168
        .size:           8
        .value_kind:     hidden_global_offset_x
      - .offset:         176
        .size:           8
        .value_kind:     hidden_global_offset_y
      - .offset:         184
        .size:           8
        .value_kind:     hidden_global_offset_z
      - .offset:         192
        .size:           2
        .value_kind:     hidden_grid_dims
      - .offset:         248
        .size:           4
        .value_kind:     hidden_dynamic_lds_size
    .group_segment_fixed_size: 208
    .kernarg_segment_align: 8
    .kernarg_segment_size: 384
    .language:       OpenCL C
    .language_version:
      - 2
      - 0
    .max_flat_workgroup_size: 1024
    .name:           _ZN4vllm25paged_attention_v1_kernelIttLi96ELi16ELi128ELNS_18Fp8KVCacheDataTypeE0ELb0EEEvPT_PKS2_PKT0_S8_ifPKiSA_iPKfiiiSC_SC_iiiii
    .private_segment_fixed_size: 0
    .sgpr_count:     40
    .sgpr_spill_count: 0
    .symbol:         _ZN4vllm25paged_attention_v1_kernelIttLi96ELi16ELi128ELNS_18Fp8KVCacheDataTypeE0ELb0EEEvPT_PKS2_PKT0_S8_ifPKiSA_iPKfiiiSC_SC_iiiii.kd
    .uniform_work_group_size: 1
    .uses_dynamic_stack: false
    .vgpr_count:     56
    .vgpr_spill_count: 0
    .wavefront_size: 64
  - .agpr_count:     0
    .args:
      - .actual_access:  write_only
        .address_space:  global
        .offset:         0
        .size:           8
        .value_kind:     global_buffer
      - .actual_access:  read_only
        .address_space:  global
        .offset:         8
        .size:           8
        .value_kind:     global_buffer
      - .actual_access:  read_only
        .address_space:  global
        .offset:         16
        .size:           8
        .value_kind:     global_buffer
      - .actual_access:  read_only
        .address_space:  global
        .offset:         24
        .size:           8
        .value_kind:     global_buffer
      - .offset:         32
        .size:           4
        .value_kind:     by_value
      - .offset:         36
        .size:           4
        .value_kind:     by_value
      - .actual_access:  read_only
        .address_space:  global
        .offset:         40
        .size:           8
        .value_kind:     global_buffer
      - .actual_access:  read_only
        .address_space:  global
        .offset:         48
        .size:           8
        .value_kind:     global_buffer
      - .offset:         56
        .size:           4
        .value_kind:     by_value
      - .actual_access:  read_only
        .address_space:  global
        .offset:         64
        .size:           8
        .value_kind:     global_buffer
      - .offset:         72
        .size:           4
        .value_kind:     by_value
      - .offset:         76
        .size:           4
        .value_kind:     by_value
      - .offset:         80
        .size:           4
        .value_kind:     by_value
      - .address_space:  global
        .offset:         88
        .size:           8
        .value_kind:     global_buffer
      - .address_space:  global
        .offset:         96
        .size:           8
        .value_kind:     global_buffer
      - .offset:         104
        .size:           4
        .value_kind:     by_value
      - .offset:         108
        .size:           4
        .value_kind:     by_value
      - .offset:         112
        .size:           4
        .value_kind:     by_value
      - .offset:         116
        .size:           4
        .value_kind:     by_value
      - .offset:         120
        .size:           4
        .value_kind:     by_value
      - .offset:         128
        .size:           4
        .value_kind:     hidden_block_count_x
      - .offset:         132
        .size:           4
        .value_kind:     hidden_block_count_y
      - .offset:         136
        .size:           4
        .value_kind:     hidden_block_count_z
      - .offset:         140
        .size:           2
        .value_kind:     hidden_group_size_x
      - .offset:         142
        .size:           2
        .value_kind:     hidden_group_size_y
      - .offset:         144
        .size:           2
        .value_kind:     hidden_group_size_z
      - .offset:         146
        .size:           2
        .value_kind:     hidden_remainder_x
      - .offset:         148
        .size:           2
        .value_kind:     hidden_remainder_y
      - .offset:         150
        .size:           2
        .value_kind:     hidden_remainder_z
      - .offset:         168
        .size:           8
        .value_kind:     hidden_global_offset_x
      - .offset:         176
        .size:           8
        .value_kind:     hidden_global_offset_y
      - .offset:         184
        .size:           8
        .value_kind:     hidden_global_offset_z
      - .offset:         192
        .size:           2
        .value_kind:     hidden_grid_dims
      - .offset:         248
        .size:           4
        .value_kind:     hidden_dynamic_lds_size
    .group_segment_fixed_size: 240
    .kernarg_segment_align: 8
    .kernarg_segment_size: 384
    .language:       OpenCL C
    .language_version:
      - 2
      - 0
    .max_flat_workgroup_size: 1024
    .name:           _ZN4vllm25paged_attention_v1_kernelIttLi112ELi16ELi128ELNS_18Fp8KVCacheDataTypeE0ELb0EEEvPT_PKS2_PKT0_S8_ifPKiSA_iPKfiiiSC_SC_iiiii
    .private_segment_fixed_size: 0
    .sgpr_count:     40
    .sgpr_spill_count: 0
    .symbol:         _ZN4vllm25paged_attention_v1_kernelIttLi112ELi16ELi128ELNS_18Fp8KVCacheDataTypeE0ELb0EEEvPT_PKS2_PKT0_S8_ifPKiSA_iPKfiiiSC_SC_iiiii.kd
    .uniform_work_group_size: 1
    .uses_dynamic_stack: false
    .vgpr_count:     62
    .vgpr_spill_count: 0
    .wavefront_size: 64
  - .agpr_count:     0
    .args:
      - .actual_access:  write_only
        .address_space:  global
        .offset:         0
        .size:           8
        .value_kind:     global_buffer
      - .actual_access:  read_only
        .address_space:  global
        .offset:         8
        .size:           8
        .value_kind:     global_buffer
      - .actual_access:  read_only
        .address_space:  global
        .offset:         16
        .size:           8
        .value_kind:     global_buffer
      - .actual_access:  read_only
        .address_space:  global
        .offset:         24
        .size:           8
        .value_kind:     global_buffer
      - .offset:         32
        .size:           4
        .value_kind:     by_value
      - .offset:         36
        .size:           4
        .value_kind:     by_value
      - .actual_access:  read_only
        .address_space:  global
        .offset:         40
        .size:           8
        .value_kind:     global_buffer
      - .actual_access:  read_only
        .address_space:  global
        .offset:         48
        .size:           8
        .value_kind:     global_buffer
      - .offset:         56
        .size:           4
        .value_kind:     by_value
      - .actual_access:  read_only
        .address_space:  global
        .offset:         64
        .size:           8
        .value_kind:     global_buffer
      - .offset:         72
        .size:           4
        .value_kind:     by_value
      - .offset:         76
        .size:           4
        .value_kind:     by_value
      - .offset:         80
        .size:           4
        .value_kind:     by_value
      - .address_space:  global
        .offset:         88
        .size:           8
        .value_kind:     global_buffer
      - .address_space:  global
        .offset:         96
        .size:           8
        .value_kind:     global_buffer
      - .offset:         104
        .size:           4
        .value_kind:     by_value
      - .offset:         108
        .size:           4
        .value_kind:     by_value
      - .offset:         112
        .size:           4
        .value_kind:     by_value
      - .offset:         116
        .size:           4
        .value_kind:     by_value
      - .offset:         120
        .size:           4
        .value_kind:     by_value
      - .offset:         128
        .size:           4
        .value_kind:     hidden_block_count_x
      - .offset:         132
        .size:           4
        .value_kind:     hidden_block_count_y
      - .offset:         136
        .size:           4
        .value_kind:     hidden_block_count_z
      - .offset:         140
        .size:           2
        .value_kind:     hidden_group_size_x
      - .offset:         142
        .size:           2
        .value_kind:     hidden_group_size_y
      - .offset:         144
        .size:           2
        .value_kind:     hidden_group_size_z
      - .offset:         146
        .size:           2
        .value_kind:     hidden_remainder_x
      - .offset:         148
        .size:           2
        .value_kind:     hidden_remainder_y
      - .offset:         150
        .size:           2
        .value_kind:     hidden_remainder_z
      - .offset:         168
        .size:           8
        .value_kind:     hidden_global_offset_x
      - .offset:         176
        .size:           8
        .value_kind:     hidden_global_offset_y
      - .offset:         184
        .size:           8
        .value_kind:     hidden_global_offset_z
      - .offset:         192
        .size:           2
        .value_kind:     hidden_grid_dims
      - .offset:         248
        .size:           4
        .value_kind:     hidden_dynamic_lds_size
    .group_segment_fixed_size: 256
    .kernarg_segment_align: 8
    .kernarg_segment_size: 384
    .language:       OpenCL C
    .language_version:
      - 2
      - 0
    .max_flat_workgroup_size: 1024
    .name:           _ZN4vllm25paged_attention_v1_kernelIttLi120ELi16ELi128ELNS_18Fp8KVCacheDataTypeE0ELb0EEEvPT_PKS2_PKT0_S8_ifPKiSA_iPKfiiiSC_SC_iiiii
    .private_segment_fixed_size: 0
    .sgpr_count:     40
    .sgpr_spill_count: 0
    .symbol:         _ZN4vllm25paged_attention_v1_kernelIttLi120ELi16ELi128ELNS_18Fp8KVCacheDataTypeE0ELb0EEEvPT_PKS2_PKT0_S8_ifPKiSA_iPKfiiiSC_SC_iiiii.kd
    .uniform_work_group_size: 1
    .uses_dynamic_stack: false
    .vgpr_count:     65
    .vgpr_spill_count: 0
    .wavefront_size: 64
  - .agpr_count:     0
    .args:
      - .actual_access:  write_only
        .address_space:  global
        .offset:         0
        .size:           8
        .value_kind:     global_buffer
      - .actual_access:  read_only
        .address_space:  global
        .offset:         8
        .size:           8
        .value_kind:     global_buffer
      - .actual_access:  read_only
        .address_space:  global
        .offset:         16
        .size:           8
        .value_kind:     global_buffer
      - .actual_access:  read_only
        .address_space:  global
        .offset:         24
        .size:           8
        .value_kind:     global_buffer
      - .offset:         32
        .size:           4
        .value_kind:     by_value
      - .offset:         36
        .size:           4
        .value_kind:     by_value
      - .actual_access:  read_only
        .address_space:  global
        .offset:         40
        .size:           8
        .value_kind:     global_buffer
      - .actual_access:  read_only
        .address_space:  global
        .offset:         48
        .size:           8
        .value_kind:     global_buffer
      - .offset:         56
        .size:           4
        .value_kind:     by_value
      - .actual_access:  read_only
        .address_space:  global
        .offset:         64
        .size:           8
        .value_kind:     global_buffer
      - .offset:         72
        .size:           4
        .value_kind:     by_value
      - .offset:         76
        .size:           4
        .value_kind:     by_value
      - .offset:         80
        .size:           4
        .value_kind:     by_value
      - .address_space:  global
        .offset:         88
        .size:           8
        .value_kind:     global_buffer
      - .address_space:  global
        .offset:         96
        .size:           8
        .value_kind:     global_buffer
      - .offset:         104
        .size:           4
        .value_kind:     by_value
      - .offset:         108
        .size:           4
        .value_kind:     by_value
      - .offset:         112
        .size:           4
        .value_kind:     by_value
      - .offset:         116
        .size:           4
        .value_kind:     by_value
      - .offset:         120
        .size:           4
        .value_kind:     by_value
      - .offset:         128
        .size:           4
        .value_kind:     hidden_block_count_x
      - .offset:         132
        .size:           4
        .value_kind:     hidden_block_count_y
      - .offset:         136
        .size:           4
        .value_kind:     hidden_block_count_z
      - .offset:         140
        .size:           2
        .value_kind:     hidden_group_size_x
      - .offset:         142
        .size:           2
        .value_kind:     hidden_group_size_y
      - .offset:         144
        .size:           2
        .value_kind:     hidden_group_size_z
      - .offset:         146
        .size:           2
        .value_kind:     hidden_remainder_x
      - .offset:         148
        .size:           2
        .value_kind:     hidden_remainder_y
      - .offset:         150
        .size:           2
        .value_kind:     hidden_remainder_z
      - .offset:         168
        .size:           8
        .value_kind:     hidden_global_offset_x
      - .offset:         176
        .size:           8
        .value_kind:     hidden_global_offset_y
      - .offset:         184
        .size:           8
        .value_kind:     hidden_global_offset_z
      - .offset:         192
        .size:           2
        .value_kind:     hidden_grid_dims
      - .offset:         248
        .size:           4
        .value_kind:     hidden_dynamic_lds_size
    .group_segment_fixed_size: 272
    .kernarg_segment_align: 8
    .kernarg_segment_size: 384
    .language:       OpenCL C
    .language_version:
      - 2
      - 0
    .max_flat_workgroup_size: 1024
    .name:           _ZN4vllm25paged_attention_v1_kernelIttLi128ELi16ELi128ELNS_18Fp8KVCacheDataTypeE0ELb0EEEvPT_PKS2_PKT0_S8_ifPKiSA_iPKfiiiSC_SC_iiiii
    .private_segment_fixed_size: 0
    .sgpr_count:     42
    .sgpr_spill_count: 0
    .symbol:         _ZN4vllm25paged_attention_v1_kernelIttLi128ELi16ELi128ELNS_18Fp8KVCacheDataTypeE0ELb0EEEvPT_PKS2_PKT0_S8_ifPKiSA_iPKfiiiSC_SC_iiiii.kd
    .uniform_work_group_size: 1
    .uses_dynamic_stack: false
    .vgpr_count:     68
    .vgpr_spill_count: 0
    .wavefront_size: 64
  - .agpr_count:     0
    .args:
      - .actual_access:  write_only
        .address_space:  global
        .offset:         0
        .size:           8
        .value_kind:     global_buffer
      - .actual_access:  read_only
        .address_space:  global
        .offset:         8
        .size:           8
        .value_kind:     global_buffer
      - .actual_access:  read_only
        .address_space:  global
        .offset:         16
        .size:           8
        .value_kind:     global_buffer
      - .actual_access:  read_only
        .address_space:  global
        .offset:         24
        .size:           8
        .value_kind:     global_buffer
      - .offset:         32
        .size:           4
        .value_kind:     by_value
      - .offset:         36
        .size:           4
        .value_kind:     by_value
      - .actual_access:  read_only
        .address_space:  global
        .offset:         40
        .size:           8
        .value_kind:     global_buffer
      - .actual_access:  read_only
        .address_space:  global
        .offset:         48
        .size:           8
        .value_kind:     global_buffer
      - .offset:         56
        .size:           4
        .value_kind:     by_value
      - .actual_access:  read_only
        .address_space:  global
        .offset:         64
        .size:           8
        .value_kind:     global_buffer
      - .offset:         72
        .size:           4
        .value_kind:     by_value
      - .offset:         76
        .size:           4
        .value_kind:     by_value
      - .offset:         80
        .size:           4
        .value_kind:     by_value
      - .address_space:  global
        .offset:         88
        .size:           8
        .value_kind:     global_buffer
      - .address_space:  global
        .offset:         96
        .size:           8
        .value_kind:     global_buffer
      - .offset:         104
        .size:           4
        .value_kind:     by_value
      - .offset:         108
        .size:           4
        .value_kind:     by_value
      - .offset:         112
        .size:           4
        .value_kind:     by_value
      - .offset:         116
        .size:           4
        .value_kind:     by_value
      - .offset:         120
        .size:           4
        .value_kind:     by_value
      - .offset:         128
        .size:           4
        .value_kind:     hidden_block_count_x
      - .offset:         132
        .size:           4
        .value_kind:     hidden_block_count_y
      - .offset:         136
        .size:           4
        .value_kind:     hidden_block_count_z
      - .offset:         140
        .size:           2
        .value_kind:     hidden_group_size_x
      - .offset:         142
        .size:           2
        .value_kind:     hidden_group_size_y
      - .offset:         144
        .size:           2
        .value_kind:     hidden_group_size_z
      - .offset:         146
        .size:           2
        .value_kind:     hidden_remainder_x
      - .offset:         148
        .size:           2
        .value_kind:     hidden_remainder_y
      - .offset:         150
        .size:           2
        .value_kind:     hidden_remainder_z
      - .offset:         168
        .size:           8
        .value_kind:     hidden_global_offset_x
      - .offset:         176
        .size:           8
        .value_kind:     hidden_global_offset_y
      - .offset:         184
        .size:           8
        .value_kind:     hidden_global_offset_z
      - .offset:         192
        .size:           2
        .value_kind:     hidden_grid_dims
      - .offset:         248
        .size:           4
        .value_kind:     hidden_dynamic_lds_size
    .group_segment_fixed_size: 400
    .kernarg_segment_align: 8
    .kernarg_segment_size: 384
    .language:       OpenCL C
    .language_version:
      - 2
      - 0
    .max_flat_workgroup_size: 1024
    .name:           _ZN4vllm25paged_attention_v1_kernelIttLi192ELi16ELi128ELNS_18Fp8KVCacheDataTypeE0ELb0EEEvPT_PKS2_PKT0_S8_ifPKiSA_iPKfiiiSC_SC_iiiii
    .private_segment_fixed_size: 0
    .sgpr_count:     41
    .sgpr_spill_count: 0
    .symbol:         _ZN4vllm25paged_attention_v1_kernelIttLi192ELi16ELi128ELNS_18Fp8KVCacheDataTypeE0ELb0EEEvPT_PKS2_PKT0_S8_ifPKiSA_iPKfiiiSC_SC_iiiii.kd
    .uniform_work_group_size: 1
    .uses_dynamic_stack: false
    .vgpr_count:     64
    .vgpr_spill_count: 0
    .wavefront_size: 64
  - .agpr_count:     0
    .args:
      - .actual_access:  write_only
        .address_space:  global
        .offset:         0
        .size:           8
        .value_kind:     global_buffer
      - .actual_access:  read_only
        .address_space:  global
        .offset:         8
        .size:           8
        .value_kind:     global_buffer
      - .actual_access:  read_only
        .address_space:  global
        .offset:         16
        .size:           8
        .value_kind:     global_buffer
      - .actual_access:  read_only
        .address_space:  global
        .offset:         24
        .size:           8
        .value_kind:     global_buffer
      - .offset:         32
        .size:           4
        .value_kind:     by_value
      - .offset:         36
        .size:           4
        .value_kind:     by_value
      - .actual_access:  read_only
        .address_space:  global
        .offset:         40
        .size:           8
        .value_kind:     global_buffer
      - .actual_access:  read_only
        .address_space:  global
        .offset:         48
        .size:           8
        .value_kind:     global_buffer
      - .offset:         56
        .size:           4
        .value_kind:     by_value
      - .actual_access:  read_only
        .address_space:  global
        .offset:         64
        .size:           8
        .value_kind:     global_buffer
      - .offset:         72
        .size:           4
        .value_kind:     by_value
      - .offset:         76
        .size:           4
        .value_kind:     by_value
      - .offset:         80
        .size:           4
        .value_kind:     by_value
      - .address_space:  global
        .offset:         88
        .size:           8
        .value_kind:     global_buffer
      - .address_space:  global
        .offset:         96
        .size:           8
        .value_kind:     global_buffer
      - .offset:         104
        .size:           4
        .value_kind:     by_value
      - .offset:         108
        .size:           4
        .value_kind:     by_value
      - .offset:         112
        .size:           4
        .value_kind:     by_value
      - .offset:         116
        .size:           4
        .value_kind:     by_value
      - .offset:         120
        .size:           4
        .value_kind:     by_value
      - .offset:         128
        .size:           4
        .value_kind:     hidden_block_count_x
      - .offset:         132
        .size:           4
        .value_kind:     hidden_block_count_y
      - .offset:         136
        .size:           4
        .value_kind:     hidden_block_count_z
      - .offset:         140
        .size:           2
        .value_kind:     hidden_group_size_x
      - .offset:         142
        .size:           2
        .value_kind:     hidden_group_size_y
      - .offset:         144
        .size:           2
        .value_kind:     hidden_group_size_z
      - .offset:         146
        .size:           2
        .value_kind:     hidden_remainder_x
      - .offset:         148
        .size:           2
        .value_kind:     hidden_remainder_y
      - .offset:         150
        .size:           2
        .value_kind:     hidden_remainder_z
      - .offset:         168
        .size:           8
        .value_kind:     hidden_global_offset_x
      - .offset:         176
        .size:           8
        .value_kind:     hidden_global_offset_y
      - .offset:         184
        .size:           8
        .value_kind:     hidden_global_offset_z
      - .offset:         192
        .size:           2
        .value_kind:     hidden_grid_dims
      - .offset:         248
        .size:           4
        .value_kind:     hidden_dynamic_lds_size
    .group_segment_fixed_size: 528
    .kernarg_segment_align: 8
    .kernarg_segment_size: 384
    .language:       OpenCL C
    .language_version:
      - 2
      - 0
    .max_flat_workgroup_size: 1024
    .name:           _ZN4vllm25paged_attention_v1_kernelIttLi256ELi16ELi128ELNS_18Fp8KVCacheDataTypeE0ELb0EEEvPT_PKS2_PKT0_S8_ifPKiSA_iPKfiiiSC_SC_iiiii
    .private_segment_fixed_size: 0
    .sgpr_count:     41
    .sgpr_spill_count: 0
    .symbol:         _ZN4vllm25paged_attention_v1_kernelIttLi256ELi16ELi128ELNS_18Fp8KVCacheDataTypeE0ELb0EEEvPT_PKS2_PKT0_S8_ifPKiSA_iPKfiiiSC_SC_iiiii.kd
    .uniform_work_group_size: 1
    .uses_dynamic_stack: false
    .vgpr_count:     63
    .vgpr_spill_count: 0
    .wavefront_size: 64
  - .agpr_count:     0
    .args:
      - .actual_access:  write_only
        .address_space:  global
        .offset:         0
        .size:           8
        .value_kind:     global_buffer
      - .actual_access:  read_only
        .address_space:  global
        .offset:         8
        .size:           8
        .value_kind:     global_buffer
      - .actual_access:  read_only
        .address_space:  global
        .offset:         16
        .size:           8
        .value_kind:     global_buffer
      - .actual_access:  read_only
        .address_space:  global
        .offset:         24
        .size:           8
        .value_kind:     global_buffer
      - .offset:         32
        .size:           4
        .value_kind:     by_value
      - .offset:         36
        .size:           4
        .value_kind:     by_value
      - .actual_access:  read_only
        .address_space:  global
        .offset:         40
        .size:           8
        .value_kind:     global_buffer
      - .actual_access:  read_only
        .address_space:  global
        .offset:         48
        .size:           8
        .value_kind:     global_buffer
      - .offset:         56
        .size:           4
        .value_kind:     by_value
      - .actual_access:  read_only
        .address_space:  global
        .offset:         64
        .size:           8
        .value_kind:     global_buffer
      - .offset:         72
        .size:           4
        .value_kind:     by_value
      - .offset:         76
        .size:           4
        .value_kind:     by_value
      - .offset:         80
        .size:           4
        .value_kind:     by_value
      - .address_space:  global
        .offset:         88
        .size:           8
        .value_kind:     global_buffer
      - .address_space:  global
        .offset:         96
        .size:           8
        .value_kind:     global_buffer
      - .offset:         104
        .size:           4
        .value_kind:     by_value
      - .offset:         108
        .size:           4
        .value_kind:     by_value
      - .offset:         112
        .size:           4
        .value_kind:     by_value
      - .offset:         116
        .size:           4
        .value_kind:     by_value
      - .offset:         120
        .size:           4
        .value_kind:     by_value
      - .offset:         128
        .size:           4
        .value_kind:     hidden_block_count_x
      - .offset:         132
        .size:           4
        .value_kind:     hidden_block_count_y
      - .offset:         136
        .size:           4
        .value_kind:     hidden_block_count_z
      - .offset:         140
        .size:           2
        .value_kind:     hidden_group_size_x
      - .offset:         142
        .size:           2
        .value_kind:     hidden_group_size_y
      - .offset:         144
        .size:           2
        .value_kind:     hidden_group_size_z
      - .offset:         146
        .size:           2
        .value_kind:     hidden_remainder_x
      - .offset:         148
        .size:           2
        .value_kind:     hidden_remainder_y
      - .offset:         150
        .size:           2
        .value_kind:     hidden_remainder_z
      - .offset:         168
        .size:           8
        .value_kind:     hidden_global_offset_x
      - .offset:         176
        .size:           8
        .value_kind:     hidden_global_offset_y
      - .offset:         184
        .size:           8
        .value_kind:     hidden_global_offset_z
      - .offset:         192
        .size:           2
        .value_kind:     hidden_grid_dims
      - .offset:         248
        .size:           4
        .value_kind:     hidden_dynamic_lds_size
    .group_segment_fixed_size: 80
    .kernarg_segment_align: 8
    .kernarg_segment_size: 384
    .language:       OpenCL C
    .language_version:
      - 2
      - 0
    .max_flat_workgroup_size: 1024
    .name:           _ZN4vllm25paged_attention_v1_kernelIttLi32ELi32ELi128ELNS_18Fp8KVCacheDataTypeE0ELb1EEEvPT_PKS2_PKT0_S8_ifPKiSA_iPKfiiiSC_SC_iiiii
    .private_segment_fixed_size: 0
    .sgpr_count:     50
    .sgpr_spill_count: 0
    .symbol:         _ZN4vllm25paged_attention_v1_kernelIttLi32ELi32ELi128ELNS_18Fp8KVCacheDataTypeE0ELb1EEEvPT_PKS2_PKT0_S8_ifPKiSA_iPKfiiiSC_SC_iiiii.kd
    .uniform_work_group_size: 1
    .uses_dynamic_stack: false
    .vgpr_count:     51
    .vgpr_spill_count: 0
    .wavefront_size: 64
  - .agpr_count:     0
    .args:
      - .actual_access:  write_only
        .address_space:  global
        .offset:         0
        .size:           8
        .value_kind:     global_buffer
      - .actual_access:  read_only
        .address_space:  global
        .offset:         8
        .size:           8
        .value_kind:     global_buffer
      - .actual_access:  read_only
        .address_space:  global
        .offset:         16
        .size:           8
        .value_kind:     global_buffer
      - .actual_access:  read_only
        .address_space:  global
        .offset:         24
        .size:           8
        .value_kind:     global_buffer
      - .offset:         32
        .size:           4
        .value_kind:     by_value
      - .offset:         36
        .size:           4
        .value_kind:     by_value
      - .actual_access:  read_only
        .address_space:  global
        .offset:         40
        .size:           8
        .value_kind:     global_buffer
      - .actual_access:  read_only
        .address_space:  global
        .offset:         48
        .size:           8
        .value_kind:     global_buffer
      - .offset:         56
        .size:           4
        .value_kind:     by_value
      - .actual_access:  read_only
        .address_space:  global
        .offset:         64
        .size:           8
        .value_kind:     global_buffer
      - .offset:         72
        .size:           4
        .value_kind:     by_value
      - .offset:         76
        .size:           4
        .value_kind:     by_value
      - .offset:         80
        .size:           4
        .value_kind:     by_value
      - .address_space:  global
        .offset:         88
        .size:           8
        .value_kind:     global_buffer
      - .address_space:  global
        .offset:         96
        .size:           8
        .value_kind:     global_buffer
      - .offset:         104
        .size:           4
        .value_kind:     by_value
      - .offset:         108
        .size:           4
        .value_kind:     by_value
      - .offset:         112
        .size:           4
        .value_kind:     by_value
      - .offset:         116
        .size:           4
        .value_kind:     by_value
      - .offset:         120
        .size:           4
        .value_kind:     by_value
      - .offset:         128
        .size:           4
        .value_kind:     hidden_block_count_x
      - .offset:         132
        .size:           4
        .value_kind:     hidden_block_count_y
      - .offset:         136
        .size:           4
        .value_kind:     hidden_block_count_z
      - .offset:         140
        .size:           2
        .value_kind:     hidden_group_size_x
      - .offset:         142
        .size:           2
        .value_kind:     hidden_group_size_y
      - .offset:         144
        .size:           2
        .value_kind:     hidden_group_size_z
      - .offset:         146
        .size:           2
        .value_kind:     hidden_remainder_x
      - .offset:         148
        .size:           2
        .value_kind:     hidden_remainder_y
      - .offset:         150
        .size:           2
        .value_kind:     hidden_remainder_z
      - .offset:         168
        .size:           8
        .value_kind:     hidden_global_offset_x
      - .offset:         176
        .size:           8
        .value_kind:     hidden_global_offset_y
      - .offset:         184
        .size:           8
        .value_kind:     hidden_global_offset_z
      - .offset:         192
        .size:           2
        .value_kind:     hidden_grid_dims
      - .offset:         248
        .size:           4
        .value_kind:     hidden_dynamic_lds_size
    .group_segment_fixed_size: 144
    .kernarg_segment_align: 8
    .kernarg_segment_size: 384
    .language:       OpenCL C
    .language_version:
      - 2
      - 0
    .max_flat_workgroup_size: 1024
    .name:           _ZN4vllm25paged_attention_v1_kernelIttLi64ELi32ELi128ELNS_18Fp8KVCacheDataTypeE0ELb1EEEvPT_PKS2_PKT0_S8_ifPKiSA_iPKfiiiSC_SC_iiiii
    .private_segment_fixed_size: 0
    .sgpr_count:     50
    .sgpr_spill_count: 0
    .symbol:         _ZN4vllm25paged_attention_v1_kernelIttLi64ELi32ELi128ELNS_18Fp8KVCacheDataTypeE0ELb1EEEvPT_PKS2_PKT0_S8_ifPKiSA_iPKfiiiSC_SC_iiiii.kd
    .uniform_work_group_size: 1
    .uses_dynamic_stack: false
    .vgpr_count:     68
    .vgpr_spill_count: 0
    .wavefront_size: 64
  - .agpr_count:     0
    .args:
      - .actual_access:  write_only
        .address_space:  global
        .offset:         0
        .size:           8
        .value_kind:     global_buffer
      - .actual_access:  read_only
        .address_space:  global
        .offset:         8
        .size:           8
        .value_kind:     global_buffer
      - .actual_access:  read_only
        .address_space:  global
        .offset:         16
        .size:           8
        .value_kind:     global_buffer
      - .actual_access:  read_only
        .address_space:  global
        .offset:         24
        .size:           8
        .value_kind:     global_buffer
      - .offset:         32
        .size:           4
        .value_kind:     by_value
      - .offset:         36
        .size:           4
        .value_kind:     by_value
      - .actual_access:  read_only
        .address_space:  global
        .offset:         40
        .size:           8
        .value_kind:     global_buffer
      - .actual_access:  read_only
        .address_space:  global
        .offset:         48
        .size:           8
        .value_kind:     global_buffer
      - .offset:         56
        .size:           4
        .value_kind:     by_value
      - .actual_access:  read_only
        .address_space:  global
        .offset:         64
        .size:           8
        .value_kind:     global_buffer
      - .offset:         72
        .size:           4
        .value_kind:     by_value
      - .offset:         76
        .size:           4
        .value_kind:     by_value
      - .offset:         80
        .size:           4
        .value_kind:     by_value
      - .address_space:  global
        .offset:         88
        .size:           8
        .value_kind:     global_buffer
      - .address_space:  global
        .offset:         96
        .size:           8
        .value_kind:     global_buffer
      - .offset:         104
        .size:           4
        .value_kind:     by_value
      - .offset:         108
        .size:           4
        .value_kind:     by_value
      - .offset:         112
        .size:           4
        .value_kind:     by_value
      - .offset:         116
        .size:           4
        .value_kind:     by_value
      - .offset:         120
        .size:           4
        .value_kind:     by_value
      - .offset:         128
        .size:           4
        .value_kind:     hidden_block_count_x
      - .offset:         132
        .size:           4
        .value_kind:     hidden_block_count_y
      - .offset:         136
        .size:           4
        .value_kind:     hidden_block_count_z
      - .offset:         140
        .size:           2
        .value_kind:     hidden_group_size_x
      - .offset:         142
        .size:           2
        .value_kind:     hidden_group_size_y
      - .offset:         144
        .size:           2
        .value_kind:     hidden_group_size_z
      - .offset:         146
        .size:           2
        .value_kind:     hidden_remainder_x
      - .offset:         148
        .size:           2
        .value_kind:     hidden_remainder_y
      - .offset:         150
        .size:           2
        .value_kind:     hidden_remainder_z
      - .offset:         168
        .size:           8
        .value_kind:     hidden_global_offset_x
      - .offset:         176
        .size:           8
        .value_kind:     hidden_global_offset_y
      - .offset:         184
        .size:           8
        .value_kind:     hidden_global_offset_z
      - .offset:         192
        .size:           2
        .value_kind:     hidden_grid_dims
      - .offset:         248
        .size:           4
        .value_kind:     hidden_dynamic_lds_size
    .group_segment_fixed_size: 176
    .kernarg_segment_align: 8
    .kernarg_segment_size: 384
    .language:       OpenCL C
    .language_version:
      - 2
      - 0
    .max_flat_workgroup_size: 1024
    .name:           _ZN4vllm25paged_attention_v1_kernelIttLi80ELi32ELi128ELNS_18Fp8KVCacheDataTypeE0ELb1EEEvPT_PKS2_PKT0_S8_ifPKiSA_iPKfiiiSC_SC_iiiii
    .private_segment_fixed_size: 0
    .sgpr_count:     51
    .sgpr_spill_count: 0
    .symbol:         _ZN4vllm25paged_attention_v1_kernelIttLi80ELi32ELi128ELNS_18Fp8KVCacheDataTypeE0ELb1EEEvPT_PKS2_PKT0_S8_ifPKiSA_iPKfiiiSC_SC_iiiii.kd
    .uniform_work_group_size: 1
    .uses_dynamic_stack: false
    .vgpr_count:     72
    .vgpr_spill_count: 0
    .wavefront_size: 64
  - .agpr_count:     0
    .args:
      - .actual_access:  write_only
        .address_space:  global
        .offset:         0
        .size:           8
        .value_kind:     global_buffer
      - .actual_access:  read_only
        .address_space:  global
        .offset:         8
        .size:           8
        .value_kind:     global_buffer
      - .actual_access:  read_only
        .address_space:  global
        .offset:         16
        .size:           8
        .value_kind:     global_buffer
      - .actual_access:  read_only
        .address_space:  global
        .offset:         24
        .size:           8
        .value_kind:     global_buffer
      - .offset:         32
        .size:           4
        .value_kind:     by_value
      - .offset:         36
        .size:           4
        .value_kind:     by_value
      - .actual_access:  read_only
        .address_space:  global
        .offset:         40
        .size:           8
        .value_kind:     global_buffer
      - .actual_access:  read_only
        .address_space:  global
        .offset:         48
        .size:           8
        .value_kind:     global_buffer
      - .offset:         56
        .size:           4
        .value_kind:     by_value
      - .actual_access:  read_only
        .address_space:  global
        .offset:         64
        .size:           8
        .value_kind:     global_buffer
      - .offset:         72
        .size:           4
        .value_kind:     by_value
      - .offset:         76
        .size:           4
        .value_kind:     by_value
      - .offset:         80
        .size:           4
        .value_kind:     by_value
      - .address_space:  global
        .offset:         88
        .size:           8
        .value_kind:     global_buffer
      - .address_space:  global
        .offset:         96
        .size:           8
        .value_kind:     global_buffer
      - .offset:         104
        .size:           4
        .value_kind:     by_value
      - .offset:         108
        .size:           4
        .value_kind:     by_value
      - .offset:         112
        .size:           4
        .value_kind:     by_value
      - .offset:         116
        .size:           4
        .value_kind:     by_value
      - .offset:         120
        .size:           4
        .value_kind:     by_value
      - .offset:         128
        .size:           4
        .value_kind:     hidden_block_count_x
      - .offset:         132
        .size:           4
        .value_kind:     hidden_block_count_y
      - .offset:         136
        .size:           4
        .value_kind:     hidden_block_count_z
      - .offset:         140
        .size:           2
        .value_kind:     hidden_group_size_x
      - .offset:         142
        .size:           2
        .value_kind:     hidden_group_size_y
      - .offset:         144
        .size:           2
        .value_kind:     hidden_group_size_z
      - .offset:         146
        .size:           2
        .value_kind:     hidden_remainder_x
      - .offset:         148
        .size:           2
        .value_kind:     hidden_remainder_y
      - .offset:         150
        .size:           2
        .value_kind:     hidden_remainder_z
      - .offset:         168
        .size:           8
        .value_kind:     hidden_global_offset_x
      - .offset:         176
        .size:           8
        .value_kind:     hidden_global_offset_y
      - .offset:         184
        .size:           8
        .value_kind:     hidden_global_offset_z
      - .offset:         192
        .size:           2
        .value_kind:     hidden_grid_dims
      - .offset:         248
        .size:           4
        .value_kind:     hidden_dynamic_lds_size
    .group_segment_fixed_size: 208
    .kernarg_segment_align: 8
    .kernarg_segment_size: 384
    .language:       OpenCL C
    .language_version:
      - 2
      - 0
    .max_flat_workgroup_size: 1024
    .name:           _ZN4vllm25paged_attention_v1_kernelIttLi96ELi32ELi128ELNS_18Fp8KVCacheDataTypeE0ELb1EEEvPT_PKS2_PKT0_S8_ifPKiSA_iPKfiiiSC_SC_iiiii
    .private_segment_fixed_size: 0
    .sgpr_count:     51
    .sgpr_spill_count: 0
    .symbol:         _ZN4vllm25paged_attention_v1_kernelIttLi96ELi32ELi128ELNS_18Fp8KVCacheDataTypeE0ELb1EEEvPT_PKS2_PKT0_S8_ifPKiSA_iPKfiiiSC_SC_iiiii.kd
    .uniform_work_group_size: 1
    .uses_dynamic_stack: false
    .vgpr_count:     76
    .vgpr_spill_count: 0
    .wavefront_size: 64
  - .agpr_count:     0
    .args:
      - .actual_access:  write_only
        .address_space:  global
        .offset:         0
        .size:           8
        .value_kind:     global_buffer
      - .actual_access:  read_only
        .address_space:  global
        .offset:         8
        .size:           8
        .value_kind:     global_buffer
      - .actual_access:  read_only
        .address_space:  global
        .offset:         16
        .size:           8
        .value_kind:     global_buffer
      - .actual_access:  read_only
        .address_space:  global
        .offset:         24
        .size:           8
        .value_kind:     global_buffer
      - .offset:         32
        .size:           4
        .value_kind:     by_value
      - .offset:         36
        .size:           4
        .value_kind:     by_value
      - .actual_access:  read_only
        .address_space:  global
        .offset:         40
        .size:           8
        .value_kind:     global_buffer
      - .actual_access:  read_only
        .address_space:  global
        .offset:         48
        .size:           8
        .value_kind:     global_buffer
      - .offset:         56
        .size:           4
        .value_kind:     by_value
      - .actual_access:  read_only
        .address_space:  global
        .offset:         64
        .size:           8
        .value_kind:     global_buffer
      - .offset:         72
        .size:           4
        .value_kind:     by_value
      - .offset:         76
        .size:           4
        .value_kind:     by_value
      - .offset:         80
        .size:           4
        .value_kind:     by_value
      - .address_space:  global
        .offset:         88
        .size:           8
        .value_kind:     global_buffer
      - .address_space:  global
        .offset:         96
        .size:           8
        .value_kind:     global_buffer
      - .offset:         104
        .size:           4
        .value_kind:     by_value
      - .offset:         108
        .size:           4
        .value_kind:     by_value
      - .offset:         112
        .size:           4
        .value_kind:     by_value
      - .offset:         116
        .size:           4
        .value_kind:     by_value
      - .offset:         120
        .size:           4
        .value_kind:     by_value
      - .offset:         128
        .size:           4
        .value_kind:     hidden_block_count_x
      - .offset:         132
        .size:           4
        .value_kind:     hidden_block_count_y
      - .offset:         136
        .size:           4
        .value_kind:     hidden_block_count_z
      - .offset:         140
        .size:           2
        .value_kind:     hidden_group_size_x
      - .offset:         142
        .size:           2
        .value_kind:     hidden_group_size_y
      - .offset:         144
        .size:           2
        .value_kind:     hidden_group_size_z
      - .offset:         146
        .size:           2
        .value_kind:     hidden_remainder_x
      - .offset:         148
        .size:           2
        .value_kind:     hidden_remainder_y
      - .offset:         150
        .size:           2
        .value_kind:     hidden_remainder_z
      - .offset:         168
        .size:           8
        .value_kind:     hidden_global_offset_x
      - .offset:         176
        .size:           8
        .value_kind:     hidden_global_offset_y
      - .offset:         184
        .size:           8
        .value_kind:     hidden_global_offset_z
      - .offset:         192
        .size:           2
        .value_kind:     hidden_grid_dims
      - .offset:         248
        .size:           4
        .value_kind:     hidden_dynamic_lds_size
    .group_segment_fixed_size: 240
    .kernarg_segment_align: 8
    .kernarg_segment_size: 384
    .language:       OpenCL C
    .language_version:
      - 2
      - 0
    .max_flat_workgroup_size: 1024
    .name:           _ZN4vllm25paged_attention_v1_kernelIttLi112ELi32ELi128ELNS_18Fp8KVCacheDataTypeE0ELb1EEEvPT_PKS2_PKT0_S8_ifPKiSA_iPKfiiiSC_SC_iiiii
    .private_segment_fixed_size: 0
    .sgpr_count:     51
    .sgpr_spill_count: 0
    .symbol:         _ZN4vllm25paged_attention_v1_kernelIttLi112ELi32ELi128ELNS_18Fp8KVCacheDataTypeE0ELb1EEEvPT_PKS2_PKT0_S8_ifPKiSA_iPKfiiiSC_SC_iiiii.kd
    .uniform_work_group_size: 1
    .uses_dynamic_stack: false
    .vgpr_count:     79
    .vgpr_spill_count: 0
    .wavefront_size: 64
  - .agpr_count:     0
    .args:
      - .actual_access:  write_only
        .address_space:  global
        .offset:         0
        .size:           8
        .value_kind:     global_buffer
      - .actual_access:  read_only
        .address_space:  global
        .offset:         8
        .size:           8
        .value_kind:     global_buffer
      - .actual_access:  read_only
        .address_space:  global
        .offset:         16
        .size:           8
        .value_kind:     global_buffer
      - .actual_access:  read_only
        .address_space:  global
        .offset:         24
        .size:           8
        .value_kind:     global_buffer
      - .offset:         32
        .size:           4
        .value_kind:     by_value
      - .offset:         36
        .size:           4
        .value_kind:     by_value
      - .actual_access:  read_only
        .address_space:  global
        .offset:         40
        .size:           8
        .value_kind:     global_buffer
      - .actual_access:  read_only
        .address_space:  global
        .offset:         48
        .size:           8
        .value_kind:     global_buffer
      - .offset:         56
        .size:           4
        .value_kind:     by_value
      - .actual_access:  read_only
        .address_space:  global
        .offset:         64
        .size:           8
        .value_kind:     global_buffer
      - .offset:         72
        .size:           4
        .value_kind:     by_value
      - .offset:         76
        .size:           4
        .value_kind:     by_value
      - .offset:         80
        .size:           4
        .value_kind:     by_value
      - .address_space:  global
        .offset:         88
        .size:           8
        .value_kind:     global_buffer
      - .address_space:  global
        .offset:         96
        .size:           8
        .value_kind:     global_buffer
      - .offset:         104
        .size:           4
        .value_kind:     by_value
      - .offset:         108
        .size:           4
        .value_kind:     by_value
      - .offset:         112
        .size:           4
        .value_kind:     by_value
      - .offset:         116
        .size:           4
        .value_kind:     by_value
      - .offset:         120
        .size:           4
        .value_kind:     by_value
      - .offset:         128
        .size:           4
        .value_kind:     hidden_block_count_x
      - .offset:         132
        .size:           4
        .value_kind:     hidden_block_count_y
      - .offset:         136
        .size:           4
        .value_kind:     hidden_block_count_z
      - .offset:         140
        .size:           2
        .value_kind:     hidden_group_size_x
      - .offset:         142
        .size:           2
        .value_kind:     hidden_group_size_y
      - .offset:         144
        .size:           2
        .value_kind:     hidden_group_size_z
      - .offset:         146
        .size:           2
        .value_kind:     hidden_remainder_x
      - .offset:         148
        .size:           2
        .value_kind:     hidden_remainder_y
      - .offset:         150
        .size:           2
        .value_kind:     hidden_remainder_z
      - .offset:         168
        .size:           8
        .value_kind:     hidden_global_offset_x
      - .offset:         176
        .size:           8
        .value_kind:     hidden_global_offset_y
      - .offset:         184
        .size:           8
        .value_kind:     hidden_global_offset_z
      - .offset:         192
        .size:           2
        .value_kind:     hidden_grid_dims
      - .offset:         248
        .size:           4
        .value_kind:     hidden_dynamic_lds_size
    .group_segment_fixed_size: 256
    .kernarg_segment_align: 8
    .kernarg_segment_size: 384
    .language:       OpenCL C
    .language_version:
      - 2
      - 0
    .max_flat_workgroup_size: 1024
    .name:           _ZN4vllm25paged_attention_v1_kernelIttLi120ELi32ELi128ELNS_18Fp8KVCacheDataTypeE0ELb1EEEvPT_PKS2_PKT0_S8_ifPKiSA_iPKfiiiSC_SC_iiiii
    .private_segment_fixed_size: 0
    .sgpr_count:     51
    .sgpr_spill_count: 0
    .symbol:         _ZN4vllm25paged_attention_v1_kernelIttLi120ELi32ELi128ELNS_18Fp8KVCacheDataTypeE0ELb1EEEvPT_PKS2_PKT0_S8_ifPKiSA_iPKfiiiSC_SC_iiiii.kd
    .uniform_work_group_size: 1
    .uses_dynamic_stack: false
    .vgpr_count:     85
    .vgpr_spill_count: 0
    .wavefront_size: 64
  - .agpr_count:     0
    .args:
      - .actual_access:  write_only
        .address_space:  global
        .offset:         0
        .size:           8
        .value_kind:     global_buffer
      - .actual_access:  read_only
        .address_space:  global
        .offset:         8
        .size:           8
        .value_kind:     global_buffer
      - .actual_access:  read_only
        .address_space:  global
        .offset:         16
        .size:           8
        .value_kind:     global_buffer
      - .actual_access:  read_only
        .address_space:  global
        .offset:         24
        .size:           8
        .value_kind:     global_buffer
      - .offset:         32
        .size:           4
        .value_kind:     by_value
      - .offset:         36
        .size:           4
        .value_kind:     by_value
      - .actual_access:  read_only
        .address_space:  global
        .offset:         40
        .size:           8
        .value_kind:     global_buffer
      - .actual_access:  read_only
        .address_space:  global
        .offset:         48
        .size:           8
        .value_kind:     global_buffer
      - .offset:         56
        .size:           4
        .value_kind:     by_value
      - .actual_access:  read_only
        .address_space:  global
        .offset:         64
        .size:           8
        .value_kind:     global_buffer
      - .offset:         72
        .size:           4
        .value_kind:     by_value
      - .offset:         76
        .size:           4
        .value_kind:     by_value
      - .offset:         80
        .size:           4
        .value_kind:     by_value
      - .address_space:  global
        .offset:         88
        .size:           8
        .value_kind:     global_buffer
      - .address_space:  global
        .offset:         96
        .size:           8
        .value_kind:     global_buffer
      - .offset:         104
        .size:           4
        .value_kind:     by_value
      - .offset:         108
        .size:           4
        .value_kind:     by_value
      - .offset:         112
        .size:           4
        .value_kind:     by_value
      - .offset:         116
        .size:           4
        .value_kind:     by_value
      - .offset:         120
        .size:           4
        .value_kind:     by_value
      - .offset:         128
        .size:           4
        .value_kind:     hidden_block_count_x
      - .offset:         132
        .size:           4
        .value_kind:     hidden_block_count_y
      - .offset:         136
        .size:           4
        .value_kind:     hidden_block_count_z
      - .offset:         140
        .size:           2
        .value_kind:     hidden_group_size_x
      - .offset:         142
        .size:           2
        .value_kind:     hidden_group_size_y
      - .offset:         144
        .size:           2
        .value_kind:     hidden_group_size_z
      - .offset:         146
        .size:           2
        .value_kind:     hidden_remainder_x
      - .offset:         148
        .size:           2
        .value_kind:     hidden_remainder_y
      - .offset:         150
        .size:           2
        .value_kind:     hidden_remainder_z
      - .offset:         168
        .size:           8
        .value_kind:     hidden_global_offset_x
      - .offset:         176
        .size:           8
        .value_kind:     hidden_global_offset_y
      - .offset:         184
        .size:           8
        .value_kind:     hidden_global_offset_z
      - .offset:         192
        .size:           2
        .value_kind:     hidden_grid_dims
      - .offset:         248
        .size:           4
        .value_kind:     hidden_dynamic_lds_size
    .group_segment_fixed_size: 272
    .kernarg_segment_align: 8
    .kernarg_segment_size: 384
    .language:       OpenCL C
    .language_version:
      - 2
      - 0
    .max_flat_workgroup_size: 1024
    .name:           _ZN4vllm25paged_attention_v1_kernelIttLi128ELi32ELi128ELNS_18Fp8KVCacheDataTypeE0ELb1EEEvPT_PKS2_PKT0_S8_ifPKiSA_iPKfiiiSC_SC_iiiii
    .private_segment_fixed_size: 0
    .sgpr_count:     51
    .sgpr_spill_count: 0
    .symbol:         _ZN4vllm25paged_attention_v1_kernelIttLi128ELi32ELi128ELNS_18Fp8KVCacheDataTypeE0ELb1EEEvPT_PKS2_PKT0_S8_ifPKiSA_iPKfiiiSC_SC_iiiii.kd
    .uniform_work_group_size: 1
    .uses_dynamic_stack: false
    .vgpr_count:     83
    .vgpr_spill_count: 0
    .wavefront_size: 64
  - .agpr_count:     0
    .args:
      - .actual_access:  write_only
        .address_space:  global
        .offset:         0
        .size:           8
        .value_kind:     global_buffer
      - .actual_access:  read_only
        .address_space:  global
        .offset:         8
        .size:           8
        .value_kind:     global_buffer
      - .actual_access:  read_only
        .address_space:  global
        .offset:         16
        .size:           8
        .value_kind:     global_buffer
      - .actual_access:  read_only
        .address_space:  global
        .offset:         24
        .size:           8
        .value_kind:     global_buffer
      - .offset:         32
        .size:           4
        .value_kind:     by_value
      - .offset:         36
        .size:           4
        .value_kind:     by_value
      - .actual_access:  read_only
        .address_space:  global
        .offset:         40
        .size:           8
        .value_kind:     global_buffer
      - .actual_access:  read_only
        .address_space:  global
        .offset:         48
        .size:           8
        .value_kind:     global_buffer
      - .offset:         56
        .size:           4
        .value_kind:     by_value
      - .actual_access:  read_only
        .address_space:  global
        .offset:         64
        .size:           8
        .value_kind:     global_buffer
      - .offset:         72
        .size:           4
        .value_kind:     by_value
      - .offset:         76
        .size:           4
        .value_kind:     by_value
      - .offset:         80
        .size:           4
        .value_kind:     by_value
      - .address_space:  global
        .offset:         88
        .size:           8
        .value_kind:     global_buffer
      - .address_space:  global
        .offset:         96
        .size:           8
        .value_kind:     global_buffer
      - .offset:         104
        .size:           4
        .value_kind:     by_value
      - .offset:         108
        .size:           4
        .value_kind:     by_value
      - .offset:         112
        .size:           4
        .value_kind:     by_value
      - .offset:         116
        .size:           4
        .value_kind:     by_value
      - .offset:         120
        .size:           4
        .value_kind:     by_value
      - .offset:         128
        .size:           4
        .value_kind:     hidden_block_count_x
      - .offset:         132
        .size:           4
        .value_kind:     hidden_block_count_y
      - .offset:         136
        .size:           4
        .value_kind:     hidden_block_count_z
      - .offset:         140
        .size:           2
        .value_kind:     hidden_group_size_x
      - .offset:         142
        .size:           2
        .value_kind:     hidden_group_size_y
      - .offset:         144
        .size:           2
        .value_kind:     hidden_group_size_z
      - .offset:         146
        .size:           2
        .value_kind:     hidden_remainder_x
      - .offset:         148
        .size:           2
        .value_kind:     hidden_remainder_y
      - .offset:         150
        .size:           2
        .value_kind:     hidden_remainder_z
      - .offset:         168
        .size:           8
        .value_kind:     hidden_global_offset_x
      - .offset:         176
        .size:           8
        .value_kind:     hidden_global_offset_y
      - .offset:         184
        .size:           8
        .value_kind:     hidden_global_offset_z
      - .offset:         192
        .size:           2
        .value_kind:     hidden_grid_dims
      - .offset:         248
        .size:           4
        .value_kind:     hidden_dynamic_lds_size
    .group_segment_fixed_size: 400
    .kernarg_segment_align: 8
    .kernarg_segment_size: 384
    .language:       OpenCL C
    .language_version:
      - 2
      - 0
    .max_flat_workgroup_size: 1024
    .name:           _ZN4vllm25paged_attention_v1_kernelIttLi192ELi32ELi128ELNS_18Fp8KVCacheDataTypeE0ELb1EEEvPT_PKS2_PKT0_S8_ifPKiSA_iPKfiiiSC_SC_iiiii
    .private_segment_fixed_size: 0
    .sgpr_count:     52
    .sgpr_spill_count: 0
    .symbol:         _ZN4vllm25paged_attention_v1_kernelIttLi192ELi32ELi128ELNS_18Fp8KVCacheDataTypeE0ELb1EEEvPT_PKS2_PKT0_S8_ifPKiSA_iPKfiiiSC_SC_iiiii.kd
    .uniform_work_group_size: 1
    .uses_dynamic_stack: false
    .vgpr_count:     97
    .vgpr_spill_count: 0
    .wavefront_size: 64
  - .agpr_count:     0
    .args:
      - .actual_access:  write_only
        .address_space:  global
        .offset:         0
        .size:           8
        .value_kind:     global_buffer
      - .actual_access:  read_only
        .address_space:  global
        .offset:         8
        .size:           8
        .value_kind:     global_buffer
      - .actual_access:  read_only
        .address_space:  global
        .offset:         16
        .size:           8
        .value_kind:     global_buffer
      - .actual_access:  read_only
        .address_space:  global
        .offset:         24
        .size:           8
        .value_kind:     global_buffer
      - .offset:         32
        .size:           4
        .value_kind:     by_value
      - .offset:         36
        .size:           4
        .value_kind:     by_value
      - .actual_access:  read_only
        .address_space:  global
        .offset:         40
        .size:           8
        .value_kind:     global_buffer
      - .actual_access:  read_only
        .address_space:  global
        .offset:         48
        .size:           8
        .value_kind:     global_buffer
      - .offset:         56
        .size:           4
        .value_kind:     by_value
      - .actual_access:  read_only
        .address_space:  global
        .offset:         64
        .size:           8
        .value_kind:     global_buffer
      - .offset:         72
        .size:           4
        .value_kind:     by_value
      - .offset:         76
        .size:           4
        .value_kind:     by_value
      - .offset:         80
        .size:           4
        .value_kind:     by_value
      - .address_space:  global
        .offset:         88
        .size:           8
        .value_kind:     global_buffer
      - .address_space:  global
        .offset:         96
        .size:           8
        .value_kind:     global_buffer
      - .offset:         104
        .size:           4
        .value_kind:     by_value
      - .offset:         108
        .size:           4
        .value_kind:     by_value
      - .offset:         112
        .size:           4
        .value_kind:     by_value
      - .offset:         116
        .size:           4
        .value_kind:     by_value
      - .offset:         120
        .size:           4
        .value_kind:     by_value
      - .offset:         128
        .size:           4
        .value_kind:     hidden_block_count_x
      - .offset:         132
        .size:           4
        .value_kind:     hidden_block_count_y
      - .offset:         136
        .size:           4
        .value_kind:     hidden_block_count_z
      - .offset:         140
        .size:           2
        .value_kind:     hidden_group_size_x
      - .offset:         142
        .size:           2
        .value_kind:     hidden_group_size_y
      - .offset:         144
        .size:           2
        .value_kind:     hidden_group_size_z
      - .offset:         146
        .size:           2
        .value_kind:     hidden_remainder_x
      - .offset:         148
        .size:           2
        .value_kind:     hidden_remainder_y
      - .offset:         150
        .size:           2
        .value_kind:     hidden_remainder_z
      - .offset:         168
        .size:           8
        .value_kind:     hidden_global_offset_x
      - .offset:         176
        .size:           8
        .value_kind:     hidden_global_offset_y
      - .offset:         184
        .size:           8
        .value_kind:     hidden_global_offset_z
      - .offset:         192
        .size:           2
        .value_kind:     hidden_grid_dims
      - .offset:         248
        .size:           4
        .value_kind:     hidden_dynamic_lds_size
    .group_segment_fixed_size: 528
    .kernarg_segment_align: 8
    .kernarg_segment_size: 384
    .language:       OpenCL C
    .language_version:
      - 2
      - 0
    .max_flat_workgroup_size: 1024
    .name:           _ZN4vllm25paged_attention_v1_kernelIttLi256ELi32ELi128ELNS_18Fp8KVCacheDataTypeE0ELb1EEEvPT_PKS2_PKT0_S8_ifPKiSA_iPKfiiiSC_SC_iiiii
    .private_segment_fixed_size: 0
    .sgpr_count:     55
    .sgpr_spill_count: 0
    .symbol:         _ZN4vllm25paged_attention_v1_kernelIttLi256ELi32ELi128ELNS_18Fp8KVCacheDataTypeE0ELb1EEEvPT_PKS2_PKT0_S8_ifPKiSA_iPKfiiiSC_SC_iiiii.kd
    .uniform_work_group_size: 1
    .uses_dynamic_stack: false
    .vgpr_count:     112
    .vgpr_spill_count: 0
    .wavefront_size: 64
  - .agpr_count:     0
    .args:
      - .actual_access:  write_only
        .address_space:  global
        .offset:         0
        .size:           8
        .value_kind:     global_buffer
      - .actual_access:  read_only
        .address_space:  global
        .offset:         8
        .size:           8
        .value_kind:     global_buffer
      - .actual_access:  read_only
        .address_space:  global
        .offset:         16
        .size:           8
        .value_kind:     global_buffer
      - .actual_access:  read_only
        .address_space:  global
        .offset:         24
        .size:           8
        .value_kind:     global_buffer
      - .offset:         32
        .size:           4
        .value_kind:     by_value
      - .offset:         36
        .size:           4
        .value_kind:     by_value
      - .actual_access:  read_only
        .address_space:  global
        .offset:         40
        .size:           8
        .value_kind:     global_buffer
      - .actual_access:  read_only
        .address_space:  global
        .offset:         48
        .size:           8
        .value_kind:     global_buffer
      - .offset:         56
        .size:           4
        .value_kind:     by_value
      - .actual_access:  read_only
        .address_space:  global
        .offset:         64
        .size:           8
        .value_kind:     global_buffer
      - .offset:         72
        .size:           4
        .value_kind:     by_value
      - .offset:         76
        .size:           4
        .value_kind:     by_value
      - .offset:         80
        .size:           4
        .value_kind:     by_value
      - .address_space:  global
        .offset:         88
        .size:           8
        .value_kind:     global_buffer
      - .address_space:  global
        .offset:         96
        .size:           8
        .value_kind:     global_buffer
      - .offset:         104
        .size:           4
        .value_kind:     by_value
      - .offset:         108
        .size:           4
        .value_kind:     by_value
      - .offset:         112
        .size:           4
        .value_kind:     by_value
      - .offset:         116
        .size:           4
        .value_kind:     by_value
      - .offset:         120
        .size:           4
        .value_kind:     by_value
      - .offset:         128
        .size:           4
        .value_kind:     hidden_block_count_x
      - .offset:         132
        .size:           4
        .value_kind:     hidden_block_count_y
      - .offset:         136
        .size:           4
        .value_kind:     hidden_block_count_z
      - .offset:         140
        .size:           2
        .value_kind:     hidden_group_size_x
      - .offset:         142
        .size:           2
        .value_kind:     hidden_group_size_y
      - .offset:         144
        .size:           2
        .value_kind:     hidden_group_size_z
      - .offset:         146
        .size:           2
        .value_kind:     hidden_remainder_x
      - .offset:         148
        .size:           2
        .value_kind:     hidden_remainder_y
      - .offset:         150
        .size:           2
        .value_kind:     hidden_remainder_z
      - .offset:         168
        .size:           8
        .value_kind:     hidden_global_offset_x
      - .offset:         176
        .size:           8
        .value_kind:     hidden_global_offset_y
      - .offset:         184
        .size:           8
        .value_kind:     hidden_global_offset_z
      - .offset:         192
        .size:           2
        .value_kind:     hidden_grid_dims
      - .offset:         248
        .size:           4
        .value_kind:     hidden_dynamic_lds_size
    .group_segment_fixed_size: 80
    .kernarg_segment_align: 8
    .kernarg_segment_size: 384
    .language:       OpenCL C
    .language_version:
      - 2
      - 0
    .max_flat_workgroup_size: 1024
    .name:           _ZN4vllm25paged_attention_v1_kernelIttLi32ELi32ELi128ELNS_18Fp8KVCacheDataTypeE0ELb0EEEvPT_PKS2_PKT0_S8_ifPKiSA_iPKfiiiSC_SC_iiiii
    .private_segment_fixed_size: 0
    .sgpr_count:     40
    .sgpr_spill_count: 0
    .symbol:         _ZN4vllm25paged_attention_v1_kernelIttLi32ELi32ELi128ELNS_18Fp8KVCacheDataTypeE0ELb0EEEvPT_PKS2_PKT0_S8_ifPKiSA_iPKfiiiSC_SC_iiiii.kd
    .uniform_work_group_size: 1
    .uses_dynamic_stack: false
    .vgpr_count:     46
    .vgpr_spill_count: 0
    .wavefront_size: 64
  - .agpr_count:     0
    .args:
      - .actual_access:  write_only
        .address_space:  global
        .offset:         0
        .size:           8
        .value_kind:     global_buffer
      - .actual_access:  read_only
        .address_space:  global
        .offset:         8
        .size:           8
        .value_kind:     global_buffer
      - .actual_access:  read_only
        .address_space:  global
        .offset:         16
        .size:           8
        .value_kind:     global_buffer
      - .actual_access:  read_only
        .address_space:  global
        .offset:         24
        .size:           8
        .value_kind:     global_buffer
      - .offset:         32
        .size:           4
        .value_kind:     by_value
      - .offset:         36
        .size:           4
        .value_kind:     by_value
      - .actual_access:  read_only
        .address_space:  global
        .offset:         40
        .size:           8
        .value_kind:     global_buffer
      - .actual_access:  read_only
        .address_space:  global
        .offset:         48
        .size:           8
        .value_kind:     global_buffer
      - .offset:         56
        .size:           4
        .value_kind:     by_value
      - .actual_access:  read_only
        .address_space:  global
        .offset:         64
        .size:           8
        .value_kind:     global_buffer
      - .offset:         72
        .size:           4
        .value_kind:     by_value
      - .offset:         76
        .size:           4
        .value_kind:     by_value
      - .offset:         80
        .size:           4
        .value_kind:     by_value
      - .address_space:  global
        .offset:         88
        .size:           8
        .value_kind:     global_buffer
      - .address_space:  global
        .offset:         96
        .size:           8
        .value_kind:     global_buffer
      - .offset:         104
        .size:           4
        .value_kind:     by_value
      - .offset:         108
        .size:           4
        .value_kind:     by_value
      - .offset:         112
        .size:           4
        .value_kind:     by_value
      - .offset:         116
        .size:           4
        .value_kind:     by_value
      - .offset:         120
        .size:           4
        .value_kind:     by_value
      - .offset:         128
        .size:           4
        .value_kind:     hidden_block_count_x
      - .offset:         132
        .size:           4
        .value_kind:     hidden_block_count_y
      - .offset:         136
        .size:           4
        .value_kind:     hidden_block_count_z
      - .offset:         140
        .size:           2
        .value_kind:     hidden_group_size_x
      - .offset:         142
        .size:           2
        .value_kind:     hidden_group_size_y
      - .offset:         144
        .size:           2
        .value_kind:     hidden_group_size_z
      - .offset:         146
        .size:           2
        .value_kind:     hidden_remainder_x
      - .offset:         148
        .size:           2
        .value_kind:     hidden_remainder_y
      - .offset:         150
        .size:           2
        .value_kind:     hidden_remainder_z
      - .offset:         168
        .size:           8
        .value_kind:     hidden_global_offset_x
      - .offset:         176
        .size:           8
        .value_kind:     hidden_global_offset_y
      - .offset:         184
        .size:           8
        .value_kind:     hidden_global_offset_z
      - .offset:         192
        .size:           2
        .value_kind:     hidden_grid_dims
      - .offset:         248
        .size:           4
        .value_kind:     hidden_dynamic_lds_size
    .group_segment_fixed_size: 144
    .kernarg_segment_align: 8
    .kernarg_segment_size: 384
    .language:       OpenCL C
    .language_version:
      - 2
      - 0
    .max_flat_workgroup_size: 1024
    .name:           _ZN4vllm25paged_attention_v1_kernelIttLi64ELi32ELi128ELNS_18Fp8KVCacheDataTypeE0ELb0EEEvPT_PKS2_PKT0_S8_ifPKiSA_iPKfiiiSC_SC_iiiii
    .private_segment_fixed_size: 0
    .sgpr_count:     40
    .sgpr_spill_count: 0
    .symbol:         _ZN4vllm25paged_attention_v1_kernelIttLi64ELi32ELi128ELNS_18Fp8KVCacheDataTypeE0ELb0EEEvPT_PKS2_PKT0_S8_ifPKiSA_iPKfiiiSC_SC_iiiii.kd
    .uniform_work_group_size: 1
    .uses_dynamic_stack: false
    .vgpr_count:     63
    .vgpr_spill_count: 0
    .wavefront_size: 64
  - .agpr_count:     0
    .args:
      - .actual_access:  write_only
        .address_space:  global
        .offset:         0
        .size:           8
        .value_kind:     global_buffer
      - .actual_access:  read_only
        .address_space:  global
        .offset:         8
        .size:           8
        .value_kind:     global_buffer
      - .actual_access:  read_only
        .address_space:  global
        .offset:         16
        .size:           8
        .value_kind:     global_buffer
      - .actual_access:  read_only
        .address_space:  global
        .offset:         24
        .size:           8
        .value_kind:     global_buffer
      - .offset:         32
        .size:           4
        .value_kind:     by_value
      - .offset:         36
        .size:           4
        .value_kind:     by_value
      - .actual_access:  read_only
        .address_space:  global
        .offset:         40
        .size:           8
        .value_kind:     global_buffer
      - .actual_access:  read_only
        .address_space:  global
        .offset:         48
        .size:           8
        .value_kind:     global_buffer
      - .offset:         56
        .size:           4
        .value_kind:     by_value
      - .actual_access:  read_only
        .address_space:  global
        .offset:         64
        .size:           8
        .value_kind:     global_buffer
      - .offset:         72
        .size:           4
        .value_kind:     by_value
      - .offset:         76
        .size:           4
        .value_kind:     by_value
      - .offset:         80
        .size:           4
        .value_kind:     by_value
      - .address_space:  global
        .offset:         88
        .size:           8
        .value_kind:     global_buffer
      - .address_space:  global
        .offset:         96
        .size:           8
        .value_kind:     global_buffer
      - .offset:         104
        .size:           4
        .value_kind:     by_value
      - .offset:         108
        .size:           4
        .value_kind:     by_value
      - .offset:         112
        .size:           4
        .value_kind:     by_value
      - .offset:         116
        .size:           4
        .value_kind:     by_value
      - .offset:         120
        .size:           4
        .value_kind:     by_value
      - .offset:         128
        .size:           4
        .value_kind:     hidden_block_count_x
      - .offset:         132
        .size:           4
        .value_kind:     hidden_block_count_y
      - .offset:         136
        .size:           4
        .value_kind:     hidden_block_count_z
      - .offset:         140
        .size:           2
        .value_kind:     hidden_group_size_x
      - .offset:         142
        .size:           2
        .value_kind:     hidden_group_size_y
      - .offset:         144
        .size:           2
        .value_kind:     hidden_group_size_z
      - .offset:         146
        .size:           2
        .value_kind:     hidden_remainder_x
      - .offset:         148
        .size:           2
        .value_kind:     hidden_remainder_y
      - .offset:         150
        .size:           2
        .value_kind:     hidden_remainder_z
      - .offset:         168
        .size:           8
        .value_kind:     hidden_global_offset_x
      - .offset:         176
        .size:           8
        .value_kind:     hidden_global_offset_y
      - .offset:         184
        .size:           8
        .value_kind:     hidden_global_offset_z
      - .offset:         192
        .size:           2
        .value_kind:     hidden_grid_dims
      - .offset:         248
        .size:           4
        .value_kind:     hidden_dynamic_lds_size
    .group_segment_fixed_size: 176
    .kernarg_segment_align: 8
    .kernarg_segment_size: 384
    .language:       OpenCL C
    .language_version:
      - 2
      - 0
    .max_flat_workgroup_size: 1024
    .name:           _ZN4vllm25paged_attention_v1_kernelIttLi80ELi32ELi128ELNS_18Fp8KVCacheDataTypeE0ELb0EEEvPT_PKS2_PKT0_S8_ifPKiSA_iPKfiiiSC_SC_iiiii
    .private_segment_fixed_size: 0
    .sgpr_count:     41
    .sgpr_spill_count: 0
    .symbol:         _ZN4vllm25paged_attention_v1_kernelIttLi80ELi32ELi128ELNS_18Fp8KVCacheDataTypeE0ELb0EEEvPT_PKS2_PKT0_S8_ifPKiSA_iPKfiiiSC_SC_iiiii.kd
    .uniform_work_group_size: 1
    .uses_dynamic_stack: false
    .vgpr_count:     67
    .vgpr_spill_count: 0
    .wavefront_size: 64
  - .agpr_count:     0
    .args:
      - .actual_access:  write_only
        .address_space:  global
        .offset:         0
        .size:           8
        .value_kind:     global_buffer
      - .actual_access:  read_only
        .address_space:  global
        .offset:         8
        .size:           8
        .value_kind:     global_buffer
      - .actual_access:  read_only
        .address_space:  global
        .offset:         16
        .size:           8
        .value_kind:     global_buffer
      - .actual_access:  read_only
        .address_space:  global
        .offset:         24
        .size:           8
        .value_kind:     global_buffer
      - .offset:         32
        .size:           4
        .value_kind:     by_value
      - .offset:         36
        .size:           4
        .value_kind:     by_value
      - .actual_access:  read_only
        .address_space:  global
        .offset:         40
        .size:           8
        .value_kind:     global_buffer
      - .actual_access:  read_only
        .address_space:  global
        .offset:         48
        .size:           8
        .value_kind:     global_buffer
      - .offset:         56
        .size:           4
        .value_kind:     by_value
      - .actual_access:  read_only
        .address_space:  global
        .offset:         64
        .size:           8
        .value_kind:     global_buffer
      - .offset:         72
        .size:           4
        .value_kind:     by_value
      - .offset:         76
        .size:           4
        .value_kind:     by_value
      - .offset:         80
        .size:           4
        .value_kind:     by_value
      - .address_space:  global
        .offset:         88
        .size:           8
        .value_kind:     global_buffer
      - .address_space:  global
        .offset:         96
        .size:           8
        .value_kind:     global_buffer
      - .offset:         104
        .size:           4
        .value_kind:     by_value
      - .offset:         108
        .size:           4
        .value_kind:     by_value
      - .offset:         112
        .size:           4
        .value_kind:     by_value
      - .offset:         116
        .size:           4
        .value_kind:     by_value
      - .offset:         120
        .size:           4
        .value_kind:     by_value
      - .offset:         128
        .size:           4
        .value_kind:     hidden_block_count_x
      - .offset:         132
        .size:           4
        .value_kind:     hidden_block_count_y
      - .offset:         136
        .size:           4
        .value_kind:     hidden_block_count_z
      - .offset:         140
        .size:           2
        .value_kind:     hidden_group_size_x
      - .offset:         142
        .size:           2
        .value_kind:     hidden_group_size_y
      - .offset:         144
        .size:           2
        .value_kind:     hidden_group_size_z
      - .offset:         146
        .size:           2
        .value_kind:     hidden_remainder_x
      - .offset:         148
        .size:           2
        .value_kind:     hidden_remainder_y
      - .offset:         150
        .size:           2
        .value_kind:     hidden_remainder_z
      - .offset:         168
        .size:           8
        .value_kind:     hidden_global_offset_x
      - .offset:         176
        .size:           8
        .value_kind:     hidden_global_offset_y
      - .offset:         184
        .size:           8
        .value_kind:     hidden_global_offset_z
      - .offset:         192
        .size:           2
        .value_kind:     hidden_grid_dims
      - .offset:         248
        .size:           4
        .value_kind:     hidden_dynamic_lds_size
    .group_segment_fixed_size: 208
    .kernarg_segment_align: 8
    .kernarg_segment_size: 384
    .language:       OpenCL C
    .language_version:
      - 2
      - 0
    .max_flat_workgroup_size: 1024
    .name:           _ZN4vllm25paged_attention_v1_kernelIttLi96ELi32ELi128ELNS_18Fp8KVCacheDataTypeE0ELb0EEEvPT_PKS2_PKT0_S8_ifPKiSA_iPKfiiiSC_SC_iiiii
    .private_segment_fixed_size: 0
    .sgpr_count:     41
    .sgpr_spill_count: 0
    .symbol:         _ZN4vllm25paged_attention_v1_kernelIttLi96ELi32ELi128ELNS_18Fp8KVCacheDataTypeE0ELb0EEEvPT_PKS2_PKT0_S8_ifPKiSA_iPKfiiiSC_SC_iiiii.kd
    .uniform_work_group_size: 1
    .uses_dynamic_stack: false
    .vgpr_count:     70
    .vgpr_spill_count: 0
    .wavefront_size: 64
  - .agpr_count:     0
    .args:
      - .actual_access:  write_only
        .address_space:  global
        .offset:         0
        .size:           8
        .value_kind:     global_buffer
      - .actual_access:  read_only
        .address_space:  global
        .offset:         8
        .size:           8
        .value_kind:     global_buffer
      - .actual_access:  read_only
        .address_space:  global
        .offset:         16
        .size:           8
        .value_kind:     global_buffer
      - .actual_access:  read_only
        .address_space:  global
        .offset:         24
        .size:           8
        .value_kind:     global_buffer
      - .offset:         32
        .size:           4
        .value_kind:     by_value
      - .offset:         36
        .size:           4
        .value_kind:     by_value
      - .actual_access:  read_only
        .address_space:  global
        .offset:         40
        .size:           8
        .value_kind:     global_buffer
      - .actual_access:  read_only
        .address_space:  global
        .offset:         48
        .size:           8
        .value_kind:     global_buffer
      - .offset:         56
        .size:           4
        .value_kind:     by_value
      - .actual_access:  read_only
        .address_space:  global
        .offset:         64
        .size:           8
        .value_kind:     global_buffer
      - .offset:         72
        .size:           4
        .value_kind:     by_value
      - .offset:         76
        .size:           4
        .value_kind:     by_value
      - .offset:         80
        .size:           4
        .value_kind:     by_value
      - .address_space:  global
        .offset:         88
        .size:           8
        .value_kind:     global_buffer
      - .address_space:  global
        .offset:         96
        .size:           8
        .value_kind:     global_buffer
      - .offset:         104
        .size:           4
        .value_kind:     by_value
      - .offset:         108
        .size:           4
        .value_kind:     by_value
      - .offset:         112
        .size:           4
        .value_kind:     by_value
      - .offset:         116
        .size:           4
        .value_kind:     by_value
      - .offset:         120
        .size:           4
        .value_kind:     by_value
      - .offset:         128
        .size:           4
        .value_kind:     hidden_block_count_x
      - .offset:         132
        .size:           4
        .value_kind:     hidden_block_count_y
      - .offset:         136
        .size:           4
        .value_kind:     hidden_block_count_z
      - .offset:         140
        .size:           2
        .value_kind:     hidden_group_size_x
      - .offset:         142
        .size:           2
        .value_kind:     hidden_group_size_y
      - .offset:         144
        .size:           2
        .value_kind:     hidden_group_size_z
      - .offset:         146
        .size:           2
        .value_kind:     hidden_remainder_x
      - .offset:         148
        .size:           2
        .value_kind:     hidden_remainder_y
      - .offset:         150
        .size:           2
        .value_kind:     hidden_remainder_z
      - .offset:         168
        .size:           8
        .value_kind:     hidden_global_offset_x
      - .offset:         176
        .size:           8
        .value_kind:     hidden_global_offset_y
      - .offset:         184
        .size:           8
        .value_kind:     hidden_global_offset_z
      - .offset:         192
        .size:           2
        .value_kind:     hidden_grid_dims
      - .offset:         248
        .size:           4
        .value_kind:     hidden_dynamic_lds_size
    .group_segment_fixed_size: 240
    .kernarg_segment_align: 8
    .kernarg_segment_size: 384
    .language:       OpenCL C
    .language_version:
      - 2
      - 0
    .max_flat_workgroup_size: 1024
    .name:           _ZN4vllm25paged_attention_v1_kernelIttLi112ELi32ELi128ELNS_18Fp8KVCacheDataTypeE0ELb0EEEvPT_PKS2_PKT0_S8_ifPKiSA_iPKfiiiSC_SC_iiiii
    .private_segment_fixed_size: 0
    .sgpr_count:     41
    .sgpr_spill_count: 0
    .symbol:         _ZN4vllm25paged_attention_v1_kernelIttLi112ELi32ELi128ELNS_18Fp8KVCacheDataTypeE0ELb0EEEvPT_PKS2_PKT0_S8_ifPKiSA_iPKfiiiSC_SC_iiiii.kd
    .uniform_work_group_size: 1
    .uses_dynamic_stack: false
    .vgpr_count:     70
    .vgpr_spill_count: 0
    .wavefront_size: 64
  - .agpr_count:     0
    .args:
      - .actual_access:  write_only
        .address_space:  global
        .offset:         0
        .size:           8
        .value_kind:     global_buffer
      - .actual_access:  read_only
        .address_space:  global
        .offset:         8
        .size:           8
        .value_kind:     global_buffer
      - .actual_access:  read_only
        .address_space:  global
        .offset:         16
        .size:           8
        .value_kind:     global_buffer
      - .actual_access:  read_only
        .address_space:  global
        .offset:         24
        .size:           8
        .value_kind:     global_buffer
      - .offset:         32
        .size:           4
        .value_kind:     by_value
      - .offset:         36
        .size:           4
        .value_kind:     by_value
      - .actual_access:  read_only
        .address_space:  global
        .offset:         40
        .size:           8
        .value_kind:     global_buffer
      - .actual_access:  read_only
        .address_space:  global
        .offset:         48
        .size:           8
        .value_kind:     global_buffer
      - .offset:         56
        .size:           4
        .value_kind:     by_value
      - .actual_access:  read_only
        .address_space:  global
        .offset:         64
        .size:           8
        .value_kind:     global_buffer
      - .offset:         72
        .size:           4
        .value_kind:     by_value
      - .offset:         76
        .size:           4
        .value_kind:     by_value
      - .offset:         80
        .size:           4
        .value_kind:     by_value
      - .address_space:  global
        .offset:         88
        .size:           8
        .value_kind:     global_buffer
      - .address_space:  global
        .offset:         96
        .size:           8
        .value_kind:     global_buffer
      - .offset:         104
        .size:           4
        .value_kind:     by_value
      - .offset:         108
        .size:           4
        .value_kind:     by_value
      - .offset:         112
        .size:           4
        .value_kind:     by_value
      - .offset:         116
        .size:           4
        .value_kind:     by_value
      - .offset:         120
        .size:           4
        .value_kind:     by_value
      - .offset:         128
        .size:           4
        .value_kind:     hidden_block_count_x
      - .offset:         132
        .size:           4
        .value_kind:     hidden_block_count_y
      - .offset:         136
        .size:           4
        .value_kind:     hidden_block_count_z
      - .offset:         140
        .size:           2
        .value_kind:     hidden_group_size_x
      - .offset:         142
        .size:           2
        .value_kind:     hidden_group_size_y
      - .offset:         144
        .size:           2
        .value_kind:     hidden_group_size_z
      - .offset:         146
        .size:           2
        .value_kind:     hidden_remainder_x
      - .offset:         148
        .size:           2
        .value_kind:     hidden_remainder_y
      - .offset:         150
        .size:           2
        .value_kind:     hidden_remainder_z
      - .offset:         168
        .size:           8
        .value_kind:     hidden_global_offset_x
      - .offset:         176
        .size:           8
        .value_kind:     hidden_global_offset_y
      - .offset:         184
        .size:           8
        .value_kind:     hidden_global_offset_z
      - .offset:         192
        .size:           2
        .value_kind:     hidden_grid_dims
      - .offset:         248
        .size:           4
        .value_kind:     hidden_dynamic_lds_size
    .group_segment_fixed_size: 256
    .kernarg_segment_align: 8
    .kernarg_segment_size: 384
    .language:       OpenCL C
    .language_version:
      - 2
      - 0
    .max_flat_workgroup_size: 1024
    .name:           _ZN4vllm25paged_attention_v1_kernelIttLi120ELi32ELi128ELNS_18Fp8KVCacheDataTypeE0ELb0EEEvPT_PKS2_PKT0_S8_ifPKiSA_iPKfiiiSC_SC_iiiii
    .private_segment_fixed_size: 0
    .sgpr_count:     41
    .sgpr_spill_count: 0
    .symbol:         _ZN4vllm25paged_attention_v1_kernelIttLi120ELi32ELi128ELNS_18Fp8KVCacheDataTypeE0ELb0EEEvPT_PKS2_PKT0_S8_ifPKiSA_iPKfiiiSC_SC_iiiii.kd
    .uniform_work_group_size: 1
    .uses_dynamic_stack: false
    .vgpr_count:     69
    .vgpr_spill_count: 0
    .wavefront_size: 64
  - .agpr_count:     0
    .args:
      - .actual_access:  write_only
        .address_space:  global
        .offset:         0
        .size:           8
        .value_kind:     global_buffer
      - .actual_access:  read_only
        .address_space:  global
        .offset:         8
        .size:           8
        .value_kind:     global_buffer
      - .actual_access:  read_only
        .address_space:  global
        .offset:         16
        .size:           8
        .value_kind:     global_buffer
      - .actual_access:  read_only
        .address_space:  global
        .offset:         24
        .size:           8
        .value_kind:     global_buffer
      - .offset:         32
        .size:           4
        .value_kind:     by_value
      - .offset:         36
        .size:           4
        .value_kind:     by_value
      - .actual_access:  read_only
        .address_space:  global
        .offset:         40
        .size:           8
        .value_kind:     global_buffer
      - .actual_access:  read_only
        .address_space:  global
        .offset:         48
        .size:           8
        .value_kind:     global_buffer
      - .offset:         56
        .size:           4
        .value_kind:     by_value
      - .actual_access:  read_only
        .address_space:  global
        .offset:         64
        .size:           8
        .value_kind:     global_buffer
      - .offset:         72
        .size:           4
        .value_kind:     by_value
      - .offset:         76
        .size:           4
        .value_kind:     by_value
      - .offset:         80
        .size:           4
        .value_kind:     by_value
      - .address_space:  global
        .offset:         88
        .size:           8
        .value_kind:     global_buffer
      - .address_space:  global
        .offset:         96
        .size:           8
        .value_kind:     global_buffer
      - .offset:         104
        .size:           4
        .value_kind:     by_value
      - .offset:         108
        .size:           4
        .value_kind:     by_value
      - .offset:         112
        .size:           4
        .value_kind:     by_value
      - .offset:         116
        .size:           4
        .value_kind:     by_value
      - .offset:         120
        .size:           4
        .value_kind:     by_value
      - .offset:         128
        .size:           4
        .value_kind:     hidden_block_count_x
      - .offset:         132
        .size:           4
        .value_kind:     hidden_block_count_y
      - .offset:         136
        .size:           4
        .value_kind:     hidden_block_count_z
      - .offset:         140
        .size:           2
        .value_kind:     hidden_group_size_x
      - .offset:         142
        .size:           2
        .value_kind:     hidden_group_size_y
      - .offset:         144
        .size:           2
        .value_kind:     hidden_group_size_z
      - .offset:         146
        .size:           2
        .value_kind:     hidden_remainder_x
      - .offset:         148
        .size:           2
        .value_kind:     hidden_remainder_y
      - .offset:         150
        .size:           2
        .value_kind:     hidden_remainder_z
      - .offset:         168
        .size:           8
        .value_kind:     hidden_global_offset_x
      - .offset:         176
        .size:           8
        .value_kind:     hidden_global_offset_y
      - .offset:         184
        .size:           8
        .value_kind:     hidden_global_offset_z
      - .offset:         192
        .size:           2
        .value_kind:     hidden_grid_dims
      - .offset:         248
        .size:           4
        .value_kind:     hidden_dynamic_lds_size
    .group_segment_fixed_size: 272
    .kernarg_segment_align: 8
    .kernarg_segment_size: 384
    .language:       OpenCL C
    .language_version:
      - 2
      - 0
    .max_flat_workgroup_size: 1024
    .name:           _ZN4vllm25paged_attention_v1_kernelIttLi128ELi32ELi128ELNS_18Fp8KVCacheDataTypeE0ELb0EEEvPT_PKS2_PKT0_S8_ifPKiSA_iPKfiiiSC_SC_iiiii
    .private_segment_fixed_size: 0
    .sgpr_count:     41
    .sgpr_spill_count: 0
    .symbol:         _ZN4vllm25paged_attention_v1_kernelIttLi128ELi32ELi128ELNS_18Fp8KVCacheDataTypeE0ELb0EEEvPT_PKS2_PKT0_S8_ifPKiSA_iPKfiiiSC_SC_iiiii.kd
    .uniform_work_group_size: 1
    .uses_dynamic_stack: false
    .vgpr_count:     78
    .vgpr_spill_count: 0
    .wavefront_size: 64
  - .agpr_count:     0
    .args:
      - .actual_access:  write_only
        .address_space:  global
        .offset:         0
        .size:           8
        .value_kind:     global_buffer
      - .actual_access:  read_only
        .address_space:  global
        .offset:         8
        .size:           8
        .value_kind:     global_buffer
      - .actual_access:  read_only
        .address_space:  global
        .offset:         16
        .size:           8
        .value_kind:     global_buffer
      - .actual_access:  read_only
        .address_space:  global
        .offset:         24
        .size:           8
        .value_kind:     global_buffer
      - .offset:         32
        .size:           4
        .value_kind:     by_value
      - .offset:         36
        .size:           4
        .value_kind:     by_value
      - .actual_access:  read_only
        .address_space:  global
        .offset:         40
        .size:           8
        .value_kind:     global_buffer
      - .actual_access:  read_only
        .address_space:  global
        .offset:         48
        .size:           8
        .value_kind:     global_buffer
      - .offset:         56
        .size:           4
        .value_kind:     by_value
      - .actual_access:  read_only
        .address_space:  global
        .offset:         64
        .size:           8
        .value_kind:     global_buffer
      - .offset:         72
        .size:           4
        .value_kind:     by_value
      - .offset:         76
        .size:           4
        .value_kind:     by_value
      - .offset:         80
        .size:           4
        .value_kind:     by_value
      - .address_space:  global
        .offset:         88
        .size:           8
        .value_kind:     global_buffer
      - .address_space:  global
        .offset:         96
        .size:           8
        .value_kind:     global_buffer
      - .offset:         104
        .size:           4
        .value_kind:     by_value
      - .offset:         108
        .size:           4
        .value_kind:     by_value
      - .offset:         112
        .size:           4
        .value_kind:     by_value
      - .offset:         116
        .size:           4
        .value_kind:     by_value
      - .offset:         120
        .size:           4
        .value_kind:     by_value
      - .offset:         128
        .size:           4
        .value_kind:     hidden_block_count_x
      - .offset:         132
        .size:           4
        .value_kind:     hidden_block_count_y
      - .offset:         136
        .size:           4
        .value_kind:     hidden_block_count_z
      - .offset:         140
        .size:           2
        .value_kind:     hidden_group_size_x
      - .offset:         142
        .size:           2
        .value_kind:     hidden_group_size_y
      - .offset:         144
        .size:           2
        .value_kind:     hidden_group_size_z
      - .offset:         146
        .size:           2
        .value_kind:     hidden_remainder_x
      - .offset:         148
        .size:           2
        .value_kind:     hidden_remainder_y
      - .offset:         150
        .size:           2
        .value_kind:     hidden_remainder_z
      - .offset:         168
        .size:           8
        .value_kind:     hidden_global_offset_x
      - .offset:         176
        .size:           8
        .value_kind:     hidden_global_offset_y
      - .offset:         184
        .size:           8
        .value_kind:     hidden_global_offset_z
      - .offset:         192
        .size:           2
        .value_kind:     hidden_grid_dims
      - .offset:         248
        .size:           4
        .value_kind:     hidden_dynamic_lds_size
    .group_segment_fixed_size: 400
    .kernarg_segment_align: 8
    .kernarg_segment_size: 384
    .language:       OpenCL C
    .language_version:
      - 2
      - 0
    .max_flat_workgroup_size: 1024
    .name:           _ZN4vllm25paged_attention_v1_kernelIttLi192ELi32ELi128ELNS_18Fp8KVCacheDataTypeE0ELb0EEEvPT_PKS2_PKT0_S8_ifPKiSA_iPKfiiiSC_SC_iiiii
    .private_segment_fixed_size: 0
    .sgpr_count:     42
    .sgpr_spill_count: 0
    .symbol:         _ZN4vllm25paged_attention_v1_kernelIttLi192ELi32ELi128ELNS_18Fp8KVCacheDataTypeE0ELb0EEEvPT_PKS2_PKT0_S8_ifPKiSA_iPKfiiiSC_SC_iiiii.kd
    .uniform_work_group_size: 1
    .uses_dynamic_stack: false
    .vgpr_count:     90
    .vgpr_spill_count: 0
    .wavefront_size: 64
  - .agpr_count:     0
    .args:
      - .actual_access:  write_only
        .address_space:  global
        .offset:         0
        .size:           8
        .value_kind:     global_buffer
      - .actual_access:  read_only
        .address_space:  global
        .offset:         8
        .size:           8
        .value_kind:     global_buffer
      - .actual_access:  read_only
        .address_space:  global
        .offset:         16
        .size:           8
        .value_kind:     global_buffer
      - .actual_access:  read_only
        .address_space:  global
        .offset:         24
        .size:           8
        .value_kind:     global_buffer
      - .offset:         32
        .size:           4
        .value_kind:     by_value
      - .offset:         36
        .size:           4
        .value_kind:     by_value
      - .actual_access:  read_only
        .address_space:  global
        .offset:         40
        .size:           8
        .value_kind:     global_buffer
      - .actual_access:  read_only
        .address_space:  global
        .offset:         48
        .size:           8
        .value_kind:     global_buffer
      - .offset:         56
        .size:           4
        .value_kind:     by_value
      - .actual_access:  read_only
        .address_space:  global
        .offset:         64
        .size:           8
        .value_kind:     global_buffer
      - .offset:         72
        .size:           4
        .value_kind:     by_value
      - .offset:         76
        .size:           4
        .value_kind:     by_value
      - .offset:         80
        .size:           4
        .value_kind:     by_value
      - .address_space:  global
        .offset:         88
        .size:           8
        .value_kind:     global_buffer
      - .address_space:  global
        .offset:         96
        .size:           8
        .value_kind:     global_buffer
      - .offset:         104
        .size:           4
        .value_kind:     by_value
      - .offset:         108
        .size:           4
        .value_kind:     by_value
      - .offset:         112
        .size:           4
        .value_kind:     by_value
      - .offset:         116
        .size:           4
        .value_kind:     by_value
      - .offset:         120
        .size:           4
        .value_kind:     by_value
      - .offset:         128
        .size:           4
        .value_kind:     hidden_block_count_x
      - .offset:         132
        .size:           4
        .value_kind:     hidden_block_count_y
      - .offset:         136
        .size:           4
        .value_kind:     hidden_block_count_z
      - .offset:         140
        .size:           2
        .value_kind:     hidden_group_size_x
      - .offset:         142
        .size:           2
        .value_kind:     hidden_group_size_y
      - .offset:         144
        .size:           2
        .value_kind:     hidden_group_size_z
      - .offset:         146
        .size:           2
        .value_kind:     hidden_remainder_x
      - .offset:         148
        .size:           2
        .value_kind:     hidden_remainder_y
      - .offset:         150
        .size:           2
        .value_kind:     hidden_remainder_z
      - .offset:         168
        .size:           8
        .value_kind:     hidden_global_offset_x
      - .offset:         176
        .size:           8
        .value_kind:     hidden_global_offset_y
      - .offset:         184
        .size:           8
        .value_kind:     hidden_global_offset_z
      - .offset:         192
        .size:           2
        .value_kind:     hidden_grid_dims
      - .offset:         248
        .size:           4
        .value_kind:     hidden_dynamic_lds_size
    .group_segment_fixed_size: 528
    .kernarg_segment_align: 8
    .kernarg_segment_size: 384
    .language:       OpenCL C
    .language_version:
      - 2
      - 0
    .max_flat_workgroup_size: 1024
    .name:           _ZN4vllm25paged_attention_v1_kernelIttLi256ELi32ELi128ELNS_18Fp8KVCacheDataTypeE0ELb0EEEvPT_PKS2_PKT0_S8_ifPKiSA_iPKfiiiSC_SC_iiiii
    .private_segment_fixed_size: 0
    .sgpr_count:     45
    .sgpr_spill_count: 0
    .symbol:         _ZN4vllm25paged_attention_v1_kernelIttLi256ELi32ELi128ELNS_18Fp8KVCacheDataTypeE0ELb0EEEvPT_PKS2_PKT0_S8_ifPKiSA_iPKfiiiSC_SC_iiiii.kd
    .uniform_work_group_size: 1
    .uses_dynamic_stack: false
    .vgpr_count:     111
    .vgpr_spill_count: 0
    .wavefront_size: 64
  - .agpr_count:     0
    .args:
      - .actual_access:  write_only
        .address_space:  global
        .offset:         0
        .size:           8
        .value_kind:     global_buffer
      - .actual_access:  read_only
        .address_space:  global
        .offset:         8
        .size:           8
        .value_kind:     global_buffer
      - .actual_access:  read_only
        .address_space:  global
        .offset:         16
        .size:           8
        .value_kind:     global_buffer
      - .actual_access:  read_only
        .address_space:  global
        .offset:         24
        .size:           8
        .value_kind:     global_buffer
      - .offset:         32
        .size:           4
        .value_kind:     by_value
      - .offset:         36
        .size:           4
        .value_kind:     by_value
      - .actual_access:  read_only
        .address_space:  global
        .offset:         40
        .size:           8
        .value_kind:     global_buffer
      - .actual_access:  read_only
        .address_space:  global
        .offset:         48
        .size:           8
        .value_kind:     global_buffer
      - .offset:         56
        .size:           4
        .value_kind:     by_value
      - .actual_access:  read_only
        .address_space:  global
        .offset:         64
        .size:           8
        .value_kind:     global_buffer
      - .offset:         72
        .size:           4
        .value_kind:     by_value
      - .offset:         76
        .size:           4
        .value_kind:     by_value
      - .offset:         80
        .size:           4
        .value_kind:     by_value
      - .address_space:  global
        .offset:         88
        .size:           8
        .value_kind:     global_buffer
      - .address_space:  global
        .offset:         96
        .size:           8
        .value_kind:     global_buffer
      - .offset:         104
        .size:           4
        .value_kind:     by_value
      - .offset:         108
        .size:           4
        .value_kind:     by_value
      - .offset:         112
        .size:           4
        .value_kind:     by_value
      - .offset:         116
        .size:           4
        .value_kind:     by_value
      - .offset:         120
        .size:           4
        .value_kind:     by_value
      - .offset:         128
        .size:           4
        .value_kind:     hidden_block_count_x
      - .offset:         132
        .size:           4
        .value_kind:     hidden_block_count_y
      - .offset:         136
        .size:           4
        .value_kind:     hidden_block_count_z
      - .offset:         140
        .size:           2
        .value_kind:     hidden_group_size_x
      - .offset:         142
        .size:           2
        .value_kind:     hidden_group_size_y
      - .offset:         144
        .size:           2
        .value_kind:     hidden_group_size_z
      - .offset:         146
        .size:           2
        .value_kind:     hidden_remainder_x
      - .offset:         148
        .size:           2
        .value_kind:     hidden_remainder_y
      - .offset:         150
        .size:           2
        .value_kind:     hidden_remainder_z
      - .offset:         168
        .size:           8
        .value_kind:     hidden_global_offset_x
      - .offset:         176
        .size:           8
        .value_kind:     hidden_global_offset_y
      - .offset:         184
        .size:           8
        .value_kind:     hidden_global_offset_z
      - .offset:         192
        .size:           2
        .value_kind:     hidden_grid_dims
      - .offset:         248
        .size:           4
        .value_kind:     hidden_dynamic_lds_size
    .group_segment_fixed_size: 80
    .kernarg_segment_align: 8
    .kernarg_segment_size: 384
    .language:       OpenCL C
    .language_version:
      - 2
      - 0
    .max_flat_workgroup_size: 1024
    .name:           _ZN4vllm25paged_attention_v1_kernelI14__hip_bfloat16S1_Li32ELi8ELi128ELNS_18Fp8KVCacheDataTypeE0ELb1EEEvPT_PKS3_PKT0_S9_ifPKiSB_iPKfiiiSD_SD_iiiii
    .private_segment_fixed_size: 0
    .sgpr_count:     50
    .sgpr_spill_count: 0
    .symbol:         _ZN4vllm25paged_attention_v1_kernelI14__hip_bfloat16S1_Li32ELi8ELi128ELNS_18Fp8KVCacheDataTypeE0ELb1EEEvPT_PKS3_PKT0_S9_ifPKiSB_iPKfiiiSD_SD_iiiii.kd
    .uniform_work_group_size: 1
    .uses_dynamic_stack: false
    .vgpr_count:     32
    .vgpr_spill_count: 0
    .wavefront_size: 64
  - .agpr_count:     0
    .args:
      - .actual_access:  write_only
        .address_space:  global
        .offset:         0
        .size:           8
        .value_kind:     global_buffer
      - .actual_access:  read_only
        .address_space:  global
        .offset:         8
        .size:           8
        .value_kind:     global_buffer
      - .actual_access:  read_only
        .address_space:  global
        .offset:         16
        .size:           8
        .value_kind:     global_buffer
      - .actual_access:  read_only
        .address_space:  global
        .offset:         24
        .size:           8
        .value_kind:     global_buffer
      - .offset:         32
        .size:           4
        .value_kind:     by_value
      - .offset:         36
        .size:           4
        .value_kind:     by_value
      - .actual_access:  read_only
        .address_space:  global
        .offset:         40
        .size:           8
        .value_kind:     global_buffer
      - .actual_access:  read_only
        .address_space:  global
        .offset:         48
        .size:           8
        .value_kind:     global_buffer
      - .offset:         56
        .size:           4
        .value_kind:     by_value
      - .actual_access:  read_only
        .address_space:  global
        .offset:         64
        .size:           8
        .value_kind:     global_buffer
      - .offset:         72
        .size:           4
        .value_kind:     by_value
      - .offset:         76
        .size:           4
        .value_kind:     by_value
      - .offset:         80
        .size:           4
        .value_kind:     by_value
      - .address_space:  global
        .offset:         88
        .size:           8
        .value_kind:     global_buffer
      - .address_space:  global
        .offset:         96
        .size:           8
        .value_kind:     global_buffer
      - .offset:         104
        .size:           4
        .value_kind:     by_value
      - .offset:         108
        .size:           4
        .value_kind:     by_value
      - .offset:         112
        .size:           4
        .value_kind:     by_value
      - .offset:         116
        .size:           4
        .value_kind:     by_value
      - .offset:         120
        .size:           4
        .value_kind:     by_value
      - .offset:         128
        .size:           4
        .value_kind:     hidden_block_count_x
      - .offset:         132
        .size:           4
        .value_kind:     hidden_block_count_y
      - .offset:         136
        .size:           4
        .value_kind:     hidden_block_count_z
      - .offset:         140
        .size:           2
        .value_kind:     hidden_group_size_x
      - .offset:         142
        .size:           2
        .value_kind:     hidden_group_size_y
      - .offset:         144
        .size:           2
        .value_kind:     hidden_group_size_z
      - .offset:         146
        .size:           2
        .value_kind:     hidden_remainder_x
      - .offset:         148
        .size:           2
        .value_kind:     hidden_remainder_y
      - .offset:         150
        .size:           2
        .value_kind:     hidden_remainder_z
      - .offset:         168
        .size:           8
        .value_kind:     hidden_global_offset_x
      - .offset:         176
        .size:           8
        .value_kind:     hidden_global_offset_y
      - .offset:         184
        .size:           8
        .value_kind:     hidden_global_offset_z
      - .offset:         192
        .size:           2
        .value_kind:     hidden_grid_dims
      - .offset:         248
        .size:           4
        .value_kind:     hidden_dynamic_lds_size
    .group_segment_fixed_size: 144
    .kernarg_segment_align: 8
    .kernarg_segment_size: 384
    .language:       OpenCL C
    .language_version:
      - 2
      - 0
    .max_flat_workgroup_size: 1024
    .name:           _ZN4vllm25paged_attention_v1_kernelI14__hip_bfloat16S1_Li64ELi8ELi128ELNS_18Fp8KVCacheDataTypeE0ELb1EEEvPT_PKS3_PKT0_S9_ifPKiSB_iPKfiiiSD_SD_iiiii
    .private_segment_fixed_size: 0
    .sgpr_count:     52
    .sgpr_spill_count: 0
    .symbol:         _ZN4vllm25paged_attention_v1_kernelI14__hip_bfloat16S1_Li64ELi8ELi128ELNS_18Fp8KVCacheDataTypeE0ELb1EEEvPT_PKS3_PKT0_S9_ifPKiSB_iPKfiiiSD_SD_iiiii.kd
    .uniform_work_group_size: 1
    .uses_dynamic_stack: false
    .vgpr_count:     40
    .vgpr_spill_count: 0
    .wavefront_size: 64
  - .agpr_count:     0
    .args:
      - .actual_access:  write_only
        .address_space:  global
        .offset:         0
        .size:           8
        .value_kind:     global_buffer
      - .actual_access:  read_only
        .address_space:  global
        .offset:         8
        .size:           8
        .value_kind:     global_buffer
      - .actual_access:  read_only
        .address_space:  global
        .offset:         16
        .size:           8
        .value_kind:     global_buffer
      - .actual_access:  read_only
        .address_space:  global
        .offset:         24
        .size:           8
        .value_kind:     global_buffer
      - .offset:         32
        .size:           4
        .value_kind:     by_value
      - .offset:         36
        .size:           4
        .value_kind:     by_value
      - .actual_access:  read_only
        .address_space:  global
        .offset:         40
        .size:           8
        .value_kind:     global_buffer
      - .actual_access:  read_only
        .address_space:  global
        .offset:         48
        .size:           8
        .value_kind:     global_buffer
      - .offset:         56
        .size:           4
        .value_kind:     by_value
      - .actual_access:  read_only
        .address_space:  global
        .offset:         64
        .size:           8
        .value_kind:     global_buffer
      - .offset:         72
        .size:           4
        .value_kind:     by_value
      - .offset:         76
        .size:           4
        .value_kind:     by_value
      - .offset:         80
        .size:           4
        .value_kind:     by_value
      - .address_space:  global
        .offset:         88
        .size:           8
        .value_kind:     global_buffer
      - .address_space:  global
        .offset:         96
        .size:           8
        .value_kind:     global_buffer
      - .offset:         104
        .size:           4
        .value_kind:     by_value
      - .offset:         108
        .size:           4
        .value_kind:     by_value
      - .offset:         112
        .size:           4
        .value_kind:     by_value
      - .offset:         116
        .size:           4
        .value_kind:     by_value
      - .offset:         120
        .size:           4
        .value_kind:     by_value
      - .offset:         128
        .size:           4
        .value_kind:     hidden_block_count_x
      - .offset:         132
        .size:           4
        .value_kind:     hidden_block_count_y
      - .offset:         136
        .size:           4
        .value_kind:     hidden_block_count_z
      - .offset:         140
        .size:           2
        .value_kind:     hidden_group_size_x
      - .offset:         142
        .size:           2
        .value_kind:     hidden_group_size_y
      - .offset:         144
        .size:           2
        .value_kind:     hidden_group_size_z
      - .offset:         146
        .size:           2
        .value_kind:     hidden_remainder_x
      - .offset:         148
        .size:           2
        .value_kind:     hidden_remainder_y
      - .offset:         150
        .size:           2
        .value_kind:     hidden_remainder_z
      - .offset:         168
        .size:           8
        .value_kind:     hidden_global_offset_x
      - .offset:         176
        .size:           8
        .value_kind:     hidden_global_offset_y
      - .offset:         184
        .size:           8
        .value_kind:     hidden_global_offset_z
      - .offset:         192
        .size:           2
        .value_kind:     hidden_grid_dims
      - .offset:         248
        .size:           4
        .value_kind:     hidden_dynamic_lds_size
    .group_segment_fixed_size: 176
    .kernarg_segment_align: 8
    .kernarg_segment_size: 384
    .language:       OpenCL C
    .language_version:
      - 2
      - 0
    .max_flat_workgroup_size: 1024
    .name:           _ZN4vllm25paged_attention_v1_kernelI14__hip_bfloat16S1_Li80ELi8ELi128ELNS_18Fp8KVCacheDataTypeE0ELb1EEEvPT_PKS3_PKT0_S9_ifPKiSB_iPKfiiiSD_SD_iiiii
    .private_segment_fixed_size: 0
    .sgpr_count:     53
    .sgpr_spill_count: 0
    .symbol:         _ZN4vllm25paged_attention_v1_kernelI14__hip_bfloat16S1_Li80ELi8ELi128ELNS_18Fp8KVCacheDataTypeE0ELb1EEEvPT_PKS3_PKT0_S9_ifPKiSB_iPKfiiiSD_SD_iiiii.kd
    .uniform_work_group_size: 1
    .uses_dynamic_stack: false
    .vgpr_count:     45
    .vgpr_spill_count: 0
    .wavefront_size: 64
  - .agpr_count:     0
    .args:
      - .actual_access:  write_only
        .address_space:  global
        .offset:         0
        .size:           8
        .value_kind:     global_buffer
      - .actual_access:  read_only
        .address_space:  global
        .offset:         8
        .size:           8
        .value_kind:     global_buffer
      - .actual_access:  read_only
        .address_space:  global
        .offset:         16
        .size:           8
        .value_kind:     global_buffer
      - .actual_access:  read_only
        .address_space:  global
        .offset:         24
        .size:           8
        .value_kind:     global_buffer
      - .offset:         32
        .size:           4
        .value_kind:     by_value
      - .offset:         36
        .size:           4
        .value_kind:     by_value
      - .actual_access:  read_only
        .address_space:  global
        .offset:         40
        .size:           8
        .value_kind:     global_buffer
      - .actual_access:  read_only
        .address_space:  global
        .offset:         48
        .size:           8
        .value_kind:     global_buffer
      - .offset:         56
        .size:           4
        .value_kind:     by_value
      - .actual_access:  read_only
        .address_space:  global
        .offset:         64
        .size:           8
        .value_kind:     global_buffer
      - .offset:         72
        .size:           4
        .value_kind:     by_value
      - .offset:         76
        .size:           4
        .value_kind:     by_value
      - .offset:         80
        .size:           4
        .value_kind:     by_value
      - .address_space:  global
        .offset:         88
        .size:           8
        .value_kind:     global_buffer
      - .address_space:  global
        .offset:         96
        .size:           8
        .value_kind:     global_buffer
      - .offset:         104
        .size:           4
        .value_kind:     by_value
      - .offset:         108
        .size:           4
        .value_kind:     by_value
      - .offset:         112
        .size:           4
        .value_kind:     by_value
      - .offset:         116
        .size:           4
        .value_kind:     by_value
      - .offset:         120
        .size:           4
        .value_kind:     by_value
      - .offset:         128
        .size:           4
        .value_kind:     hidden_block_count_x
      - .offset:         132
        .size:           4
        .value_kind:     hidden_block_count_y
      - .offset:         136
        .size:           4
        .value_kind:     hidden_block_count_z
      - .offset:         140
        .size:           2
        .value_kind:     hidden_group_size_x
      - .offset:         142
        .size:           2
        .value_kind:     hidden_group_size_y
      - .offset:         144
        .size:           2
        .value_kind:     hidden_group_size_z
      - .offset:         146
        .size:           2
        .value_kind:     hidden_remainder_x
      - .offset:         148
        .size:           2
        .value_kind:     hidden_remainder_y
      - .offset:         150
        .size:           2
        .value_kind:     hidden_remainder_z
      - .offset:         168
        .size:           8
        .value_kind:     hidden_global_offset_x
      - .offset:         176
        .size:           8
        .value_kind:     hidden_global_offset_y
      - .offset:         184
        .size:           8
        .value_kind:     hidden_global_offset_z
      - .offset:         192
        .size:           2
        .value_kind:     hidden_grid_dims
      - .offset:         248
        .size:           4
        .value_kind:     hidden_dynamic_lds_size
    .group_segment_fixed_size: 208
    .kernarg_segment_align: 8
    .kernarg_segment_size: 384
    .language:       OpenCL C
    .language_version:
      - 2
      - 0
    .max_flat_workgroup_size: 1024
    .name:           _ZN4vllm25paged_attention_v1_kernelI14__hip_bfloat16S1_Li96ELi8ELi128ELNS_18Fp8KVCacheDataTypeE0ELb1EEEvPT_PKS3_PKT0_S9_ifPKiSB_iPKfiiiSD_SD_iiiii
    .private_segment_fixed_size: 0
    .sgpr_count:     53
    .sgpr_spill_count: 0
    .symbol:         _ZN4vllm25paged_attention_v1_kernelI14__hip_bfloat16S1_Li96ELi8ELi128ELNS_18Fp8KVCacheDataTypeE0ELb1EEEvPT_PKS3_PKT0_S9_ifPKiSB_iPKfiiiSD_SD_iiiii.kd
    .uniform_work_group_size: 1
    .uses_dynamic_stack: false
    .vgpr_count:     49
    .vgpr_spill_count: 0
    .wavefront_size: 64
  - .agpr_count:     0
    .args:
      - .actual_access:  write_only
        .address_space:  global
        .offset:         0
        .size:           8
        .value_kind:     global_buffer
      - .actual_access:  read_only
        .address_space:  global
        .offset:         8
        .size:           8
        .value_kind:     global_buffer
      - .actual_access:  read_only
        .address_space:  global
        .offset:         16
        .size:           8
        .value_kind:     global_buffer
      - .actual_access:  read_only
        .address_space:  global
        .offset:         24
        .size:           8
        .value_kind:     global_buffer
      - .offset:         32
        .size:           4
        .value_kind:     by_value
      - .offset:         36
        .size:           4
        .value_kind:     by_value
      - .actual_access:  read_only
        .address_space:  global
        .offset:         40
        .size:           8
        .value_kind:     global_buffer
      - .actual_access:  read_only
        .address_space:  global
        .offset:         48
        .size:           8
        .value_kind:     global_buffer
      - .offset:         56
        .size:           4
        .value_kind:     by_value
      - .actual_access:  read_only
        .address_space:  global
        .offset:         64
        .size:           8
        .value_kind:     global_buffer
      - .offset:         72
        .size:           4
        .value_kind:     by_value
      - .offset:         76
        .size:           4
        .value_kind:     by_value
      - .offset:         80
        .size:           4
        .value_kind:     by_value
      - .address_space:  global
        .offset:         88
        .size:           8
        .value_kind:     global_buffer
      - .address_space:  global
        .offset:         96
        .size:           8
        .value_kind:     global_buffer
      - .offset:         104
        .size:           4
        .value_kind:     by_value
      - .offset:         108
        .size:           4
        .value_kind:     by_value
      - .offset:         112
        .size:           4
        .value_kind:     by_value
      - .offset:         116
        .size:           4
        .value_kind:     by_value
      - .offset:         120
        .size:           4
        .value_kind:     by_value
      - .offset:         128
        .size:           4
        .value_kind:     hidden_block_count_x
      - .offset:         132
        .size:           4
        .value_kind:     hidden_block_count_y
      - .offset:         136
        .size:           4
        .value_kind:     hidden_block_count_z
      - .offset:         140
        .size:           2
        .value_kind:     hidden_group_size_x
      - .offset:         142
        .size:           2
        .value_kind:     hidden_group_size_y
      - .offset:         144
        .size:           2
        .value_kind:     hidden_group_size_z
      - .offset:         146
        .size:           2
        .value_kind:     hidden_remainder_x
      - .offset:         148
        .size:           2
        .value_kind:     hidden_remainder_y
      - .offset:         150
        .size:           2
        .value_kind:     hidden_remainder_z
      - .offset:         168
        .size:           8
        .value_kind:     hidden_global_offset_x
      - .offset:         176
        .size:           8
        .value_kind:     hidden_global_offset_y
      - .offset:         184
        .size:           8
        .value_kind:     hidden_global_offset_z
      - .offset:         192
        .size:           2
        .value_kind:     hidden_grid_dims
      - .offset:         248
        .size:           4
        .value_kind:     hidden_dynamic_lds_size
    .group_segment_fixed_size: 240
    .kernarg_segment_align: 8
    .kernarg_segment_size: 384
    .language:       OpenCL C
    .language_version:
      - 2
      - 0
    .max_flat_workgroup_size: 1024
    .name:           _ZN4vllm25paged_attention_v1_kernelI14__hip_bfloat16S1_Li112ELi8ELi128ELNS_18Fp8KVCacheDataTypeE0ELb1EEEvPT_PKS3_PKT0_S9_ifPKiSB_iPKfiiiSD_SD_iiiii
    .private_segment_fixed_size: 0
    .sgpr_count:     53
    .sgpr_spill_count: 0
    .symbol:         _ZN4vllm25paged_attention_v1_kernelI14__hip_bfloat16S1_Li112ELi8ELi128ELNS_18Fp8KVCacheDataTypeE0ELb1EEEvPT_PKS3_PKT0_S9_ifPKiSB_iPKfiiiSD_SD_iiiii.kd
    .uniform_work_group_size: 1
    .uses_dynamic_stack: false
    .vgpr_count:     53
    .vgpr_spill_count: 0
    .wavefront_size: 64
  - .agpr_count:     0
    .args:
      - .actual_access:  write_only
        .address_space:  global
        .offset:         0
        .size:           8
        .value_kind:     global_buffer
      - .actual_access:  read_only
        .address_space:  global
        .offset:         8
        .size:           8
        .value_kind:     global_buffer
      - .actual_access:  read_only
        .address_space:  global
        .offset:         16
        .size:           8
        .value_kind:     global_buffer
      - .actual_access:  read_only
        .address_space:  global
        .offset:         24
        .size:           8
        .value_kind:     global_buffer
      - .offset:         32
        .size:           4
        .value_kind:     by_value
      - .offset:         36
        .size:           4
        .value_kind:     by_value
      - .actual_access:  read_only
        .address_space:  global
        .offset:         40
        .size:           8
        .value_kind:     global_buffer
      - .actual_access:  read_only
        .address_space:  global
        .offset:         48
        .size:           8
        .value_kind:     global_buffer
      - .offset:         56
        .size:           4
        .value_kind:     by_value
      - .actual_access:  read_only
        .address_space:  global
        .offset:         64
        .size:           8
        .value_kind:     global_buffer
      - .offset:         72
        .size:           4
        .value_kind:     by_value
      - .offset:         76
        .size:           4
        .value_kind:     by_value
      - .offset:         80
        .size:           4
        .value_kind:     by_value
      - .address_space:  global
        .offset:         88
        .size:           8
        .value_kind:     global_buffer
      - .address_space:  global
        .offset:         96
        .size:           8
        .value_kind:     global_buffer
      - .offset:         104
        .size:           4
        .value_kind:     by_value
      - .offset:         108
        .size:           4
        .value_kind:     by_value
      - .offset:         112
        .size:           4
        .value_kind:     by_value
      - .offset:         116
        .size:           4
        .value_kind:     by_value
      - .offset:         120
        .size:           4
        .value_kind:     by_value
      - .offset:         128
        .size:           4
        .value_kind:     hidden_block_count_x
      - .offset:         132
        .size:           4
        .value_kind:     hidden_block_count_y
      - .offset:         136
        .size:           4
        .value_kind:     hidden_block_count_z
      - .offset:         140
        .size:           2
        .value_kind:     hidden_group_size_x
      - .offset:         142
        .size:           2
        .value_kind:     hidden_group_size_y
      - .offset:         144
        .size:           2
        .value_kind:     hidden_group_size_z
      - .offset:         146
        .size:           2
        .value_kind:     hidden_remainder_x
      - .offset:         148
        .size:           2
        .value_kind:     hidden_remainder_y
      - .offset:         150
        .size:           2
        .value_kind:     hidden_remainder_z
      - .offset:         168
        .size:           8
        .value_kind:     hidden_global_offset_x
      - .offset:         176
        .size:           8
        .value_kind:     hidden_global_offset_y
      - .offset:         184
        .size:           8
        .value_kind:     hidden_global_offset_z
      - .offset:         192
        .size:           2
        .value_kind:     hidden_grid_dims
      - .offset:         248
        .size:           4
        .value_kind:     hidden_dynamic_lds_size
    .group_segment_fixed_size: 256
    .kernarg_segment_align: 8
    .kernarg_segment_size: 384
    .language:       OpenCL C
    .language_version:
      - 2
      - 0
    .max_flat_workgroup_size: 1024
    .name:           _ZN4vllm25paged_attention_v1_kernelI14__hip_bfloat16S1_Li120ELi8ELi128ELNS_18Fp8KVCacheDataTypeE0ELb1EEEvPT_PKS3_PKT0_S9_ifPKiSB_iPKfiiiSD_SD_iiiii
    .private_segment_fixed_size: 0
    .sgpr_count:     53
    .sgpr_spill_count: 0
    .symbol:         _ZN4vllm25paged_attention_v1_kernelI14__hip_bfloat16S1_Li120ELi8ELi128ELNS_18Fp8KVCacheDataTypeE0ELb1EEEvPT_PKS3_PKT0_S9_ifPKiSB_iPKfiiiSD_SD_iiiii.kd
    .uniform_work_group_size: 1
    .uses_dynamic_stack: false
    .vgpr_count:     55
    .vgpr_spill_count: 0
    .wavefront_size: 64
  - .agpr_count:     0
    .args:
      - .actual_access:  write_only
        .address_space:  global
        .offset:         0
        .size:           8
        .value_kind:     global_buffer
      - .actual_access:  read_only
        .address_space:  global
        .offset:         8
        .size:           8
        .value_kind:     global_buffer
      - .actual_access:  read_only
        .address_space:  global
        .offset:         16
        .size:           8
        .value_kind:     global_buffer
      - .actual_access:  read_only
        .address_space:  global
        .offset:         24
        .size:           8
        .value_kind:     global_buffer
      - .offset:         32
        .size:           4
        .value_kind:     by_value
      - .offset:         36
        .size:           4
        .value_kind:     by_value
      - .actual_access:  read_only
        .address_space:  global
        .offset:         40
        .size:           8
        .value_kind:     global_buffer
      - .actual_access:  read_only
        .address_space:  global
        .offset:         48
        .size:           8
        .value_kind:     global_buffer
      - .offset:         56
        .size:           4
        .value_kind:     by_value
      - .actual_access:  read_only
        .address_space:  global
        .offset:         64
        .size:           8
        .value_kind:     global_buffer
      - .offset:         72
        .size:           4
        .value_kind:     by_value
      - .offset:         76
        .size:           4
        .value_kind:     by_value
      - .offset:         80
        .size:           4
        .value_kind:     by_value
      - .address_space:  global
        .offset:         88
        .size:           8
        .value_kind:     global_buffer
      - .address_space:  global
        .offset:         96
        .size:           8
        .value_kind:     global_buffer
      - .offset:         104
        .size:           4
        .value_kind:     by_value
      - .offset:         108
        .size:           4
        .value_kind:     by_value
      - .offset:         112
        .size:           4
        .value_kind:     by_value
      - .offset:         116
        .size:           4
        .value_kind:     by_value
      - .offset:         120
        .size:           4
        .value_kind:     by_value
      - .offset:         128
        .size:           4
        .value_kind:     hidden_block_count_x
      - .offset:         132
        .size:           4
        .value_kind:     hidden_block_count_y
      - .offset:         136
        .size:           4
        .value_kind:     hidden_block_count_z
      - .offset:         140
        .size:           2
        .value_kind:     hidden_group_size_x
      - .offset:         142
        .size:           2
        .value_kind:     hidden_group_size_y
      - .offset:         144
        .size:           2
        .value_kind:     hidden_group_size_z
      - .offset:         146
        .size:           2
        .value_kind:     hidden_remainder_x
      - .offset:         148
        .size:           2
        .value_kind:     hidden_remainder_y
      - .offset:         150
        .size:           2
        .value_kind:     hidden_remainder_z
      - .offset:         168
        .size:           8
        .value_kind:     hidden_global_offset_x
      - .offset:         176
        .size:           8
        .value_kind:     hidden_global_offset_y
      - .offset:         184
        .size:           8
        .value_kind:     hidden_global_offset_z
      - .offset:         192
        .size:           2
        .value_kind:     hidden_grid_dims
      - .offset:         248
        .size:           4
        .value_kind:     hidden_dynamic_lds_size
    .group_segment_fixed_size: 272
    .kernarg_segment_align: 8
    .kernarg_segment_size: 384
    .language:       OpenCL C
    .language_version:
      - 2
      - 0
    .max_flat_workgroup_size: 1024
    .name:           _ZN4vllm25paged_attention_v1_kernelI14__hip_bfloat16S1_Li128ELi8ELi128ELNS_18Fp8KVCacheDataTypeE0ELb1EEEvPT_PKS3_PKT0_S9_ifPKiSB_iPKfiiiSD_SD_iiiii
    .private_segment_fixed_size: 0
    .sgpr_count:     50
    .sgpr_spill_count: 0
    .symbol:         _ZN4vllm25paged_attention_v1_kernelI14__hip_bfloat16S1_Li128ELi8ELi128ELNS_18Fp8KVCacheDataTypeE0ELb1EEEvPT_PKS3_PKT0_S9_ifPKiSB_iPKfiiiSD_SD_iiiii.kd
    .uniform_work_group_size: 1
    .uses_dynamic_stack: false
    .vgpr_count:     57
    .vgpr_spill_count: 0
    .wavefront_size: 64
  - .agpr_count:     0
    .args:
      - .actual_access:  write_only
        .address_space:  global
        .offset:         0
        .size:           8
        .value_kind:     global_buffer
      - .actual_access:  read_only
        .address_space:  global
        .offset:         8
        .size:           8
        .value_kind:     global_buffer
      - .actual_access:  read_only
        .address_space:  global
        .offset:         16
        .size:           8
        .value_kind:     global_buffer
      - .actual_access:  read_only
        .address_space:  global
        .offset:         24
        .size:           8
        .value_kind:     global_buffer
      - .offset:         32
        .size:           4
        .value_kind:     by_value
      - .offset:         36
        .size:           4
        .value_kind:     by_value
      - .actual_access:  read_only
        .address_space:  global
        .offset:         40
        .size:           8
        .value_kind:     global_buffer
      - .actual_access:  read_only
        .address_space:  global
        .offset:         48
        .size:           8
        .value_kind:     global_buffer
      - .offset:         56
        .size:           4
        .value_kind:     by_value
      - .actual_access:  read_only
        .address_space:  global
        .offset:         64
        .size:           8
        .value_kind:     global_buffer
      - .offset:         72
        .size:           4
        .value_kind:     by_value
      - .offset:         76
        .size:           4
        .value_kind:     by_value
      - .offset:         80
        .size:           4
        .value_kind:     by_value
      - .address_space:  global
        .offset:         88
        .size:           8
        .value_kind:     global_buffer
      - .address_space:  global
        .offset:         96
        .size:           8
        .value_kind:     global_buffer
      - .offset:         104
        .size:           4
        .value_kind:     by_value
      - .offset:         108
        .size:           4
        .value_kind:     by_value
      - .offset:         112
        .size:           4
        .value_kind:     by_value
      - .offset:         116
        .size:           4
        .value_kind:     by_value
      - .offset:         120
        .size:           4
        .value_kind:     by_value
      - .offset:         128
        .size:           4
        .value_kind:     hidden_block_count_x
      - .offset:         132
        .size:           4
        .value_kind:     hidden_block_count_y
      - .offset:         136
        .size:           4
        .value_kind:     hidden_block_count_z
      - .offset:         140
        .size:           2
        .value_kind:     hidden_group_size_x
      - .offset:         142
        .size:           2
        .value_kind:     hidden_group_size_y
      - .offset:         144
        .size:           2
        .value_kind:     hidden_group_size_z
      - .offset:         146
        .size:           2
        .value_kind:     hidden_remainder_x
      - .offset:         148
        .size:           2
        .value_kind:     hidden_remainder_y
      - .offset:         150
        .size:           2
        .value_kind:     hidden_remainder_z
      - .offset:         168
        .size:           8
        .value_kind:     hidden_global_offset_x
      - .offset:         176
        .size:           8
        .value_kind:     hidden_global_offset_y
      - .offset:         184
        .size:           8
        .value_kind:     hidden_global_offset_z
      - .offset:         192
        .size:           2
        .value_kind:     hidden_grid_dims
      - .offset:         248
        .size:           4
        .value_kind:     hidden_dynamic_lds_size
    .group_segment_fixed_size: 400
    .kernarg_segment_align: 8
    .kernarg_segment_size: 384
    .language:       OpenCL C
    .language_version:
      - 2
      - 0
    .max_flat_workgroup_size: 1024
    .name:           _ZN4vllm25paged_attention_v1_kernelI14__hip_bfloat16S1_Li192ELi8ELi128ELNS_18Fp8KVCacheDataTypeE0ELb1EEEvPT_PKS3_PKT0_S9_ifPKiSB_iPKfiiiSD_SD_iiiii
    .private_segment_fixed_size: 0
    .sgpr_count:     50
    .sgpr_spill_count: 0
    .symbol:         _ZN4vllm25paged_attention_v1_kernelI14__hip_bfloat16S1_Li192ELi8ELi128ELNS_18Fp8KVCacheDataTypeE0ELb1EEEvPT_PKS3_PKT0_S9_ifPKiSB_iPKfiiiSD_SD_iiiii.kd
    .uniform_work_group_size: 1
    .uses_dynamic_stack: false
    .vgpr_count:     73
    .vgpr_spill_count: 0
    .wavefront_size: 64
  - .agpr_count:     0
    .args:
      - .actual_access:  write_only
        .address_space:  global
        .offset:         0
        .size:           8
        .value_kind:     global_buffer
      - .actual_access:  read_only
        .address_space:  global
        .offset:         8
        .size:           8
        .value_kind:     global_buffer
      - .actual_access:  read_only
        .address_space:  global
        .offset:         16
        .size:           8
        .value_kind:     global_buffer
      - .actual_access:  read_only
        .address_space:  global
        .offset:         24
        .size:           8
        .value_kind:     global_buffer
      - .offset:         32
        .size:           4
        .value_kind:     by_value
      - .offset:         36
        .size:           4
        .value_kind:     by_value
      - .actual_access:  read_only
        .address_space:  global
        .offset:         40
        .size:           8
        .value_kind:     global_buffer
      - .actual_access:  read_only
        .address_space:  global
        .offset:         48
        .size:           8
        .value_kind:     global_buffer
      - .offset:         56
        .size:           4
        .value_kind:     by_value
      - .actual_access:  read_only
        .address_space:  global
        .offset:         64
        .size:           8
        .value_kind:     global_buffer
      - .offset:         72
        .size:           4
        .value_kind:     by_value
      - .offset:         76
        .size:           4
        .value_kind:     by_value
      - .offset:         80
        .size:           4
        .value_kind:     by_value
      - .address_space:  global
        .offset:         88
        .size:           8
        .value_kind:     global_buffer
      - .address_space:  global
        .offset:         96
        .size:           8
        .value_kind:     global_buffer
      - .offset:         104
        .size:           4
        .value_kind:     by_value
      - .offset:         108
        .size:           4
        .value_kind:     by_value
      - .offset:         112
        .size:           4
        .value_kind:     by_value
      - .offset:         116
        .size:           4
        .value_kind:     by_value
      - .offset:         120
        .size:           4
        .value_kind:     by_value
      - .offset:         128
        .size:           4
        .value_kind:     hidden_block_count_x
      - .offset:         132
        .size:           4
        .value_kind:     hidden_block_count_y
      - .offset:         136
        .size:           4
        .value_kind:     hidden_block_count_z
      - .offset:         140
        .size:           2
        .value_kind:     hidden_group_size_x
      - .offset:         142
        .size:           2
        .value_kind:     hidden_group_size_y
      - .offset:         144
        .size:           2
        .value_kind:     hidden_group_size_z
      - .offset:         146
        .size:           2
        .value_kind:     hidden_remainder_x
      - .offset:         148
        .size:           2
        .value_kind:     hidden_remainder_y
      - .offset:         150
        .size:           2
        .value_kind:     hidden_remainder_z
      - .offset:         168
        .size:           8
        .value_kind:     hidden_global_offset_x
      - .offset:         176
        .size:           8
        .value_kind:     hidden_global_offset_y
      - .offset:         184
        .size:           8
        .value_kind:     hidden_global_offset_z
      - .offset:         192
        .size:           2
        .value_kind:     hidden_grid_dims
      - .offset:         248
        .size:           4
        .value_kind:     hidden_dynamic_lds_size
    .group_segment_fixed_size: 528
    .kernarg_segment_align: 8
    .kernarg_segment_size: 384
    .language:       OpenCL C
    .language_version:
      - 2
      - 0
    .max_flat_workgroup_size: 1024
    .name:           _ZN4vllm25paged_attention_v1_kernelI14__hip_bfloat16S1_Li256ELi8ELi128ELNS_18Fp8KVCacheDataTypeE0ELb1EEEvPT_PKS3_PKT0_S9_ifPKiSB_iPKfiiiSD_SD_iiiii
    .private_segment_fixed_size: 0
    .sgpr_count:     50
    .sgpr_spill_count: 0
    .symbol:         _ZN4vllm25paged_attention_v1_kernelI14__hip_bfloat16S1_Li256ELi8ELi128ELNS_18Fp8KVCacheDataTypeE0ELb1EEEvPT_PKS3_PKT0_S9_ifPKiSB_iPKfiiiSD_SD_iiiii.kd
    .uniform_work_group_size: 1
    .uses_dynamic_stack: false
    .vgpr_count:     89
    .vgpr_spill_count: 0
    .wavefront_size: 64
  - .agpr_count:     0
    .args:
      - .actual_access:  write_only
        .address_space:  global
        .offset:         0
        .size:           8
        .value_kind:     global_buffer
      - .actual_access:  read_only
        .address_space:  global
        .offset:         8
        .size:           8
        .value_kind:     global_buffer
      - .actual_access:  read_only
        .address_space:  global
        .offset:         16
        .size:           8
        .value_kind:     global_buffer
      - .actual_access:  read_only
        .address_space:  global
        .offset:         24
        .size:           8
        .value_kind:     global_buffer
      - .offset:         32
        .size:           4
        .value_kind:     by_value
      - .offset:         36
        .size:           4
        .value_kind:     by_value
      - .actual_access:  read_only
        .address_space:  global
        .offset:         40
        .size:           8
        .value_kind:     global_buffer
      - .actual_access:  read_only
        .address_space:  global
        .offset:         48
        .size:           8
        .value_kind:     global_buffer
      - .offset:         56
        .size:           4
        .value_kind:     by_value
      - .actual_access:  read_only
        .address_space:  global
        .offset:         64
        .size:           8
        .value_kind:     global_buffer
      - .offset:         72
        .size:           4
        .value_kind:     by_value
      - .offset:         76
        .size:           4
        .value_kind:     by_value
      - .offset:         80
        .size:           4
        .value_kind:     by_value
      - .address_space:  global
        .offset:         88
        .size:           8
        .value_kind:     global_buffer
      - .address_space:  global
        .offset:         96
        .size:           8
        .value_kind:     global_buffer
      - .offset:         104
        .size:           4
        .value_kind:     by_value
      - .offset:         108
        .size:           4
        .value_kind:     by_value
      - .offset:         112
        .size:           4
        .value_kind:     by_value
      - .offset:         116
        .size:           4
        .value_kind:     by_value
      - .offset:         120
        .size:           4
        .value_kind:     by_value
      - .offset:         128
        .size:           4
        .value_kind:     hidden_block_count_x
      - .offset:         132
        .size:           4
        .value_kind:     hidden_block_count_y
      - .offset:         136
        .size:           4
        .value_kind:     hidden_block_count_z
      - .offset:         140
        .size:           2
        .value_kind:     hidden_group_size_x
      - .offset:         142
        .size:           2
        .value_kind:     hidden_group_size_y
      - .offset:         144
        .size:           2
        .value_kind:     hidden_group_size_z
      - .offset:         146
        .size:           2
        .value_kind:     hidden_remainder_x
      - .offset:         148
        .size:           2
        .value_kind:     hidden_remainder_y
      - .offset:         150
        .size:           2
        .value_kind:     hidden_remainder_z
      - .offset:         168
        .size:           8
        .value_kind:     hidden_global_offset_x
      - .offset:         176
        .size:           8
        .value_kind:     hidden_global_offset_y
      - .offset:         184
        .size:           8
        .value_kind:     hidden_global_offset_z
      - .offset:         192
        .size:           2
        .value_kind:     hidden_grid_dims
      - .offset:         248
        .size:           4
        .value_kind:     hidden_dynamic_lds_size
    .group_segment_fixed_size: 80
    .kernarg_segment_align: 8
    .kernarg_segment_size: 384
    .language:       OpenCL C
    .language_version:
      - 2
      - 0
    .max_flat_workgroup_size: 1024
    .name:           _ZN4vllm25paged_attention_v1_kernelI14__hip_bfloat16S1_Li32ELi8ELi128ELNS_18Fp8KVCacheDataTypeE0ELb0EEEvPT_PKS3_PKT0_S9_ifPKiSB_iPKfiiiSD_SD_iiiii
    .private_segment_fixed_size: 0
    .sgpr_count:     40
    .sgpr_spill_count: 0
    .symbol:         _ZN4vllm25paged_attention_v1_kernelI14__hip_bfloat16S1_Li32ELi8ELi128ELNS_18Fp8KVCacheDataTypeE0ELb0EEEvPT_PKS3_PKT0_S9_ifPKiSB_iPKfiiiSD_SD_iiiii.kd
    .uniform_work_group_size: 1
    .uses_dynamic_stack: false
    .vgpr_count:     27
    .vgpr_spill_count: 0
    .wavefront_size: 64
  - .agpr_count:     0
    .args:
      - .actual_access:  write_only
        .address_space:  global
        .offset:         0
        .size:           8
        .value_kind:     global_buffer
      - .actual_access:  read_only
        .address_space:  global
        .offset:         8
        .size:           8
        .value_kind:     global_buffer
      - .actual_access:  read_only
        .address_space:  global
        .offset:         16
        .size:           8
        .value_kind:     global_buffer
      - .actual_access:  read_only
        .address_space:  global
        .offset:         24
        .size:           8
        .value_kind:     global_buffer
      - .offset:         32
        .size:           4
        .value_kind:     by_value
      - .offset:         36
        .size:           4
        .value_kind:     by_value
      - .actual_access:  read_only
        .address_space:  global
        .offset:         40
        .size:           8
        .value_kind:     global_buffer
      - .actual_access:  read_only
        .address_space:  global
        .offset:         48
        .size:           8
        .value_kind:     global_buffer
      - .offset:         56
        .size:           4
        .value_kind:     by_value
      - .actual_access:  read_only
        .address_space:  global
        .offset:         64
        .size:           8
        .value_kind:     global_buffer
      - .offset:         72
        .size:           4
        .value_kind:     by_value
      - .offset:         76
        .size:           4
        .value_kind:     by_value
      - .offset:         80
        .size:           4
        .value_kind:     by_value
      - .address_space:  global
        .offset:         88
        .size:           8
        .value_kind:     global_buffer
      - .address_space:  global
        .offset:         96
        .size:           8
        .value_kind:     global_buffer
      - .offset:         104
        .size:           4
        .value_kind:     by_value
      - .offset:         108
        .size:           4
        .value_kind:     by_value
      - .offset:         112
        .size:           4
        .value_kind:     by_value
      - .offset:         116
        .size:           4
        .value_kind:     by_value
      - .offset:         120
        .size:           4
        .value_kind:     by_value
      - .offset:         128
        .size:           4
        .value_kind:     hidden_block_count_x
      - .offset:         132
        .size:           4
        .value_kind:     hidden_block_count_y
      - .offset:         136
        .size:           4
        .value_kind:     hidden_block_count_z
      - .offset:         140
        .size:           2
        .value_kind:     hidden_group_size_x
      - .offset:         142
        .size:           2
        .value_kind:     hidden_group_size_y
      - .offset:         144
        .size:           2
        .value_kind:     hidden_group_size_z
      - .offset:         146
        .size:           2
        .value_kind:     hidden_remainder_x
      - .offset:         148
        .size:           2
        .value_kind:     hidden_remainder_y
      - .offset:         150
        .size:           2
        .value_kind:     hidden_remainder_z
      - .offset:         168
        .size:           8
        .value_kind:     hidden_global_offset_x
      - .offset:         176
        .size:           8
        .value_kind:     hidden_global_offset_y
      - .offset:         184
        .size:           8
        .value_kind:     hidden_global_offset_z
      - .offset:         192
        .size:           2
        .value_kind:     hidden_grid_dims
      - .offset:         248
        .size:           4
        .value_kind:     hidden_dynamic_lds_size
    .group_segment_fixed_size: 144
    .kernarg_segment_align: 8
    .kernarg_segment_size: 384
    .language:       OpenCL C
    .language_version:
      - 2
      - 0
    .max_flat_workgroup_size: 1024
    .name:           _ZN4vllm25paged_attention_v1_kernelI14__hip_bfloat16S1_Li64ELi8ELi128ELNS_18Fp8KVCacheDataTypeE0ELb0EEEvPT_PKS3_PKT0_S9_ifPKiSB_iPKfiiiSD_SD_iiiii
    .private_segment_fixed_size: 0
    .sgpr_count:     42
    .sgpr_spill_count: 0
    .symbol:         _ZN4vllm25paged_attention_v1_kernelI14__hip_bfloat16S1_Li64ELi8ELi128ELNS_18Fp8KVCacheDataTypeE0ELb0EEEvPT_PKS3_PKT0_S9_ifPKiSB_iPKfiiiSD_SD_iiiii.kd
    .uniform_work_group_size: 1
    .uses_dynamic_stack: false
    .vgpr_count:     35
    .vgpr_spill_count: 0
    .wavefront_size: 64
  - .agpr_count:     0
    .args:
      - .actual_access:  write_only
        .address_space:  global
        .offset:         0
        .size:           8
        .value_kind:     global_buffer
      - .actual_access:  read_only
        .address_space:  global
        .offset:         8
        .size:           8
        .value_kind:     global_buffer
      - .actual_access:  read_only
        .address_space:  global
        .offset:         16
        .size:           8
        .value_kind:     global_buffer
      - .actual_access:  read_only
        .address_space:  global
        .offset:         24
        .size:           8
        .value_kind:     global_buffer
      - .offset:         32
        .size:           4
        .value_kind:     by_value
      - .offset:         36
        .size:           4
        .value_kind:     by_value
      - .actual_access:  read_only
        .address_space:  global
        .offset:         40
        .size:           8
        .value_kind:     global_buffer
      - .actual_access:  read_only
        .address_space:  global
        .offset:         48
        .size:           8
        .value_kind:     global_buffer
      - .offset:         56
        .size:           4
        .value_kind:     by_value
      - .actual_access:  read_only
        .address_space:  global
        .offset:         64
        .size:           8
        .value_kind:     global_buffer
      - .offset:         72
        .size:           4
        .value_kind:     by_value
      - .offset:         76
        .size:           4
        .value_kind:     by_value
      - .offset:         80
        .size:           4
        .value_kind:     by_value
      - .address_space:  global
        .offset:         88
        .size:           8
        .value_kind:     global_buffer
      - .address_space:  global
        .offset:         96
        .size:           8
        .value_kind:     global_buffer
      - .offset:         104
        .size:           4
        .value_kind:     by_value
      - .offset:         108
        .size:           4
        .value_kind:     by_value
      - .offset:         112
        .size:           4
        .value_kind:     by_value
      - .offset:         116
        .size:           4
        .value_kind:     by_value
      - .offset:         120
        .size:           4
        .value_kind:     by_value
      - .offset:         128
        .size:           4
        .value_kind:     hidden_block_count_x
      - .offset:         132
        .size:           4
        .value_kind:     hidden_block_count_y
      - .offset:         136
        .size:           4
        .value_kind:     hidden_block_count_z
      - .offset:         140
        .size:           2
        .value_kind:     hidden_group_size_x
      - .offset:         142
        .size:           2
        .value_kind:     hidden_group_size_y
      - .offset:         144
        .size:           2
        .value_kind:     hidden_group_size_z
      - .offset:         146
        .size:           2
        .value_kind:     hidden_remainder_x
      - .offset:         148
        .size:           2
        .value_kind:     hidden_remainder_y
      - .offset:         150
        .size:           2
        .value_kind:     hidden_remainder_z
      - .offset:         168
        .size:           8
        .value_kind:     hidden_global_offset_x
      - .offset:         176
        .size:           8
        .value_kind:     hidden_global_offset_y
      - .offset:         184
        .size:           8
        .value_kind:     hidden_global_offset_z
      - .offset:         192
        .size:           2
        .value_kind:     hidden_grid_dims
      - .offset:         248
        .size:           4
        .value_kind:     hidden_dynamic_lds_size
    .group_segment_fixed_size: 176
    .kernarg_segment_align: 8
    .kernarg_segment_size: 384
    .language:       OpenCL C
    .language_version:
      - 2
      - 0
    .max_flat_workgroup_size: 1024
    .name:           _ZN4vllm25paged_attention_v1_kernelI14__hip_bfloat16S1_Li80ELi8ELi128ELNS_18Fp8KVCacheDataTypeE0ELb0EEEvPT_PKS3_PKT0_S9_ifPKiSB_iPKfiiiSD_SD_iiiii
    .private_segment_fixed_size: 0
    .sgpr_count:     42
    .sgpr_spill_count: 0
    .symbol:         _ZN4vllm25paged_attention_v1_kernelI14__hip_bfloat16S1_Li80ELi8ELi128ELNS_18Fp8KVCacheDataTypeE0ELb0EEEvPT_PKS3_PKT0_S9_ifPKiSB_iPKfiiiSD_SD_iiiii.kd
    .uniform_work_group_size: 1
    .uses_dynamic_stack: false
    .vgpr_count:     40
    .vgpr_spill_count: 0
    .wavefront_size: 64
  - .agpr_count:     0
    .args:
      - .actual_access:  write_only
        .address_space:  global
        .offset:         0
        .size:           8
        .value_kind:     global_buffer
      - .actual_access:  read_only
        .address_space:  global
        .offset:         8
        .size:           8
        .value_kind:     global_buffer
      - .actual_access:  read_only
        .address_space:  global
        .offset:         16
        .size:           8
        .value_kind:     global_buffer
      - .actual_access:  read_only
        .address_space:  global
        .offset:         24
        .size:           8
        .value_kind:     global_buffer
      - .offset:         32
        .size:           4
        .value_kind:     by_value
      - .offset:         36
        .size:           4
        .value_kind:     by_value
      - .actual_access:  read_only
        .address_space:  global
        .offset:         40
        .size:           8
        .value_kind:     global_buffer
      - .actual_access:  read_only
        .address_space:  global
        .offset:         48
        .size:           8
        .value_kind:     global_buffer
      - .offset:         56
        .size:           4
        .value_kind:     by_value
      - .actual_access:  read_only
        .address_space:  global
        .offset:         64
        .size:           8
        .value_kind:     global_buffer
      - .offset:         72
        .size:           4
        .value_kind:     by_value
      - .offset:         76
        .size:           4
        .value_kind:     by_value
      - .offset:         80
        .size:           4
        .value_kind:     by_value
      - .address_space:  global
        .offset:         88
        .size:           8
        .value_kind:     global_buffer
      - .address_space:  global
        .offset:         96
        .size:           8
        .value_kind:     global_buffer
      - .offset:         104
        .size:           4
        .value_kind:     by_value
      - .offset:         108
        .size:           4
        .value_kind:     by_value
      - .offset:         112
        .size:           4
        .value_kind:     by_value
      - .offset:         116
        .size:           4
        .value_kind:     by_value
      - .offset:         120
        .size:           4
        .value_kind:     by_value
      - .offset:         128
        .size:           4
        .value_kind:     hidden_block_count_x
      - .offset:         132
        .size:           4
        .value_kind:     hidden_block_count_y
      - .offset:         136
        .size:           4
        .value_kind:     hidden_block_count_z
      - .offset:         140
        .size:           2
        .value_kind:     hidden_group_size_x
      - .offset:         142
        .size:           2
        .value_kind:     hidden_group_size_y
      - .offset:         144
        .size:           2
        .value_kind:     hidden_group_size_z
      - .offset:         146
        .size:           2
        .value_kind:     hidden_remainder_x
      - .offset:         148
        .size:           2
        .value_kind:     hidden_remainder_y
      - .offset:         150
        .size:           2
        .value_kind:     hidden_remainder_z
      - .offset:         168
        .size:           8
        .value_kind:     hidden_global_offset_x
      - .offset:         176
        .size:           8
        .value_kind:     hidden_global_offset_y
      - .offset:         184
        .size:           8
        .value_kind:     hidden_global_offset_z
      - .offset:         192
        .size:           2
        .value_kind:     hidden_grid_dims
      - .offset:         248
        .size:           4
        .value_kind:     hidden_dynamic_lds_size
    .group_segment_fixed_size: 208
    .kernarg_segment_align: 8
    .kernarg_segment_size: 384
    .language:       OpenCL C
    .language_version:
      - 2
      - 0
    .max_flat_workgroup_size: 1024
    .name:           _ZN4vllm25paged_attention_v1_kernelI14__hip_bfloat16S1_Li96ELi8ELi128ELNS_18Fp8KVCacheDataTypeE0ELb0EEEvPT_PKS3_PKT0_S9_ifPKiSB_iPKfiiiSD_SD_iiiii
    .private_segment_fixed_size: 0
    .sgpr_count:     42
    .sgpr_spill_count: 0
    .symbol:         _ZN4vllm25paged_attention_v1_kernelI14__hip_bfloat16S1_Li96ELi8ELi128ELNS_18Fp8KVCacheDataTypeE0ELb0EEEvPT_PKS3_PKT0_S9_ifPKiSB_iPKfiiiSD_SD_iiiii.kd
    .uniform_work_group_size: 1
    .uses_dynamic_stack: false
    .vgpr_count:     44
    .vgpr_spill_count: 0
    .wavefront_size: 64
  - .agpr_count:     0
    .args:
      - .actual_access:  write_only
        .address_space:  global
        .offset:         0
        .size:           8
        .value_kind:     global_buffer
      - .actual_access:  read_only
        .address_space:  global
        .offset:         8
        .size:           8
        .value_kind:     global_buffer
      - .actual_access:  read_only
        .address_space:  global
        .offset:         16
        .size:           8
        .value_kind:     global_buffer
      - .actual_access:  read_only
        .address_space:  global
        .offset:         24
        .size:           8
        .value_kind:     global_buffer
      - .offset:         32
        .size:           4
        .value_kind:     by_value
      - .offset:         36
        .size:           4
        .value_kind:     by_value
      - .actual_access:  read_only
        .address_space:  global
        .offset:         40
        .size:           8
        .value_kind:     global_buffer
      - .actual_access:  read_only
        .address_space:  global
        .offset:         48
        .size:           8
        .value_kind:     global_buffer
      - .offset:         56
        .size:           4
        .value_kind:     by_value
      - .actual_access:  read_only
        .address_space:  global
        .offset:         64
        .size:           8
        .value_kind:     global_buffer
      - .offset:         72
        .size:           4
        .value_kind:     by_value
      - .offset:         76
        .size:           4
        .value_kind:     by_value
      - .offset:         80
        .size:           4
        .value_kind:     by_value
      - .address_space:  global
        .offset:         88
        .size:           8
        .value_kind:     global_buffer
      - .address_space:  global
        .offset:         96
        .size:           8
        .value_kind:     global_buffer
      - .offset:         104
        .size:           4
        .value_kind:     by_value
      - .offset:         108
        .size:           4
        .value_kind:     by_value
      - .offset:         112
        .size:           4
        .value_kind:     by_value
      - .offset:         116
        .size:           4
        .value_kind:     by_value
      - .offset:         120
        .size:           4
        .value_kind:     by_value
      - .offset:         128
        .size:           4
        .value_kind:     hidden_block_count_x
      - .offset:         132
        .size:           4
        .value_kind:     hidden_block_count_y
      - .offset:         136
        .size:           4
        .value_kind:     hidden_block_count_z
      - .offset:         140
        .size:           2
        .value_kind:     hidden_group_size_x
      - .offset:         142
        .size:           2
        .value_kind:     hidden_group_size_y
      - .offset:         144
        .size:           2
        .value_kind:     hidden_group_size_z
      - .offset:         146
        .size:           2
        .value_kind:     hidden_remainder_x
      - .offset:         148
        .size:           2
        .value_kind:     hidden_remainder_y
      - .offset:         150
        .size:           2
        .value_kind:     hidden_remainder_z
      - .offset:         168
        .size:           8
        .value_kind:     hidden_global_offset_x
      - .offset:         176
        .size:           8
        .value_kind:     hidden_global_offset_y
      - .offset:         184
        .size:           8
        .value_kind:     hidden_global_offset_z
      - .offset:         192
        .size:           2
        .value_kind:     hidden_grid_dims
      - .offset:         248
        .size:           4
        .value_kind:     hidden_dynamic_lds_size
    .group_segment_fixed_size: 240
    .kernarg_segment_align: 8
    .kernarg_segment_size: 384
    .language:       OpenCL C
    .language_version:
      - 2
      - 0
    .max_flat_workgroup_size: 1024
    .name:           _ZN4vllm25paged_attention_v1_kernelI14__hip_bfloat16S1_Li112ELi8ELi128ELNS_18Fp8KVCacheDataTypeE0ELb0EEEvPT_PKS3_PKT0_S9_ifPKiSB_iPKfiiiSD_SD_iiiii
    .private_segment_fixed_size: 0
    .sgpr_count:     42
    .sgpr_spill_count: 0
    .symbol:         _ZN4vllm25paged_attention_v1_kernelI14__hip_bfloat16S1_Li112ELi8ELi128ELNS_18Fp8KVCacheDataTypeE0ELb0EEEvPT_PKS3_PKT0_S9_ifPKiSB_iPKfiiiSD_SD_iiiii.kd
    .uniform_work_group_size: 1
    .uses_dynamic_stack: false
    .vgpr_count:     48
    .vgpr_spill_count: 0
    .wavefront_size: 64
  - .agpr_count:     0
    .args:
      - .actual_access:  write_only
        .address_space:  global
        .offset:         0
        .size:           8
        .value_kind:     global_buffer
      - .actual_access:  read_only
        .address_space:  global
        .offset:         8
        .size:           8
        .value_kind:     global_buffer
      - .actual_access:  read_only
        .address_space:  global
        .offset:         16
        .size:           8
        .value_kind:     global_buffer
      - .actual_access:  read_only
        .address_space:  global
        .offset:         24
        .size:           8
        .value_kind:     global_buffer
      - .offset:         32
        .size:           4
        .value_kind:     by_value
      - .offset:         36
        .size:           4
        .value_kind:     by_value
      - .actual_access:  read_only
        .address_space:  global
        .offset:         40
        .size:           8
        .value_kind:     global_buffer
      - .actual_access:  read_only
        .address_space:  global
        .offset:         48
        .size:           8
        .value_kind:     global_buffer
      - .offset:         56
        .size:           4
        .value_kind:     by_value
      - .actual_access:  read_only
        .address_space:  global
        .offset:         64
        .size:           8
        .value_kind:     global_buffer
      - .offset:         72
        .size:           4
        .value_kind:     by_value
      - .offset:         76
        .size:           4
        .value_kind:     by_value
      - .offset:         80
        .size:           4
        .value_kind:     by_value
      - .address_space:  global
        .offset:         88
        .size:           8
        .value_kind:     global_buffer
      - .address_space:  global
        .offset:         96
        .size:           8
        .value_kind:     global_buffer
      - .offset:         104
        .size:           4
        .value_kind:     by_value
      - .offset:         108
        .size:           4
        .value_kind:     by_value
      - .offset:         112
        .size:           4
        .value_kind:     by_value
      - .offset:         116
        .size:           4
        .value_kind:     by_value
      - .offset:         120
        .size:           4
        .value_kind:     by_value
      - .offset:         128
        .size:           4
        .value_kind:     hidden_block_count_x
      - .offset:         132
        .size:           4
        .value_kind:     hidden_block_count_y
      - .offset:         136
        .size:           4
        .value_kind:     hidden_block_count_z
      - .offset:         140
        .size:           2
        .value_kind:     hidden_group_size_x
      - .offset:         142
        .size:           2
        .value_kind:     hidden_group_size_y
      - .offset:         144
        .size:           2
        .value_kind:     hidden_group_size_z
      - .offset:         146
        .size:           2
        .value_kind:     hidden_remainder_x
      - .offset:         148
        .size:           2
        .value_kind:     hidden_remainder_y
      - .offset:         150
        .size:           2
        .value_kind:     hidden_remainder_z
      - .offset:         168
        .size:           8
        .value_kind:     hidden_global_offset_x
      - .offset:         176
        .size:           8
        .value_kind:     hidden_global_offset_y
      - .offset:         184
        .size:           8
        .value_kind:     hidden_global_offset_z
      - .offset:         192
        .size:           2
        .value_kind:     hidden_grid_dims
      - .offset:         248
        .size:           4
        .value_kind:     hidden_dynamic_lds_size
    .group_segment_fixed_size: 256
    .kernarg_segment_align: 8
    .kernarg_segment_size: 384
    .language:       OpenCL C
    .language_version:
      - 2
      - 0
    .max_flat_workgroup_size: 1024
    .name:           _ZN4vllm25paged_attention_v1_kernelI14__hip_bfloat16S1_Li120ELi8ELi128ELNS_18Fp8KVCacheDataTypeE0ELb0EEEvPT_PKS3_PKT0_S9_ifPKiSB_iPKfiiiSD_SD_iiiii
    .private_segment_fixed_size: 0
    .sgpr_count:     42
    .sgpr_spill_count: 0
    .symbol:         _ZN4vllm25paged_attention_v1_kernelI14__hip_bfloat16S1_Li120ELi8ELi128ELNS_18Fp8KVCacheDataTypeE0ELb0EEEvPT_PKS3_PKT0_S9_ifPKiSB_iPKfiiiSD_SD_iiiii.kd
    .uniform_work_group_size: 1
    .uses_dynamic_stack: false
    .vgpr_count:     50
    .vgpr_spill_count: 0
    .wavefront_size: 64
  - .agpr_count:     0
    .args:
      - .actual_access:  write_only
        .address_space:  global
        .offset:         0
        .size:           8
        .value_kind:     global_buffer
      - .actual_access:  read_only
        .address_space:  global
        .offset:         8
        .size:           8
        .value_kind:     global_buffer
      - .actual_access:  read_only
        .address_space:  global
        .offset:         16
        .size:           8
        .value_kind:     global_buffer
      - .actual_access:  read_only
        .address_space:  global
        .offset:         24
        .size:           8
        .value_kind:     global_buffer
      - .offset:         32
        .size:           4
        .value_kind:     by_value
      - .offset:         36
        .size:           4
        .value_kind:     by_value
      - .actual_access:  read_only
        .address_space:  global
        .offset:         40
        .size:           8
        .value_kind:     global_buffer
      - .actual_access:  read_only
        .address_space:  global
        .offset:         48
        .size:           8
        .value_kind:     global_buffer
      - .offset:         56
        .size:           4
        .value_kind:     by_value
      - .actual_access:  read_only
        .address_space:  global
        .offset:         64
        .size:           8
        .value_kind:     global_buffer
      - .offset:         72
        .size:           4
        .value_kind:     by_value
      - .offset:         76
        .size:           4
        .value_kind:     by_value
      - .offset:         80
        .size:           4
        .value_kind:     by_value
      - .address_space:  global
        .offset:         88
        .size:           8
        .value_kind:     global_buffer
      - .address_space:  global
        .offset:         96
        .size:           8
        .value_kind:     global_buffer
      - .offset:         104
        .size:           4
        .value_kind:     by_value
      - .offset:         108
        .size:           4
        .value_kind:     by_value
      - .offset:         112
        .size:           4
        .value_kind:     by_value
      - .offset:         116
        .size:           4
        .value_kind:     by_value
      - .offset:         120
        .size:           4
        .value_kind:     by_value
      - .offset:         128
        .size:           4
        .value_kind:     hidden_block_count_x
      - .offset:         132
        .size:           4
        .value_kind:     hidden_block_count_y
      - .offset:         136
        .size:           4
        .value_kind:     hidden_block_count_z
      - .offset:         140
        .size:           2
        .value_kind:     hidden_group_size_x
      - .offset:         142
        .size:           2
        .value_kind:     hidden_group_size_y
      - .offset:         144
        .size:           2
        .value_kind:     hidden_group_size_z
      - .offset:         146
        .size:           2
        .value_kind:     hidden_remainder_x
      - .offset:         148
        .size:           2
        .value_kind:     hidden_remainder_y
      - .offset:         150
        .size:           2
        .value_kind:     hidden_remainder_z
      - .offset:         168
        .size:           8
        .value_kind:     hidden_global_offset_x
      - .offset:         176
        .size:           8
        .value_kind:     hidden_global_offset_y
      - .offset:         184
        .size:           8
        .value_kind:     hidden_global_offset_z
      - .offset:         192
        .size:           2
        .value_kind:     hidden_grid_dims
      - .offset:         248
        .size:           4
        .value_kind:     hidden_dynamic_lds_size
    .group_segment_fixed_size: 272
    .kernarg_segment_align: 8
    .kernarg_segment_size: 384
    .language:       OpenCL C
    .language_version:
      - 2
      - 0
    .max_flat_workgroup_size: 1024
    .name:           _ZN4vllm25paged_attention_v1_kernelI14__hip_bfloat16S1_Li128ELi8ELi128ELNS_18Fp8KVCacheDataTypeE0ELb0EEEvPT_PKS3_PKT0_S9_ifPKiSB_iPKfiiiSD_SD_iiiii
    .private_segment_fixed_size: 0
    .sgpr_count:     40
    .sgpr_spill_count: 0
    .symbol:         _ZN4vllm25paged_attention_v1_kernelI14__hip_bfloat16S1_Li128ELi8ELi128ELNS_18Fp8KVCacheDataTypeE0ELb0EEEvPT_PKS3_PKT0_S9_ifPKiSB_iPKfiiiSD_SD_iiiii.kd
    .uniform_work_group_size: 1
    .uses_dynamic_stack: false
    .vgpr_count:     51
    .vgpr_spill_count: 0
    .wavefront_size: 64
  - .agpr_count:     0
    .args:
      - .actual_access:  write_only
        .address_space:  global
        .offset:         0
        .size:           8
        .value_kind:     global_buffer
      - .actual_access:  read_only
        .address_space:  global
        .offset:         8
        .size:           8
        .value_kind:     global_buffer
      - .actual_access:  read_only
        .address_space:  global
        .offset:         16
        .size:           8
        .value_kind:     global_buffer
      - .actual_access:  read_only
        .address_space:  global
        .offset:         24
        .size:           8
        .value_kind:     global_buffer
      - .offset:         32
        .size:           4
        .value_kind:     by_value
      - .offset:         36
        .size:           4
        .value_kind:     by_value
      - .actual_access:  read_only
        .address_space:  global
        .offset:         40
        .size:           8
        .value_kind:     global_buffer
      - .actual_access:  read_only
        .address_space:  global
        .offset:         48
        .size:           8
        .value_kind:     global_buffer
      - .offset:         56
        .size:           4
        .value_kind:     by_value
      - .actual_access:  read_only
        .address_space:  global
        .offset:         64
        .size:           8
        .value_kind:     global_buffer
      - .offset:         72
        .size:           4
        .value_kind:     by_value
      - .offset:         76
        .size:           4
        .value_kind:     by_value
      - .offset:         80
        .size:           4
        .value_kind:     by_value
      - .address_space:  global
        .offset:         88
        .size:           8
        .value_kind:     global_buffer
      - .address_space:  global
        .offset:         96
        .size:           8
        .value_kind:     global_buffer
      - .offset:         104
        .size:           4
        .value_kind:     by_value
      - .offset:         108
        .size:           4
        .value_kind:     by_value
      - .offset:         112
        .size:           4
        .value_kind:     by_value
      - .offset:         116
        .size:           4
        .value_kind:     by_value
      - .offset:         120
        .size:           4
        .value_kind:     by_value
      - .offset:         128
        .size:           4
        .value_kind:     hidden_block_count_x
      - .offset:         132
        .size:           4
        .value_kind:     hidden_block_count_y
      - .offset:         136
        .size:           4
        .value_kind:     hidden_block_count_z
      - .offset:         140
        .size:           2
        .value_kind:     hidden_group_size_x
      - .offset:         142
        .size:           2
        .value_kind:     hidden_group_size_y
      - .offset:         144
        .size:           2
        .value_kind:     hidden_group_size_z
      - .offset:         146
        .size:           2
        .value_kind:     hidden_remainder_x
      - .offset:         148
        .size:           2
        .value_kind:     hidden_remainder_y
      - .offset:         150
        .size:           2
        .value_kind:     hidden_remainder_z
      - .offset:         168
        .size:           8
        .value_kind:     hidden_global_offset_x
      - .offset:         176
        .size:           8
        .value_kind:     hidden_global_offset_y
      - .offset:         184
        .size:           8
        .value_kind:     hidden_global_offset_z
      - .offset:         192
        .size:           2
        .value_kind:     hidden_grid_dims
      - .offset:         248
        .size:           4
        .value_kind:     hidden_dynamic_lds_size
    .group_segment_fixed_size: 400
    .kernarg_segment_align: 8
    .kernarg_segment_size: 384
    .language:       OpenCL C
    .language_version:
      - 2
      - 0
    .max_flat_workgroup_size: 1024
    .name:           _ZN4vllm25paged_attention_v1_kernelI14__hip_bfloat16S1_Li192ELi8ELi128ELNS_18Fp8KVCacheDataTypeE0ELb0EEEvPT_PKS3_PKT0_S9_ifPKiSB_iPKfiiiSD_SD_iiiii
    .private_segment_fixed_size: 0
    .sgpr_count:     40
    .sgpr_spill_count: 0
    .symbol:         _ZN4vllm25paged_attention_v1_kernelI14__hip_bfloat16S1_Li192ELi8ELi128ELNS_18Fp8KVCacheDataTypeE0ELb0EEEvPT_PKS3_PKT0_S9_ifPKiSB_iPKfiiiSD_SD_iiiii.kd
    .uniform_work_group_size: 1
    .uses_dynamic_stack: false
    .vgpr_count:     67
    .vgpr_spill_count: 0
    .wavefront_size: 64
  - .agpr_count:     0
    .args:
      - .actual_access:  write_only
        .address_space:  global
        .offset:         0
        .size:           8
        .value_kind:     global_buffer
      - .actual_access:  read_only
        .address_space:  global
        .offset:         8
        .size:           8
        .value_kind:     global_buffer
      - .actual_access:  read_only
        .address_space:  global
        .offset:         16
        .size:           8
        .value_kind:     global_buffer
      - .actual_access:  read_only
        .address_space:  global
        .offset:         24
        .size:           8
        .value_kind:     global_buffer
      - .offset:         32
        .size:           4
        .value_kind:     by_value
      - .offset:         36
        .size:           4
        .value_kind:     by_value
      - .actual_access:  read_only
        .address_space:  global
        .offset:         40
        .size:           8
        .value_kind:     global_buffer
      - .actual_access:  read_only
        .address_space:  global
        .offset:         48
        .size:           8
        .value_kind:     global_buffer
      - .offset:         56
        .size:           4
        .value_kind:     by_value
      - .actual_access:  read_only
        .address_space:  global
        .offset:         64
        .size:           8
        .value_kind:     global_buffer
      - .offset:         72
        .size:           4
        .value_kind:     by_value
      - .offset:         76
        .size:           4
        .value_kind:     by_value
      - .offset:         80
        .size:           4
        .value_kind:     by_value
      - .address_space:  global
        .offset:         88
        .size:           8
        .value_kind:     global_buffer
      - .address_space:  global
        .offset:         96
        .size:           8
        .value_kind:     global_buffer
      - .offset:         104
        .size:           4
        .value_kind:     by_value
      - .offset:         108
        .size:           4
        .value_kind:     by_value
      - .offset:         112
        .size:           4
        .value_kind:     by_value
      - .offset:         116
        .size:           4
        .value_kind:     by_value
      - .offset:         120
        .size:           4
        .value_kind:     by_value
      - .offset:         128
        .size:           4
        .value_kind:     hidden_block_count_x
      - .offset:         132
        .size:           4
        .value_kind:     hidden_block_count_y
      - .offset:         136
        .size:           4
        .value_kind:     hidden_block_count_z
      - .offset:         140
        .size:           2
        .value_kind:     hidden_group_size_x
      - .offset:         142
        .size:           2
        .value_kind:     hidden_group_size_y
      - .offset:         144
        .size:           2
        .value_kind:     hidden_group_size_z
      - .offset:         146
        .size:           2
        .value_kind:     hidden_remainder_x
      - .offset:         148
        .size:           2
        .value_kind:     hidden_remainder_y
      - .offset:         150
        .size:           2
        .value_kind:     hidden_remainder_z
      - .offset:         168
        .size:           8
        .value_kind:     hidden_global_offset_x
      - .offset:         176
        .size:           8
        .value_kind:     hidden_global_offset_y
      - .offset:         184
        .size:           8
        .value_kind:     hidden_global_offset_z
      - .offset:         192
        .size:           2
        .value_kind:     hidden_grid_dims
      - .offset:         248
        .size:           4
        .value_kind:     hidden_dynamic_lds_size
    .group_segment_fixed_size: 528
    .kernarg_segment_align: 8
    .kernarg_segment_size: 384
    .language:       OpenCL C
    .language_version:
      - 2
      - 0
    .max_flat_workgroup_size: 1024
    .name:           _ZN4vllm25paged_attention_v1_kernelI14__hip_bfloat16S1_Li256ELi8ELi128ELNS_18Fp8KVCacheDataTypeE0ELb0EEEvPT_PKS3_PKT0_S9_ifPKiSB_iPKfiiiSD_SD_iiiii
    .private_segment_fixed_size: 0
    .sgpr_count:     40
    .sgpr_spill_count: 0
    .symbol:         _ZN4vllm25paged_attention_v1_kernelI14__hip_bfloat16S1_Li256ELi8ELi128ELNS_18Fp8KVCacheDataTypeE0ELb0EEEvPT_PKS3_PKT0_S9_ifPKiSB_iPKfiiiSD_SD_iiiii.kd
    .uniform_work_group_size: 1
    .uses_dynamic_stack: false
    .vgpr_count:     83
    .vgpr_spill_count: 0
    .wavefront_size: 64
  - .agpr_count:     0
    .args:
      - .actual_access:  write_only
        .address_space:  global
        .offset:         0
        .size:           8
        .value_kind:     global_buffer
      - .actual_access:  read_only
        .address_space:  global
        .offset:         8
        .size:           8
        .value_kind:     global_buffer
      - .actual_access:  read_only
        .address_space:  global
        .offset:         16
        .size:           8
        .value_kind:     global_buffer
      - .actual_access:  read_only
        .address_space:  global
        .offset:         24
        .size:           8
        .value_kind:     global_buffer
      - .offset:         32
        .size:           4
        .value_kind:     by_value
      - .offset:         36
        .size:           4
        .value_kind:     by_value
      - .actual_access:  read_only
        .address_space:  global
        .offset:         40
        .size:           8
        .value_kind:     global_buffer
      - .actual_access:  read_only
        .address_space:  global
        .offset:         48
        .size:           8
        .value_kind:     global_buffer
      - .offset:         56
        .size:           4
        .value_kind:     by_value
      - .actual_access:  read_only
        .address_space:  global
        .offset:         64
        .size:           8
        .value_kind:     global_buffer
      - .offset:         72
        .size:           4
        .value_kind:     by_value
      - .offset:         76
        .size:           4
        .value_kind:     by_value
      - .offset:         80
        .size:           4
        .value_kind:     by_value
      - .address_space:  global
        .offset:         88
        .size:           8
        .value_kind:     global_buffer
      - .address_space:  global
        .offset:         96
        .size:           8
        .value_kind:     global_buffer
      - .offset:         104
        .size:           4
        .value_kind:     by_value
      - .offset:         108
        .size:           4
        .value_kind:     by_value
      - .offset:         112
        .size:           4
        .value_kind:     by_value
      - .offset:         116
        .size:           4
        .value_kind:     by_value
      - .offset:         120
        .size:           4
        .value_kind:     by_value
      - .offset:         128
        .size:           4
        .value_kind:     hidden_block_count_x
      - .offset:         132
        .size:           4
        .value_kind:     hidden_block_count_y
      - .offset:         136
        .size:           4
        .value_kind:     hidden_block_count_z
      - .offset:         140
        .size:           2
        .value_kind:     hidden_group_size_x
      - .offset:         142
        .size:           2
        .value_kind:     hidden_group_size_y
      - .offset:         144
        .size:           2
        .value_kind:     hidden_group_size_z
      - .offset:         146
        .size:           2
        .value_kind:     hidden_remainder_x
      - .offset:         148
        .size:           2
        .value_kind:     hidden_remainder_y
      - .offset:         150
        .size:           2
        .value_kind:     hidden_remainder_z
      - .offset:         168
        .size:           8
        .value_kind:     hidden_global_offset_x
      - .offset:         176
        .size:           8
        .value_kind:     hidden_global_offset_y
      - .offset:         184
        .size:           8
        .value_kind:     hidden_global_offset_z
      - .offset:         192
        .size:           2
        .value_kind:     hidden_grid_dims
      - .offset:         248
        .size:           4
        .value_kind:     hidden_dynamic_lds_size
    .group_segment_fixed_size: 80
    .kernarg_segment_align: 8
    .kernarg_segment_size: 384
    .language:       OpenCL C
    .language_version:
      - 2
      - 0
    .max_flat_workgroup_size: 1024
    .name:           _ZN4vllm25paged_attention_v1_kernelI14__hip_bfloat16S1_Li32ELi16ELi128ELNS_18Fp8KVCacheDataTypeE0ELb1EEEvPT_PKS3_PKT0_S9_ifPKiSB_iPKfiiiSD_SD_iiiii
    .private_segment_fixed_size: 0
    .sgpr_count:     50
    .sgpr_spill_count: 0
    .symbol:         _ZN4vllm25paged_attention_v1_kernelI14__hip_bfloat16S1_Li32ELi16ELi128ELNS_18Fp8KVCacheDataTypeE0ELb1EEEvPT_PKS3_PKT0_S9_ifPKiSB_iPKfiiiSD_SD_iiiii.kd
    .uniform_work_group_size: 1
    .uses_dynamic_stack: false
    .vgpr_count:     39
    .vgpr_spill_count: 0
    .wavefront_size: 64
  - .agpr_count:     0
    .args:
      - .actual_access:  write_only
        .address_space:  global
        .offset:         0
        .size:           8
        .value_kind:     global_buffer
      - .actual_access:  read_only
        .address_space:  global
        .offset:         8
        .size:           8
        .value_kind:     global_buffer
      - .actual_access:  read_only
        .address_space:  global
        .offset:         16
        .size:           8
        .value_kind:     global_buffer
      - .actual_access:  read_only
        .address_space:  global
        .offset:         24
        .size:           8
        .value_kind:     global_buffer
      - .offset:         32
        .size:           4
        .value_kind:     by_value
      - .offset:         36
        .size:           4
        .value_kind:     by_value
      - .actual_access:  read_only
        .address_space:  global
        .offset:         40
        .size:           8
        .value_kind:     global_buffer
      - .actual_access:  read_only
        .address_space:  global
        .offset:         48
        .size:           8
        .value_kind:     global_buffer
      - .offset:         56
        .size:           4
        .value_kind:     by_value
      - .actual_access:  read_only
        .address_space:  global
        .offset:         64
        .size:           8
        .value_kind:     global_buffer
      - .offset:         72
        .size:           4
        .value_kind:     by_value
      - .offset:         76
        .size:           4
        .value_kind:     by_value
      - .offset:         80
        .size:           4
        .value_kind:     by_value
      - .address_space:  global
        .offset:         88
        .size:           8
        .value_kind:     global_buffer
      - .address_space:  global
        .offset:         96
        .size:           8
        .value_kind:     global_buffer
      - .offset:         104
        .size:           4
        .value_kind:     by_value
      - .offset:         108
        .size:           4
        .value_kind:     by_value
      - .offset:         112
        .size:           4
        .value_kind:     by_value
      - .offset:         116
        .size:           4
        .value_kind:     by_value
      - .offset:         120
        .size:           4
        .value_kind:     by_value
      - .offset:         128
        .size:           4
        .value_kind:     hidden_block_count_x
      - .offset:         132
        .size:           4
        .value_kind:     hidden_block_count_y
      - .offset:         136
        .size:           4
        .value_kind:     hidden_block_count_z
      - .offset:         140
        .size:           2
        .value_kind:     hidden_group_size_x
      - .offset:         142
        .size:           2
        .value_kind:     hidden_group_size_y
      - .offset:         144
        .size:           2
        .value_kind:     hidden_group_size_z
      - .offset:         146
        .size:           2
        .value_kind:     hidden_remainder_x
      - .offset:         148
        .size:           2
        .value_kind:     hidden_remainder_y
      - .offset:         150
        .size:           2
        .value_kind:     hidden_remainder_z
      - .offset:         168
        .size:           8
        .value_kind:     hidden_global_offset_x
      - .offset:         176
        .size:           8
        .value_kind:     hidden_global_offset_y
      - .offset:         184
        .size:           8
        .value_kind:     hidden_global_offset_z
      - .offset:         192
        .size:           2
        .value_kind:     hidden_grid_dims
      - .offset:         248
        .size:           4
        .value_kind:     hidden_dynamic_lds_size
    .group_segment_fixed_size: 144
    .kernarg_segment_align: 8
    .kernarg_segment_size: 384
    .language:       OpenCL C
    .language_version:
      - 2
      - 0
    .max_flat_workgroup_size: 1024
    .name:           _ZN4vllm25paged_attention_v1_kernelI14__hip_bfloat16S1_Li64ELi16ELi128ELNS_18Fp8KVCacheDataTypeE0ELb1EEEvPT_PKS3_PKT0_S9_ifPKiSB_iPKfiiiSD_SD_iiiii
    .private_segment_fixed_size: 0
    .sgpr_count:     50
    .sgpr_spill_count: 0
    .symbol:         _ZN4vllm25paged_attention_v1_kernelI14__hip_bfloat16S1_Li64ELi16ELi128ELNS_18Fp8KVCacheDataTypeE0ELb1EEEvPT_PKS3_PKT0_S9_ifPKiSB_iPKfiiiSD_SD_iiiii.kd
    .uniform_work_group_size: 1
    .uses_dynamic_stack: false
    .vgpr_count:     55
    .vgpr_spill_count: 0
    .wavefront_size: 64
  - .agpr_count:     0
    .args:
      - .actual_access:  write_only
        .address_space:  global
        .offset:         0
        .size:           8
        .value_kind:     global_buffer
      - .actual_access:  read_only
        .address_space:  global
        .offset:         8
        .size:           8
        .value_kind:     global_buffer
      - .actual_access:  read_only
        .address_space:  global
        .offset:         16
        .size:           8
        .value_kind:     global_buffer
      - .actual_access:  read_only
        .address_space:  global
        .offset:         24
        .size:           8
        .value_kind:     global_buffer
      - .offset:         32
        .size:           4
        .value_kind:     by_value
      - .offset:         36
        .size:           4
        .value_kind:     by_value
      - .actual_access:  read_only
        .address_space:  global
        .offset:         40
        .size:           8
        .value_kind:     global_buffer
      - .actual_access:  read_only
        .address_space:  global
        .offset:         48
        .size:           8
        .value_kind:     global_buffer
      - .offset:         56
        .size:           4
        .value_kind:     by_value
      - .actual_access:  read_only
        .address_space:  global
        .offset:         64
        .size:           8
        .value_kind:     global_buffer
      - .offset:         72
        .size:           4
        .value_kind:     by_value
      - .offset:         76
        .size:           4
        .value_kind:     by_value
      - .offset:         80
        .size:           4
        .value_kind:     by_value
      - .address_space:  global
        .offset:         88
        .size:           8
        .value_kind:     global_buffer
      - .address_space:  global
        .offset:         96
        .size:           8
        .value_kind:     global_buffer
      - .offset:         104
        .size:           4
        .value_kind:     by_value
      - .offset:         108
        .size:           4
        .value_kind:     by_value
      - .offset:         112
        .size:           4
        .value_kind:     by_value
      - .offset:         116
        .size:           4
        .value_kind:     by_value
      - .offset:         120
        .size:           4
        .value_kind:     by_value
      - .offset:         128
        .size:           4
        .value_kind:     hidden_block_count_x
      - .offset:         132
        .size:           4
        .value_kind:     hidden_block_count_y
      - .offset:         136
        .size:           4
        .value_kind:     hidden_block_count_z
      - .offset:         140
        .size:           2
        .value_kind:     hidden_group_size_x
      - .offset:         142
        .size:           2
        .value_kind:     hidden_group_size_y
      - .offset:         144
        .size:           2
        .value_kind:     hidden_group_size_z
      - .offset:         146
        .size:           2
        .value_kind:     hidden_remainder_x
      - .offset:         148
        .size:           2
        .value_kind:     hidden_remainder_y
      - .offset:         150
        .size:           2
        .value_kind:     hidden_remainder_z
      - .offset:         168
        .size:           8
        .value_kind:     hidden_global_offset_x
      - .offset:         176
        .size:           8
        .value_kind:     hidden_global_offset_y
      - .offset:         184
        .size:           8
        .value_kind:     hidden_global_offset_z
      - .offset:         192
        .size:           2
        .value_kind:     hidden_grid_dims
      - .offset:         248
        .size:           4
        .value_kind:     hidden_dynamic_lds_size
    .group_segment_fixed_size: 176
    .kernarg_segment_align: 8
    .kernarg_segment_size: 384
    .language:       OpenCL C
    .language_version:
      - 2
      - 0
    .max_flat_workgroup_size: 1024
    .name:           _ZN4vllm25paged_attention_v1_kernelI14__hip_bfloat16S1_Li80ELi16ELi128ELNS_18Fp8KVCacheDataTypeE0ELb1EEEvPT_PKS3_PKT0_S9_ifPKiSB_iPKfiiiSD_SD_iiiii
    .private_segment_fixed_size: 0
    .sgpr_count:     51
    .sgpr_spill_count: 0
    .symbol:         _ZN4vllm25paged_attention_v1_kernelI14__hip_bfloat16S1_Li80ELi16ELi128ELNS_18Fp8KVCacheDataTypeE0ELb1EEEvPT_PKS3_PKT0_S9_ifPKiSB_iPKfiiiSD_SD_iiiii.kd
    .uniform_work_group_size: 1
    .uses_dynamic_stack: false
    .vgpr_count:     63
    .vgpr_spill_count: 0
    .wavefront_size: 64
  - .agpr_count:     0
    .args:
      - .actual_access:  write_only
        .address_space:  global
        .offset:         0
        .size:           8
        .value_kind:     global_buffer
      - .actual_access:  read_only
        .address_space:  global
        .offset:         8
        .size:           8
        .value_kind:     global_buffer
      - .actual_access:  read_only
        .address_space:  global
        .offset:         16
        .size:           8
        .value_kind:     global_buffer
      - .actual_access:  read_only
        .address_space:  global
        .offset:         24
        .size:           8
        .value_kind:     global_buffer
      - .offset:         32
        .size:           4
        .value_kind:     by_value
      - .offset:         36
        .size:           4
        .value_kind:     by_value
      - .actual_access:  read_only
        .address_space:  global
        .offset:         40
        .size:           8
        .value_kind:     global_buffer
      - .actual_access:  read_only
        .address_space:  global
        .offset:         48
        .size:           8
        .value_kind:     global_buffer
      - .offset:         56
        .size:           4
        .value_kind:     by_value
      - .actual_access:  read_only
        .address_space:  global
        .offset:         64
        .size:           8
        .value_kind:     global_buffer
      - .offset:         72
        .size:           4
        .value_kind:     by_value
      - .offset:         76
        .size:           4
        .value_kind:     by_value
      - .offset:         80
        .size:           4
        .value_kind:     by_value
      - .address_space:  global
        .offset:         88
        .size:           8
        .value_kind:     global_buffer
      - .address_space:  global
        .offset:         96
        .size:           8
        .value_kind:     global_buffer
      - .offset:         104
        .size:           4
        .value_kind:     by_value
      - .offset:         108
        .size:           4
        .value_kind:     by_value
      - .offset:         112
        .size:           4
        .value_kind:     by_value
      - .offset:         116
        .size:           4
        .value_kind:     by_value
      - .offset:         120
        .size:           4
        .value_kind:     by_value
      - .offset:         128
        .size:           4
        .value_kind:     hidden_block_count_x
      - .offset:         132
        .size:           4
        .value_kind:     hidden_block_count_y
      - .offset:         136
        .size:           4
        .value_kind:     hidden_block_count_z
      - .offset:         140
        .size:           2
        .value_kind:     hidden_group_size_x
      - .offset:         142
        .size:           2
        .value_kind:     hidden_group_size_y
      - .offset:         144
        .size:           2
        .value_kind:     hidden_group_size_z
      - .offset:         146
        .size:           2
        .value_kind:     hidden_remainder_x
      - .offset:         148
        .size:           2
        .value_kind:     hidden_remainder_y
      - .offset:         150
        .size:           2
        .value_kind:     hidden_remainder_z
      - .offset:         168
        .size:           8
        .value_kind:     hidden_global_offset_x
      - .offset:         176
        .size:           8
        .value_kind:     hidden_global_offset_y
      - .offset:         184
        .size:           8
        .value_kind:     hidden_global_offset_z
      - .offset:         192
        .size:           2
        .value_kind:     hidden_grid_dims
      - .offset:         248
        .size:           4
        .value_kind:     hidden_dynamic_lds_size
    .group_segment_fixed_size: 208
    .kernarg_segment_align: 8
    .kernarg_segment_size: 384
    .language:       OpenCL C
    .language_version:
      - 2
      - 0
    .max_flat_workgroup_size: 1024
    .name:           _ZN4vllm25paged_attention_v1_kernelI14__hip_bfloat16S1_Li96ELi16ELi128ELNS_18Fp8KVCacheDataTypeE0ELb1EEEvPT_PKS3_PKT0_S9_ifPKiSB_iPKfiiiSD_SD_iiiii
    .private_segment_fixed_size: 0
    .sgpr_count:     50
    .sgpr_spill_count: 0
    .symbol:         _ZN4vllm25paged_attention_v1_kernelI14__hip_bfloat16S1_Li96ELi16ELi128ELNS_18Fp8KVCacheDataTypeE0ELb1EEEvPT_PKS3_PKT0_S9_ifPKiSB_iPKfiiiSD_SD_iiiii.kd
    .uniform_work_group_size: 1
    .uses_dynamic_stack: false
    .vgpr_count:     71
    .vgpr_spill_count: 0
    .wavefront_size: 64
  - .agpr_count:     0
    .args:
      - .actual_access:  write_only
        .address_space:  global
        .offset:         0
        .size:           8
        .value_kind:     global_buffer
      - .actual_access:  read_only
        .address_space:  global
        .offset:         8
        .size:           8
        .value_kind:     global_buffer
      - .actual_access:  read_only
        .address_space:  global
        .offset:         16
        .size:           8
        .value_kind:     global_buffer
      - .actual_access:  read_only
        .address_space:  global
        .offset:         24
        .size:           8
        .value_kind:     global_buffer
      - .offset:         32
        .size:           4
        .value_kind:     by_value
      - .offset:         36
        .size:           4
        .value_kind:     by_value
      - .actual_access:  read_only
        .address_space:  global
        .offset:         40
        .size:           8
        .value_kind:     global_buffer
      - .actual_access:  read_only
        .address_space:  global
        .offset:         48
        .size:           8
        .value_kind:     global_buffer
      - .offset:         56
        .size:           4
        .value_kind:     by_value
      - .actual_access:  read_only
        .address_space:  global
        .offset:         64
        .size:           8
        .value_kind:     global_buffer
      - .offset:         72
        .size:           4
        .value_kind:     by_value
      - .offset:         76
        .size:           4
        .value_kind:     by_value
      - .offset:         80
        .size:           4
        .value_kind:     by_value
      - .address_space:  global
        .offset:         88
        .size:           8
        .value_kind:     global_buffer
      - .address_space:  global
        .offset:         96
        .size:           8
        .value_kind:     global_buffer
      - .offset:         104
        .size:           4
        .value_kind:     by_value
      - .offset:         108
        .size:           4
        .value_kind:     by_value
      - .offset:         112
        .size:           4
        .value_kind:     by_value
      - .offset:         116
        .size:           4
        .value_kind:     by_value
      - .offset:         120
        .size:           4
        .value_kind:     by_value
      - .offset:         128
        .size:           4
        .value_kind:     hidden_block_count_x
      - .offset:         132
        .size:           4
        .value_kind:     hidden_block_count_y
      - .offset:         136
        .size:           4
        .value_kind:     hidden_block_count_z
      - .offset:         140
        .size:           2
        .value_kind:     hidden_group_size_x
      - .offset:         142
        .size:           2
        .value_kind:     hidden_group_size_y
      - .offset:         144
        .size:           2
        .value_kind:     hidden_group_size_z
      - .offset:         146
        .size:           2
        .value_kind:     hidden_remainder_x
      - .offset:         148
        .size:           2
        .value_kind:     hidden_remainder_y
      - .offset:         150
        .size:           2
        .value_kind:     hidden_remainder_z
      - .offset:         168
        .size:           8
        .value_kind:     hidden_global_offset_x
      - .offset:         176
        .size:           8
        .value_kind:     hidden_global_offset_y
      - .offset:         184
        .size:           8
        .value_kind:     hidden_global_offset_z
      - .offset:         192
        .size:           2
        .value_kind:     hidden_grid_dims
      - .offset:         248
        .size:           4
        .value_kind:     hidden_dynamic_lds_size
    .group_segment_fixed_size: 240
    .kernarg_segment_align: 8
    .kernarg_segment_size: 384
    .language:       OpenCL C
    .language_version:
      - 2
      - 0
    .max_flat_workgroup_size: 1024
    .name:           _ZN4vllm25paged_attention_v1_kernelI14__hip_bfloat16S1_Li112ELi16ELi128ELNS_18Fp8KVCacheDataTypeE0ELb1EEEvPT_PKS3_PKT0_S9_ifPKiSB_iPKfiiiSD_SD_iiiii
    .private_segment_fixed_size: 0
    .sgpr_count:     51
    .sgpr_spill_count: 0
    .symbol:         _ZN4vllm25paged_attention_v1_kernelI14__hip_bfloat16S1_Li112ELi16ELi128ELNS_18Fp8KVCacheDataTypeE0ELb1EEEvPT_PKS3_PKT0_S9_ifPKiSB_iPKfiiiSD_SD_iiiii.kd
    .uniform_work_group_size: 1
    .uses_dynamic_stack: false
    .vgpr_count:     79
    .vgpr_spill_count: 0
    .wavefront_size: 64
  - .agpr_count:     0
    .args:
      - .actual_access:  write_only
        .address_space:  global
        .offset:         0
        .size:           8
        .value_kind:     global_buffer
      - .actual_access:  read_only
        .address_space:  global
        .offset:         8
        .size:           8
        .value_kind:     global_buffer
      - .actual_access:  read_only
        .address_space:  global
        .offset:         16
        .size:           8
        .value_kind:     global_buffer
      - .actual_access:  read_only
        .address_space:  global
        .offset:         24
        .size:           8
        .value_kind:     global_buffer
      - .offset:         32
        .size:           4
        .value_kind:     by_value
      - .offset:         36
        .size:           4
        .value_kind:     by_value
      - .actual_access:  read_only
        .address_space:  global
        .offset:         40
        .size:           8
        .value_kind:     global_buffer
      - .actual_access:  read_only
        .address_space:  global
        .offset:         48
        .size:           8
        .value_kind:     global_buffer
      - .offset:         56
        .size:           4
        .value_kind:     by_value
      - .actual_access:  read_only
        .address_space:  global
        .offset:         64
        .size:           8
        .value_kind:     global_buffer
      - .offset:         72
        .size:           4
        .value_kind:     by_value
      - .offset:         76
        .size:           4
        .value_kind:     by_value
      - .offset:         80
        .size:           4
        .value_kind:     by_value
      - .address_space:  global
        .offset:         88
        .size:           8
        .value_kind:     global_buffer
      - .address_space:  global
        .offset:         96
        .size:           8
        .value_kind:     global_buffer
      - .offset:         104
        .size:           4
        .value_kind:     by_value
      - .offset:         108
        .size:           4
        .value_kind:     by_value
      - .offset:         112
        .size:           4
        .value_kind:     by_value
      - .offset:         116
        .size:           4
        .value_kind:     by_value
      - .offset:         120
        .size:           4
        .value_kind:     by_value
      - .offset:         128
        .size:           4
        .value_kind:     hidden_block_count_x
      - .offset:         132
        .size:           4
        .value_kind:     hidden_block_count_y
      - .offset:         136
        .size:           4
        .value_kind:     hidden_block_count_z
      - .offset:         140
        .size:           2
        .value_kind:     hidden_group_size_x
      - .offset:         142
        .size:           2
        .value_kind:     hidden_group_size_y
      - .offset:         144
        .size:           2
        .value_kind:     hidden_group_size_z
      - .offset:         146
        .size:           2
        .value_kind:     hidden_remainder_x
      - .offset:         148
        .size:           2
        .value_kind:     hidden_remainder_y
      - .offset:         150
        .size:           2
        .value_kind:     hidden_remainder_z
      - .offset:         168
        .size:           8
        .value_kind:     hidden_global_offset_x
      - .offset:         176
        .size:           8
        .value_kind:     hidden_global_offset_y
      - .offset:         184
        .size:           8
        .value_kind:     hidden_global_offset_z
      - .offset:         192
        .size:           2
        .value_kind:     hidden_grid_dims
      - .offset:         248
        .size:           4
        .value_kind:     hidden_dynamic_lds_size
    .group_segment_fixed_size: 256
    .kernarg_segment_align: 8
    .kernarg_segment_size: 384
    .language:       OpenCL C
    .language_version:
      - 2
      - 0
    .max_flat_workgroup_size: 1024
    .name:           _ZN4vllm25paged_attention_v1_kernelI14__hip_bfloat16S1_Li120ELi16ELi128ELNS_18Fp8KVCacheDataTypeE0ELb1EEEvPT_PKS3_PKT0_S9_ifPKiSB_iPKfiiiSD_SD_iiiii
    .private_segment_fixed_size: 0
    .sgpr_count:     51
    .sgpr_spill_count: 0
    .symbol:         _ZN4vllm25paged_attention_v1_kernelI14__hip_bfloat16S1_Li120ELi16ELi128ELNS_18Fp8KVCacheDataTypeE0ELb1EEEvPT_PKS3_PKT0_S9_ifPKiSB_iPKfiiiSD_SD_iiiii.kd
    .uniform_work_group_size: 1
    .uses_dynamic_stack: false
    .vgpr_count:     83
    .vgpr_spill_count: 0
    .wavefront_size: 64
  - .agpr_count:     0
    .args:
      - .actual_access:  write_only
        .address_space:  global
        .offset:         0
        .size:           8
        .value_kind:     global_buffer
      - .actual_access:  read_only
        .address_space:  global
        .offset:         8
        .size:           8
        .value_kind:     global_buffer
      - .actual_access:  read_only
        .address_space:  global
        .offset:         16
        .size:           8
        .value_kind:     global_buffer
      - .actual_access:  read_only
        .address_space:  global
        .offset:         24
        .size:           8
        .value_kind:     global_buffer
      - .offset:         32
        .size:           4
        .value_kind:     by_value
      - .offset:         36
        .size:           4
        .value_kind:     by_value
      - .actual_access:  read_only
        .address_space:  global
        .offset:         40
        .size:           8
        .value_kind:     global_buffer
      - .actual_access:  read_only
        .address_space:  global
        .offset:         48
        .size:           8
        .value_kind:     global_buffer
      - .offset:         56
        .size:           4
        .value_kind:     by_value
      - .actual_access:  read_only
        .address_space:  global
        .offset:         64
        .size:           8
        .value_kind:     global_buffer
      - .offset:         72
        .size:           4
        .value_kind:     by_value
      - .offset:         76
        .size:           4
        .value_kind:     by_value
      - .offset:         80
        .size:           4
        .value_kind:     by_value
      - .address_space:  global
        .offset:         88
        .size:           8
        .value_kind:     global_buffer
      - .address_space:  global
        .offset:         96
        .size:           8
        .value_kind:     global_buffer
      - .offset:         104
        .size:           4
        .value_kind:     by_value
      - .offset:         108
        .size:           4
        .value_kind:     by_value
      - .offset:         112
        .size:           4
        .value_kind:     by_value
      - .offset:         116
        .size:           4
        .value_kind:     by_value
      - .offset:         120
        .size:           4
        .value_kind:     by_value
      - .offset:         128
        .size:           4
        .value_kind:     hidden_block_count_x
      - .offset:         132
        .size:           4
        .value_kind:     hidden_block_count_y
      - .offset:         136
        .size:           4
        .value_kind:     hidden_block_count_z
      - .offset:         140
        .size:           2
        .value_kind:     hidden_group_size_x
      - .offset:         142
        .size:           2
        .value_kind:     hidden_group_size_y
      - .offset:         144
        .size:           2
        .value_kind:     hidden_group_size_z
      - .offset:         146
        .size:           2
        .value_kind:     hidden_remainder_x
      - .offset:         148
        .size:           2
        .value_kind:     hidden_remainder_y
      - .offset:         150
        .size:           2
        .value_kind:     hidden_remainder_z
      - .offset:         168
        .size:           8
        .value_kind:     hidden_global_offset_x
      - .offset:         176
        .size:           8
        .value_kind:     hidden_global_offset_y
      - .offset:         184
        .size:           8
        .value_kind:     hidden_global_offset_z
      - .offset:         192
        .size:           2
        .value_kind:     hidden_grid_dims
      - .offset:         248
        .size:           4
        .value_kind:     hidden_dynamic_lds_size
    .group_segment_fixed_size: 272
    .kernarg_segment_align: 8
    .kernarg_segment_size: 384
    .language:       OpenCL C
    .language_version:
      - 2
      - 0
    .max_flat_workgroup_size: 1024
    .name:           _ZN4vllm25paged_attention_v1_kernelI14__hip_bfloat16S1_Li128ELi16ELi128ELNS_18Fp8KVCacheDataTypeE0ELb1EEEvPT_PKS3_PKT0_S9_ifPKiSB_iPKfiiiSD_SD_iiiii
    .private_segment_fixed_size: 0
    .sgpr_count:     52
    .sgpr_spill_count: 0
    .symbol:         _ZN4vllm25paged_attention_v1_kernelI14__hip_bfloat16S1_Li128ELi16ELi128ELNS_18Fp8KVCacheDataTypeE0ELb1EEEvPT_PKS3_PKT0_S9_ifPKiSB_iPKfiiiSD_SD_iiiii.kd
    .uniform_work_group_size: 1
    .uses_dynamic_stack: false
    .vgpr_count:     87
    .vgpr_spill_count: 0
    .wavefront_size: 64
  - .agpr_count:     0
    .args:
      - .actual_access:  write_only
        .address_space:  global
        .offset:         0
        .size:           8
        .value_kind:     global_buffer
      - .actual_access:  read_only
        .address_space:  global
        .offset:         8
        .size:           8
        .value_kind:     global_buffer
      - .actual_access:  read_only
        .address_space:  global
        .offset:         16
        .size:           8
        .value_kind:     global_buffer
      - .actual_access:  read_only
        .address_space:  global
        .offset:         24
        .size:           8
        .value_kind:     global_buffer
      - .offset:         32
        .size:           4
        .value_kind:     by_value
      - .offset:         36
        .size:           4
        .value_kind:     by_value
      - .actual_access:  read_only
        .address_space:  global
        .offset:         40
        .size:           8
        .value_kind:     global_buffer
      - .actual_access:  read_only
        .address_space:  global
        .offset:         48
        .size:           8
        .value_kind:     global_buffer
      - .offset:         56
        .size:           4
        .value_kind:     by_value
      - .actual_access:  read_only
        .address_space:  global
        .offset:         64
        .size:           8
        .value_kind:     global_buffer
      - .offset:         72
        .size:           4
        .value_kind:     by_value
      - .offset:         76
        .size:           4
        .value_kind:     by_value
      - .offset:         80
        .size:           4
        .value_kind:     by_value
      - .address_space:  global
        .offset:         88
        .size:           8
        .value_kind:     global_buffer
      - .address_space:  global
        .offset:         96
        .size:           8
        .value_kind:     global_buffer
      - .offset:         104
        .size:           4
        .value_kind:     by_value
      - .offset:         108
        .size:           4
        .value_kind:     by_value
      - .offset:         112
        .size:           4
        .value_kind:     by_value
      - .offset:         116
        .size:           4
        .value_kind:     by_value
      - .offset:         120
        .size:           4
        .value_kind:     by_value
      - .offset:         128
        .size:           4
        .value_kind:     hidden_block_count_x
      - .offset:         132
        .size:           4
        .value_kind:     hidden_block_count_y
      - .offset:         136
        .size:           4
        .value_kind:     hidden_block_count_z
      - .offset:         140
        .size:           2
        .value_kind:     hidden_group_size_x
      - .offset:         142
        .size:           2
        .value_kind:     hidden_group_size_y
      - .offset:         144
        .size:           2
        .value_kind:     hidden_group_size_z
      - .offset:         146
        .size:           2
        .value_kind:     hidden_remainder_x
      - .offset:         148
        .size:           2
        .value_kind:     hidden_remainder_y
      - .offset:         150
        .size:           2
        .value_kind:     hidden_remainder_z
      - .offset:         168
        .size:           8
        .value_kind:     hidden_global_offset_x
      - .offset:         176
        .size:           8
        .value_kind:     hidden_global_offset_y
      - .offset:         184
        .size:           8
        .value_kind:     hidden_global_offset_z
      - .offset:         192
        .size:           2
        .value_kind:     hidden_grid_dims
      - .offset:         248
        .size:           4
        .value_kind:     hidden_dynamic_lds_size
    .group_segment_fixed_size: 400
    .kernarg_segment_align: 8
    .kernarg_segment_size: 384
    .language:       OpenCL C
    .language_version:
      - 2
      - 0
    .max_flat_workgroup_size: 1024
    .name:           _ZN4vllm25paged_attention_v1_kernelI14__hip_bfloat16S1_Li192ELi16ELi128ELNS_18Fp8KVCacheDataTypeE0ELb1EEEvPT_PKS3_PKT0_S9_ifPKiSB_iPKfiiiSD_SD_iiiii
    .private_segment_fixed_size: 0
    .sgpr_count:     51
    .sgpr_spill_count: 0
    .symbol:         _ZN4vllm25paged_attention_v1_kernelI14__hip_bfloat16S1_Li192ELi16ELi128ELNS_18Fp8KVCacheDataTypeE0ELb1EEEvPT_PKS3_PKT0_S9_ifPKiSB_iPKfiiiSD_SD_iiiii.kd
    .uniform_work_group_size: 1
    .uses_dynamic_stack: false
    .vgpr_count:     105
    .vgpr_spill_count: 0
    .wavefront_size: 64
  - .agpr_count:     0
    .args:
      - .actual_access:  write_only
        .address_space:  global
        .offset:         0
        .size:           8
        .value_kind:     global_buffer
      - .actual_access:  read_only
        .address_space:  global
        .offset:         8
        .size:           8
        .value_kind:     global_buffer
      - .actual_access:  read_only
        .address_space:  global
        .offset:         16
        .size:           8
        .value_kind:     global_buffer
      - .actual_access:  read_only
        .address_space:  global
        .offset:         24
        .size:           8
        .value_kind:     global_buffer
      - .offset:         32
        .size:           4
        .value_kind:     by_value
      - .offset:         36
        .size:           4
        .value_kind:     by_value
      - .actual_access:  read_only
        .address_space:  global
        .offset:         40
        .size:           8
        .value_kind:     global_buffer
      - .actual_access:  read_only
        .address_space:  global
        .offset:         48
        .size:           8
        .value_kind:     global_buffer
      - .offset:         56
        .size:           4
        .value_kind:     by_value
      - .actual_access:  read_only
        .address_space:  global
        .offset:         64
        .size:           8
        .value_kind:     global_buffer
      - .offset:         72
        .size:           4
        .value_kind:     by_value
      - .offset:         76
        .size:           4
        .value_kind:     by_value
      - .offset:         80
        .size:           4
        .value_kind:     by_value
      - .address_space:  global
        .offset:         88
        .size:           8
        .value_kind:     global_buffer
      - .address_space:  global
        .offset:         96
        .size:           8
        .value_kind:     global_buffer
      - .offset:         104
        .size:           4
        .value_kind:     by_value
      - .offset:         108
        .size:           4
        .value_kind:     by_value
      - .offset:         112
        .size:           4
        .value_kind:     by_value
      - .offset:         116
        .size:           4
        .value_kind:     by_value
      - .offset:         120
        .size:           4
        .value_kind:     by_value
      - .offset:         128
        .size:           4
        .value_kind:     hidden_block_count_x
      - .offset:         132
        .size:           4
        .value_kind:     hidden_block_count_y
      - .offset:         136
        .size:           4
        .value_kind:     hidden_block_count_z
      - .offset:         140
        .size:           2
        .value_kind:     hidden_group_size_x
      - .offset:         142
        .size:           2
        .value_kind:     hidden_group_size_y
      - .offset:         144
        .size:           2
        .value_kind:     hidden_group_size_z
      - .offset:         146
        .size:           2
        .value_kind:     hidden_remainder_x
      - .offset:         148
        .size:           2
        .value_kind:     hidden_remainder_y
      - .offset:         150
        .size:           2
        .value_kind:     hidden_remainder_z
      - .offset:         168
        .size:           8
        .value_kind:     hidden_global_offset_x
      - .offset:         176
        .size:           8
        .value_kind:     hidden_global_offset_y
      - .offset:         184
        .size:           8
        .value_kind:     hidden_global_offset_z
      - .offset:         192
        .size:           2
        .value_kind:     hidden_grid_dims
      - .offset:         248
        .size:           4
        .value_kind:     hidden_dynamic_lds_size
    .group_segment_fixed_size: 528
    .kernarg_segment_align: 8
    .kernarg_segment_size: 384
    .language:       OpenCL C
    .language_version:
      - 2
      - 0
    .max_flat_workgroup_size: 1024
    .name:           _ZN4vllm25paged_attention_v1_kernelI14__hip_bfloat16S1_Li256ELi16ELi128ELNS_18Fp8KVCacheDataTypeE0ELb1EEEvPT_PKS3_PKT0_S9_ifPKiSB_iPKfiiiSD_SD_iiiii
    .private_segment_fixed_size: 0
    .sgpr_count:     51
    .sgpr_spill_count: 0
    .symbol:         _ZN4vllm25paged_attention_v1_kernelI14__hip_bfloat16S1_Li256ELi16ELi128ELNS_18Fp8KVCacheDataTypeE0ELb1EEEvPT_PKS3_PKT0_S9_ifPKiSB_iPKfiiiSD_SD_iiiii.kd
    .uniform_work_group_size: 1
    .uses_dynamic_stack: false
    .vgpr_count:     105
    .vgpr_spill_count: 0
    .wavefront_size: 64
  - .agpr_count:     0
    .args:
      - .actual_access:  write_only
        .address_space:  global
        .offset:         0
        .size:           8
        .value_kind:     global_buffer
      - .actual_access:  read_only
        .address_space:  global
        .offset:         8
        .size:           8
        .value_kind:     global_buffer
      - .actual_access:  read_only
        .address_space:  global
        .offset:         16
        .size:           8
        .value_kind:     global_buffer
      - .actual_access:  read_only
        .address_space:  global
        .offset:         24
        .size:           8
        .value_kind:     global_buffer
      - .offset:         32
        .size:           4
        .value_kind:     by_value
      - .offset:         36
        .size:           4
        .value_kind:     by_value
      - .actual_access:  read_only
        .address_space:  global
        .offset:         40
        .size:           8
        .value_kind:     global_buffer
      - .actual_access:  read_only
        .address_space:  global
        .offset:         48
        .size:           8
        .value_kind:     global_buffer
      - .offset:         56
        .size:           4
        .value_kind:     by_value
      - .actual_access:  read_only
        .address_space:  global
        .offset:         64
        .size:           8
        .value_kind:     global_buffer
      - .offset:         72
        .size:           4
        .value_kind:     by_value
      - .offset:         76
        .size:           4
        .value_kind:     by_value
      - .offset:         80
        .size:           4
        .value_kind:     by_value
      - .address_space:  global
        .offset:         88
        .size:           8
        .value_kind:     global_buffer
      - .address_space:  global
        .offset:         96
        .size:           8
        .value_kind:     global_buffer
      - .offset:         104
        .size:           4
        .value_kind:     by_value
      - .offset:         108
        .size:           4
        .value_kind:     by_value
      - .offset:         112
        .size:           4
        .value_kind:     by_value
      - .offset:         116
        .size:           4
        .value_kind:     by_value
      - .offset:         120
        .size:           4
        .value_kind:     by_value
      - .offset:         128
        .size:           4
        .value_kind:     hidden_block_count_x
      - .offset:         132
        .size:           4
        .value_kind:     hidden_block_count_y
      - .offset:         136
        .size:           4
        .value_kind:     hidden_block_count_z
      - .offset:         140
        .size:           2
        .value_kind:     hidden_group_size_x
      - .offset:         142
        .size:           2
        .value_kind:     hidden_group_size_y
      - .offset:         144
        .size:           2
        .value_kind:     hidden_group_size_z
      - .offset:         146
        .size:           2
        .value_kind:     hidden_remainder_x
      - .offset:         148
        .size:           2
        .value_kind:     hidden_remainder_y
      - .offset:         150
        .size:           2
        .value_kind:     hidden_remainder_z
      - .offset:         168
        .size:           8
        .value_kind:     hidden_global_offset_x
      - .offset:         176
        .size:           8
        .value_kind:     hidden_global_offset_y
      - .offset:         184
        .size:           8
        .value_kind:     hidden_global_offset_z
      - .offset:         192
        .size:           2
        .value_kind:     hidden_grid_dims
      - .offset:         248
        .size:           4
        .value_kind:     hidden_dynamic_lds_size
    .group_segment_fixed_size: 80
    .kernarg_segment_align: 8
    .kernarg_segment_size: 384
    .language:       OpenCL C
    .language_version:
      - 2
      - 0
    .max_flat_workgroup_size: 1024
    .name:           _ZN4vllm25paged_attention_v1_kernelI14__hip_bfloat16S1_Li32ELi16ELi128ELNS_18Fp8KVCacheDataTypeE0ELb0EEEvPT_PKS3_PKT0_S9_ifPKiSB_iPKfiiiSD_SD_iiiii
    .private_segment_fixed_size: 0
    .sgpr_count:     40
    .sgpr_spill_count: 0
    .symbol:         _ZN4vllm25paged_attention_v1_kernelI14__hip_bfloat16S1_Li32ELi16ELi128ELNS_18Fp8KVCacheDataTypeE0ELb0EEEvPT_PKS3_PKT0_S9_ifPKiSB_iPKfiiiSD_SD_iiiii.kd
    .uniform_work_group_size: 1
    .uses_dynamic_stack: false
    .vgpr_count:     32
    .vgpr_spill_count: 0
    .wavefront_size: 64
  - .agpr_count:     0
    .args:
      - .actual_access:  write_only
        .address_space:  global
        .offset:         0
        .size:           8
        .value_kind:     global_buffer
      - .actual_access:  read_only
        .address_space:  global
        .offset:         8
        .size:           8
        .value_kind:     global_buffer
      - .actual_access:  read_only
        .address_space:  global
        .offset:         16
        .size:           8
        .value_kind:     global_buffer
      - .actual_access:  read_only
        .address_space:  global
        .offset:         24
        .size:           8
        .value_kind:     global_buffer
      - .offset:         32
        .size:           4
        .value_kind:     by_value
      - .offset:         36
        .size:           4
        .value_kind:     by_value
      - .actual_access:  read_only
        .address_space:  global
        .offset:         40
        .size:           8
        .value_kind:     global_buffer
      - .actual_access:  read_only
        .address_space:  global
        .offset:         48
        .size:           8
        .value_kind:     global_buffer
      - .offset:         56
        .size:           4
        .value_kind:     by_value
      - .actual_access:  read_only
        .address_space:  global
        .offset:         64
        .size:           8
        .value_kind:     global_buffer
      - .offset:         72
        .size:           4
        .value_kind:     by_value
      - .offset:         76
        .size:           4
        .value_kind:     by_value
      - .offset:         80
        .size:           4
        .value_kind:     by_value
      - .address_space:  global
        .offset:         88
        .size:           8
        .value_kind:     global_buffer
      - .address_space:  global
        .offset:         96
        .size:           8
        .value_kind:     global_buffer
      - .offset:         104
        .size:           4
        .value_kind:     by_value
      - .offset:         108
        .size:           4
        .value_kind:     by_value
      - .offset:         112
        .size:           4
        .value_kind:     by_value
      - .offset:         116
        .size:           4
        .value_kind:     by_value
      - .offset:         120
        .size:           4
        .value_kind:     by_value
      - .offset:         128
        .size:           4
        .value_kind:     hidden_block_count_x
      - .offset:         132
        .size:           4
        .value_kind:     hidden_block_count_y
      - .offset:         136
        .size:           4
        .value_kind:     hidden_block_count_z
      - .offset:         140
        .size:           2
        .value_kind:     hidden_group_size_x
      - .offset:         142
        .size:           2
        .value_kind:     hidden_group_size_y
      - .offset:         144
        .size:           2
        .value_kind:     hidden_group_size_z
      - .offset:         146
        .size:           2
        .value_kind:     hidden_remainder_x
      - .offset:         148
        .size:           2
        .value_kind:     hidden_remainder_y
      - .offset:         150
        .size:           2
        .value_kind:     hidden_remainder_z
      - .offset:         168
        .size:           8
        .value_kind:     hidden_global_offset_x
      - .offset:         176
        .size:           8
        .value_kind:     hidden_global_offset_y
      - .offset:         184
        .size:           8
        .value_kind:     hidden_global_offset_z
      - .offset:         192
        .size:           2
        .value_kind:     hidden_grid_dims
      - .offset:         248
        .size:           4
        .value_kind:     hidden_dynamic_lds_size
    .group_segment_fixed_size: 144
    .kernarg_segment_align: 8
    .kernarg_segment_size: 384
    .language:       OpenCL C
    .language_version:
      - 2
      - 0
    .max_flat_workgroup_size: 1024
    .name:           _ZN4vllm25paged_attention_v1_kernelI14__hip_bfloat16S1_Li64ELi16ELi128ELNS_18Fp8KVCacheDataTypeE0ELb0EEEvPT_PKS3_PKT0_S9_ifPKiSB_iPKfiiiSD_SD_iiiii
    .private_segment_fixed_size: 0
    .sgpr_count:     40
    .sgpr_spill_count: 0
    .symbol:         _ZN4vllm25paged_attention_v1_kernelI14__hip_bfloat16S1_Li64ELi16ELi128ELNS_18Fp8KVCacheDataTypeE0ELb0EEEvPT_PKS3_PKT0_S9_ifPKiSB_iPKfiiiSD_SD_iiiii.kd
    .uniform_work_group_size: 1
    .uses_dynamic_stack: false
    .vgpr_count:     48
    .vgpr_spill_count: 0
    .wavefront_size: 64
  - .agpr_count:     0
    .args:
      - .actual_access:  write_only
        .address_space:  global
        .offset:         0
        .size:           8
        .value_kind:     global_buffer
      - .actual_access:  read_only
        .address_space:  global
        .offset:         8
        .size:           8
        .value_kind:     global_buffer
      - .actual_access:  read_only
        .address_space:  global
        .offset:         16
        .size:           8
        .value_kind:     global_buffer
      - .actual_access:  read_only
        .address_space:  global
        .offset:         24
        .size:           8
        .value_kind:     global_buffer
      - .offset:         32
        .size:           4
        .value_kind:     by_value
      - .offset:         36
        .size:           4
        .value_kind:     by_value
      - .actual_access:  read_only
        .address_space:  global
        .offset:         40
        .size:           8
        .value_kind:     global_buffer
      - .actual_access:  read_only
        .address_space:  global
        .offset:         48
        .size:           8
        .value_kind:     global_buffer
      - .offset:         56
        .size:           4
        .value_kind:     by_value
      - .actual_access:  read_only
        .address_space:  global
        .offset:         64
        .size:           8
        .value_kind:     global_buffer
      - .offset:         72
        .size:           4
        .value_kind:     by_value
      - .offset:         76
        .size:           4
        .value_kind:     by_value
      - .offset:         80
        .size:           4
        .value_kind:     by_value
      - .address_space:  global
        .offset:         88
        .size:           8
        .value_kind:     global_buffer
      - .address_space:  global
        .offset:         96
        .size:           8
        .value_kind:     global_buffer
      - .offset:         104
        .size:           4
        .value_kind:     by_value
      - .offset:         108
        .size:           4
        .value_kind:     by_value
      - .offset:         112
        .size:           4
        .value_kind:     by_value
      - .offset:         116
        .size:           4
        .value_kind:     by_value
      - .offset:         120
        .size:           4
        .value_kind:     by_value
      - .offset:         128
        .size:           4
        .value_kind:     hidden_block_count_x
      - .offset:         132
        .size:           4
        .value_kind:     hidden_block_count_y
      - .offset:         136
        .size:           4
        .value_kind:     hidden_block_count_z
      - .offset:         140
        .size:           2
        .value_kind:     hidden_group_size_x
      - .offset:         142
        .size:           2
        .value_kind:     hidden_group_size_y
      - .offset:         144
        .size:           2
        .value_kind:     hidden_group_size_z
      - .offset:         146
        .size:           2
        .value_kind:     hidden_remainder_x
      - .offset:         148
        .size:           2
        .value_kind:     hidden_remainder_y
      - .offset:         150
        .size:           2
        .value_kind:     hidden_remainder_z
      - .offset:         168
        .size:           8
        .value_kind:     hidden_global_offset_x
      - .offset:         176
        .size:           8
        .value_kind:     hidden_global_offset_y
      - .offset:         184
        .size:           8
        .value_kind:     hidden_global_offset_z
      - .offset:         192
        .size:           2
        .value_kind:     hidden_grid_dims
      - .offset:         248
        .size:           4
        .value_kind:     hidden_dynamic_lds_size
    .group_segment_fixed_size: 176
    .kernarg_segment_align: 8
    .kernarg_segment_size: 384
    .language:       OpenCL C
    .language_version:
      - 2
      - 0
    .max_flat_workgroup_size: 1024
    .name:           _ZN4vllm25paged_attention_v1_kernelI14__hip_bfloat16S1_Li80ELi16ELi128ELNS_18Fp8KVCacheDataTypeE0ELb0EEEvPT_PKS3_PKT0_S9_ifPKiSB_iPKfiiiSD_SD_iiiii
    .private_segment_fixed_size: 0
    .sgpr_count:     40
    .sgpr_spill_count: 0
    .symbol:         _ZN4vllm25paged_attention_v1_kernelI14__hip_bfloat16S1_Li80ELi16ELi128ELNS_18Fp8KVCacheDataTypeE0ELb0EEEvPT_PKS3_PKT0_S9_ifPKiSB_iPKfiiiSD_SD_iiiii.kd
    .uniform_work_group_size: 1
    .uses_dynamic_stack: false
    .vgpr_count:     56
    .vgpr_spill_count: 0
    .wavefront_size: 64
  - .agpr_count:     0
    .args:
      - .actual_access:  write_only
        .address_space:  global
        .offset:         0
        .size:           8
        .value_kind:     global_buffer
      - .actual_access:  read_only
        .address_space:  global
        .offset:         8
        .size:           8
        .value_kind:     global_buffer
      - .actual_access:  read_only
        .address_space:  global
        .offset:         16
        .size:           8
        .value_kind:     global_buffer
      - .actual_access:  read_only
        .address_space:  global
        .offset:         24
        .size:           8
        .value_kind:     global_buffer
      - .offset:         32
        .size:           4
        .value_kind:     by_value
      - .offset:         36
        .size:           4
        .value_kind:     by_value
      - .actual_access:  read_only
        .address_space:  global
        .offset:         40
        .size:           8
        .value_kind:     global_buffer
      - .actual_access:  read_only
        .address_space:  global
        .offset:         48
        .size:           8
        .value_kind:     global_buffer
      - .offset:         56
        .size:           4
        .value_kind:     by_value
      - .actual_access:  read_only
        .address_space:  global
        .offset:         64
        .size:           8
        .value_kind:     global_buffer
      - .offset:         72
        .size:           4
        .value_kind:     by_value
      - .offset:         76
        .size:           4
        .value_kind:     by_value
      - .offset:         80
        .size:           4
        .value_kind:     by_value
      - .address_space:  global
        .offset:         88
        .size:           8
        .value_kind:     global_buffer
      - .address_space:  global
        .offset:         96
        .size:           8
        .value_kind:     global_buffer
      - .offset:         104
        .size:           4
        .value_kind:     by_value
      - .offset:         108
        .size:           4
        .value_kind:     by_value
      - .offset:         112
        .size:           4
        .value_kind:     by_value
      - .offset:         116
        .size:           4
        .value_kind:     by_value
      - .offset:         120
        .size:           4
        .value_kind:     by_value
      - .offset:         128
        .size:           4
        .value_kind:     hidden_block_count_x
      - .offset:         132
        .size:           4
        .value_kind:     hidden_block_count_y
      - .offset:         136
        .size:           4
        .value_kind:     hidden_block_count_z
      - .offset:         140
        .size:           2
        .value_kind:     hidden_group_size_x
      - .offset:         142
        .size:           2
        .value_kind:     hidden_group_size_y
      - .offset:         144
        .size:           2
        .value_kind:     hidden_group_size_z
      - .offset:         146
        .size:           2
        .value_kind:     hidden_remainder_x
      - .offset:         148
        .size:           2
        .value_kind:     hidden_remainder_y
      - .offset:         150
        .size:           2
        .value_kind:     hidden_remainder_z
      - .offset:         168
        .size:           8
        .value_kind:     hidden_global_offset_x
      - .offset:         176
        .size:           8
        .value_kind:     hidden_global_offset_y
      - .offset:         184
        .size:           8
        .value_kind:     hidden_global_offset_z
      - .offset:         192
        .size:           2
        .value_kind:     hidden_grid_dims
      - .offset:         248
        .size:           4
        .value_kind:     hidden_dynamic_lds_size
    .group_segment_fixed_size: 208
    .kernarg_segment_align: 8
    .kernarg_segment_size: 384
    .language:       OpenCL C
    .language_version:
      - 2
      - 0
    .max_flat_workgroup_size: 1024
    .name:           _ZN4vllm25paged_attention_v1_kernelI14__hip_bfloat16S1_Li96ELi16ELi128ELNS_18Fp8KVCacheDataTypeE0ELb0EEEvPT_PKS3_PKT0_S9_ifPKiSB_iPKfiiiSD_SD_iiiii
    .private_segment_fixed_size: 0
    .sgpr_count:     40
    .sgpr_spill_count: 0
    .symbol:         _ZN4vllm25paged_attention_v1_kernelI14__hip_bfloat16S1_Li96ELi16ELi128ELNS_18Fp8KVCacheDataTypeE0ELb0EEEvPT_PKS3_PKT0_S9_ifPKiSB_iPKfiiiSD_SD_iiiii.kd
    .uniform_work_group_size: 1
    .uses_dynamic_stack: false
    .vgpr_count:     64
    .vgpr_spill_count: 0
    .wavefront_size: 64
  - .agpr_count:     0
    .args:
      - .actual_access:  write_only
        .address_space:  global
        .offset:         0
        .size:           8
        .value_kind:     global_buffer
      - .actual_access:  read_only
        .address_space:  global
        .offset:         8
        .size:           8
        .value_kind:     global_buffer
      - .actual_access:  read_only
        .address_space:  global
        .offset:         16
        .size:           8
        .value_kind:     global_buffer
      - .actual_access:  read_only
        .address_space:  global
        .offset:         24
        .size:           8
        .value_kind:     global_buffer
      - .offset:         32
        .size:           4
        .value_kind:     by_value
      - .offset:         36
        .size:           4
        .value_kind:     by_value
      - .actual_access:  read_only
        .address_space:  global
        .offset:         40
        .size:           8
        .value_kind:     global_buffer
      - .actual_access:  read_only
        .address_space:  global
        .offset:         48
        .size:           8
        .value_kind:     global_buffer
      - .offset:         56
        .size:           4
        .value_kind:     by_value
      - .actual_access:  read_only
        .address_space:  global
        .offset:         64
        .size:           8
        .value_kind:     global_buffer
      - .offset:         72
        .size:           4
        .value_kind:     by_value
      - .offset:         76
        .size:           4
        .value_kind:     by_value
      - .offset:         80
        .size:           4
        .value_kind:     by_value
      - .address_space:  global
        .offset:         88
        .size:           8
        .value_kind:     global_buffer
      - .address_space:  global
        .offset:         96
        .size:           8
        .value_kind:     global_buffer
      - .offset:         104
        .size:           4
        .value_kind:     by_value
      - .offset:         108
        .size:           4
        .value_kind:     by_value
      - .offset:         112
        .size:           4
        .value_kind:     by_value
      - .offset:         116
        .size:           4
        .value_kind:     by_value
      - .offset:         120
        .size:           4
        .value_kind:     by_value
      - .offset:         128
        .size:           4
        .value_kind:     hidden_block_count_x
      - .offset:         132
        .size:           4
        .value_kind:     hidden_block_count_y
      - .offset:         136
        .size:           4
        .value_kind:     hidden_block_count_z
      - .offset:         140
        .size:           2
        .value_kind:     hidden_group_size_x
      - .offset:         142
        .size:           2
        .value_kind:     hidden_group_size_y
      - .offset:         144
        .size:           2
        .value_kind:     hidden_group_size_z
      - .offset:         146
        .size:           2
        .value_kind:     hidden_remainder_x
      - .offset:         148
        .size:           2
        .value_kind:     hidden_remainder_y
      - .offset:         150
        .size:           2
        .value_kind:     hidden_remainder_z
      - .offset:         168
        .size:           8
        .value_kind:     hidden_global_offset_x
      - .offset:         176
        .size:           8
        .value_kind:     hidden_global_offset_y
      - .offset:         184
        .size:           8
        .value_kind:     hidden_global_offset_z
      - .offset:         192
        .size:           2
        .value_kind:     hidden_grid_dims
      - .offset:         248
        .size:           4
        .value_kind:     hidden_dynamic_lds_size
    .group_segment_fixed_size: 240
    .kernarg_segment_align: 8
    .kernarg_segment_size: 384
    .language:       OpenCL C
    .language_version:
      - 2
      - 0
    .max_flat_workgroup_size: 1024
    .name:           _ZN4vllm25paged_attention_v1_kernelI14__hip_bfloat16S1_Li112ELi16ELi128ELNS_18Fp8KVCacheDataTypeE0ELb0EEEvPT_PKS3_PKT0_S9_ifPKiSB_iPKfiiiSD_SD_iiiii
    .private_segment_fixed_size: 0
    .sgpr_count:     40
    .sgpr_spill_count: 0
    .symbol:         _ZN4vllm25paged_attention_v1_kernelI14__hip_bfloat16S1_Li112ELi16ELi128ELNS_18Fp8KVCacheDataTypeE0ELb0EEEvPT_PKS3_PKT0_S9_ifPKiSB_iPKfiiiSD_SD_iiiii.kd
    .uniform_work_group_size: 1
    .uses_dynamic_stack: false
    .vgpr_count:     63
    .vgpr_spill_count: 0
    .wavefront_size: 64
  - .agpr_count:     0
    .args:
      - .actual_access:  write_only
        .address_space:  global
        .offset:         0
        .size:           8
        .value_kind:     global_buffer
      - .actual_access:  read_only
        .address_space:  global
        .offset:         8
        .size:           8
        .value_kind:     global_buffer
      - .actual_access:  read_only
        .address_space:  global
        .offset:         16
        .size:           8
        .value_kind:     global_buffer
      - .actual_access:  read_only
        .address_space:  global
        .offset:         24
        .size:           8
        .value_kind:     global_buffer
      - .offset:         32
        .size:           4
        .value_kind:     by_value
      - .offset:         36
        .size:           4
        .value_kind:     by_value
      - .actual_access:  read_only
        .address_space:  global
        .offset:         40
        .size:           8
        .value_kind:     global_buffer
      - .actual_access:  read_only
        .address_space:  global
        .offset:         48
        .size:           8
        .value_kind:     global_buffer
      - .offset:         56
        .size:           4
        .value_kind:     by_value
      - .actual_access:  read_only
        .address_space:  global
        .offset:         64
        .size:           8
        .value_kind:     global_buffer
      - .offset:         72
        .size:           4
        .value_kind:     by_value
      - .offset:         76
        .size:           4
        .value_kind:     by_value
      - .offset:         80
        .size:           4
        .value_kind:     by_value
      - .address_space:  global
        .offset:         88
        .size:           8
        .value_kind:     global_buffer
      - .address_space:  global
        .offset:         96
        .size:           8
        .value_kind:     global_buffer
      - .offset:         104
        .size:           4
        .value_kind:     by_value
      - .offset:         108
        .size:           4
        .value_kind:     by_value
      - .offset:         112
        .size:           4
        .value_kind:     by_value
      - .offset:         116
        .size:           4
        .value_kind:     by_value
      - .offset:         120
        .size:           4
        .value_kind:     by_value
      - .offset:         128
        .size:           4
        .value_kind:     hidden_block_count_x
      - .offset:         132
        .size:           4
        .value_kind:     hidden_block_count_y
      - .offset:         136
        .size:           4
        .value_kind:     hidden_block_count_z
      - .offset:         140
        .size:           2
        .value_kind:     hidden_group_size_x
      - .offset:         142
        .size:           2
        .value_kind:     hidden_group_size_y
      - .offset:         144
        .size:           2
        .value_kind:     hidden_group_size_z
      - .offset:         146
        .size:           2
        .value_kind:     hidden_remainder_x
      - .offset:         148
        .size:           2
        .value_kind:     hidden_remainder_y
      - .offset:         150
        .size:           2
        .value_kind:     hidden_remainder_z
      - .offset:         168
        .size:           8
        .value_kind:     hidden_global_offset_x
      - .offset:         176
        .size:           8
        .value_kind:     hidden_global_offset_y
      - .offset:         184
        .size:           8
        .value_kind:     hidden_global_offset_z
      - .offset:         192
        .size:           2
        .value_kind:     hidden_grid_dims
      - .offset:         248
        .size:           4
        .value_kind:     hidden_dynamic_lds_size
    .group_segment_fixed_size: 256
    .kernarg_segment_align: 8
    .kernarg_segment_size: 384
    .language:       OpenCL C
    .language_version:
      - 2
      - 0
    .max_flat_workgroup_size: 1024
    .name:           _ZN4vllm25paged_attention_v1_kernelI14__hip_bfloat16S1_Li120ELi16ELi128ELNS_18Fp8KVCacheDataTypeE0ELb0EEEvPT_PKS3_PKT0_S9_ifPKiSB_iPKfiiiSD_SD_iiiii
    .private_segment_fixed_size: 0
    .sgpr_count:     40
    .sgpr_spill_count: 0
    .symbol:         _ZN4vllm25paged_attention_v1_kernelI14__hip_bfloat16S1_Li120ELi16ELi128ELNS_18Fp8KVCacheDataTypeE0ELb0EEEvPT_PKS3_PKT0_S9_ifPKiSB_iPKfiiiSD_SD_iiiii.kd
    .uniform_work_group_size: 1
    .uses_dynamic_stack: false
    .vgpr_count:     63
    .vgpr_spill_count: 0
    .wavefront_size: 64
  - .agpr_count:     0
    .args:
      - .actual_access:  write_only
        .address_space:  global
        .offset:         0
        .size:           8
        .value_kind:     global_buffer
      - .actual_access:  read_only
        .address_space:  global
        .offset:         8
        .size:           8
        .value_kind:     global_buffer
      - .actual_access:  read_only
        .address_space:  global
        .offset:         16
        .size:           8
        .value_kind:     global_buffer
      - .actual_access:  read_only
        .address_space:  global
        .offset:         24
        .size:           8
        .value_kind:     global_buffer
      - .offset:         32
        .size:           4
        .value_kind:     by_value
      - .offset:         36
        .size:           4
        .value_kind:     by_value
      - .actual_access:  read_only
        .address_space:  global
        .offset:         40
        .size:           8
        .value_kind:     global_buffer
      - .actual_access:  read_only
        .address_space:  global
        .offset:         48
        .size:           8
        .value_kind:     global_buffer
      - .offset:         56
        .size:           4
        .value_kind:     by_value
      - .actual_access:  read_only
        .address_space:  global
        .offset:         64
        .size:           8
        .value_kind:     global_buffer
      - .offset:         72
        .size:           4
        .value_kind:     by_value
      - .offset:         76
        .size:           4
        .value_kind:     by_value
      - .offset:         80
        .size:           4
        .value_kind:     by_value
      - .address_space:  global
        .offset:         88
        .size:           8
        .value_kind:     global_buffer
      - .address_space:  global
        .offset:         96
        .size:           8
        .value_kind:     global_buffer
      - .offset:         104
        .size:           4
        .value_kind:     by_value
      - .offset:         108
        .size:           4
        .value_kind:     by_value
      - .offset:         112
        .size:           4
        .value_kind:     by_value
      - .offset:         116
        .size:           4
        .value_kind:     by_value
      - .offset:         120
        .size:           4
        .value_kind:     by_value
      - .offset:         128
        .size:           4
        .value_kind:     hidden_block_count_x
      - .offset:         132
        .size:           4
        .value_kind:     hidden_block_count_y
      - .offset:         136
        .size:           4
        .value_kind:     hidden_block_count_z
      - .offset:         140
        .size:           2
        .value_kind:     hidden_group_size_x
      - .offset:         142
        .size:           2
        .value_kind:     hidden_group_size_y
      - .offset:         144
        .size:           2
        .value_kind:     hidden_group_size_z
      - .offset:         146
        .size:           2
        .value_kind:     hidden_remainder_x
      - .offset:         148
        .size:           2
        .value_kind:     hidden_remainder_y
      - .offset:         150
        .size:           2
        .value_kind:     hidden_remainder_z
      - .offset:         168
        .size:           8
        .value_kind:     hidden_global_offset_x
      - .offset:         176
        .size:           8
        .value_kind:     hidden_global_offset_y
      - .offset:         184
        .size:           8
        .value_kind:     hidden_global_offset_z
      - .offset:         192
        .size:           2
        .value_kind:     hidden_grid_dims
      - .offset:         248
        .size:           4
        .value_kind:     hidden_dynamic_lds_size
    .group_segment_fixed_size: 272
    .kernarg_segment_align: 8
    .kernarg_segment_size: 384
    .language:       OpenCL C
    .language_version:
      - 2
      - 0
    .max_flat_workgroup_size: 1024
    .name:           _ZN4vllm25paged_attention_v1_kernelI14__hip_bfloat16S1_Li128ELi16ELi128ELNS_18Fp8KVCacheDataTypeE0ELb0EEEvPT_PKS3_PKT0_S9_ifPKiSB_iPKfiiiSD_SD_iiiii
    .private_segment_fixed_size: 0
    .sgpr_count:     42
    .sgpr_spill_count: 0
    .symbol:         _ZN4vllm25paged_attention_v1_kernelI14__hip_bfloat16S1_Li128ELi16ELi128ELNS_18Fp8KVCacheDataTypeE0ELb0EEEvPT_PKS3_PKT0_S9_ifPKiSB_iPKfiiiSD_SD_iiiii.kd
    .uniform_work_group_size: 1
    .uses_dynamic_stack: false
    .vgpr_count:     78
    .vgpr_spill_count: 0
    .wavefront_size: 64
  - .agpr_count:     0
    .args:
      - .actual_access:  write_only
        .address_space:  global
        .offset:         0
        .size:           8
        .value_kind:     global_buffer
      - .actual_access:  read_only
        .address_space:  global
        .offset:         8
        .size:           8
        .value_kind:     global_buffer
      - .actual_access:  read_only
        .address_space:  global
        .offset:         16
        .size:           8
        .value_kind:     global_buffer
      - .actual_access:  read_only
        .address_space:  global
        .offset:         24
        .size:           8
        .value_kind:     global_buffer
      - .offset:         32
        .size:           4
        .value_kind:     by_value
      - .offset:         36
        .size:           4
        .value_kind:     by_value
      - .actual_access:  read_only
        .address_space:  global
        .offset:         40
        .size:           8
        .value_kind:     global_buffer
      - .actual_access:  read_only
        .address_space:  global
        .offset:         48
        .size:           8
        .value_kind:     global_buffer
      - .offset:         56
        .size:           4
        .value_kind:     by_value
      - .actual_access:  read_only
        .address_space:  global
        .offset:         64
        .size:           8
        .value_kind:     global_buffer
      - .offset:         72
        .size:           4
        .value_kind:     by_value
      - .offset:         76
        .size:           4
        .value_kind:     by_value
      - .offset:         80
        .size:           4
        .value_kind:     by_value
      - .address_space:  global
        .offset:         88
        .size:           8
        .value_kind:     global_buffer
      - .address_space:  global
        .offset:         96
        .size:           8
        .value_kind:     global_buffer
      - .offset:         104
        .size:           4
        .value_kind:     by_value
      - .offset:         108
        .size:           4
        .value_kind:     by_value
      - .offset:         112
        .size:           4
        .value_kind:     by_value
      - .offset:         116
        .size:           4
        .value_kind:     by_value
      - .offset:         120
        .size:           4
        .value_kind:     by_value
      - .offset:         128
        .size:           4
        .value_kind:     hidden_block_count_x
      - .offset:         132
        .size:           4
        .value_kind:     hidden_block_count_y
      - .offset:         136
        .size:           4
        .value_kind:     hidden_block_count_z
      - .offset:         140
        .size:           2
        .value_kind:     hidden_group_size_x
      - .offset:         142
        .size:           2
        .value_kind:     hidden_group_size_y
      - .offset:         144
        .size:           2
        .value_kind:     hidden_group_size_z
      - .offset:         146
        .size:           2
        .value_kind:     hidden_remainder_x
      - .offset:         148
        .size:           2
        .value_kind:     hidden_remainder_y
      - .offset:         150
        .size:           2
        .value_kind:     hidden_remainder_z
      - .offset:         168
        .size:           8
        .value_kind:     hidden_global_offset_x
      - .offset:         176
        .size:           8
        .value_kind:     hidden_global_offset_y
      - .offset:         184
        .size:           8
        .value_kind:     hidden_global_offset_z
      - .offset:         192
        .size:           2
        .value_kind:     hidden_grid_dims
      - .offset:         248
        .size:           4
        .value_kind:     hidden_dynamic_lds_size
    .group_segment_fixed_size: 400
    .kernarg_segment_align: 8
    .kernarg_segment_size: 384
    .language:       OpenCL C
    .language_version:
      - 2
      - 0
    .max_flat_workgroup_size: 1024
    .name:           _ZN4vllm25paged_attention_v1_kernelI14__hip_bfloat16S1_Li192ELi16ELi128ELNS_18Fp8KVCacheDataTypeE0ELb0EEEvPT_PKS3_PKT0_S9_ifPKiSB_iPKfiiiSD_SD_iiiii
    .private_segment_fixed_size: 0
    .sgpr_count:     41
    .sgpr_spill_count: 0
    .symbol:         _ZN4vllm25paged_attention_v1_kernelI14__hip_bfloat16S1_Li192ELi16ELi128ELNS_18Fp8KVCacheDataTypeE0ELb0EEEvPT_PKS3_PKT0_S9_ifPKiSB_iPKfiiiSD_SD_iiiii.kd
    .uniform_work_group_size: 1
    .uses_dynamic_stack: false
    .vgpr_count:     102
    .vgpr_spill_count: 0
    .wavefront_size: 64
  - .agpr_count:     0
    .args:
      - .actual_access:  write_only
        .address_space:  global
        .offset:         0
        .size:           8
        .value_kind:     global_buffer
      - .actual_access:  read_only
        .address_space:  global
        .offset:         8
        .size:           8
        .value_kind:     global_buffer
      - .actual_access:  read_only
        .address_space:  global
        .offset:         16
        .size:           8
        .value_kind:     global_buffer
      - .actual_access:  read_only
        .address_space:  global
        .offset:         24
        .size:           8
        .value_kind:     global_buffer
      - .offset:         32
        .size:           4
        .value_kind:     by_value
      - .offset:         36
        .size:           4
        .value_kind:     by_value
      - .actual_access:  read_only
        .address_space:  global
        .offset:         40
        .size:           8
        .value_kind:     global_buffer
      - .actual_access:  read_only
        .address_space:  global
        .offset:         48
        .size:           8
        .value_kind:     global_buffer
      - .offset:         56
        .size:           4
        .value_kind:     by_value
      - .actual_access:  read_only
        .address_space:  global
        .offset:         64
        .size:           8
        .value_kind:     global_buffer
      - .offset:         72
        .size:           4
        .value_kind:     by_value
      - .offset:         76
        .size:           4
        .value_kind:     by_value
      - .offset:         80
        .size:           4
        .value_kind:     by_value
      - .address_space:  global
        .offset:         88
        .size:           8
        .value_kind:     global_buffer
      - .address_space:  global
        .offset:         96
        .size:           8
        .value_kind:     global_buffer
      - .offset:         104
        .size:           4
        .value_kind:     by_value
      - .offset:         108
        .size:           4
        .value_kind:     by_value
      - .offset:         112
        .size:           4
        .value_kind:     by_value
      - .offset:         116
        .size:           4
        .value_kind:     by_value
      - .offset:         120
        .size:           4
        .value_kind:     by_value
      - .offset:         128
        .size:           4
        .value_kind:     hidden_block_count_x
      - .offset:         132
        .size:           4
        .value_kind:     hidden_block_count_y
      - .offset:         136
        .size:           4
        .value_kind:     hidden_block_count_z
      - .offset:         140
        .size:           2
        .value_kind:     hidden_group_size_x
      - .offset:         142
        .size:           2
        .value_kind:     hidden_group_size_y
      - .offset:         144
        .size:           2
        .value_kind:     hidden_group_size_z
      - .offset:         146
        .size:           2
        .value_kind:     hidden_remainder_x
      - .offset:         148
        .size:           2
        .value_kind:     hidden_remainder_y
      - .offset:         150
        .size:           2
        .value_kind:     hidden_remainder_z
      - .offset:         168
        .size:           8
        .value_kind:     hidden_global_offset_x
      - .offset:         176
        .size:           8
        .value_kind:     hidden_global_offset_y
      - .offset:         184
        .size:           8
        .value_kind:     hidden_global_offset_z
      - .offset:         192
        .size:           2
        .value_kind:     hidden_grid_dims
      - .offset:         248
        .size:           4
        .value_kind:     hidden_dynamic_lds_size
    .group_segment_fixed_size: 528
    .kernarg_segment_align: 8
    .kernarg_segment_size: 384
    .language:       OpenCL C
    .language_version:
      - 2
      - 0
    .max_flat_workgroup_size: 1024
    .name:           _ZN4vllm25paged_attention_v1_kernelI14__hip_bfloat16S1_Li256ELi16ELi128ELNS_18Fp8KVCacheDataTypeE0ELb0EEEvPT_PKS3_PKT0_S9_ifPKiSB_iPKfiiiSD_SD_iiiii
    .private_segment_fixed_size: 0
    .sgpr_count:     41
    .sgpr_spill_count: 0
    .symbol:         _ZN4vllm25paged_attention_v1_kernelI14__hip_bfloat16S1_Li256ELi16ELi128ELNS_18Fp8KVCacheDataTypeE0ELb0EEEvPT_PKS3_PKT0_S9_ifPKiSB_iPKfiiiSD_SD_iiiii.kd
    .uniform_work_group_size: 1
    .uses_dynamic_stack: false
    .vgpr_count:     116
    .vgpr_spill_count: 0
    .wavefront_size: 64
  - .agpr_count:     0
    .args:
      - .actual_access:  write_only
        .address_space:  global
        .offset:         0
        .size:           8
        .value_kind:     global_buffer
      - .actual_access:  read_only
        .address_space:  global
        .offset:         8
        .size:           8
        .value_kind:     global_buffer
      - .actual_access:  read_only
        .address_space:  global
        .offset:         16
        .size:           8
        .value_kind:     global_buffer
      - .actual_access:  read_only
        .address_space:  global
        .offset:         24
        .size:           8
        .value_kind:     global_buffer
      - .offset:         32
        .size:           4
        .value_kind:     by_value
      - .offset:         36
        .size:           4
        .value_kind:     by_value
      - .actual_access:  read_only
        .address_space:  global
        .offset:         40
        .size:           8
        .value_kind:     global_buffer
      - .actual_access:  read_only
        .address_space:  global
        .offset:         48
        .size:           8
        .value_kind:     global_buffer
      - .offset:         56
        .size:           4
        .value_kind:     by_value
      - .actual_access:  read_only
        .address_space:  global
        .offset:         64
        .size:           8
        .value_kind:     global_buffer
      - .offset:         72
        .size:           4
        .value_kind:     by_value
      - .offset:         76
        .size:           4
        .value_kind:     by_value
      - .offset:         80
        .size:           4
        .value_kind:     by_value
      - .address_space:  global
        .offset:         88
        .size:           8
        .value_kind:     global_buffer
      - .address_space:  global
        .offset:         96
        .size:           8
        .value_kind:     global_buffer
      - .offset:         104
        .size:           4
        .value_kind:     by_value
      - .offset:         108
        .size:           4
        .value_kind:     by_value
      - .offset:         112
        .size:           4
        .value_kind:     by_value
      - .offset:         116
        .size:           4
        .value_kind:     by_value
      - .offset:         120
        .size:           4
        .value_kind:     by_value
      - .offset:         128
        .size:           4
        .value_kind:     hidden_block_count_x
      - .offset:         132
        .size:           4
        .value_kind:     hidden_block_count_y
      - .offset:         136
        .size:           4
        .value_kind:     hidden_block_count_z
      - .offset:         140
        .size:           2
        .value_kind:     hidden_group_size_x
      - .offset:         142
        .size:           2
        .value_kind:     hidden_group_size_y
      - .offset:         144
        .size:           2
        .value_kind:     hidden_group_size_z
      - .offset:         146
        .size:           2
        .value_kind:     hidden_remainder_x
      - .offset:         148
        .size:           2
        .value_kind:     hidden_remainder_y
      - .offset:         150
        .size:           2
        .value_kind:     hidden_remainder_z
      - .offset:         168
        .size:           8
        .value_kind:     hidden_global_offset_x
      - .offset:         176
        .size:           8
        .value_kind:     hidden_global_offset_y
      - .offset:         184
        .size:           8
        .value_kind:     hidden_global_offset_z
      - .offset:         192
        .size:           2
        .value_kind:     hidden_grid_dims
      - .offset:         248
        .size:           4
        .value_kind:     hidden_dynamic_lds_size
    .group_segment_fixed_size: 80
    .kernarg_segment_align: 8
    .kernarg_segment_size: 384
    .language:       OpenCL C
    .language_version:
      - 2
      - 0
    .max_flat_workgroup_size: 1024
    .name:           _ZN4vllm25paged_attention_v1_kernelI14__hip_bfloat16S1_Li32ELi32ELi128ELNS_18Fp8KVCacheDataTypeE0ELb1EEEvPT_PKS3_PKT0_S9_ifPKiSB_iPKfiiiSD_SD_iiiii
    .private_segment_fixed_size: 0
    .sgpr_count:     50
    .sgpr_spill_count: 0
    .symbol:         _ZN4vllm25paged_attention_v1_kernelI14__hip_bfloat16S1_Li32ELi32ELi128ELNS_18Fp8KVCacheDataTypeE0ELb1EEEvPT_PKS3_PKT0_S9_ifPKiSB_iPKfiiiSD_SD_iiiii.kd
    .uniform_work_group_size: 1
    .uses_dynamic_stack: false
    .vgpr_count:     55
    .vgpr_spill_count: 0
    .wavefront_size: 64
  - .agpr_count:     0
    .args:
      - .actual_access:  write_only
        .address_space:  global
        .offset:         0
        .size:           8
        .value_kind:     global_buffer
      - .actual_access:  read_only
        .address_space:  global
        .offset:         8
        .size:           8
        .value_kind:     global_buffer
      - .actual_access:  read_only
        .address_space:  global
        .offset:         16
        .size:           8
        .value_kind:     global_buffer
      - .actual_access:  read_only
        .address_space:  global
        .offset:         24
        .size:           8
        .value_kind:     global_buffer
      - .offset:         32
        .size:           4
        .value_kind:     by_value
      - .offset:         36
        .size:           4
        .value_kind:     by_value
      - .actual_access:  read_only
        .address_space:  global
        .offset:         40
        .size:           8
        .value_kind:     global_buffer
      - .actual_access:  read_only
        .address_space:  global
        .offset:         48
        .size:           8
        .value_kind:     global_buffer
      - .offset:         56
        .size:           4
        .value_kind:     by_value
      - .actual_access:  read_only
        .address_space:  global
        .offset:         64
        .size:           8
        .value_kind:     global_buffer
      - .offset:         72
        .size:           4
        .value_kind:     by_value
      - .offset:         76
        .size:           4
        .value_kind:     by_value
      - .offset:         80
        .size:           4
        .value_kind:     by_value
      - .address_space:  global
        .offset:         88
        .size:           8
        .value_kind:     global_buffer
      - .address_space:  global
        .offset:         96
        .size:           8
        .value_kind:     global_buffer
      - .offset:         104
        .size:           4
        .value_kind:     by_value
      - .offset:         108
        .size:           4
        .value_kind:     by_value
      - .offset:         112
        .size:           4
        .value_kind:     by_value
      - .offset:         116
        .size:           4
        .value_kind:     by_value
      - .offset:         120
        .size:           4
        .value_kind:     by_value
      - .offset:         128
        .size:           4
        .value_kind:     hidden_block_count_x
      - .offset:         132
        .size:           4
        .value_kind:     hidden_block_count_y
      - .offset:         136
        .size:           4
        .value_kind:     hidden_block_count_z
      - .offset:         140
        .size:           2
        .value_kind:     hidden_group_size_x
      - .offset:         142
        .size:           2
        .value_kind:     hidden_group_size_y
      - .offset:         144
        .size:           2
        .value_kind:     hidden_group_size_z
      - .offset:         146
        .size:           2
        .value_kind:     hidden_remainder_x
      - .offset:         148
        .size:           2
        .value_kind:     hidden_remainder_y
      - .offset:         150
        .size:           2
        .value_kind:     hidden_remainder_z
      - .offset:         168
        .size:           8
        .value_kind:     hidden_global_offset_x
      - .offset:         176
        .size:           8
        .value_kind:     hidden_global_offset_y
      - .offset:         184
        .size:           8
        .value_kind:     hidden_global_offset_z
      - .offset:         192
        .size:           2
        .value_kind:     hidden_grid_dims
      - .offset:         248
        .size:           4
        .value_kind:     hidden_dynamic_lds_size
    .group_segment_fixed_size: 144
    .kernarg_segment_align: 8
    .kernarg_segment_size: 384
    .language:       OpenCL C
    .language_version:
      - 2
      - 0
    .max_flat_workgroup_size: 1024
    .name:           _ZN4vllm25paged_attention_v1_kernelI14__hip_bfloat16S1_Li64ELi32ELi128ELNS_18Fp8KVCacheDataTypeE0ELb1EEEvPT_PKS3_PKT0_S9_ifPKiSB_iPKfiiiSD_SD_iiiii
    .private_segment_fixed_size: 0
    .sgpr_count:     50
    .sgpr_spill_count: 0
    .symbol:         _ZN4vllm25paged_attention_v1_kernelI14__hip_bfloat16S1_Li64ELi32ELi128ELNS_18Fp8KVCacheDataTypeE0ELb1EEEvPT_PKS3_PKT0_S9_ifPKiSB_iPKfiiiSD_SD_iiiii.kd
    .uniform_work_group_size: 1
    .uses_dynamic_stack: false
    .vgpr_count:     87
    .vgpr_spill_count: 0
    .wavefront_size: 64
  - .agpr_count:     0
    .args:
      - .actual_access:  write_only
        .address_space:  global
        .offset:         0
        .size:           8
        .value_kind:     global_buffer
      - .actual_access:  read_only
        .address_space:  global
        .offset:         8
        .size:           8
        .value_kind:     global_buffer
      - .actual_access:  read_only
        .address_space:  global
        .offset:         16
        .size:           8
        .value_kind:     global_buffer
      - .actual_access:  read_only
        .address_space:  global
        .offset:         24
        .size:           8
        .value_kind:     global_buffer
      - .offset:         32
        .size:           4
        .value_kind:     by_value
      - .offset:         36
        .size:           4
        .value_kind:     by_value
      - .actual_access:  read_only
        .address_space:  global
        .offset:         40
        .size:           8
        .value_kind:     global_buffer
      - .actual_access:  read_only
        .address_space:  global
        .offset:         48
        .size:           8
        .value_kind:     global_buffer
      - .offset:         56
        .size:           4
        .value_kind:     by_value
      - .actual_access:  read_only
        .address_space:  global
        .offset:         64
        .size:           8
        .value_kind:     global_buffer
      - .offset:         72
        .size:           4
        .value_kind:     by_value
      - .offset:         76
        .size:           4
        .value_kind:     by_value
      - .offset:         80
        .size:           4
        .value_kind:     by_value
      - .address_space:  global
        .offset:         88
        .size:           8
        .value_kind:     global_buffer
      - .address_space:  global
        .offset:         96
        .size:           8
        .value_kind:     global_buffer
      - .offset:         104
        .size:           4
        .value_kind:     by_value
      - .offset:         108
        .size:           4
        .value_kind:     by_value
      - .offset:         112
        .size:           4
        .value_kind:     by_value
      - .offset:         116
        .size:           4
        .value_kind:     by_value
      - .offset:         120
        .size:           4
        .value_kind:     by_value
      - .offset:         128
        .size:           4
        .value_kind:     hidden_block_count_x
      - .offset:         132
        .size:           4
        .value_kind:     hidden_block_count_y
      - .offset:         136
        .size:           4
        .value_kind:     hidden_block_count_z
      - .offset:         140
        .size:           2
        .value_kind:     hidden_group_size_x
      - .offset:         142
        .size:           2
        .value_kind:     hidden_group_size_y
      - .offset:         144
        .size:           2
        .value_kind:     hidden_group_size_z
      - .offset:         146
        .size:           2
        .value_kind:     hidden_remainder_x
      - .offset:         148
        .size:           2
        .value_kind:     hidden_remainder_y
      - .offset:         150
        .size:           2
        .value_kind:     hidden_remainder_z
      - .offset:         168
        .size:           8
        .value_kind:     hidden_global_offset_x
      - .offset:         176
        .size:           8
        .value_kind:     hidden_global_offset_y
      - .offset:         184
        .size:           8
        .value_kind:     hidden_global_offset_z
      - .offset:         192
        .size:           2
        .value_kind:     hidden_grid_dims
      - .offset:         248
        .size:           4
        .value_kind:     hidden_dynamic_lds_size
    .group_segment_fixed_size: 176
    .kernarg_segment_align: 8
    .kernarg_segment_size: 384
    .language:       OpenCL C
    .language_version:
      - 2
      - 0
    .max_flat_workgroup_size: 1024
    .name:           _ZN4vllm25paged_attention_v1_kernelI14__hip_bfloat16S1_Li80ELi32ELi128ELNS_18Fp8KVCacheDataTypeE0ELb1EEEvPT_PKS3_PKT0_S9_ifPKiSB_iPKfiiiSD_SD_iiiii
    .private_segment_fixed_size: 0
    .sgpr_count:     51
    .sgpr_spill_count: 0
    .symbol:         _ZN4vllm25paged_attention_v1_kernelI14__hip_bfloat16S1_Li80ELi32ELi128ELNS_18Fp8KVCacheDataTypeE0ELb1EEEvPT_PKS3_PKT0_S9_ifPKiSB_iPKfiiiSD_SD_iiiii.kd
    .uniform_work_group_size: 1
    .uses_dynamic_stack: false
    .vgpr_count:     93
    .vgpr_spill_count: 0
    .wavefront_size: 64
  - .agpr_count:     0
    .args:
      - .actual_access:  write_only
        .address_space:  global
        .offset:         0
        .size:           8
        .value_kind:     global_buffer
      - .actual_access:  read_only
        .address_space:  global
        .offset:         8
        .size:           8
        .value_kind:     global_buffer
      - .actual_access:  read_only
        .address_space:  global
        .offset:         16
        .size:           8
        .value_kind:     global_buffer
      - .actual_access:  read_only
        .address_space:  global
        .offset:         24
        .size:           8
        .value_kind:     global_buffer
      - .offset:         32
        .size:           4
        .value_kind:     by_value
      - .offset:         36
        .size:           4
        .value_kind:     by_value
      - .actual_access:  read_only
        .address_space:  global
        .offset:         40
        .size:           8
        .value_kind:     global_buffer
      - .actual_access:  read_only
        .address_space:  global
        .offset:         48
        .size:           8
        .value_kind:     global_buffer
      - .offset:         56
        .size:           4
        .value_kind:     by_value
      - .actual_access:  read_only
        .address_space:  global
        .offset:         64
        .size:           8
        .value_kind:     global_buffer
      - .offset:         72
        .size:           4
        .value_kind:     by_value
      - .offset:         76
        .size:           4
        .value_kind:     by_value
      - .offset:         80
        .size:           4
        .value_kind:     by_value
      - .address_space:  global
        .offset:         88
        .size:           8
        .value_kind:     global_buffer
      - .address_space:  global
        .offset:         96
        .size:           8
        .value_kind:     global_buffer
      - .offset:         104
        .size:           4
        .value_kind:     by_value
      - .offset:         108
        .size:           4
        .value_kind:     by_value
      - .offset:         112
        .size:           4
        .value_kind:     by_value
      - .offset:         116
        .size:           4
        .value_kind:     by_value
      - .offset:         120
        .size:           4
        .value_kind:     by_value
      - .offset:         128
        .size:           4
        .value_kind:     hidden_block_count_x
      - .offset:         132
        .size:           4
        .value_kind:     hidden_block_count_y
      - .offset:         136
        .size:           4
        .value_kind:     hidden_block_count_z
      - .offset:         140
        .size:           2
        .value_kind:     hidden_group_size_x
      - .offset:         142
        .size:           2
        .value_kind:     hidden_group_size_y
      - .offset:         144
        .size:           2
        .value_kind:     hidden_group_size_z
      - .offset:         146
        .size:           2
        .value_kind:     hidden_remainder_x
      - .offset:         148
        .size:           2
        .value_kind:     hidden_remainder_y
      - .offset:         150
        .size:           2
        .value_kind:     hidden_remainder_z
      - .offset:         168
        .size:           8
        .value_kind:     hidden_global_offset_x
      - .offset:         176
        .size:           8
        .value_kind:     hidden_global_offset_y
      - .offset:         184
        .size:           8
        .value_kind:     hidden_global_offset_z
      - .offset:         192
        .size:           2
        .value_kind:     hidden_grid_dims
      - .offset:         248
        .size:           4
        .value_kind:     hidden_dynamic_lds_size
    .group_segment_fixed_size: 208
    .kernarg_segment_align: 8
    .kernarg_segment_size: 384
    .language:       OpenCL C
    .language_version:
      - 2
      - 0
    .max_flat_workgroup_size: 1024
    .name:           _ZN4vllm25paged_attention_v1_kernelI14__hip_bfloat16S1_Li96ELi32ELi128ELNS_18Fp8KVCacheDataTypeE0ELb1EEEvPT_PKS3_PKT0_S9_ifPKiSB_iPKfiiiSD_SD_iiiii
    .private_segment_fixed_size: 0
    .sgpr_count:     51
    .sgpr_spill_count: 0
    .symbol:         _ZN4vllm25paged_attention_v1_kernelI14__hip_bfloat16S1_Li96ELi32ELi128ELNS_18Fp8KVCacheDataTypeE0ELb1EEEvPT_PKS3_PKT0_S9_ifPKiSB_iPKfiiiSD_SD_iiiii.kd
    .uniform_work_group_size: 1
    .uses_dynamic_stack: false
    .vgpr_count:     109
    .vgpr_spill_count: 0
    .wavefront_size: 64
  - .agpr_count:     0
    .args:
      - .actual_access:  write_only
        .address_space:  global
        .offset:         0
        .size:           8
        .value_kind:     global_buffer
      - .actual_access:  read_only
        .address_space:  global
        .offset:         8
        .size:           8
        .value_kind:     global_buffer
      - .actual_access:  read_only
        .address_space:  global
        .offset:         16
        .size:           8
        .value_kind:     global_buffer
      - .actual_access:  read_only
        .address_space:  global
        .offset:         24
        .size:           8
        .value_kind:     global_buffer
      - .offset:         32
        .size:           4
        .value_kind:     by_value
      - .offset:         36
        .size:           4
        .value_kind:     by_value
      - .actual_access:  read_only
        .address_space:  global
        .offset:         40
        .size:           8
        .value_kind:     global_buffer
      - .actual_access:  read_only
        .address_space:  global
        .offset:         48
        .size:           8
        .value_kind:     global_buffer
      - .offset:         56
        .size:           4
        .value_kind:     by_value
      - .actual_access:  read_only
        .address_space:  global
        .offset:         64
        .size:           8
        .value_kind:     global_buffer
      - .offset:         72
        .size:           4
        .value_kind:     by_value
      - .offset:         76
        .size:           4
        .value_kind:     by_value
      - .offset:         80
        .size:           4
        .value_kind:     by_value
      - .address_space:  global
        .offset:         88
        .size:           8
        .value_kind:     global_buffer
      - .address_space:  global
        .offset:         96
        .size:           8
        .value_kind:     global_buffer
      - .offset:         104
        .size:           4
        .value_kind:     by_value
      - .offset:         108
        .size:           4
        .value_kind:     by_value
      - .offset:         112
        .size:           4
        .value_kind:     by_value
      - .offset:         116
        .size:           4
        .value_kind:     by_value
      - .offset:         120
        .size:           4
        .value_kind:     by_value
      - .offset:         128
        .size:           4
        .value_kind:     hidden_block_count_x
      - .offset:         132
        .size:           4
        .value_kind:     hidden_block_count_y
      - .offset:         136
        .size:           4
        .value_kind:     hidden_block_count_z
      - .offset:         140
        .size:           2
        .value_kind:     hidden_group_size_x
      - .offset:         142
        .size:           2
        .value_kind:     hidden_group_size_y
      - .offset:         144
        .size:           2
        .value_kind:     hidden_group_size_z
      - .offset:         146
        .size:           2
        .value_kind:     hidden_remainder_x
      - .offset:         148
        .size:           2
        .value_kind:     hidden_remainder_y
      - .offset:         150
        .size:           2
        .value_kind:     hidden_remainder_z
      - .offset:         168
        .size:           8
        .value_kind:     hidden_global_offset_x
      - .offset:         176
        .size:           8
        .value_kind:     hidden_global_offset_y
      - .offset:         184
        .size:           8
        .value_kind:     hidden_global_offset_z
      - .offset:         192
        .size:           2
        .value_kind:     hidden_grid_dims
      - .offset:         248
        .size:           4
        .value_kind:     hidden_dynamic_lds_size
    .group_segment_fixed_size: 240
    .kernarg_segment_align: 8
    .kernarg_segment_size: 384
    .language:       OpenCL C
    .language_version:
      - 2
      - 0
    .max_flat_workgroup_size: 1024
    .name:           _ZN4vllm25paged_attention_v1_kernelI14__hip_bfloat16S1_Li112ELi32ELi128ELNS_18Fp8KVCacheDataTypeE0ELb1EEEvPT_PKS3_PKT0_S9_ifPKiSB_iPKfiiiSD_SD_iiiii
    .private_segment_fixed_size: 0
    .sgpr_count:     51
    .sgpr_spill_count: 0
    .symbol:         _ZN4vllm25paged_attention_v1_kernelI14__hip_bfloat16S1_Li112ELi32ELi128ELNS_18Fp8KVCacheDataTypeE0ELb1EEEvPT_PKS3_PKT0_S9_ifPKiSB_iPKfiiiSD_SD_iiiii.kd
    .uniform_work_group_size: 1
    .uses_dynamic_stack: false
    .vgpr_count:     108
    .vgpr_spill_count: 0
    .wavefront_size: 64
  - .agpr_count:     0
    .args:
      - .actual_access:  write_only
        .address_space:  global
        .offset:         0
        .size:           8
        .value_kind:     global_buffer
      - .actual_access:  read_only
        .address_space:  global
        .offset:         8
        .size:           8
        .value_kind:     global_buffer
      - .actual_access:  read_only
        .address_space:  global
        .offset:         16
        .size:           8
        .value_kind:     global_buffer
      - .actual_access:  read_only
        .address_space:  global
        .offset:         24
        .size:           8
        .value_kind:     global_buffer
      - .offset:         32
        .size:           4
        .value_kind:     by_value
      - .offset:         36
        .size:           4
        .value_kind:     by_value
      - .actual_access:  read_only
        .address_space:  global
        .offset:         40
        .size:           8
        .value_kind:     global_buffer
      - .actual_access:  read_only
        .address_space:  global
        .offset:         48
        .size:           8
        .value_kind:     global_buffer
      - .offset:         56
        .size:           4
        .value_kind:     by_value
      - .actual_access:  read_only
        .address_space:  global
        .offset:         64
        .size:           8
        .value_kind:     global_buffer
      - .offset:         72
        .size:           4
        .value_kind:     by_value
      - .offset:         76
        .size:           4
        .value_kind:     by_value
      - .offset:         80
        .size:           4
        .value_kind:     by_value
      - .address_space:  global
        .offset:         88
        .size:           8
        .value_kind:     global_buffer
      - .address_space:  global
        .offset:         96
        .size:           8
        .value_kind:     global_buffer
      - .offset:         104
        .size:           4
        .value_kind:     by_value
      - .offset:         108
        .size:           4
        .value_kind:     by_value
      - .offset:         112
        .size:           4
        .value_kind:     by_value
      - .offset:         116
        .size:           4
        .value_kind:     by_value
      - .offset:         120
        .size:           4
        .value_kind:     by_value
      - .offset:         128
        .size:           4
        .value_kind:     hidden_block_count_x
      - .offset:         132
        .size:           4
        .value_kind:     hidden_block_count_y
      - .offset:         136
        .size:           4
        .value_kind:     hidden_block_count_z
      - .offset:         140
        .size:           2
        .value_kind:     hidden_group_size_x
      - .offset:         142
        .size:           2
        .value_kind:     hidden_group_size_y
      - .offset:         144
        .size:           2
        .value_kind:     hidden_group_size_z
      - .offset:         146
        .size:           2
        .value_kind:     hidden_remainder_x
      - .offset:         148
        .size:           2
        .value_kind:     hidden_remainder_y
      - .offset:         150
        .size:           2
        .value_kind:     hidden_remainder_z
      - .offset:         168
        .size:           8
        .value_kind:     hidden_global_offset_x
      - .offset:         176
        .size:           8
        .value_kind:     hidden_global_offset_y
      - .offset:         184
        .size:           8
        .value_kind:     hidden_global_offset_z
      - .offset:         192
        .size:           2
        .value_kind:     hidden_grid_dims
      - .offset:         248
        .size:           4
        .value_kind:     hidden_dynamic_lds_size
    .group_segment_fixed_size: 256
    .kernarg_segment_align: 8
    .kernarg_segment_size: 384
    .language:       OpenCL C
    .language_version:
      - 2
      - 0
    .max_flat_workgroup_size: 1024
    .name:           _ZN4vllm25paged_attention_v1_kernelI14__hip_bfloat16S1_Li120ELi32ELi128ELNS_18Fp8KVCacheDataTypeE0ELb1EEEvPT_PKS3_PKT0_S9_ifPKiSB_iPKfiiiSD_SD_iiiii
    .private_segment_fixed_size: 0
    .sgpr_count:     51
    .sgpr_spill_count: 0
    .symbol:         _ZN4vllm25paged_attention_v1_kernelI14__hip_bfloat16S1_Li120ELi32ELi128ELNS_18Fp8KVCacheDataTypeE0ELb1EEEvPT_PKS3_PKT0_S9_ifPKiSB_iPKfiiiSD_SD_iiiii.kd
    .uniform_work_group_size: 1
    .uses_dynamic_stack: false
    .vgpr_count:     109
    .vgpr_spill_count: 0
    .wavefront_size: 64
  - .agpr_count:     0
    .args:
      - .actual_access:  write_only
        .address_space:  global
        .offset:         0
        .size:           8
        .value_kind:     global_buffer
      - .actual_access:  read_only
        .address_space:  global
        .offset:         8
        .size:           8
        .value_kind:     global_buffer
      - .actual_access:  read_only
        .address_space:  global
        .offset:         16
        .size:           8
        .value_kind:     global_buffer
      - .actual_access:  read_only
        .address_space:  global
        .offset:         24
        .size:           8
        .value_kind:     global_buffer
      - .offset:         32
        .size:           4
        .value_kind:     by_value
      - .offset:         36
        .size:           4
        .value_kind:     by_value
      - .actual_access:  read_only
        .address_space:  global
        .offset:         40
        .size:           8
        .value_kind:     global_buffer
      - .actual_access:  read_only
        .address_space:  global
        .offset:         48
        .size:           8
        .value_kind:     global_buffer
      - .offset:         56
        .size:           4
        .value_kind:     by_value
      - .actual_access:  read_only
        .address_space:  global
        .offset:         64
        .size:           8
        .value_kind:     global_buffer
      - .offset:         72
        .size:           4
        .value_kind:     by_value
      - .offset:         76
        .size:           4
        .value_kind:     by_value
      - .offset:         80
        .size:           4
        .value_kind:     by_value
      - .address_space:  global
        .offset:         88
        .size:           8
        .value_kind:     global_buffer
      - .address_space:  global
        .offset:         96
        .size:           8
        .value_kind:     global_buffer
      - .offset:         104
        .size:           4
        .value_kind:     by_value
      - .offset:         108
        .size:           4
        .value_kind:     by_value
      - .offset:         112
        .size:           4
        .value_kind:     by_value
      - .offset:         116
        .size:           4
        .value_kind:     by_value
      - .offset:         120
        .size:           4
        .value_kind:     by_value
      - .offset:         128
        .size:           4
        .value_kind:     hidden_block_count_x
      - .offset:         132
        .size:           4
        .value_kind:     hidden_block_count_y
      - .offset:         136
        .size:           4
        .value_kind:     hidden_block_count_z
      - .offset:         140
        .size:           2
        .value_kind:     hidden_group_size_x
      - .offset:         142
        .size:           2
        .value_kind:     hidden_group_size_y
      - .offset:         144
        .size:           2
        .value_kind:     hidden_group_size_z
      - .offset:         146
        .size:           2
        .value_kind:     hidden_remainder_x
      - .offset:         148
        .size:           2
        .value_kind:     hidden_remainder_y
      - .offset:         150
        .size:           2
        .value_kind:     hidden_remainder_z
      - .offset:         168
        .size:           8
        .value_kind:     hidden_global_offset_x
      - .offset:         176
        .size:           8
        .value_kind:     hidden_global_offset_y
      - .offset:         184
        .size:           8
        .value_kind:     hidden_global_offset_z
      - .offset:         192
        .size:           2
        .value_kind:     hidden_grid_dims
      - .offset:         248
        .size:           4
        .value_kind:     hidden_dynamic_lds_size
    .group_segment_fixed_size: 272
    .kernarg_segment_align: 8
    .kernarg_segment_size: 384
    .language:       OpenCL C
    .language_version:
      - 2
      - 0
    .max_flat_workgroup_size: 1024
    .name:           _ZN4vllm25paged_attention_v1_kernelI14__hip_bfloat16S1_Li128ELi32ELi128ELNS_18Fp8KVCacheDataTypeE0ELb1EEEvPT_PKS3_PKT0_S9_ifPKiSB_iPKfiiiSD_SD_iiiii
    .private_segment_fixed_size: 0
    .sgpr_count:     51
    .sgpr_spill_count: 0
    .symbol:         _ZN4vllm25paged_attention_v1_kernelI14__hip_bfloat16S1_Li128ELi32ELi128ELNS_18Fp8KVCacheDataTypeE0ELb1EEEvPT_PKS3_PKT0_S9_ifPKiSB_iPKfiiiSD_SD_iiiii.kd
    .uniform_work_group_size: 1
    .uses_dynamic_stack: false
    .vgpr_count:     112
    .vgpr_spill_count: 0
    .wavefront_size: 64
  - .agpr_count:     0
    .args:
      - .actual_access:  write_only
        .address_space:  global
        .offset:         0
        .size:           8
        .value_kind:     global_buffer
      - .actual_access:  read_only
        .address_space:  global
        .offset:         8
        .size:           8
        .value_kind:     global_buffer
      - .actual_access:  read_only
        .address_space:  global
        .offset:         16
        .size:           8
        .value_kind:     global_buffer
      - .actual_access:  read_only
        .address_space:  global
        .offset:         24
        .size:           8
        .value_kind:     global_buffer
      - .offset:         32
        .size:           4
        .value_kind:     by_value
      - .offset:         36
        .size:           4
        .value_kind:     by_value
      - .actual_access:  read_only
        .address_space:  global
        .offset:         40
        .size:           8
        .value_kind:     global_buffer
      - .actual_access:  read_only
        .address_space:  global
        .offset:         48
        .size:           8
        .value_kind:     global_buffer
      - .offset:         56
        .size:           4
        .value_kind:     by_value
      - .actual_access:  read_only
        .address_space:  global
        .offset:         64
        .size:           8
        .value_kind:     global_buffer
      - .offset:         72
        .size:           4
        .value_kind:     by_value
      - .offset:         76
        .size:           4
        .value_kind:     by_value
      - .offset:         80
        .size:           4
        .value_kind:     by_value
      - .address_space:  global
        .offset:         88
        .size:           8
        .value_kind:     global_buffer
      - .address_space:  global
        .offset:         96
        .size:           8
        .value_kind:     global_buffer
      - .offset:         104
        .size:           4
        .value_kind:     by_value
      - .offset:         108
        .size:           4
        .value_kind:     by_value
      - .offset:         112
        .size:           4
        .value_kind:     by_value
      - .offset:         116
        .size:           4
        .value_kind:     by_value
      - .offset:         120
        .size:           4
        .value_kind:     by_value
      - .offset:         128
        .size:           4
        .value_kind:     hidden_block_count_x
      - .offset:         132
        .size:           4
        .value_kind:     hidden_block_count_y
      - .offset:         136
        .size:           4
        .value_kind:     hidden_block_count_z
      - .offset:         140
        .size:           2
        .value_kind:     hidden_group_size_x
      - .offset:         142
        .size:           2
        .value_kind:     hidden_group_size_y
      - .offset:         144
        .size:           2
        .value_kind:     hidden_group_size_z
      - .offset:         146
        .size:           2
        .value_kind:     hidden_remainder_x
      - .offset:         148
        .size:           2
        .value_kind:     hidden_remainder_y
      - .offset:         150
        .size:           2
        .value_kind:     hidden_remainder_z
      - .offset:         168
        .size:           8
        .value_kind:     hidden_global_offset_x
      - .offset:         176
        .size:           8
        .value_kind:     hidden_global_offset_y
      - .offset:         184
        .size:           8
        .value_kind:     hidden_global_offset_z
      - .offset:         192
        .size:           2
        .value_kind:     hidden_grid_dims
      - .offset:         248
        .size:           4
        .value_kind:     hidden_dynamic_lds_size
    .group_segment_fixed_size: 400
    .kernarg_segment_align: 8
    .kernarg_segment_size: 384
    .language:       OpenCL C
    .language_version:
      - 2
      - 0
    .max_flat_workgroup_size: 1024
    .name:           _ZN4vllm25paged_attention_v1_kernelI14__hip_bfloat16S1_Li192ELi32ELi128ELNS_18Fp8KVCacheDataTypeE0ELb1EEEvPT_PKS3_PKT0_S9_ifPKiSB_iPKfiiiSD_SD_iiiii
    .private_segment_fixed_size: 0
    .sgpr_count:     52
    .sgpr_spill_count: 0
    .symbol:         _ZN4vllm25paged_attention_v1_kernelI14__hip_bfloat16S1_Li192ELi32ELi128ELNS_18Fp8KVCacheDataTypeE0ELb1EEEvPT_PKS3_PKT0_S9_ifPKiSB_iPKfiiiSD_SD_iiiii.kd
    .uniform_work_group_size: 1
    .uses_dynamic_stack: false
    .vgpr_count:     113
    .vgpr_spill_count: 0
    .wavefront_size: 64
  - .agpr_count:     0
    .args:
      - .actual_access:  write_only
        .address_space:  global
        .offset:         0
        .size:           8
        .value_kind:     global_buffer
      - .actual_access:  read_only
        .address_space:  global
        .offset:         8
        .size:           8
        .value_kind:     global_buffer
      - .actual_access:  read_only
        .address_space:  global
        .offset:         16
        .size:           8
        .value_kind:     global_buffer
      - .actual_access:  read_only
        .address_space:  global
        .offset:         24
        .size:           8
        .value_kind:     global_buffer
      - .offset:         32
        .size:           4
        .value_kind:     by_value
      - .offset:         36
        .size:           4
        .value_kind:     by_value
      - .actual_access:  read_only
        .address_space:  global
        .offset:         40
        .size:           8
        .value_kind:     global_buffer
      - .actual_access:  read_only
        .address_space:  global
        .offset:         48
        .size:           8
        .value_kind:     global_buffer
      - .offset:         56
        .size:           4
        .value_kind:     by_value
      - .actual_access:  read_only
        .address_space:  global
        .offset:         64
        .size:           8
        .value_kind:     global_buffer
      - .offset:         72
        .size:           4
        .value_kind:     by_value
      - .offset:         76
        .size:           4
        .value_kind:     by_value
      - .offset:         80
        .size:           4
        .value_kind:     by_value
      - .address_space:  global
        .offset:         88
        .size:           8
        .value_kind:     global_buffer
      - .address_space:  global
        .offset:         96
        .size:           8
        .value_kind:     global_buffer
      - .offset:         104
        .size:           4
        .value_kind:     by_value
      - .offset:         108
        .size:           4
        .value_kind:     by_value
      - .offset:         112
        .size:           4
        .value_kind:     by_value
      - .offset:         116
        .size:           4
        .value_kind:     by_value
      - .offset:         120
        .size:           4
        .value_kind:     by_value
      - .offset:         128
        .size:           4
        .value_kind:     hidden_block_count_x
      - .offset:         132
        .size:           4
        .value_kind:     hidden_block_count_y
      - .offset:         136
        .size:           4
        .value_kind:     hidden_block_count_z
      - .offset:         140
        .size:           2
        .value_kind:     hidden_group_size_x
      - .offset:         142
        .size:           2
        .value_kind:     hidden_group_size_y
      - .offset:         144
        .size:           2
        .value_kind:     hidden_group_size_z
      - .offset:         146
        .size:           2
        .value_kind:     hidden_remainder_x
      - .offset:         148
        .size:           2
        .value_kind:     hidden_remainder_y
      - .offset:         150
        .size:           2
        .value_kind:     hidden_remainder_z
      - .offset:         168
        .size:           8
        .value_kind:     hidden_global_offset_x
      - .offset:         176
        .size:           8
        .value_kind:     hidden_global_offset_y
      - .offset:         184
        .size:           8
        .value_kind:     hidden_global_offset_z
      - .offset:         192
        .size:           2
        .value_kind:     hidden_grid_dims
      - .offset:         248
        .size:           4
        .value_kind:     hidden_dynamic_lds_size
    .group_segment_fixed_size: 528
    .kernarg_segment_align: 8
    .kernarg_segment_size: 384
    .language:       OpenCL C
    .language_version:
      - 2
      - 0
    .max_flat_workgroup_size: 1024
    .name:           _ZN4vllm25paged_attention_v1_kernelI14__hip_bfloat16S1_Li256ELi32ELi128ELNS_18Fp8KVCacheDataTypeE0ELb1EEEvPT_PKS3_PKT0_S9_ifPKiSB_iPKfiiiSD_SD_iiiii
    .private_segment_fixed_size: 0
    .sgpr_count:     55
    .sgpr_spill_count: 0
    .symbol:         _ZN4vllm25paged_attention_v1_kernelI14__hip_bfloat16S1_Li256ELi32ELi128ELNS_18Fp8KVCacheDataTypeE0ELb1EEEvPT_PKS3_PKT0_S9_ifPKiSB_iPKfiiiSD_SD_iiiii.kd
    .uniform_work_group_size: 1
    .uses_dynamic_stack: false
    .vgpr_count:     111
    .vgpr_spill_count: 0
    .wavefront_size: 64
  - .agpr_count:     0
    .args:
      - .actual_access:  write_only
        .address_space:  global
        .offset:         0
        .size:           8
        .value_kind:     global_buffer
      - .actual_access:  read_only
        .address_space:  global
        .offset:         8
        .size:           8
        .value_kind:     global_buffer
      - .actual_access:  read_only
        .address_space:  global
        .offset:         16
        .size:           8
        .value_kind:     global_buffer
      - .actual_access:  read_only
        .address_space:  global
        .offset:         24
        .size:           8
        .value_kind:     global_buffer
      - .offset:         32
        .size:           4
        .value_kind:     by_value
      - .offset:         36
        .size:           4
        .value_kind:     by_value
      - .actual_access:  read_only
        .address_space:  global
        .offset:         40
        .size:           8
        .value_kind:     global_buffer
      - .actual_access:  read_only
        .address_space:  global
        .offset:         48
        .size:           8
        .value_kind:     global_buffer
      - .offset:         56
        .size:           4
        .value_kind:     by_value
      - .actual_access:  read_only
        .address_space:  global
        .offset:         64
        .size:           8
        .value_kind:     global_buffer
      - .offset:         72
        .size:           4
        .value_kind:     by_value
      - .offset:         76
        .size:           4
        .value_kind:     by_value
      - .offset:         80
        .size:           4
        .value_kind:     by_value
      - .address_space:  global
        .offset:         88
        .size:           8
        .value_kind:     global_buffer
      - .address_space:  global
        .offset:         96
        .size:           8
        .value_kind:     global_buffer
      - .offset:         104
        .size:           4
        .value_kind:     by_value
      - .offset:         108
        .size:           4
        .value_kind:     by_value
      - .offset:         112
        .size:           4
        .value_kind:     by_value
      - .offset:         116
        .size:           4
        .value_kind:     by_value
      - .offset:         120
        .size:           4
        .value_kind:     by_value
      - .offset:         128
        .size:           4
        .value_kind:     hidden_block_count_x
      - .offset:         132
        .size:           4
        .value_kind:     hidden_block_count_y
      - .offset:         136
        .size:           4
        .value_kind:     hidden_block_count_z
      - .offset:         140
        .size:           2
        .value_kind:     hidden_group_size_x
      - .offset:         142
        .size:           2
        .value_kind:     hidden_group_size_y
      - .offset:         144
        .size:           2
        .value_kind:     hidden_group_size_z
      - .offset:         146
        .size:           2
        .value_kind:     hidden_remainder_x
      - .offset:         148
        .size:           2
        .value_kind:     hidden_remainder_y
      - .offset:         150
        .size:           2
        .value_kind:     hidden_remainder_z
      - .offset:         168
        .size:           8
        .value_kind:     hidden_global_offset_x
      - .offset:         176
        .size:           8
        .value_kind:     hidden_global_offset_y
      - .offset:         184
        .size:           8
        .value_kind:     hidden_global_offset_z
      - .offset:         192
        .size:           2
        .value_kind:     hidden_grid_dims
      - .offset:         248
        .size:           4
        .value_kind:     hidden_dynamic_lds_size
    .group_segment_fixed_size: 80
    .kernarg_segment_align: 8
    .kernarg_segment_size: 384
    .language:       OpenCL C
    .language_version:
      - 2
      - 0
    .max_flat_workgroup_size: 1024
    .name:           _ZN4vllm25paged_attention_v1_kernelI14__hip_bfloat16S1_Li32ELi32ELi128ELNS_18Fp8KVCacheDataTypeE0ELb0EEEvPT_PKS3_PKT0_S9_ifPKiSB_iPKfiiiSD_SD_iiiii
    .private_segment_fixed_size: 0
    .sgpr_count:     40
    .sgpr_spill_count: 0
    .symbol:         _ZN4vllm25paged_attention_v1_kernelI14__hip_bfloat16S1_Li32ELi32ELi128ELNS_18Fp8KVCacheDataTypeE0ELb0EEEvPT_PKS3_PKT0_S9_ifPKiSB_iPKfiiiSD_SD_iiiii.kd
    .uniform_work_group_size: 1
    .uses_dynamic_stack: false
    .vgpr_count:     48
    .vgpr_spill_count: 0
    .wavefront_size: 64
  - .agpr_count:     0
    .args:
      - .actual_access:  write_only
        .address_space:  global
        .offset:         0
        .size:           8
        .value_kind:     global_buffer
      - .actual_access:  read_only
        .address_space:  global
        .offset:         8
        .size:           8
        .value_kind:     global_buffer
      - .actual_access:  read_only
        .address_space:  global
        .offset:         16
        .size:           8
        .value_kind:     global_buffer
      - .actual_access:  read_only
        .address_space:  global
        .offset:         24
        .size:           8
        .value_kind:     global_buffer
      - .offset:         32
        .size:           4
        .value_kind:     by_value
      - .offset:         36
        .size:           4
        .value_kind:     by_value
      - .actual_access:  read_only
        .address_space:  global
        .offset:         40
        .size:           8
        .value_kind:     global_buffer
      - .actual_access:  read_only
        .address_space:  global
        .offset:         48
        .size:           8
        .value_kind:     global_buffer
      - .offset:         56
        .size:           4
        .value_kind:     by_value
      - .actual_access:  read_only
        .address_space:  global
        .offset:         64
        .size:           8
        .value_kind:     global_buffer
      - .offset:         72
        .size:           4
        .value_kind:     by_value
      - .offset:         76
        .size:           4
        .value_kind:     by_value
      - .offset:         80
        .size:           4
        .value_kind:     by_value
      - .address_space:  global
        .offset:         88
        .size:           8
        .value_kind:     global_buffer
      - .address_space:  global
        .offset:         96
        .size:           8
        .value_kind:     global_buffer
      - .offset:         104
        .size:           4
        .value_kind:     by_value
      - .offset:         108
        .size:           4
        .value_kind:     by_value
      - .offset:         112
        .size:           4
        .value_kind:     by_value
      - .offset:         116
        .size:           4
        .value_kind:     by_value
      - .offset:         120
        .size:           4
        .value_kind:     by_value
      - .offset:         128
        .size:           4
        .value_kind:     hidden_block_count_x
      - .offset:         132
        .size:           4
        .value_kind:     hidden_block_count_y
      - .offset:         136
        .size:           4
        .value_kind:     hidden_block_count_z
      - .offset:         140
        .size:           2
        .value_kind:     hidden_group_size_x
      - .offset:         142
        .size:           2
        .value_kind:     hidden_group_size_y
      - .offset:         144
        .size:           2
        .value_kind:     hidden_group_size_z
      - .offset:         146
        .size:           2
        .value_kind:     hidden_remainder_x
      - .offset:         148
        .size:           2
        .value_kind:     hidden_remainder_y
      - .offset:         150
        .size:           2
        .value_kind:     hidden_remainder_z
      - .offset:         168
        .size:           8
        .value_kind:     hidden_global_offset_x
      - .offset:         176
        .size:           8
        .value_kind:     hidden_global_offset_y
      - .offset:         184
        .size:           8
        .value_kind:     hidden_global_offset_z
      - .offset:         192
        .size:           2
        .value_kind:     hidden_grid_dims
      - .offset:         248
        .size:           4
        .value_kind:     hidden_dynamic_lds_size
    .group_segment_fixed_size: 144
    .kernarg_segment_align: 8
    .kernarg_segment_size: 384
    .language:       OpenCL C
    .language_version:
      - 2
      - 0
    .max_flat_workgroup_size: 1024
    .name:           _ZN4vllm25paged_attention_v1_kernelI14__hip_bfloat16S1_Li64ELi32ELi128ELNS_18Fp8KVCacheDataTypeE0ELb0EEEvPT_PKS3_PKT0_S9_ifPKiSB_iPKfiiiSD_SD_iiiii
    .private_segment_fixed_size: 0
    .sgpr_count:     40
    .sgpr_spill_count: 0
    .symbol:         _ZN4vllm25paged_attention_v1_kernelI14__hip_bfloat16S1_Li64ELi32ELi128ELNS_18Fp8KVCacheDataTypeE0ELb0EEEvPT_PKS3_PKT0_S9_ifPKiSB_iPKfiiiSD_SD_iiiii.kd
    .uniform_work_group_size: 1
    .uses_dynamic_stack: false
    .vgpr_count:     80
    .vgpr_spill_count: 0
    .wavefront_size: 64
  - .agpr_count:     0
    .args:
      - .actual_access:  write_only
        .address_space:  global
        .offset:         0
        .size:           8
        .value_kind:     global_buffer
      - .actual_access:  read_only
        .address_space:  global
        .offset:         8
        .size:           8
        .value_kind:     global_buffer
      - .actual_access:  read_only
        .address_space:  global
        .offset:         16
        .size:           8
        .value_kind:     global_buffer
      - .actual_access:  read_only
        .address_space:  global
        .offset:         24
        .size:           8
        .value_kind:     global_buffer
      - .offset:         32
        .size:           4
        .value_kind:     by_value
      - .offset:         36
        .size:           4
        .value_kind:     by_value
      - .actual_access:  read_only
        .address_space:  global
        .offset:         40
        .size:           8
        .value_kind:     global_buffer
      - .actual_access:  read_only
        .address_space:  global
        .offset:         48
        .size:           8
        .value_kind:     global_buffer
      - .offset:         56
        .size:           4
        .value_kind:     by_value
      - .actual_access:  read_only
        .address_space:  global
        .offset:         64
        .size:           8
        .value_kind:     global_buffer
      - .offset:         72
        .size:           4
        .value_kind:     by_value
      - .offset:         76
        .size:           4
        .value_kind:     by_value
      - .offset:         80
        .size:           4
        .value_kind:     by_value
      - .address_space:  global
        .offset:         88
        .size:           8
        .value_kind:     global_buffer
      - .address_space:  global
        .offset:         96
        .size:           8
        .value_kind:     global_buffer
      - .offset:         104
        .size:           4
        .value_kind:     by_value
      - .offset:         108
        .size:           4
        .value_kind:     by_value
      - .offset:         112
        .size:           4
        .value_kind:     by_value
      - .offset:         116
        .size:           4
        .value_kind:     by_value
      - .offset:         120
        .size:           4
        .value_kind:     by_value
      - .offset:         128
        .size:           4
        .value_kind:     hidden_block_count_x
      - .offset:         132
        .size:           4
        .value_kind:     hidden_block_count_y
      - .offset:         136
        .size:           4
        .value_kind:     hidden_block_count_z
      - .offset:         140
        .size:           2
        .value_kind:     hidden_group_size_x
      - .offset:         142
        .size:           2
        .value_kind:     hidden_group_size_y
      - .offset:         144
        .size:           2
        .value_kind:     hidden_group_size_z
      - .offset:         146
        .size:           2
        .value_kind:     hidden_remainder_x
      - .offset:         148
        .size:           2
        .value_kind:     hidden_remainder_y
      - .offset:         150
        .size:           2
        .value_kind:     hidden_remainder_z
      - .offset:         168
        .size:           8
        .value_kind:     hidden_global_offset_x
      - .offset:         176
        .size:           8
        .value_kind:     hidden_global_offset_y
      - .offset:         184
        .size:           8
        .value_kind:     hidden_global_offset_z
      - .offset:         192
        .size:           2
        .value_kind:     hidden_grid_dims
      - .offset:         248
        .size:           4
        .value_kind:     hidden_dynamic_lds_size
    .group_segment_fixed_size: 176
    .kernarg_segment_align: 8
    .kernarg_segment_size: 384
    .language:       OpenCL C
    .language_version:
      - 2
      - 0
    .max_flat_workgroup_size: 1024
    .name:           _ZN4vllm25paged_attention_v1_kernelI14__hip_bfloat16S1_Li80ELi32ELi128ELNS_18Fp8KVCacheDataTypeE0ELb0EEEvPT_PKS3_PKT0_S9_ifPKiSB_iPKfiiiSD_SD_iiiii
    .private_segment_fixed_size: 0
    .sgpr_count:     41
    .sgpr_spill_count: 0
    .symbol:         _ZN4vllm25paged_attention_v1_kernelI14__hip_bfloat16S1_Li80ELi32ELi128ELNS_18Fp8KVCacheDataTypeE0ELb0EEEvPT_PKS3_PKT0_S9_ifPKiSB_iPKfiiiSD_SD_iiiii.kd
    .uniform_work_group_size: 1
    .uses_dynamic_stack: false
    .vgpr_count:     96
    .vgpr_spill_count: 0
    .wavefront_size: 64
  - .agpr_count:     0
    .args:
      - .actual_access:  write_only
        .address_space:  global
        .offset:         0
        .size:           8
        .value_kind:     global_buffer
      - .actual_access:  read_only
        .address_space:  global
        .offset:         8
        .size:           8
        .value_kind:     global_buffer
      - .actual_access:  read_only
        .address_space:  global
        .offset:         16
        .size:           8
        .value_kind:     global_buffer
      - .actual_access:  read_only
        .address_space:  global
        .offset:         24
        .size:           8
        .value_kind:     global_buffer
      - .offset:         32
        .size:           4
        .value_kind:     by_value
      - .offset:         36
        .size:           4
        .value_kind:     by_value
      - .actual_access:  read_only
        .address_space:  global
        .offset:         40
        .size:           8
        .value_kind:     global_buffer
      - .actual_access:  read_only
        .address_space:  global
        .offset:         48
        .size:           8
        .value_kind:     global_buffer
      - .offset:         56
        .size:           4
        .value_kind:     by_value
      - .actual_access:  read_only
        .address_space:  global
        .offset:         64
        .size:           8
        .value_kind:     global_buffer
      - .offset:         72
        .size:           4
        .value_kind:     by_value
      - .offset:         76
        .size:           4
        .value_kind:     by_value
      - .offset:         80
        .size:           4
        .value_kind:     by_value
      - .address_space:  global
        .offset:         88
        .size:           8
        .value_kind:     global_buffer
      - .address_space:  global
        .offset:         96
        .size:           8
        .value_kind:     global_buffer
      - .offset:         104
        .size:           4
        .value_kind:     by_value
      - .offset:         108
        .size:           4
        .value_kind:     by_value
      - .offset:         112
        .size:           4
        .value_kind:     by_value
      - .offset:         116
        .size:           4
        .value_kind:     by_value
      - .offset:         120
        .size:           4
        .value_kind:     by_value
      - .offset:         128
        .size:           4
        .value_kind:     hidden_block_count_x
      - .offset:         132
        .size:           4
        .value_kind:     hidden_block_count_y
      - .offset:         136
        .size:           4
        .value_kind:     hidden_block_count_z
      - .offset:         140
        .size:           2
        .value_kind:     hidden_group_size_x
      - .offset:         142
        .size:           2
        .value_kind:     hidden_group_size_y
      - .offset:         144
        .size:           2
        .value_kind:     hidden_group_size_z
      - .offset:         146
        .size:           2
        .value_kind:     hidden_remainder_x
      - .offset:         148
        .size:           2
        .value_kind:     hidden_remainder_y
      - .offset:         150
        .size:           2
        .value_kind:     hidden_remainder_z
      - .offset:         168
        .size:           8
        .value_kind:     hidden_global_offset_x
      - .offset:         176
        .size:           8
        .value_kind:     hidden_global_offset_y
      - .offset:         184
        .size:           8
        .value_kind:     hidden_global_offset_z
      - .offset:         192
        .size:           2
        .value_kind:     hidden_grid_dims
      - .offset:         248
        .size:           4
        .value_kind:     hidden_dynamic_lds_size
    .group_segment_fixed_size: 208
    .kernarg_segment_align: 8
    .kernarg_segment_size: 384
    .language:       OpenCL C
    .language_version:
      - 2
      - 0
    .max_flat_workgroup_size: 1024
    .name:           _ZN4vllm25paged_attention_v1_kernelI14__hip_bfloat16S1_Li96ELi32ELi128ELNS_18Fp8KVCacheDataTypeE0ELb0EEEvPT_PKS3_PKT0_S9_ifPKiSB_iPKfiiiSD_SD_iiiii
    .private_segment_fixed_size: 0
    .sgpr_count:     41
    .sgpr_spill_count: 0
    .symbol:         _ZN4vllm25paged_attention_v1_kernelI14__hip_bfloat16S1_Li96ELi32ELi128ELNS_18Fp8KVCacheDataTypeE0ELb0EEEvPT_PKS3_PKT0_S9_ifPKiSB_iPKfiiiSD_SD_iiiii.kd
    .uniform_work_group_size: 1
    .uses_dynamic_stack: false
    .vgpr_count:     112
    .vgpr_spill_count: 0
    .wavefront_size: 64
  - .agpr_count:     0
    .args:
      - .actual_access:  write_only
        .address_space:  global
        .offset:         0
        .size:           8
        .value_kind:     global_buffer
      - .actual_access:  read_only
        .address_space:  global
        .offset:         8
        .size:           8
        .value_kind:     global_buffer
      - .actual_access:  read_only
        .address_space:  global
        .offset:         16
        .size:           8
        .value_kind:     global_buffer
      - .actual_access:  read_only
        .address_space:  global
        .offset:         24
        .size:           8
        .value_kind:     global_buffer
      - .offset:         32
        .size:           4
        .value_kind:     by_value
      - .offset:         36
        .size:           4
        .value_kind:     by_value
      - .actual_access:  read_only
        .address_space:  global
        .offset:         40
        .size:           8
        .value_kind:     global_buffer
      - .actual_access:  read_only
        .address_space:  global
        .offset:         48
        .size:           8
        .value_kind:     global_buffer
      - .offset:         56
        .size:           4
        .value_kind:     by_value
      - .actual_access:  read_only
        .address_space:  global
        .offset:         64
        .size:           8
        .value_kind:     global_buffer
      - .offset:         72
        .size:           4
        .value_kind:     by_value
      - .offset:         76
        .size:           4
        .value_kind:     by_value
      - .offset:         80
        .size:           4
        .value_kind:     by_value
      - .address_space:  global
        .offset:         88
        .size:           8
        .value_kind:     global_buffer
      - .address_space:  global
        .offset:         96
        .size:           8
        .value_kind:     global_buffer
      - .offset:         104
        .size:           4
        .value_kind:     by_value
      - .offset:         108
        .size:           4
        .value_kind:     by_value
      - .offset:         112
        .size:           4
        .value_kind:     by_value
      - .offset:         116
        .size:           4
        .value_kind:     by_value
      - .offset:         120
        .size:           4
        .value_kind:     by_value
      - .offset:         128
        .size:           4
        .value_kind:     hidden_block_count_x
      - .offset:         132
        .size:           4
        .value_kind:     hidden_block_count_y
      - .offset:         136
        .size:           4
        .value_kind:     hidden_block_count_z
      - .offset:         140
        .size:           2
        .value_kind:     hidden_group_size_x
      - .offset:         142
        .size:           2
        .value_kind:     hidden_group_size_y
      - .offset:         144
        .size:           2
        .value_kind:     hidden_group_size_z
      - .offset:         146
        .size:           2
        .value_kind:     hidden_remainder_x
      - .offset:         148
        .size:           2
        .value_kind:     hidden_remainder_y
      - .offset:         150
        .size:           2
        .value_kind:     hidden_remainder_z
      - .offset:         168
        .size:           8
        .value_kind:     hidden_global_offset_x
      - .offset:         176
        .size:           8
        .value_kind:     hidden_global_offset_y
      - .offset:         184
        .size:           8
        .value_kind:     hidden_global_offset_z
      - .offset:         192
        .size:           2
        .value_kind:     hidden_grid_dims
      - .offset:         248
        .size:           4
        .value_kind:     hidden_dynamic_lds_size
    .group_segment_fixed_size: 240
    .kernarg_segment_align: 8
    .kernarg_segment_size: 384
    .language:       OpenCL C
    .language_version:
      - 2
      - 0
    .max_flat_workgroup_size: 1024
    .name:           _ZN4vllm25paged_attention_v1_kernelI14__hip_bfloat16S1_Li112ELi32ELi128ELNS_18Fp8KVCacheDataTypeE0ELb0EEEvPT_PKS3_PKT0_S9_ifPKiSB_iPKfiiiSD_SD_iiiii
    .private_segment_fixed_size: 0
    .sgpr_count:     41
    .sgpr_spill_count: 0
    .symbol:         _ZN4vllm25paged_attention_v1_kernelI14__hip_bfloat16S1_Li112ELi32ELi128ELNS_18Fp8KVCacheDataTypeE0ELb0EEEvPT_PKS3_PKT0_S9_ifPKiSB_iPKfiiiSD_SD_iiiii.kd
    .uniform_work_group_size: 1
    .uses_dynamic_stack: false
    .vgpr_count:     124
    .vgpr_spill_count: 0
    .wavefront_size: 64
  - .agpr_count:     0
    .args:
      - .actual_access:  write_only
        .address_space:  global
        .offset:         0
        .size:           8
        .value_kind:     global_buffer
      - .actual_access:  read_only
        .address_space:  global
        .offset:         8
        .size:           8
        .value_kind:     global_buffer
      - .actual_access:  read_only
        .address_space:  global
        .offset:         16
        .size:           8
        .value_kind:     global_buffer
      - .actual_access:  read_only
        .address_space:  global
        .offset:         24
        .size:           8
        .value_kind:     global_buffer
      - .offset:         32
        .size:           4
        .value_kind:     by_value
      - .offset:         36
        .size:           4
        .value_kind:     by_value
      - .actual_access:  read_only
        .address_space:  global
        .offset:         40
        .size:           8
        .value_kind:     global_buffer
      - .actual_access:  read_only
        .address_space:  global
        .offset:         48
        .size:           8
        .value_kind:     global_buffer
      - .offset:         56
        .size:           4
        .value_kind:     by_value
      - .actual_access:  read_only
        .address_space:  global
        .offset:         64
        .size:           8
        .value_kind:     global_buffer
      - .offset:         72
        .size:           4
        .value_kind:     by_value
      - .offset:         76
        .size:           4
        .value_kind:     by_value
      - .offset:         80
        .size:           4
        .value_kind:     by_value
      - .address_space:  global
        .offset:         88
        .size:           8
        .value_kind:     global_buffer
      - .address_space:  global
        .offset:         96
        .size:           8
        .value_kind:     global_buffer
      - .offset:         104
        .size:           4
        .value_kind:     by_value
      - .offset:         108
        .size:           4
        .value_kind:     by_value
      - .offset:         112
        .size:           4
        .value_kind:     by_value
      - .offset:         116
        .size:           4
        .value_kind:     by_value
      - .offset:         120
        .size:           4
        .value_kind:     by_value
      - .offset:         128
        .size:           4
        .value_kind:     hidden_block_count_x
      - .offset:         132
        .size:           4
        .value_kind:     hidden_block_count_y
      - .offset:         136
        .size:           4
        .value_kind:     hidden_block_count_z
      - .offset:         140
        .size:           2
        .value_kind:     hidden_group_size_x
      - .offset:         142
        .size:           2
        .value_kind:     hidden_group_size_y
      - .offset:         144
        .size:           2
        .value_kind:     hidden_group_size_z
      - .offset:         146
        .size:           2
        .value_kind:     hidden_remainder_x
      - .offset:         148
        .size:           2
        .value_kind:     hidden_remainder_y
      - .offset:         150
        .size:           2
        .value_kind:     hidden_remainder_z
      - .offset:         168
        .size:           8
        .value_kind:     hidden_global_offset_x
      - .offset:         176
        .size:           8
        .value_kind:     hidden_global_offset_y
      - .offset:         184
        .size:           8
        .value_kind:     hidden_global_offset_z
      - .offset:         192
        .size:           2
        .value_kind:     hidden_grid_dims
      - .offset:         248
        .size:           4
        .value_kind:     hidden_dynamic_lds_size
    .group_segment_fixed_size: 256
    .kernarg_segment_align: 8
    .kernarg_segment_size: 384
    .language:       OpenCL C
    .language_version:
      - 2
      - 0
    .max_flat_workgroup_size: 1024
    .name:           _ZN4vllm25paged_attention_v1_kernelI14__hip_bfloat16S1_Li120ELi32ELi128ELNS_18Fp8KVCacheDataTypeE0ELb0EEEvPT_PKS3_PKT0_S9_ifPKiSB_iPKfiiiSD_SD_iiiii
    .private_segment_fixed_size: 0
    .sgpr_count:     41
    .sgpr_spill_count: 0
    .symbol:         _ZN4vllm25paged_attention_v1_kernelI14__hip_bfloat16S1_Li120ELi32ELi128ELNS_18Fp8KVCacheDataTypeE0ELb0EEEvPT_PKS3_PKT0_S9_ifPKiSB_iPKfiiiSD_SD_iiiii.kd
    .uniform_work_group_size: 1
    .uses_dynamic_stack: false
    .vgpr_count:     110
    .vgpr_spill_count: 0
    .wavefront_size: 64
  - .agpr_count:     0
    .args:
      - .actual_access:  write_only
        .address_space:  global
        .offset:         0
        .size:           8
        .value_kind:     global_buffer
      - .actual_access:  read_only
        .address_space:  global
        .offset:         8
        .size:           8
        .value_kind:     global_buffer
      - .actual_access:  read_only
        .address_space:  global
        .offset:         16
        .size:           8
        .value_kind:     global_buffer
      - .actual_access:  read_only
        .address_space:  global
        .offset:         24
        .size:           8
        .value_kind:     global_buffer
      - .offset:         32
        .size:           4
        .value_kind:     by_value
      - .offset:         36
        .size:           4
        .value_kind:     by_value
      - .actual_access:  read_only
        .address_space:  global
        .offset:         40
        .size:           8
        .value_kind:     global_buffer
      - .actual_access:  read_only
        .address_space:  global
        .offset:         48
        .size:           8
        .value_kind:     global_buffer
      - .offset:         56
        .size:           4
        .value_kind:     by_value
      - .actual_access:  read_only
        .address_space:  global
        .offset:         64
        .size:           8
        .value_kind:     global_buffer
      - .offset:         72
        .size:           4
        .value_kind:     by_value
      - .offset:         76
        .size:           4
        .value_kind:     by_value
      - .offset:         80
        .size:           4
        .value_kind:     by_value
      - .address_space:  global
        .offset:         88
        .size:           8
        .value_kind:     global_buffer
      - .address_space:  global
        .offset:         96
        .size:           8
        .value_kind:     global_buffer
      - .offset:         104
        .size:           4
        .value_kind:     by_value
      - .offset:         108
        .size:           4
        .value_kind:     by_value
      - .offset:         112
        .size:           4
        .value_kind:     by_value
      - .offset:         116
        .size:           4
        .value_kind:     by_value
      - .offset:         120
        .size:           4
        .value_kind:     by_value
      - .offset:         128
        .size:           4
        .value_kind:     hidden_block_count_x
      - .offset:         132
        .size:           4
        .value_kind:     hidden_block_count_y
      - .offset:         136
        .size:           4
        .value_kind:     hidden_block_count_z
      - .offset:         140
        .size:           2
        .value_kind:     hidden_group_size_x
      - .offset:         142
        .size:           2
        .value_kind:     hidden_group_size_y
      - .offset:         144
        .size:           2
        .value_kind:     hidden_group_size_z
      - .offset:         146
        .size:           2
        .value_kind:     hidden_remainder_x
      - .offset:         148
        .size:           2
        .value_kind:     hidden_remainder_y
      - .offset:         150
        .size:           2
        .value_kind:     hidden_remainder_z
      - .offset:         168
        .size:           8
        .value_kind:     hidden_global_offset_x
      - .offset:         176
        .size:           8
        .value_kind:     hidden_global_offset_y
      - .offset:         184
        .size:           8
        .value_kind:     hidden_global_offset_z
      - .offset:         192
        .size:           2
        .value_kind:     hidden_grid_dims
      - .offset:         248
        .size:           4
        .value_kind:     hidden_dynamic_lds_size
    .group_segment_fixed_size: 272
    .kernarg_segment_align: 8
    .kernarg_segment_size: 384
    .language:       OpenCL C
    .language_version:
      - 2
      - 0
    .max_flat_workgroup_size: 1024
    .name:           _ZN4vllm25paged_attention_v1_kernelI14__hip_bfloat16S1_Li128ELi32ELi128ELNS_18Fp8KVCacheDataTypeE0ELb0EEEvPT_PKS3_PKT0_S9_ifPKiSB_iPKfiiiSD_SD_iiiii
    .private_segment_fixed_size: 0
    .sgpr_count:     41
    .sgpr_spill_count: 0
    .symbol:         _ZN4vllm25paged_attention_v1_kernelI14__hip_bfloat16S1_Li128ELi32ELi128ELNS_18Fp8KVCacheDataTypeE0ELb0EEEvPT_PKS3_PKT0_S9_ifPKiSB_iPKfiiiSD_SD_iiiii.kd
    .uniform_work_group_size: 1
    .uses_dynamic_stack: false
    .vgpr_count:     116
    .vgpr_spill_count: 0
    .wavefront_size: 64
  - .agpr_count:     0
    .args:
      - .actual_access:  write_only
        .address_space:  global
        .offset:         0
        .size:           8
        .value_kind:     global_buffer
      - .actual_access:  read_only
        .address_space:  global
        .offset:         8
        .size:           8
        .value_kind:     global_buffer
      - .actual_access:  read_only
        .address_space:  global
        .offset:         16
        .size:           8
        .value_kind:     global_buffer
      - .actual_access:  read_only
        .address_space:  global
        .offset:         24
        .size:           8
        .value_kind:     global_buffer
      - .offset:         32
        .size:           4
        .value_kind:     by_value
      - .offset:         36
        .size:           4
        .value_kind:     by_value
      - .actual_access:  read_only
        .address_space:  global
        .offset:         40
        .size:           8
        .value_kind:     global_buffer
      - .actual_access:  read_only
        .address_space:  global
        .offset:         48
        .size:           8
        .value_kind:     global_buffer
      - .offset:         56
        .size:           4
        .value_kind:     by_value
      - .actual_access:  read_only
        .address_space:  global
        .offset:         64
        .size:           8
        .value_kind:     global_buffer
      - .offset:         72
        .size:           4
        .value_kind:     by_value
      - .offset:         76
        .size:           4
        .value_kind:     by_value
      - .offset:         80
        .size:           4
        .value_kind:     by_value
      - .address_space:  global
        .offset:         88
        .size:           8
        .value_kind:     global_buffer
      - .address_space:  global
        .offset:         96
        .size:           8
        .value_kind:     global_buffer
      - .offset:         104
        .size:           4
        .value_kind:     by_value
      - .offset:         108
        .size:           4
        .value_kind:     by_value
      - .offset:         112
        .size:           4
        .value_kind:     by_value
      - .offset:         116
        .size:           4
        .value_kind:     by_value
      - .offset:         120
        .size:           4
        .value_kind:     by_value
      - .offset:         128
        .size:           4
        .value_kind:     hidden_block_count_x
      - .offset:         132
        .size:           4
        .value_kind:     hidden_block_count_y
      - .offset:         136
        .size:           4
        .value_kind:     hidden_block_count_z
      - .offset:         140
        .size:           2
        .value_kind:     hidden_group_size_x
      - .offset:         142
        .size:           2
        .value_kind:     hidden_group_size_y
      - .offset:         144
        .size:           2
        .value_kind:     hidden_group_size_z
      - .offset:         146
        .size:           2
        .value_kind:     hidden_remainder_x
      - .offset:         148
        .size:           2
        .value_kind:     hidden_remainder_y
      - .offset:         150
        .size:           2
        .value_kind:     hidden_remainder_z
      - .offset:         168
        .size:           8
        .value_kind:     hidden_global_offset_x
      - .offset:         176
        .size:           8
        .value_kind:     hidden_global_offset_y
      - .offset:         184
        .size:           8
        .value_kind:     hidden_global_offset_z
      - .offset:         192
        .size:           2
        .value_kind:     hidden_grid_dims
      - .offset:         248
        .size:           4
        .value_kind:     hidden_dynamic_lds_size
    .group_segment_fixed_size: 400
    .kernarg_segment_align: 8
    .kernarg_segment_size: 384
    .language:       OpenCL C
    .language_version:
      - 2
      - 0
    .max_flat_workgroup_size: 1024
    .name:           _ZN4vllm25paged_attention_v1_kernelI14__hip_bfloat16S1_Li192ELi32ELi128ELNS_18Fp8KVCacheDataTypeE0ELb0EEEvPT_PKS3_PKT0_S9_ifPKiSB_iPKfiiiSD_SD_iiiii
    .private_segment_fixed_size: 148
    .sgpr_count:     42
    .sgpr_spill_count: 0
    .symbol:         _ZN4vllm25paged_attention_v1_kernelI14__hip_bfloat16S1_Li192ELi32ELi128ELNS_18Fp8KVCacheDataTypeE0ELb0EEEvPT_PKS3_PKT0_S9_ifPKiSB_iPKfiiiSD_SD_iiiii.kd
    .uniform_work_group_size: 1
    .uses_dynamic_stack: false
    .vgpr_count:     128
    .vgpr_spill_count: 36
    .wavefront_size: 64
  - .agpr_count:     0
    .args:
      - .actual_access:  write_only
        .address_space:  global
        .offset:         0
        .size:           8
        .value_kind:     global_buffer
      - .actual_access:  read_only
        .address_space:  global
        .offset:         8
        .size:           8
        .value_kind:     global_buffer
      - .actual_access:  read_only
        .address_space:  global
        .offset:         16
        .size:           8
        .value_kind:     global_buffer
      - .actual_access:  read_only
        .address_space:  global
        .offset:         24
        .size:           8
        .value_kind:     global_buffer
      - .offset:         32
        .size:           4
        .value_kind:     by_value
      - .offset:         36
        .size:           4
        .value_kind:     by_value
      - .actual_access:  read_only
        .address_space:  global
        .offset:         40
        .size:           8
        .value_kind:     global_buffer
      - .actual_access:  read_only
        .address_space:  global
        .offset:         48
        .size:           8
        .value_kind:     global_buffer
      - .offset:         56
        .size:           4
        .value_kind:     by_value
      - .actual_access:  read_only
        .address_space:  global
        .offset:         64
        .size:           8
        .value_kind:     global_buffer
      - .offset:         72
        .size:           4
        .value_kind:     by_value
      - .offset:         76
        .size:           4
        .value_kind:     by_value
      - .offset:         80
        .size:           4
        .value_kind:     by_value
      - .address_space:  global
        .offset:         88
        .size:           8
        .value_kind:     global_buffer
      - .address_space:  global
        .offset:         96
        .size:           8
        .value_kind:     global_buffer
      - .offset:         104
        .size:           4
        .value_kind:     by_value
      - .offset:         108
        .size:           4
        .value_kind:     by_value
      - .offset:         112
        .size:           4
        .value_kind:     by_value
      - .offset:         116
        .size:           4
        .value_kind:     by_value
      - .offset:         120
        .size:           4
        .value_kind:     by_value
      - .offset:         128
        .size:           4
        .value_kind:     hidden_block_count_x
      - .offset:         132
        .size:           4
        .value_kind:     hidden_block_count_y
      - .offset:         136
        .size:           4
        .value_kind:     hidden_block_count_z
      - .offset:         140
        .size:           2
        .value_kind:     hidden_group_size_x
      - .offset:         142
        .size:           2
        .value_kind:     hidden_group_size_y
      - .offset:         144
        .size:           2
        .value_kind:     hidden_group_size_z
      - .offset:         146
        .size:           2
        .value_kind:     hidden_remainder_x
      - .offset:         148
        .size:           2
        .value_kind:     hidden_remainder_y
      - .offset:         150
        .size:           2
        .value_kind:     hidden_remainder_z
      - .offset:         168
        .size:           8
        .value_kind:     hidden_global_offset_x
      - .offset:         176
        .size:           8
        .value_kind:     hidden_global_offset_y
      - .offset:         184
        .size:           8
        .value_kind:     hidden_global_offset_z
      - .offset:         192
        .size:           2
        .value_kind:     hidden_grid_dims
      - .offset:         248
        .size:           4
        .value_kind:     hidden_dynamic_lds_size
    .group_segment_fixed_size: 528
    .kernarg_segment_align: 8
    .kernarg_segment_size: 384
    .language:       OpenCL C
    .language_version:
      - 2
      - 0
    .max_flat_workgroup_size: 1024
    .name:           _ZN4vllm25paged_attention_v1_kernelI14__hip_bfloat16S1_Li256ELi32ELi128ELNS_18Fp8KVCacheDataTypeE0ELb0EEEvPT_PKS3_PKT0_S9_ifPKiSB_iPKfiiiSD_SD_iiiii
    .private_segment_fixed_size: 340
    .sgpr_count:     45
    .sgpr_spill_count: 0
    .symbol:         _ZN4vllm25paged_attention_v1_kernelI14__hip_bfloat16S1_Li256ELi32ELi128ELNS_18Fp8KVCacheDataTypeE0ELb0EEEvPT_PKS3_PKT0_S9_ifPKiSB_iPKfiiiSD_SD_iiiii.kd
    .uniform_work_group_size: 1
    .uses_dynamic_stack: false
    .vgpr_count:     128
    .vgpr_spill_count: 84
    .wavefront_size: 64
  - .agpr_count:     0
    .args:
      - .actual_access:  write_only
        .address_space:  global
        .offset:         0
        .size:           8
        .value_kind:     global_buffer
      - .actual_access:  read_only
        .address_space:  global
        .offset:         8
        .size:           8
        .value_kind:     global_buffer
      - .actual_access:  read_only
        .address_space:  global
        .offset:         16
        .size:           8
        .value_kind:     global_buffer
      - .actual_access:  read_only
        .address_space:  global
        .offset:         24
        .size:           8
        .value_kind:     global_buffer
      - .offset:         32
        .size:           4
        .value_kind:     by_value
      - .offset:         36
        .size:           4
        .value_kind:     by_value
      - .actual_access:  read_only
        .address_space:  global
        .offset:         40
        .size:           8
        .value_kind:     global_buffer
      - .actual_access:  read_only
        .address_space:  global
        .offset:         48
        .size:           8
        .value_kind:     global_buffer
      - .offset:         56
        .size:           4
        .value_kind:     by_value
      - .actual_access:  read_only
        .address_space:  global
        .offset:         64
        .size:           8
        .value_kind:     global_buffer
      - .offset:         72
        .size:           4
        .value_kind:     by_value
      - .offset:         76
        .size:           4
        .value_kind:     by_value
      - .offset:         80
        .size:           4
        .value_kind:     by_value
      - .address_space:  global
        .offset:         88
        .size:           8
        .value_kind:     global_buffer
      - .address_space:  global
        .offset:         96
        .size:           8
        .value_kind:     global_buffer
      - .offset:         104
        .size:           4
        .value_kind:     by_value
      - .offset:         108
        .size:           4
        .value_kind:     by_value
      - .offset:         112
        .size:           4
        .value_kind:     by_value
      - .offset:         116
        .size:           4
        .value_kind:     by_value
      - .offset:         120
        .size:           4
        .value_kind:     by_value
      - .offset:         128
        .size:           4
        .value_kind:     hidden_block_count_x
      - .offset:         132
        .size:           4
        .value_kind:     hidden_block_count_y
      - .offset:         136
        .size:           4
        .value_kind:     hidden_block_count_z
      - .offset:         140
        .size:           2
        .value_kind:     hidden_group_size_x
      - .offset:         142
        .size:           2
        .value_kind:     hidden_group_size_y
      - .offset:         144
        .size:           2
        .value_kind:     hidden_group_size_z
      - .offset:         146
        .size:           2
        .value_kind:     hidden_remainder_x
      - .offset:         148
        .size:           2
        .value_kind:     hidden_remainder_y
      - .offset:         150
        .size:           2
        .value_kind:     hidden_remainder_z
      - .offset:         168
        .size:           8
        .value_kind:     hidden_global_offset_x
      - .offset:         176
        .size:           8
        .value_kind:     hidden_global_offset_y
      - .offset:         184
        .size:           8
        .value_kind:     hidden_global_offset_z
      - .offset:         192
        .size:           2
        .value_kind:     hidden_grid_dims
      - .offset:         248
        .size:           4
        .value_kind:     hidden_dynamic_lds_size
    .group_segment_fixed_size: 144
    .kernarg_segment_align: 8
    .kernarg_segment_size: 384
    .language:       OpenCL C
    .language_version:
      - 2
      - 0
    .max_flat_workgroup_size: 1024
    .name:           _ZN4vllm25paged_attention_v1_kernelIfhLi32ELi8ELi128ELNS_18Fp8KVCacheDataTypeE1ELb1EEEvPT_PKS2_PKT0_S8_ifPKiSA_iPKfiiiSC_SC_iiiii
    .private_segment_fixed_size: 0
    .sgpr_count:     54
    .sgpr_spill_count: 0
    .symbol:         _ZN4vllm25paged_attention_v1_kernelIfhLi32ELi8ELi128ELNS_18Fp8KVCacheDataTypeE1ELb1EEEvPT_PKS2_PKT0_S8_ifPKiSA_iPKfiiiSC_SC_iiiii.kd
    .uniform_work_group_size: 1
    .uses_dynamic_stack: false
    .vgpr_count:     34
    .vgpr_spill_count: 0
    .wavefront_size: 64
  - .agpr_count:     0
    .args:
      - .actual_access:  write_only
        .address_space:  global
        .offset:         0
        .size:           8
        .value_kind:     global_buffer
      - .actual_access:  read_only
        .address_space:  global
        .offset:         8
        .size:           8
        .value_kind:     global_buffer
      - .actual_access:  read_only
        .address_space:  global
        .offset:         16
        .size:           8
        .value_kind:     global_buffer
      - .actual_access:  read_only
        .address_space:  global
        .offset:         24
        .size:           8
        .value_kind:     global_buffer
      - .offset:         32
        .size:           4
        .value_kind:     by_value
      - .offset:         36
        .size:           4
        .value_kind:     by_value
      - .actual_access:  read_only
        .address_space:  global
        .offset:         40
        .size:           8
        .value_kind:     global_buffer
      - .actual_access:  read_only
        .address_space:  global
        .offset:         48
        .size:           8
        .value_kind:     global_buffer
      - .offset:         56
        .size:           4
        .value_kind:     by_value
      - .actual_access:  read_only
        .address_space:  global
        .offset:         64
        .size:           8
        .value_kind:     global_buffer
      - .offset:         72
        .size:           4
        .value_kind:     by_value
      - .offset:         76
        .size:           4
        .value_kind:     by_value
      - .offset:         80
        .size:           4
        .value_kind:     by_value
      - .address_space:  global
        .offset:         88
        .size:           8
        .value_kind:     global_buffer
      - .address_space:  global
        .offset:         96
        .size:           8
        .value_kind:     global_buffer
      - .offset:         104
        .size:           4
        .value_kind:     by_value
      - .offset:         108
        .size:           4
        .value_kind:     by_value
      - .offset:         112
        .size:           4
        .value_kind:     by_value
      - .offset:         116
        .size:           4
        .value_kind:     by_value
      - .offset:         120
        .size:           4
        .value_kind:     by_value
      - .offset:         128
        .size:           4
        .value_kind:     hidden_block_count_x
      - .offset:         132
        .size:           4
        .value_kind:     hidden_block_count_y
      - .offset:         136
        .size:           4
        .value_kind:     hidden_block_count_z
      - .offset:         140
        .size:           2
        .value_kind:     hidden_group_size_x
      - .offset:         142
        .size:           2
        .value_kind:     hidden_group_size_y
      - .offset:         144
        .size:           2
        .value_kind:     hidden_group_size_z
      - .offset:         146
        .size:           2
        .value_kind:     hidden_remainder_x
      - .offset:         148
        .size:           2
        .value_kind:     hidden_remainder_y
      - .offset:         150
        .size:           2
        .value_kind:     hidden_remainder_z
      - .offset:         168
        .size:           8
        .value_kind:     hidden_global_offset_x
      - .offset:         176
        .size:           8
        .value_kind:     hidden_global_offset_y
      - .offset:         184
        .size:           8
        .value_kind:     hidden_global_offset_z
      - .offset:         192
        .size:           2
        .value_kind:     hidden_grid_dims
      - .offset:         248
        .size:           4
        .value_kind:     hidden_dynamic_lds_size
    .group_segment_fixed_size: 272
    .kernarg_segment_align: 8
    .kernarg_segment_size: 384
    .language:       OpenCL C
    .language_version:
      - 2
      - 0
    .max_flat_workgroup_size: 1024
    .name:           _ZN4vllm25paged_attention_v1_kernelIfhLi64ELi8ELi128ELNS_18Fp8KVCacheDataTypeE1ELb1EEEvPT_PKS2_PKT0_S8_ifPKiSA_iPKfiiiSC_SC_iiiii
    .private_segment_fixed_size: 0
    .sgpr_count:     56
    .sgpr_spill_count: 0
    .symbol:         _ZN4vllm25paged_attention_v1_kernelIfhLi64ELi8ELi128ELNS_18Fp8KVCacheDataTypeE1ELb1EEEvPT_PKS2_PKT0_S8_ifPKiSA_iPKfiiiSC_SC_iiiii.kd
    .uniform_work_group_size: 1
    .uses_dynamic_stack: false
    .vgpr_count:     42
    .vgpr_spill_count: 0
    .wavefront_size: 64
  - .agpr_count:     0
    .args:
      - .actual_access:  write_only
        .address_space:  global
        .offset:         0
        .size:           8
        .value_kind:     global_buffer
      - .actual_access:  read_only
        .address_space:  global
        .offset:         8
        .size:           8
        .value_kind:     global_buffer
      - .actual_access:  read_only
        .address_space:  global
        .offset:         16
        .size:           8
        .value_kind:     global_buffer
      - .actual_access:  read_only
        .address_space:  global
        .offset:         24
        .size:           8
        .value_kind:     global_buffer
      - .offset:         32
        .size:           4
        .value_kind:     by_value
      - .offset:         36
        .size:           4
        .value_kind:     by_value
      - .actual_access:  read_only
        .address_space:  global
        .offset:         40
        .size:           8
        .value_kind:     global_buffer
      - .actual_access:  read_only
        .address_space:  global
        .offset:         48
        .size:           8
        .value_kind:     global_buffer
      - .offset:         56
        .size:           4
        .value_kind:     by_value
      - .actual_access:  read_only
        .address_space:  global
        .offset:         64
        .size:           8
        .value_kind:     global_buffer
      - .offset:         72
        .size:           4
        .value_kind:     by_value
      - .offset:         76
        .size:           4
        .value_kind:     by_value
      - .offset:         80
        .size:           4
        .value_kind:     by_value
      - .address_space:  global
        .offset:         88
        .size:           8
        .value_kind:     global_buffer
      - .address_space:  global
        .offset:         96
        .size:           8
        .value_kind:     global_buffer
      - .offset:         104
        .size:           4
        .value_kind:     by_value
      - .offset:         108
        .size:           4
        .value_kind:     by_value
      - .offset:         112
        .size:           4
        .value_kind:     by_value
      - .offset:         116
        .size:           4
        .value_kind:     by_value
      - .offset:         120
        .size:           4
        .value_kind:     by_value
      - .offset:         128
        .size:           4
        .value_kind:     hidden_block_count_x
      - .offset:         132
        .size:           4
        .value_kind:     hidden_block_count_y
      - .offset:         136
        .size:           4
        .value_kind:     hidden_block_count_z
      - .offset:         140
        .size:           2
        .value_kind:     hidden_group_size_x
      - .offset:         142
        .size:           2
        .value_kind:     hidden_group_size_y
      - .offset:         144
        .size:           2
        .value_kind:     hidden_group_size_z
      - .offset:         146
        .size:           2
        .value_kind:     hidden_remainder_x
      - .offset:         148
        .size:           2
        .value_kind:     hidden_remainder_y
      - .offset:         150
        .size:           2
        .value_kind:     hidden_remainder_z
      - .offset:         168
        .size:           8
        .value_kind:     hidden_global_offset_x
      - .offset:         176
        .size:           8
        .value_kind:     hidden_global_offset_y
      - .offset:         184
        .size:           8
        .value_kind:     hidden_global_offset_z
      - .offset:         192
        .size:           2
        .value_kind:     hidden_grid_dims
      - .offset:         248
        .size:           4
        .value_kind:     hidden_dynamic_lds_size
    .group_segment_fixed_size: 336
    .kernarg_segment_align: 8
    .kernarg_segment_size: 384
    .language:       OpenCL C
    .language_version:
      - 2
      - 0
    .max_flat_workgroup_size: 1024
    .name:           _ZN4vllm25paged_attention_v1_kernelIfhLi80ELi8ELi128ELNS_18Fp8KVCacheDataTypeE1ELb1EEEvPT_PKS2_PKT0_S8_ifPKiSA_iPKfiiiSC_SC_iiiii
    .private_segment_fixed_size: 0
    .sgpr_count:     54
    .sgpr_spill_count: 0
    .symbol:         _ZN4vllm25paged_attention_v1_kernelIfhLi80ELi8ELi128ELNS_18Fp8KVCacheDataTypeE1ELb1EEEvPT_PKS2_PKT0_S8_ifPKiSA_iPKfiiiSC_SC_iiiii.kd
    .uniform_work_group_size: 1
    .uses_dynamic_stack: false
    .vgpr_count:     46
    .vgpr_spill_count: 0
    .wavefront_size: 64
  - .agpr_count:     0
    .args:
      - .actual_access:  write_only
        .address_space:  global
        .offset:         0
        .size:           8
        .value_kind:     global_buffer
      - .actual_access:  read_only
        .address_space:  global
        .offset:         8
        .size:           8
        .value_kind:     global_buffer
      - .actual_access:  read_only
        .address_space:  global
        .offset:         16
        .size:           8
        .value_kind:     global_buffer
      - .actual_access:  read_only
        .address_space:  global
        .offset:         24
        .size:           8
        .value_kind:     global_buffer
      - .offset:         32
        .size:           4
        .value_kind:     by_value
      - .offset:         36
        .size:           4
        .value_kind:     by_value
      - .actual_access:  read_only
        .address_space:  global
        .offset:         40
        .size:           8
        .value_kind:     global_buffer
      - .actual_access:  read_only
        .address_space:  global
        .offset:         48
        .size:           8
        .value_kind:     global_buffer
      - .offset:         56
        .size:           4
        .value_kind:     by_value
      - .actual_access:  read_only
        .address_space:  global
        .offset:         64
        .size:           8
        .value_kind:     global_buffer
      - .offset:         72
        .size:           4
        .value_kind:     by_value
      - .offset:         76
        .size:           4
        .value_kind:     by_value
      - .offset:         80
        .size:           4
        .value_kind:     by_value
      - .address_space:  global
        .offset:         88
        .size:           8
        .value_kind:     global_buffer
      - .address_space:  global
        .offset:         96
        .size:           8
        .value_kind:     global_buffer
      - .offset:         104
        .size:           4
        .value_kind:     by_value
      - .offset:         108
        .size:           4
        .value_kind:     by_value
      - .offset:         112
        .size:           4
        .value_kind:     by_value
      - .offset:         116
        .size:           4
        .value_kind:     by_value
      - .offset:         120
        .size:           4
        .value_kind:     by_value
      - .offset:         128
        .size:           4
        .value_kind:     hidden_block_count_x
      - .offset:         132
        .size:           4
        .value_kind:     hidden_block_count_y
      - .offset:         136
        .size:           4
        .value_kind:     hidden_block_count_z
      - .offset:         140
        .size:           2
        .value_kind:     hidden_group_size_x
      - .offset:         142
        .size:           2
        .value_kind:     hidden_group_size_y
      - .offset:         144
        .size:           2
        .value_kind:     hidden_group_size_z
      - .offset:         146
        .size:           2
        .value_kind:     hidden_remainder_x
      - .offset:         148
        .size:           2
        .value_kind:     hidden_remainder_y
      - .offset:         150
        .size:           2
        .value_kind:     hidden_remainder_z
      - .offset:         168
        .size:           8
        .value_kind:     hidden_global_offset_x
      - .offset:         176
        .size:           8
        .value_kind:     hidden_global_offset_y
      - .offset:         184
        .size:           8
        .value_kind:     hidden_global_offset_z
      - .offset:         192
        .size:           2
        .value_kind:     hidden_grid_dims
      - .offset:         248
        .size:           4
        .value_kind:     hidden_dynamic_lds_size
    .group_segment_fixed_size: 400
    .kernarg_segment_align: 8
    .kernarg_segment_size: 384
    .language:       OpenCL C
    .language_version:
      - 2
      - 0
    .max_flat_workgroup_size: 1024
    .name:           _ZN4vllm25paged_attention_v1_kernelIfhLi96ELi8ELi128ELNS_18Fp8KVCacheDataTypeE1ELb1EEEvPT_PKS2_PKT0_S8_ifPKiSA_iPKfiiiSC_SC_iiiii
    .private_segment_fixed_size: 0
    .sgpr_count:     54
    .sgpr_spill_count: 0
    .symbol:         _ZN4vllm25paged_attention_v1_kernelIfhLi96ELi8ELi128ELNS_18Fp8KVCacheDataTypeE1ELb1EEEvPT_PKS2_PKT0_S8_ifPKiSA_iPKfiiiSC_SC_iiiii.kd
    .uniform_work_group_size: 1
    .uses_dynamic_stack: false
    .vgpr_count:     51
    .vgpr_spill_count: 0
    .wavefront_size: 64
  - .agpr_count:     0
    .args:
      - .actual_access:  write_only
        .address_space:  global
        .offset:         0
        .size:           8
        .value_kind:     global_buffer
      - .actual_access:  read_only
        .address_space:  global
        .offset:         8
        .size:           8
        .value_kind:     global_buffer
      - .actual_access:  read_only
        .address_space:  global
        .offset:         16
        .size:           8
        .value_kind:     global_buffer
      - .actual_access:  read_only
        .address_space:  global
        .offset:         24
        .size:           8
        .value_kind:     global_buffer
      - .offset:         32
        .size:           4
        .value_kind:     by_value
      - .offset:         36
        .size:           4
        .value_kind:     by_value
      - .actual_access:  read_only
        .address_space:  global
        .offset:         40
        .size:           8
        .value_kind:     global_buffer
      - .actual_access:  read_only
        .address_space:  global
        .offset:         48
        .size:           8
        .value_kind:     global_buffer
      - .offset:         56
        .size:           4
        .value_kind:     by_value
      - .actual_access:  read_only
        .address_space:  global
        .offset:         64
        .size:           8
        .value_kind:     global_buffer
      - .offset:         72
        .size:           4
        .value_kind:     by_value
      - .offset:         76
        .size:           4
        .value_kind:     by_value
      - .offset:         80
        .size:           4
        .value_kind:     by_value
      - .address_space:  global
        .offset:         88
        .size:           8
        .value_kind:     global_buffer
      - .address_space:  global
        .offset:         96
        .size:           8
        .value_kind:     global_buffer
      - .offset:         104
        .size:           4
        .value_kind:     by_value
      - .offset:         108
        .size:           4
        .value_kind:     by_value
      - .offset:         112
        .size:           4
        .value_kind:     by_value
      - .offset:         116
        .size:           4
        .value_kind:     by_value
      - .offset:         120
        .size:           4
        .value_kind:     by_value
      - .offset:         128
        .size:           4
        .value_kind:     hidden_block_count_x
      - .offset:         132
        .size:           4
        .value_kind:     hidden_block_count_y
      - .offset:         136
        .size:           4
        .value_kind:     hidden_block_count_z
      - .offset:         140
        .size:           2
        .value_kind:     hidden_group_size_x
      - .offset:         142
        .size:           2
        .value_kind:     hidden_group_size_y
      - .offset:         144
        .size:           2
        .value_kind:     hidden_group_size_z
      - .offset:         146
        .size:           2
        .value_kind:     hidden_remainder_x
      - .offset:         148
        .size:           2
        .value_kind:     hidden_remainder_y
      - .offset:         150
        .size:           2
        .value_kind:     hidden_remainder_z
      - .offset:         168
        .size:           8
        .value_kind:     hidden_global_offset_x
      - .offset:         176
        .size:           8
        .value_kind:     hidden_global_offset_y
      - .offset:         184
        .size:           8
        .value_kind:     hidden_global_offset_z
      - .offset:         192
        .size:           2
        .value_kind:     hidden_grid_dims
      - .offset:         248
        .size:           4
        .value_kind:     hidden_dynamic_lds_size
    .group_segment_fixed_size: 464
    .kernarg_segment_align: 8
    .kernarg_segment_size: 384
    .language:       OpenCL C
    .language_version:
      - 2
      - 0
    .max_flat_workgroup_size: 1024
    .name:           _ZN4vllm25paged_attention_v1_kernelIfhLi112ELi8ELi128ELNS_18Fp8KVCacheDataTypeE1ELb1EEEvPT_PKS2_PKT0_S8_ifPKiSA_iPKfiiiSC_SC_iiiii
    .private_segment_fixed_size: 0
    .sgpr_count:     54
    .sgpr_spill_count: 0
    .symbol:         _ZN4vllm25paged_attention_v1_kernelIfhLi112ELi8ELi128ELNS_18Fp8KVCacheDataTypeE1ELb1EEEvPT_PKS2_PKT0_S8_ifPKiSA_iPKfiiiSC_SC_iiiii.kd
    .uniform_work_group_size: 1
    .uses_dynamic_stack: false
    .vgpr_count:     54
    .vgpr_spill_count: 0
    .wavefront_size: 64
  - .agpr_count:     0
    .args:
      - .actual_access:  write_only
        .address_space:  global
        .offset:         0
        .size:           8
        .value_kind:     global_buffer
      - .actual_access:  read_only
        .address_space:  global
        .offset:         8
        .size:           8
        .value_kind:     global_buffer
      - .actual_access:  read_only
        .address_space:  global
        .offset:         16
        .size:           8
        .value_kind:     global_buffer
      - .actual_access:  read_only
        .address_space:  global
        .offset:         24
        .size:           8
        .value_kind:     global_buffer
      - .offset:         32
        .size:           4
        .value_kind:     by_value
      - .offset:         36
        .size:           4
        .value_kind:     by_value
      - .actual_access:  read_only
        .address_space:  global
        .offset:         40
        .size:           8
        .value_kind:     global_buffer
      - .actual_access:  read_only
        .address_space:  global
        .offset:         48
        .size:           8
        .value_kind:     global_buffer
      - .offset:         56
        .size:           4
        .value_kind:     by_value
      - .actual_access:  read_only
        .address_space:  global
        .offset:         64
        .size:           8
        .value_kind:     global_buffer
      - .offset:         72
        .size:           4
        .value_kind:     by_value
      - .offset:         76
        .size:           4
        .value_kind:     by_value
      - .offset:         80
        .size:           4
        .value_kind:     by_value
      - .address_space:  global
        .offset:         88
        .size:           8
        .value_kind:     global_buffer
      - .address_space:  global
        .offset:         96
        .size:           8
        .value_kind:     global_buffer
      - .offset:         104
        .size:           4
        .value_kind:     by_value
      - .offset:         108
        .size:           4
        .value_kind:     by_value
      - .offset:         112
        .size:           4
        .value_kind:     by_value
      - .offset:         116
        .size:           4
        .value_kind:     by_value
      - .offset:         120
        .size:           4
        .value_kind:     by_value
      - .offset:         128
        .size:           4
        .value_kind:     hidden_block_count_x
      - .offset:         132
        .size:           4
        .value_kind:     hidden_block_count_y
      - .offset:         136
        .size:           4
        .value_kind:     hidden_block_count_z
      - .offset:         140
        .size:           2
        .value_kind:     hidden_group_size_x
      - .offset:         142
        .size:           2
        .value_kind:     hidden_group_size_y
      - .offset:         144
        .size:           2
        .value_kind:     hidden_group_size_z
      - .offset:         146
        .size:           2
        .value_kind:     hidden_remainder_x
      - .offset:         148
        .size:           2
        .value_kind:     hidden_remainder_y
      - .offset:         150
        .size:           2
        .value_kind:     hidden_remainder_z
      - .offset:         168
        .size:           8
        .value_kind:     hidden_global_offset_x
      - .offset:         176
        .size:           8
        .value_kind:     hidden_global_offset_y
      - .offset:         184
        .size:           8
        .value_kind:     hidden_global_offset_z
      - .offset:         192
        .size:           2
        .value_kind:     hidden_grid_dims
      - .offset:         248
        .size:           4
        .value_kind:     hidden_dynamic_lds_size
    .group_segment_fixed_size: 496
    .kernarg_segment_align: 8
    .kernarg_segment_size: 384
    .language:       OpenCL C
    .language_version:
      - 2
      - 0
    .max_flat_workgroup_size: 1024
    .name:           _ZN4vllm25paged_attention_v1_kernelIfhLi120ELi8ELi128ELNS_18Fp8KVCacheDataTypeE1ELb1EEEvPT_PKS2_PKT0_S8_ifPKiSA_iPKfiiiSC_SC_iiiii
    .private_segment_fixed_size: 0
    .sgpr_count:     54
    .sgpr_spill_count: 0
    .symbol:         _ZN4vllm25paged_attention_v1_kernelIfhLi120ELi8ELi128ELNS_18Fp8KVCacheDataTypeE1ELb1EEEvPT_PKS2_PKT0_S8_ifPKiSA_iPKfiiiSC_SC_iiiii.kd
    .uniform_work_group_size: 1
    .uses_dynamic_stack: false
    .vgpr_count:     56
    .vgpr_spill_count: 0
    .wavefront_size: 64
  - .agpr_count:     0
    .args:
      - .actual_access:  write_only
        .address_space:  global
        .offset:         0
        .size:           8
        .value_kind:     global_buffer
      - .actual_access:  read_only
        .address_space:  global
        .offset:         8
        .size:           8
        .value_kind:     global_buffer
      - .actual_access:  read_only
        .address_space:  global
        .offset:         16
        .size:           8
        .value_kind:     global_buffer
      - .actual_access:  read_only
        .address_space:  global
        .offset:         24
        .size:           8
        .value_kind:     global_buffer
      - .offset:         32
        .size:           4
        .value_kind:     by_value
      - .offset:         36
        .size:           4
        .value_kind:     by_value
      - .actual_access:  read_only
        .address_space:  global
        .offset:         40
        .size:           8
        .value_kind:     global_buffer
      - .actual_access:  read_only
        .address_space:  global
        .offset:         48
        .size:           8
        .value_kind:     global_buffer
      - .offset:         56
        .size:           4
        .value_kind:     by_value
      - .actual_access:  read_only
        .address_space:  global
        .offset:         64
        .size:           8
        .value_kind:     global_buffer
      - .offset:         72
        .size:           4
        .value_kind:     by_value
      - .offset:         76
        .size:           4
        .value_kind:     by_value
      - .offset:         80
        .size:           4
        .value_kind:     by_value
      - .address_space:  global
        .offset:         88
        .size:           8
        .value_kind:     global_buffer
      - .address_space:  global
        .offset:         96
        .size:           8
        .value_kind:     global_buffer
      - .offset:         104
        .size:           4
        .value_kind:     by_value
      - .offset:         108
        .size:           4
        .value_kind:     by_value
      - .offset:         112
        .size:           4
        .value_kind:     by_value
      - .offset:         116
        .size:           4
        .value_kind:     by_value
      - .offset:         120
        .size:           4
        .value_kind:     by_value
      - .offset:         128
        .size:           4
        .value_kind:     hidden_block_count_x
      - .offset:         132
        .size:           4
        .value_kind:     hidden_block_count_y
      - .offset:         136
        .size:           4
        .value_kind:     hidden_block_count_z
      - .offset:         140
        .size:           2
        .value_kind:     hidden_group_size_x
      - .offset:         142
        .size:           2
        .value_kind:     hidden_group_size_y
      - .offset:         144
        .size:           2
        .value_kind:     hidden_group_size_z
      - .offset:         146
        .size:           2
        .value_kind:     hidden_remainder_x
      - .offset:         148
        .size:           2
        .value_kind:     hidden_remainder_y
      - .offset:         150
        .size:           2
        .value_kind:     hidden_remainder_z
      - .offset:         168
        .size:           8
        .value_kind:     hidden_global_offset_x
      - .offset:         176
        .size:           8
        .value_kind:     hidden_global_offset_y
      - .offset:         184
        .size:           8
        .value_kind:     hidden_global_offset_z
      - .offset:         192
        .size:           2
        .value_kind:     hidden_grid_dims
      - .offset:         248
        .size:           4
        .value_kind:     hidden_dynamic_lds_size
    .group_segment_fixed_size: 528
    .kernarg_segment_align: 8
    .kernarg_segment_size: 384
    .language:       OpenCL C
    .language_version:
      - 2
      - 0
    .max_flat_workgroup_size: 1024
    .name:           _ZN4vllm25paged_attention_v1_kernelIfhLi128ELi8ELi128ELNS_18Fp8KVCacheDataTypeE1ELb1EEEvPT_PKS2_PKT0_S8_ifPKiSA_iPKfiiiSC_SC_iiiii
    .private_segment_fixed_size: 0
    .sgpr_count:     54
    .sgpr_spill_count: 0
    .symbol:         _ZN4vllm25paged_attention_v1_kernelIfhLi128ELi8ELi128ELNS_18Fp8KVCacheDataTypeE1ELb1EEEvPT_PKS2_PKT0_S8_ifPKiSA_iPKfiiiSC_SC_iiiii.kd
    .uniform_work_group_size: 1
    .uses_dynamic_stack: false
    .vgpr_count:     58
    .vgpr_spill_count: 0
    .wavefront_size: 64
  - .agpr_count:     0
    .args:
      - .actual_access:  write_only
        .address_space:  global
        .offset:         0
        .size:           8
        .value_kind:     global_buffer
      - .actual_access:  read_only
        .address_space:  global
        .offset:         8
        .size:           8
        .value_kind:     global_buffer
      - .actual_access:  read_only
        .address_space:  global
        .offset:         16
        .size:           8
        .value_kind:     global_buffer
      - .actual_access:  read_only
        .address_space:  global
        .offset:         24
        .size:           8
        .value_kind:     global_buffer
      - .offset:         32
        .size:           4
        .value_kind:     by_value
      - .offset:         36
        .size:           4
        .value_kind:     by_value
      - .actual_access:  read_only
        .address_space:  global
        .offset:         40
        .size:           8
        .value_kind:     global_buffer
      - .actual_access:  read_only
        .address_space:  global
        .offset:         48
        .size:           8
        .value_kind:     global_buffer
      - .offset:         56
        .size:           4
        .value_kind:     by_value
      - .actual_access:  read_only
        .address_space:  global
        .offset:         64
        .size:           8
        .value_kind:     global_buffer
      - .offset:         72
        .size:           4
        .value_kind:     by_value
      - .offset:         76
        .size:           4
        .value_kind:     by_value
      - .offset:         80
        .size:           4
        .value_kind:     by_value
      - .address_space:  global
        .offset:         88
        .size:           8
        .value_kind:     global_buffer
      - .address_space:  global
        .offset:         96
        .size:           8
        .value_kind:     global_buffer
      - .offset:         104
        .size:           4
        .value_kind:     by_value
      - .offset:         108
        .size:           4
        .value_kind:     by_value
      - .offset:         112
        .size:           4
        .value_kind:     by_value
      - .offset:         116
        .size:           4
        .value_kind:     by_value
      - .offset:         120
        .size:           4
        .value_kind:     by_value
      - .offset:         128
        .size:           4
        .value_kind:     hidden_block_count_x
      - .offset:         132
        .size:           4
        .value_kind:     hidden_block_count_y
      - .offset:         136
        .size:           4
        .value_kind:     hidden_block_count_z
      - .offset:         140
        .size:           2
        .value_kind:     hidden_group_size_x
      - .offset:         142
        .size:           2
        .value_kind:     hidden_group_size_y
      - .offset:         144
        .size:           2
        .value_kind:     hidden_group_size_z
      - .offset:         146
        .size:           2
        .value_kind:     hidden_remainder_x
      - .offset:         148
        .size:           2
        .value_kind:     hidden_remainder_y
      - .offset:         150
        .size:           2
        .value_kind:     hidden_remainder_z
      - .offset:         168
        .size:           8
        .value_kind:     hidden_global_offset_x
      - .offset:         176
        .size:           8
        .value_kind:     hidden_global_offset_y
      - .offset:         184
        .size:           8
        .value_kind:     hidden_global_offset_z
      - .offset:         192
        .size:           2
        .value_kind:     hidden_grid_dims
      - .offset:         248
        .size:           4
        .value_kind:     hidden_dynamic_lds_size
    .group_segment_fixed_size: 784
    .kernarg_segment_align: 8
    .kernarg_segment_size: 384
    .language:       OpenCL C
    .language_version:
      - 2
      - 0
    .max_flat_workgroup_size: 1024
    .name:           _ZN4vllm25paged_attention_v1_kernelIfhLi192ELi8ELi128ELNS_18Fp8KVCacheDataTypeE1ELb1EEEvPT_PKS2_PKT0_S8_ifPKiSA_iPKfiiiSC_SC_iiiii
    .private_segment_fixed_size: 0
    .sgpr_count:     54
    .sgpr_spill_count: 0
    .symbol:         _ZN4vllm25paged_attention_v1_kernelIfhLi192ELi8ELi128ELNS_18Fp8KVCacheDataTypeE1ELb1EEEvPT_PKS2_PKT0_S8_ifPKiSA_iPKfiiiSC_SC_iiiii.kd
    .uniform_work_group_size: 1
    .uses_dynamic_stack: false
    .vgpr_count:     73
    .vgpr_spill_count: 0
    .wavefront_size: 64
  - .agpr_count:     0
    .args:
      - .actual_access:  write_only
        .address_space:  global
        .offset:         0
        .size:           8
        .value_kind:     global_buffer
      - .actual_access:  read_only
        .address_space:  global
        .offset:         8
        .size:           8
        .value_kind:     global_buffer
      - .actual_access:  read_only
        .address_space:  global
        .offset:         16
        .size:           8
        .value_kind:     global_buffer
      - .actual_access:  read_only
        .address_space:  global
        .offset:         24
        .size:           8
        .value_kind:     global_buffer
      - .offset:         32
        .size:           4
        .value_kind:     by_value
      - .offset:         36
        .size:           4
        .value_kind:     by_value
      - .actual_access:  read_only
        .address_space:  global
        .offset:         40
        .size:           8
        .value_kind:     global_buffer
      - .actual_access:  read_only
        .address_space:  global
        .offset:         48
        .size:           8
        .value_kind:     global_buffer
      - .offset:         56
        .size:           4
        .value_kind:     by_value
      - .actual_access:  read_only
        .address_space:  global
        .offset:         64
        .size:           8
        .value_kind:     global_buffer
      - .offset:         72
        .size:           4
        .value_kind:     by_value
      - .offset:         76
        .size:           4
        .value_kind:     by_value
      - .offset:         80
        .size:           4
        .value_kind:     by_value
      - .address_space:  global
        .offset:         88
        .size:           8
        .value_kind:     global_buffer
      - .address_space:  global
        .offset:         96
        .size:           8
        .value_kind:     global_buffer
      - .offset:         104
        .size:           4
        .value_kind:     by_value
      - .offset:         108
        .size:           4
        .value_kind:     by_value
      - .offset:         112
        .size:           4
        .value_kind:     by_value
      - .offset:         116
        .size:           4
        .value_kind:     by_value
      - .offset:         120
        .size:           4
        .value_kind:     by_value
      - .offset:         128
        .size:           4
        .value_kind:     hidden_block_count_x
      - .offset:         132
        .size:           4
        .value_kind:     hidden_block_count_y
      - .offset:         136
        .size:           4
        .value_kind:     hidden_block_count_z
      - .offset:         140
        .size:           2
        .value_kind:     hidden_group_size_x
      - .offset:         142
        .size:           2
        .value_kind:     hidden_group_size_y
      - .offset:         144
        .size:           2
        .value_kind:     hidden_group_size_z
      - .offset:         146
        .size:           2
        .value_kind:     hidden_remainder_x
      - .offset:         148
        .size:           2
        .value_kind:     hidden_remainder_y
      - .offset:         150
        .size:           2
        .value_kind:     hidden_remainder_z
      - .offset:         168
        .size:           8
        .value_kind:     hidden_global_offset_x
      - .offset:         176
        .size:           8
        .value_kind:     hidden_global_offset_y
      - .offset:         184
        .size:           8
        .value_kind:     hidden_global_offset_z
      - .offset:         192
        .size:           2
        .value_kind:     hidden_grid_dims
      - .offset:         248
        .size:           4
        .value_kind:     hidden_dynamic_lds_size
    .group_segment_fixed_size: 1040
    .kernarg_segment_align: 8
    .kernarg_segment_size: 384
    .language:       OpenCL C
    .language_version:
      - 2
      - 0
    .max_flat_workgroup_size: 1024
    .name:           _ZN4vllm25paged_attention_v1_kernelIfhLi256ELi8ELi128ELNS_18Fp8KVCacheDataTypeE1ELb1EEEvPT_PKS2_PKT0_S8_ifPKiSA_iPKfiiiSC_SC_iiiii
    .private_segment_fixed_size: 0
    .sgpr_count:     54
    .sgpr_spill_count: 0
    .symbol:         _ZN4vllm25paged_attention_v1_kernelIfhLi256ELi8ELi128ELNS_18Fp8KVCacheDataTypeE1ELb1EEEvPT_PKS2_PKT0_S8_ifPKiSA_iPKfiiiSC_SC_iiiii.kd
    .uniform_work_group_size: 1
    .uses_dynamic_stack: false
    .vgpr_count:     89
    .vgpr_spill_count: 0
    .wavefront_size: 64
  - .agpr_count:     0
    .args:
      - .actual_access:  write_only
        .address_space:  global
        .offset:         0
        .size:           8
        .value_kind:     global_buffer
      - .actual_access:  read_only
        .address_space:  global
        .offset:         8
        .size:           8
        .value_kind:     global_buffer
      - .actual_access:  read_only
        .address_space:  global
        .offset:         16
        .size:           8
        .value_kind:     global_buffer
      - .actual_access:  read_only
        .address_space:  global
        .offset:         24
        .size:           8
        .value_kind:     global_buffer
      - .offset:         32
        .size:           4
        .value_kind:     by_value
      - .offset:         36
        .size:           4
        .value_kind:     by_value
      - .actual_access:  read_only
        .address_space:  global
        .offset:         40
        .size:           8
        .value_kind:     global_buffer
      - .actual_access:  read_only
        .address_space:  global
        .offset:         48
        .size:           8
        .value_kind:     global_buffer
      - .offset:         56
        .size:           4
        .value_kind:     by_value
      - .actual_access:  read_only
        .address_space:  global
        .offset:         64
        .size:           8
        .value_kind:     global_buffer
      - .offset:         72
        .size:           4
        .value_kind:     by_value
      - .offset:         76
        .size:           4
        .value_kind:     by_value
      - .offset:         80
        .size:           4
        .value_kind:     by_value
      - .address_space:  global
        .offset:         88
        .size:           8
        .value_kind:     global_buffer
      - .address_space:  global
        .offset:         96
        .size:           8
        .value_kind:     global_buffer
      - .offset:         104
        .size:           4
        .value_kind:     by_value
      - .offset:         108
        .size:           4
        .value_kind:     by_value
      - .offset:         112
        .size:           4
        .value_kind:     by_value
      - .offset:         116
        .size:           4
        .value_kind:     by_value
      - .offset:         120
        .size:           4
        .value_kind:     by_value
      - .offset:         128
        .size:           4
        .value_kind:     hidden_block_count_x
      - .offset:         132
        .size:           4
        .value_kind:     hidden_block_count_y
      - .offset:         136
        .size:           4
        .value_kind:     hidden_block_count_z
      - .offset:         140
        .size:           2
        .value_kind:     hidden_group_size_x
      - .offset:         142
        .size:           2
        .value_kind:     hidden_group_size_y
      - .offset:         144
        .size:           2
        .value_kind:     hidden_group_size_z
      - .offset:         146
        .size:           2
        .value_kind:     hidden_remainder_x
      - .offset:         148
        .size:           2
        .value_kind:     hidden_remainder_y
      - .offset:         150
        .size:           2
        .value_kind:     hidden_remainder_z
      - .offset:         168
        .size:           8
        .value_kind:     hidden_global_offset_x
      - .offset:         176
        .size:           8
        .value_kind:     hidden_global_offset_y
      - .offset:         184
        .size:           8
        .value_kind:     hidden_global_offset_z
      - .offset:         192
        .size:           2
        .value_kind:     hidden_grid_dims
      - .offset:         248
        .size:           4
        .value_kind:     hidden_dynamic_lds_size
    .group_segment_fixed_size: 144
    .kernarg_segment_align: 8
    .kernarg_segment_size: 384
    .language:       OpenCL C
    .language_version:
      - 2
      - 0
    .max_flat_workgroup_size: 1024
    .name:           _ZN4vllm25paged_attention_v1_kernelIfhLi32ELi8ELi128ELNS_18Fp8KVCacheDataTypeE1ELb0EEEvPT_PKS2_PKT0_S8_ifPKiSA_iPKfiiiSC_SC_iiiii
    .private_segment_fixed_size: 0
    .sgpr_count:     43
    .sgpr_spill_count: 0
    .symbol:         _ZN4vllm25paged_attention_v1_kernelIfhLi32ELi8ELi128ELNS_18Fp8KVCacheDataTypeE1ELb0EEEvPT_PKS2_PKT0_S8_ifPKiSA_iPKfiiiSC_SC_iiiii.kd
    .uniform_work_group_size: 1
    .uses_dynamic_stack: false
    .vgpr_count:     29
    .vgpr_spill_count: 0
    .wavefront_size: 64
  - .agpr_count:     0
    .args:
      - .actual_access:  write_only
        .address_space:  global
        .offset:         0
        .size:           8
        .value_kind:     global_buffer
      - .actual_access:  read_only
        .address_space:  global
        .offset:         8
        .size:           8
        .value_kind:     global_buffer
      - .actual_access:  read_only
        .address_space:  global
        .offset:         16
        .size:           8
        .value_kind:     global_buffer
      - .actual_access:  read_only
        .address_space:  global
        .offset:         24
        .size:           8
        .value_kind:     global_buffer
      - .offset:         32
        .size:           4
        .value_kind:     by_value
      - .offset:         36
        .size:           4
        .value_kind:     by_value
      - .actual_access:  read_only
        .address_space:  global
        .offset:         40
        .size:           8
        .value_kind:     global_buffer
      - .actual_access:  read_only
        .address_space:  global
        .offset:         48
        .size:           8
        .value_kind:     global_buffer
      - .offset:         56
        .size:           4
        .value_kind:     by_value
      - .actual_access:  read_only
        .address_space:  global
        .offset:         64
        .size:           8
        .value_kind:     global_buffer
      - .offset:         72
        .size:           4
        .value_kind:     by_value
      - .offset:         76
        .size:           4
        .value_kind:     by_value
      - .offset:         80
        .size:           4
        .value_kind:     by_value
      - .address_space:  global
        .offset:         88
        .size:           8
        .value_kind:     global_buffer
      - .address_space:  global
        .offset:         96
        .size:           8
        .value_kind:     global_buffer
      - .offset:         104
        .size:           4
        .value_kind:     by_value
      - .offset:         108
        .size:           4
        .value_kind:     by_value
      - .offset:         112
        .size:           4
        .value_kind:     by_value
      - .offset:         116
        .size:           4
        .value_kind:     by_value
      - .offset:         120
        .size:           4
        .value_kind:     by_value
      - .offset:         128
        .size:           4
        .value_kind:     hidden_block_count_x
      - .offset:         132
        .size:           4
        .value_kind:     hidden_block_count_y
      - .offset:         136
        .size:           4
        .value_kind:     hidden_block_count_z
      - .offset:         140
        .size:           2
        .value_kind:     hidden_group_size_x
      - .offset:         142
        .size:           2
        .value_kind:     hidden_group_size_y
      - .offset:         144
        .size:           2
        .value_kind:     hidden_group_size_z
      - .offset:         146
        .size:           2
        .value_kind:     hidden_remainder_x
      - .offset:         148
        .size:           2
        .value_kind:     hidden_remainder_y
      - .offset:         150
        .size:           2
        .value_kind:     hidden_remainder_z
      - .offset:         168
        .size:           8
        .value_kind:     hidden_global_offset_x
      - .offset:         176
        .size:           8
        .value_kind:     hidden_global_offset_y
      - .offset:         184
        .size:           8
        .value_kind:     hidden_global_offset_z
      - .offset:         192
        .size:           2
        .value_kind:     hidden_grid_dims
      - .offset:         248
        .size:           4
        .value_kind:     hidden_dynamic_lds_size
    .group_segment_fixed_size: 272
    .kernarg_segment_align: 8
    .kernarg_segment_size: 384
    .language:       OpenCL C
    .language_version:
      - 2
      - 0
    .max_flat_workgroup_size: 1024
    .name:           _ZN4vllm25paged_attention_v1_kernelIfhLi64ELi8ELi128ELNS_18Fp8KVCacheDataTypeE1ELb0EEEvPT_PKS2_PKT0_S8_ifPKiSA_iPKfiiiSC_SC_iiiii
    .private_segment_fixed_size: 0
    .sgpr_count:     45
    .sgpr_spill_count: 0
    .symbol:         _ZN4vllm25paged_attention_v1_kernelIfhLi64ELi8ELi128ELNS_18Fp8KVCacheDataTypeE1ELb0EEEvPT_PKS2_PKT0_S8_ifPKiSA_iPKfiiiSC_SC_iiiii.kd
    .uniform_work_group_size: 1
    .uses_dynamic_stack: false
    .vgpr_count:     37
    .vgpr_spill_count: 0
    .wavefront_size: 64
  - .agpr_count:     0
    .args:
      - .actual_access:  write_only
        .address_space:  global
        .offset:         0
        .size:           8
        .value_kind:     global_buffer
      - .actual_access:  read_only
        .address_space:  global
        .offset:         8
        .size:           8
        .value_kind:     global_buffer
      - .actual_access:  read_only
        .address_space:  global
        .offset:         16
        .size:           8
        .value_kind:     global_buffer
      - .actual_access:  read_only
        .address_space:  global
        .offset:         24
        .size:           8
        .value_kind:     global_buffer
      - .offset:         32
        .size:           4
        .value_kind:     by_value
      - .offset:         36
        .size:           4
        .value_kind:     by_value
      - .actual_access:  read_only
        .address_space:  global
        .offset:         40
        .size:           8
        .value_kind:     global_buffer
      - .actual_access:  read_only
        .address_space:  global
        .offset:         48
        .size:           8
        .value_kind:     global_buffer
      - .offset:         56
        .size:           4
        .value_kind:     by_value
      - .actual_access:  read_only
        .address_space:  global
        .offset:         64
        .size:           8
        .value_kind:     global_buffer
      - .offset:         72
        .size:           4
        .value_kind:     by_value
      - .offset:         76
        .size:           4
        .value_kind:     by_value
      - .offset:         80
        .size:           4
        .value_kind:     by_value
      - .address_space:  global
        .offset:         88
        .size:           8
        .value_kind:     global_buffer
      - .address_space:  global
        .offset:         96
        .size:           8
        .value_kind:     global_buffer
      - .offset:         104
        .size:           4
        .value_kind:     by_value
      - .offset:         108
        .size:           4
        .value_kind:     by_value
      - .offset:         112
        .size:           4
        .value_kind:     by_value
      - .offset:         116
        .size:           4
        .value_kind:     by_value
      - .offset:         120
        .size:           4
        .value_kind:     by_value
      - .offset:         128
        .size:           4
        .value_kind:     hidden_block_count_x
      - .offset:         132
        .size:           4
        .value_kind:     hidden_block_count_y
      - .offset:         136
        .size:           4
        .value_kind:     hidden_block_count_z
      - .offset:         140
        .size:           2
        .value_kind:     hidden_group_size_x
      - .offset:         142
        .size:           2
        .value_kind:     hidden_group_size_y
      - .offset:         144
        .size:           2
        .value_kind:     hidden_group_size_z
      - .offset:         146
        .size:           2
        .value_kind:     hidden_remainder_x
      - .offset:         148
        .size:           2
        .value_kind:     hidden_remainder_y
      - .offset:         150
        .size:           2
        .value_kind:     hidden_remainder_z
      - .offset:         168
        .size:           8
        .value_kind:     hidden_global_offset_x
      - .offset:         176
        .size:           8
        .value_kind:     hidden_global_offset_y
      - .offset:         184
        .size:           8
        .value_kind:     hidden_global_offset_z
      - .offset:         192
        .size:           2
        .value_kind:     hidden_grid_dims
      - .offset:         248
        .size:           4
        .value_kind:     hidden_dynamic_lds_size
    .group_segment_fixed_size: 336
    .kernarg_segment_align: 8
    .kernarg_segment_size: 384
    .language:       OpenCL C
    .language_version:
      - 2
      - 0
    .max_flat_workgroup_size: 1024
    .name:           _ZN4vllm25paged_attention_v1_kernelIfhLi80ELi8ELi128ELNS_18Fp8KVCacheDataTypeE1ELb0EEEvPT_PKS2_PKT0_S8_ifPKiSA_iPKfiiiSC_SC_iiiii
    .private_segment_fixed_size: 0
    .sgpr_count:     43
    .sgpr_spill_count: 0
    .symbol:         _ZN4vllm25paged_attention_v1_kernelIfhLi80ELi8ELi128ELNS_18Fp8KVCacheDataTypeE1ELb0EEEvPT_PKS2_PKT0_S8_ifPKiSA_iPKfiiiSC_SC_iiiii.kd
    .uniform_work_group_size: 1
    .uses_dynamic_stack: false
    .vgpr_count:     41
    .vgpr_spill_count: 0
    .wavefront_size: 64
  - .agpr_count:     0
    .args:
      - .actual_access:  write_only
        .address_space:  global
        .offset:         0
        .size:           8
        .value_kind:     global_buffer
      - .actual_access:  read_only
        .address_space:  global
        .offset:         8
        .size:           8
        .value_kind:     global_buffer
      - .actual_access:  read_only
        .address_space:  global
        .offset:         16
        .size:           8
        .value_kind:     global_buffer
      - .actual_access:  read_only
        .address_space:  global
        .offset:         24
        .size:           8
        .value_kind:     global_buffer
      - .offset:         32
        .size:           4
        .value_kind:     by_value
      - .offset:         36
        .size:           4
        .value_kind:     by_value
      - .actual_access:  read_only
        .address_space:  global
        .offset:         40
        .size:           8
        .value_kind:     global_buffer
      - .actual_access:  read_only
        .address_space:  global
        .offset:         48
        .size:           8
        .value_kind:     global_buffer
      - .offset:         56
        .size:           4
        .value_kind:     by_value
      - .actual_access:  read_only
        .address_space:  global
        .offset:         64
        .size:           8
        .value_kind:     global_buffer
      - .offset:         72
        .size:           4
        .value_kind:     by_value
      - .offset:         76
        .size:           4
        .value_kind:     by_value
      - .offset:         80
        .size:           4
        .value_kind:     by_value
      - .address_space:  global
        .offset:         88
        .size:           8
        .value_kind:     global_buffer
      - .address_space:  global
        .offset:         96
        .size:           8
        .value_kind:     global_buffer
      - .offset:         104
        .size:           4
        .value_kind:     by_value
      - .offset:         108
        .size:           4
        .value_kind:     by_value
      - .offset:         112
        .size:           4
        .value_kind:     by_value
      - .offset:         116
        .size:           4
        .value_kind:     by_value
      - .offset:         120
        .size:           4
        .value_kind:     by_value
      - .offset:         128
        .size:           4
        .value_kind:     hidden_block_count_x
      - .offset:         132
        .size:           4
        .value_kind:     hidden_block_count_y
      - .offset:         136
        .size:           4
        .value_kind:     hidden_block_count_z
      - .offset:         140
        .size:           2
        .value_kind:     hidden_group_size_x
      - .offset:         142
        .size:           2
        .value_kind:     hidden_group_size_y
      - .offset:         144
        .size:           2
        .value_kind:     hidden_group_size_z
      - .offset:         146
        .size:           2
        .value_kind:     hidden_remainder_x
      - .offset:         148
        .size:           2
        .value_kind:     hidden_remainder_y
      - .offset:         150
        .size:           2
        .value_kind:     hidden_remainder_z
      - .offset:         168
        .size:           8
        .value_kind:     hidden_global_offset_x
      - .offset:         176
        .size:           8
        .value_kind:     hidden_global_offset_y
      - .offset:         184
        .size:           8
        .value_kind:     hidden_global_offset_z
      - .offset:         192
        .size:           2
        .value_kind:     hidden_grid_dims
      - .offset:         248
        .size:           4
        .value_kind:     hidden_dynamic_lds_size
    .group_segment_fixed_size: 400
    .kernarg_segment_align: 8
    .kernarg_segment_size: 384
    .language:       OpenCL C
    .language_version:
      - 2
      - 0
    .max_flat_workgroup_size: 1024
    .name:           _ZN4vllm25paged_attention_v1_kernelIfhLi96ELi8ELi128ELNS_18Fp8KVCacheDataTypeE1ELb0EEEvPT_PKS2_PKT0_S8_ifPKiSA_iPKfiiiSC_SC_iiiii
    .private_segment_fixed_size: 0
    .sgpr_count:     43
    .sgpr_spill_count: 0
    .symbol:         _ZN4vllm25paged_attention_v1_kernelIfhLi96ELi8ELi128ELNS_18Fp8KVCacheDataTypeE1ELb0EEEvPT_PKS2_PKT0_S8_ifPKiSA_iPKfiiiSC_SC_iiiii.kd
    .uniform_work_group_size: 1
    .uses_dynamic_stack: false
    .vgpr_count:     45
    .vgpr_spill_count: 0
    .wavefront_size: 64
  - .agpr_count:     0
    .args:
      - .actual_access:  write_only
        .address_space:  global
        .offset:         0
        .size:           8
        .value_kind:     global_buffer
      - .actual_access:  read_only
        .address_space:  global
        .offset:         8
        .size:           8
        .value_kind:     global_buffer
      - .actual_access:  read_only
        .address_space:  global
        .offset:         16
        .size:           8
        .value_kind:     global_buffer
      - .actual_access:  read_only
        .address_space:  global
        .offset:         24
        .size:           8
        .value_kind:     global_buffer
      - .offset:         32
        .size:           4
        .value_kind:     by_value
      - .offset:         36
        .size:           4
        .value_kind:     by_value
      - .actual_access:  read_only
        .address_space:  global
        .offset:         40
        .size:           8
        .value_kind:     global_buffer
      - .actual_access:  read_only
        .address_space:  global
        .offset:         48
        .size:           8
        .value_kind:     global_buffer
      - .offset:         56
        .size:           4
        .value_kind:     by_value
      - .actual_access:  read_only
        .address_space:  global
        .offset:         64
        .size:           8
        .value_kind:     global_buffer
      - .offset:         72
        .size:           4
        .value_kind:     by_value
      - .offset:         76
        .size:           4
        .value_kind:     by_value
      - .offset:         80
        .size:           4
        .value_kind:     by_value
      - .address_space:  global
        .offset:         88
        .size:           8
        .value_kind:     global_buffer
      - .address_space:  global
        .offset:         96
        .size:           8
        .value_kind:     global_buffer
      - .offset:         104
        .size:           4
        .value_kind:     by_value
      - .offset:         108
        .size:           4
        .value_kind:     by_value
      - .offset:         112
        .size:           4
        .value_kind:     by_value
      - .offset:         116
        .size:           4
        .value_kind:     by_value
      - .offset:         120
        .size:           4
        .value_kind:     by_value
      - .offset:         128
        .size:           4
        .value_kind:     hidden_block_count_x
      - .offset:         132
        .size:           4
        .value_kind:     hidden_block_count_y
      - .offset:         136
        .size:           4
        .value_kind:     hidden_block_count_z
      - .offset:         140
        .size:           2
        .value_kind:     hidden_group_size_x
      - .offset:         142
        .size:           2
        .value_kind:     hidden_group_size_y
      - .offset:         144
        .size:           2
        .value_kind:     hidden_group_size_z
      - .offset:         146
        .size:           2
        .value_kind:     hidden_remainder_x
      - .offset:         148
        .size:           2
        .value_kind:     hidden_remainder_y
      - .offset:         150
        .size:           2
        .value_kind:     hidden_remainder_z
      - .offset:         168
        .size:           8
        .value_kind:     hidden_global_offset_x
      - .offset:         176
        .size:           8
        .value_kind:     hidden_global_offset_y
      - .offset:         184
        .size:           8
        .value_kind:     hidden_global_offset_z
      - .offset:         192
        .size:           2
        .value_kind:     hidden_grid_dims
      - .offset:         248
        .size:           4
        .value_kind:     hidden_dynamic_lds_size
    .group_segment_fixed_size: 464
    .kernarg_segment_align: 8
    .kernarg_segment_size: 384
    .language:       OpenCL C
    .language_version:
      - 2
      - 0
    .max_flat_workgroup_size: 1024
    .name:           _ZN4vllm25paged_attention_v1_kernelIfhLi112ELi8ELi128ELNS_18Fp8KVCacheDataTypeE1ELb0EEEvPT_PKS2_PKT0_S8_ifPKiSA_iPKfiiiSC_SC_iiiii
    .private_segment_fixed_size: 0
    .sgpr_count:     43
    .sgpr_spill_count: 0
    .symbol:         _ZN4vllm25paged_attention_v1_kernelIfhLi112ELi8ELi128ELNS_18Fp8KVCacheDataTypeE1ELb0EEEvPT_PKS2_PKT0_S8_ifPKiSA_iPKfiiiSC_SC_iiiii.kd
    .uniform_work_group_size: 1
    .uses_dynamic_stack: false
    .vgpr_count:     49
    .vgpr_spill_count: 0
    .wavefront_size: 64
  - .agpr_count:     0
    .args:
      - .actual_access:  write_only
        .address_space:  global
        .offset:         0
        .size:           8
        .value_kind:     global_buffer
      - .actual_access:  read_only
        .address_space:  global
        .offset:         8
        .size:           8
        .value_kind:     global_buffer
      - .actual_access:  read_only
        .address_space:  global
        .offset:         16
        .size:           8
        .value_kind:     global_buffer
      - .actual_access:  read_only
        .address_space:  global
        .offset:         24
        .size:           8
        .value_kind:     global_buffer
      - .offset:         32
        .size:           4
        .value_kind:     by_value
      - .offset:         36
        .size:           4
        .value_kind:     by_value
      - .actual_access:  read_only
        .address_space:  global
        .offset:         40
        .size:           8
        .value_kind:     global_buffer
      - .actual_access:  read_only
        .address_space:  global
        .offset:         48
        .size:           8
        .value_kind:     global_buffer
      - .offset:         56
        .size:           4
        .value_kind:     by_value
      - .actual_access:  read_only
        .address_space:  global
        .offset:         64
        .size:           8
        .value_kind:     global_buffer
      - .offset:         72
        .size:           4
        .value_kind:     by_value
      - .offset:         76
        .size:           4
        .value_kind:     by_value
      - .offset:         80
        .size:           4
        .value_kind:     by_value
      - .address_space:  global
        .offset:         88
        .size:           8
        .value_kind:     global_buffer
      - .address_space:  global
        .offset:         96
        .size:           8
        .value_kind:     global_buffer
      - .offset:         104
        .size:           4
        .value_kind:     by_value
      - .offset:         108
        .size:           4
        .value_kind:     by_value
      - .offset:         112
        .size:           4
        .value_kind:     by_value
      - .offset:         116
        .size:           4
        .value_kind:     by_value
      - .offset:         120
        .size:           4
        .value_kind:     by_value
      - .offset:         128
        .size:           4
        .value_kind:     hidden_block_count_x
      - .offset:         132
        .size:           4
        .value_kind:     hidden_block_count_y
      - .offset:         136
        .size:           4
        .value_kind:     hidden_block_count_z
      - .offset:         140
        .size:           2
        .value_kind:     hidden_group_size_x
      - .offset:         142
        .size:           2
        .value_kind:     hidden_group_size_y
      - .offset:         144
        .size:           2
        .value_kind:     hidden_group_size_z
      - .offset:         146
        .size:           2
        .value_kind:     hidden_remainder_x
      - .offset:         148
        .size:           2
        .value_kind:     hidden_remainder_y
      - .offset:         150
        .size:           2
        .value_kind:     hidden_remainder_z
      - .offset:         168
        .size:           8
        .value_kind:     hidden_global_offset_x
      - .offset:         176
        .size:           8
        .value_kind:     hidden_global_offset_y
      - .offset:         184
        .size:           8
        .value_kind:     hidden_global_offset_z
      - .offset:         192
        .size:           2
        .value_kind:     hidden_grid_dims
      - .offset:         248
        .size:           4
        .value_kind:     hidden_dynamic_lds_size
    .group_segment_fixed_size: 496
    .kernarg_segment_align: 8
    .kernarg_segment_size: 384
    .language:       OpenCL C
    .language_version:
      - 2
      - 0
    .max_flat_workgroup_size: 1024
    .name:           _ZN4vllm25paged_attention_v1_kernelIfhLi120ELi8ELi128ELNS_18Fp8KVCacheDataTypeE1ELb0EEEvPT_PKS2_PKT0_S8_ifPKiSA_iPKfiiiSC_SC_iiiii
    .private_segment_fixed_size: 0
    .sgpr_count:     43
    .sgpr_spill_count: 0
    .symbol:         _ZN4vllm25paged_attention_v1_kernelIfhLi120ELi8ELi128ELNS_18Fp8KVCacheDataTypeE1ELb0EEEvPT_PKS2_PKT0_S8_ifPKiSA_iPKfiiiSC_SC_iiiii.kd
    .uniform_work_group_size: 1
    .uses_dynamic_stack: false
    .vgpr_count:     51
    .vgpr_spill_count: 0
    .wavefront_size: 64
  - .agpr_count:     0
    .args:
      - .actual_access:  write_only
        .address_space:  global
        .offset:         0
        .size:           8
        .value_kind:     global_buffer
      - .actual_access:  read_only
        .address_space:  global
        .offset:         8
        .size:           8
        .value_kind:     global_buffer
      - .actual_access:  read_only
        .address_space:  global
        .offset:         16
        .size:           8
        .value_kind:     global_buffer
      - .actual_access:  read_only
        .address_space:  global
        .offset:         24
        .size:           8
        .value_kind:     global_buffer
      - .offset:         32
        .size:           4
        .value_kind:     by_value
      - .offset:         36
        .size:           4
        .value_kind:     by_value
      - .actual_access:  read_only
        .address_space:  global
        .offset:         40
        .size:           8
        .value_kind:     global_buffer
      - .actual_access:  read_only
        .address_space:  global
        .offset:         48
        .size:           8
        .value_kind:     global_buffer
      - .offset:         56
        .size:           4
        .value_kind:     by_value
      - .actual_access:  read_only
        .address_space:  global
        .offset:         64
        .size:           8
        .value_kind:     global_buffer
      - .offset:         72
        .size:           4
        .value_kind:     by_value
      - .offset:         76
        .size:           4
        .value_kind:     by_value
      - .offset:         80
        .size:           4
        .value_kind:     by_value
      - .address_space:  global
        .offset:         88
        .size:           8
        .value_kind:     global_buffer
      - .address_space:  global
        .offset:         96
        .size:           8
        .value_kind:     global_buffer
      - .offset:         104
        .size:           4
        .value_kind:     by_value
      - .offset:         108
        .size:           4
        .value_kind:     by_value
      - .offset:         112
        .size:           4
        .value_kind:     by_value
      - .offset:         116
        .size:           4
        .value_kind:     by_value
      - .offset:         120
        .size:           4
        .value_kind:     by_value
      - .offset:         128
        .size:           4
        .value_kind:     hidden_block_count_x
      - .offset:         132
        .size:           4
        .value_kind:     hidden_block_count_y
      - .offset:         136
        .size:           4
        .value_kind:     hidden_block_count_z
      - .offset:         140
        .size:           2
        .value_kind:     hidden_group_size_x
      - .offset:         142
        .size:           2
        .value_kind:     hidden_group_size_y
      - .offset:         144
        .size:           2
        .value_kind:     hidden_group_size_z
      - .offset:         146
        .size:           2
        .value_kind:     hidden_remainder_x
      - .offset:         148
        .size:           2
        .value_kind:     hidden_remainder_y
      - .offset:         150
        .size:           2
        .value_kind:     hidden_remainder_z
      - .offset:         168
        .size:           8
        .value_kind:     hidden_global_offset_x
      - .offset:         176
        .size:           8
        .value_kind:     hidden_global_offset_y
      - .offset:         184
        .size:           8
        .value_kind:     hidden_global_offset_z
      - .offset:         192
        .size:           2
        .value_kind:     hidden_grid_dims
      - .offset:         248
        .size:           4
        .value_kind:     hidden_dynamic_lds_size
    .group_segment_fixed_size: 528
    .kernarg_segment_align: 8
    .kernarg_segment_size: 384
    .language:       OpenCL C
    .language_version:
      - 2
      - 0
    .max_flat_workgroup_size: 1024
    .name:           _ZN4vllm25paged_attention_v1_kernelIfhLi128ELi8ELi128ELNS_18Fp8KVCacheDataTypeE1ELb0EEEvPT_PKS2_PKT0_S8_ifPKiSA_iPKfiiiSC_SC_iiiii
    .private_segment_fixed_size: 0
    .sgpr_count:     43
    .sgpr_spill_count: 0
    .symbol:         _ZN4vllm25paged_attention_v1_kernelIfhLi128ELi8ELi128ELNS_18Fp8KVCacheDataTypeE1ELb0EEEvPT_PKS2_PKT0_S8_ifPKiSA_iPKfiiiSC_SC_iiiii.kd
    .uniform_work_group_size: 1
    .uses_dynamic_stack: false
    .vgpr_count:     52
    .vgpr_spill_count: 0
    .wavefront_size: 64
  - .agpr_count:     0
    .args:
      - .actual_access:  write_only
        .address_space:  global
        .offset:         0
        .size:           8
        .value_kind:     global_buffer
      - .actual_access:  read_only
        .address_space:  global
        .offset:         8
        .size:           8
        .value_kind:     global_buffer
      - .actual_access:  read_only
        .address_space:  global
        .offset:         16
        .size:           8
        .value_kind:     global_buffer
      - .actual_access:  read_only
        .address_space:  global
        .offset:         24
        .size:           8
        .value_kind:     global_buffer
      - .offset:         32
        .size:           4
        .value_kind:     by_value
      - .offset:         36
        .size:           4
        .value_kind:     by_value
      - .actual_access:  read_only
        .address_space:  global
        .offset:         40
        .size:           8
        .value_kind:     global_buffer
      - .actual_access:  read_only
        .address_space:  global
        .offset:         48
        .size:           8
        .value_kind:     global_buffer
      - .offset:         56
        .size:           4
        .value_kind:     by_value
      - .actual_access:  read_only
        .address_space:  global
        .offset:         64
        .size:           8
        .value_kind:     global_buffer
      - .offset:         72
        .size:           4
        .value_kind:     by_value
      - .offset:         76
        .size:           4
        .value_kind:     by_value
      - .offset:         80
        .size:           4
        .value_kind:     by_value
      - .address_space:  global
        .offset:         88
        .size:           8
        .value_kind:     global_buffer
      - .address_space:  global
        .offset:         96
        .size:           8
        .value_kind:     global_buffer
      - .offset:         104
        .size:           4
        .value_kind:     by_value
      - .offset:         108
        .size:           4
        .value_kind:     by_value
      - .offset:         112
        .size:           4
        .value_kind:     by_value
      - .offset:         116
        .size:           4
        .value_kind:     by_value
      - .offset:         120
        .size:           4
        .value_kind:     by_value
      - .offset:         128
        .size:           4
        .value_kind:     hidden_block_count_x
      - .offset:         132
        .size:           4
        .value_kind:     hidden_block_count_y
      - .offset:         136
        .size:           4
        .value_kind:     hidden_block_count_z
      - .offset:         140
        .size:           2
        .value_kind:     hidden_group_size_x
      - .offset:         142
        .size:           2
        .value_kind:     hidden_group_size_y
      - .offset:         144
        .size:           2
        .value_kind:     hidden_group_size_z
      - .offset:         146
        .size:           2
        .value_kind:     hidden_remainder_x
      - .offset:         148
        .size:           2
        .value_kind:     hidden_remainder_y
      - .offset:         150
        .size:           2
        .value_kind:     hidden_remainder_z
      - .offset:         168
        .size:           8
        .value_kind:     hidden_global_offset_x
      - .offset:         176
        .size:           8
        .value_kind:     hidden_global_offset_y
      - .offset:         184
        .size:           8
        .value_kind:     hidden_global_offset_z
      - .offset:         192
        .size:           2
        .value_kind:     hidden_grid_dims
      - .offset:         248
        .size:           4
        .value_kind:     hidden_dynamic_lds_size
    .group_segment_fixed_size: 784
    .kernarg_segment_align: 8
    .kernarg_segment_size: 384
    .language:       OpenCL C
    .language_version:
      - 2
      - 0
    .max_flat_workgroup_size: 1024
    .name:           _ZN4vllm25paged_attention_v1_kernelIfhLi192ELi8ELi128ELNS_18Fp8KVCacheDataTypeE1ELb0EEEvPT_PKS2_PKT0_S8_ifPKiSA_iPKfiiiSC_SC_iiiii
    .private_segment_fixed_size: 0
    .sgpr_count:     43
    .sgpr_spill_count: 0
    .symbol:         _ZN4vllm25paged_attention_v1_kernelIfhLi192ELi8ELi128ELNS_18Fp8KVCacheDataTypeE1ELb0EEEvPT_PKS2_PKT0_S8_ifPKiSA_iPKfiiiSC_SC_iiiii.kd
    .uniform_work_group_size: 1
    .uses_dynamic_stack: false
    .vgpr_count:     67
    .vgpr_spill_count: 0
    .wavefront_size: 64
  - .agpr_count:     0
    .args:
      - .actual_access:  write_only
        .address_space:  global
        .offset:         0
        .size:           8
        .value_kind:     global_buffer
      - .actual_access:  read_only
        .address_space:  global
        .offset:         8
        .size:           8
        .value_kind:     global_buffer
      - .actual_access:  read_only
        .address_space:  global
        .offset:         16
        .size:           8
        .value_kind:     global_buffer
      - .actual_access:  read_only
        .address_space:  global
        .offset:         24
        .size:           8
        .value_kind:     global_buffer
      - .offset:         32
        .size:           4
        .value_kind:     by_value
      - .offset:         36
        .size:           4
        .value_kind:     by_value
      - .actual_access:  read_only
        .address_space:  global
        .offset:         40
        .size:           8
        .value_kind:     global_buffer
      - .actual_access:  read_only
        .address_space:  global
        .offset:         48
        .size:           8
        .value_kind:     global_buffer
      - .offset:         56
        .size:           4
        .value_kind:     by_value
      - .actual_access:  read_only
        .address_space:  global
        .offset:         64
        .size:           8
        .value_kind:     global_buffer
      - .offset:         72
        .size:           4
        .value_kind:     by_value
      - .offset:         76
        .size:           4
        .value_kind:     by_value
      - .offset:         80
        .size:           4
        .value_kind:     by_value
      - .address_space:  global
        .offset:         88
        .size:           8
        .value_kind:     global_buffer
      - .address_space:  global
        .offset:         96
        .size:           8
        .value_kind:     global_buffer
      - .offset:         104
        .size:           4
        .value_kind:     by_value
      - .offset:         108
        .size:           4
        .value_kind:     by_value
      - .offset:         112
        .size:           4
        .value_kind:     by_value
      - .offset:         116
        .size:           4
        .value_kind:     by_value
      - .offset:         120
        .size:           4
        .value_kind:     by_value
      - .offset:         128
        .size:           4
        .value_kind:     hidden_block_count_x
      - .offset:         132
        .size:           4
        .value_kind:     hidden_block_count_y
      - .offset:         136
        .size:           4
        .value_kind:     hidden_block_count_z
      - .offset:         140
        .size:           2
        .value_kind:     hidden_group_size_x
      - .offset:         142
        .size:           2
        .value_kind:     hidden_group_size_y
      - .offset:         144
        .size:           2
        .value_kind:     hidden_group_size_z
      - .offset:         146
        .size:           2
        .value_kind:     hidden_remainder_x
      - .offset:         148
        .size:           2
        .value_kind:     hidden_remainder_y
      - .offset:         150
        .size:           2
        .value_kind:     hidden_remainder_z
      - .offset:         168
        .size:           8
        .value_kind:     hidden_global_offset_x
      - .offset:         176
        .size:           8
        .value_kind:     hidden_global_offset_y
      - .offset:         184
        .size:           8
        .value_kind:     hidden_global_offset_z
      - .offset:         192
        .size:           2
        .value_kind:     hidden_grid_dims
      - .offset:         248
        .size:           4
        .value_kind:     hidden_dynamic_lds_size
    .group_segment_fixed_size: 1040
    .kernarg_segment_align: 8
    .kernarg_segment_size: 384
    .language:       OpenCL C
    .language_version:
      - 2
      - 0
    .max_flat_workgroup_size: 1024
    .name:           _ZN4vllm25paged_attention_v1_kernelIfhLi256ELi8ELi128ELNS_18Fp8KVCacheDataTypeE1ELb0EEEvPT_PKS2_PKT0_S8_ifPKiSA_iPKfiiiSC_SC_iiiii
    .private_segment_fixed_size: 0
    .sgpr_count:     43
    .sgpr_spill_count: 0
    .symbol:         _ZN4vllm25paged_attention_v1_kernelIfhLi256ELi8ELi128ELNS_18Fp8KVCacheDataTypeE1ELb0EEEvPT_PKS2_PKT0_S8_ifPKiSA_iPKfiiiSC_SC_iiiii.kd
    .uniform_work_group_size: 1
    .uses_dynamic_stack: false
    .vgpr_count:     83
    .vgpr_spill_count: 0
    .wavefront_size: 64
  - .agpr_count:     0
    .args:
      - .actual_access:  write_only
        .address_space:  global
        .offset:         0
        .size:           8
        .value_kind:     global_buffer
      - .actual_access:  read_only
        .address_space:  global
        .offset:         8
        .size:           8
        .value_kind:     global_buffer
      - .actual_access:  read_only
        .address_space:  global
        .offset:         16
        .size:           8
        .value_kind:     global_buffer
      - .actual_access:  read_only
        .address_space:  global
        .offset:         24
        .size:           8
        .value_kind:     global_buffer
      - .offset:         32
        .size:           4
        .value_kind:     by_value
      - .offset:         36
        .size:           4
        .value_kind:     by_value
      - .actual_access:  read_only
        .address_space:  global
        .offset:         40
        .size:           8
        .value_kind:     global_buffer
      - .actual_access:  read_only
        .address_space:  global
        .offset:         48
        .size:           8
        .value_kind:     global_buffer
      - .offset:         56
        .size:           4
        .value_kind:     by_value
      - .actual_access:  read_only
        .address_space:  global
        .offset:         64
        .size:           8
        .value_kind:     global_buffer
      - .offset:         72
        .size:           4
        .value_kind:     by_value
      - .offset:         76
        .size:           4
        .value_kind:     by_value
      - .offset:         80
        .size:           4
        .value_kind:     by_value
      - .address_space:  global
        .offset:         88
        .size:           8
        .value_kind:     global_buffer
      - .address_space:  global
        .offset:         96
        .size:           8
        .value_kind:     global_buffer
      - .offset:         104
        .size:           4
        .value_kind:     by_value
      - .offset:         108
        .size:           4
        .value_kind:     by_value
      - .offset:         112
        .size:           4
        .value_kind:     by_value
      - .offset:         116
        .size:           4
        .value_kind:     by_value
      - .offset:         120
        .size:           4
        .value_kind:     by_value
      - .offset:         128
        .size:           4
        .value_kind:     hidden_block_count_x
      - .offset:         132
        .size:           4
        .value_kind:     hidden_block_count_y
      - .offset:         136
        .size:           4
        .value_kind:     hidden_block_count_z
      - .offset:         140
        .size:           2
        .value_kind:     hidden_group_size_x
      - .offset:         142
        .size:           2
        .value_kind:     hidden_group_size_y
      - .offset:         144
        .size:           2
        .value_kind:     hidden_group_size_z
      - .offset:         146
        .size:           2
        .value_kind:     hidden_remainder_x
      - .offset:         148
        .size:           2
        .value_kind:     hidden_remainder_y
      - .offset:         150
        .size:           2
        .value_kind:     hidden_remainder_z
      - .offset:         168
        .size:           8
        .value_kind:     hidden_global_offset_x
      - .offset:         176
        .size:           8
        .value_kind:     hidden_global_offset_y
      - .offset:         184
        .size:           8
        .value_kind:     hidden_global_offset_z
      - .offset:         192
        .size:           2
        .value_kind:     hidden_grid_dims
      - .offset:         248
        .size:           4
        .value_kind:     hidden_dynamic_lds_size
    .group_segment_fixed_size: 144
    .kernarg_segment_align: 8
    .kernarg_segment_size: 384
    .language:       OpenCL C
    .language_version:
      - 2
      - 0
    .max_flat_workgroup_size: 1024
    .name:           _ZN4vllm25paged_attention_v1_kernelIfhLi32ELi16ELi128ELNS_18Fp8KVCacheDataTypeE1ELb1EEEvPT_PKS2_PKT0_S8_ifPKiSA_iPKfiiiSC_SC_iiiii
    .private_segment_fixed_size: 0
    .sgpr_count:     54
    .sgpr_spill_count: 0
    .symbol:         _ZN4vllm25paged_attention_v1_kernelIfhLi32ELi16ELi128ELNS_18Fp8KVCacheDataTypeE1ELb1EEEvPT_PKS2_PKT0_S8_ifPKiSA_iPKfiiiSC_SC_iiiii.kd
    .uniform_work_group_size: 1
    .uses_dynamic_stack: false
    .vgpr_count:     43
    .vgpr_spill_count: 0
    .wavefront_size: 64
  - .agpr_count:     0
    .args:
      - .actual_access:  write_only
        .address_space:  global
        .offset:         0
        .size:           8
        .value_kind:     global_buffer
      - .actual_access:  read_only
        .address_space:  global
        .offset:         8
        .size:           8
        .value_kind:     global_buffer
      - .actual_access:  read_only
        .address_space:  global
        .offset:         16
        .size:           8
        .value_kind:     global_buffer
      - .actual_access:  read_only
        .address_space:  global
        .offset:         24
        .size:           8
        .value_kind:     global_buffer
      - .offset:         32
        .size:           4
        .value_kind:     by_value
      - .offset:         36
        .size:           4
        .value_kind:     by_value
      - .actual_access:  read_only
        .address_space:  global
        .offset:         40
        .size:           8
        .value_kind:     global_buffer
      - .actual_access:  read_only
        .address_space:  global
        .offset:         48
        .size:           8
        .value_kind:     global_buffer
      - .offset:         56
        .size:           4
        .value_kind:     by_value
      - .actual_access:  read_only
        .address_space:  global
        .offset:         64
        .size:           8
        .value_kind:     global_buffer
      - .offset:         72
        .size:           4
        .value_kind:     by_value
      - .offset:         76
        .size:           4
        .value_kind:     by_value
      - .offset:         80
        .size:           4
        .value_kind:     by_value
      - .address_space:  global
        .offset:         88
        .size:           8
        .value_kind:     global_buffer
      - .address_space:  global
        .offset:         96
        .size:           8
        .value_kind:     global_buffer
      - .offset:         104
        .size:           4
        .value_kind:     by_value
      - .offset:         108
        .size:           4
        .value_kind:     by_value
      - .offset:         112
        .size:           4
        .value_kind:     by_value
      - .offset:         116
        .size:           4
        .value_kind:     by_value
      - .offset:         120
        .size:           4
        .value_kind:     by_value
      - .offset:         128
        .size:           4
        .value_kind:     hidden_block_count_x
      - .offset:         132
        .size:           4
        .value_kind:     hidden_block_count_y
      - .offset:         136
        .size:           4
        .value_kind:     hidden_block_count_z
      - .offset:         140
        .size:           2
        .value_kind:     hidden_group_size_x
      - .offset:         142
        .size:           2
        .value_kind:     hidden_group_size_y
      - .offset:         144
        .size:           2
        .value_kind:     hidden_group_size_z
      - .offset:         146
        .size:           2
        .value_kind:     hidden_remainder_x
      - .offset:         148
        .size:           2
        .value_kind:     hidden_remainder_y
      - .offset:         150
        .size:           2
        .value_kind:     hidden_remainder_z
      - .offset:         168
        .size:           8
        .value_kind:     hidden_global_offset_x
      - .offset:         176
        .size:           8
        .value_kind:     hidden_global_offset_y
      - .offset:         184
        .size:           8
        .value_kind:     hidden_global_offset_z
      - .offset:         192
        .size:           2
        .value_kind:     hidden_grid_dims
      - .offset:         248
        .size:           4
        .value_kind:     hidden_dynamic_lds_size
    .group_segment_fixed_size: 272
    .kernarg_segment_align: 8
    .kernarg_segment_size: 384
    .language:       OpenCL C
    .language_version:
      - 2
      - 0
    .max_flat_workgroup_size: 1024
    .name:           _ZN4vllm25paged_attention_v1_kernelIfhLi64ELi16ELi128ELNS_18Fp8KVCacheDataTypeE1ELb1EEEvPT_PKS2_PKT0_S8_ifPKiSA_iPKfiiiSC_SC_iiiii
    .private_segment_fixed_size: 0
    .sgpr_count:     56
    .sgpr_spill_count: 0
    .symbol:         _ZN4vllm25paged_attention_v1_kernelIfhLi64ELi16ELi128ELNS_18Fp8KVCacheDataTypeE1ELb1EEEvPT_PKS2_PKT0_S8_ifPKiSA_iPKfiiiSC_SC_iiiii.kd
    .uniform_work_group_size: 1
    .uses_dynamic_stack: false
    .vgpr_count:     59
    .vgpr_spill_count: 0
    .wavefront_size: 64
  - .agpr_count:     0
    .args:
      - .actual_access:  write_only
        .address_space:  global
        .offset:         0
        .size:           8
        .value_kind:     global_buffer
      - .actual_access:  read_only
        .address_space:  global
        .offset:         8
        .size:           8
        .value_kind:     global_buffer
      - .actual_access:  read_only
        .address_space:  global
        .offset:         16
        .size:           8
        .value_kind:     global_buffer
      - .actual_access:  read_only
        .address_space:  global
        .offset:         24
        .size:           8
        .value_kind:     global_buffer
      - .offset:         32
        .size:           4
        .value_kind:     by_value
      - .offset:         36
        .size:           4
        .value_kind:     by_value
      - .actual_access:  read_only
        .address_space:  global
        .offset:         40
        .size:           8
        .value_kind:     global_buffer
      - .actual_access:  read_only
        .address_space:  global
        .offset:         48
        .size:           8
        .value_kind:     global_buffer
      - .offset:         56
        .size:           4
        .value_kind:     by_value
      - .actual_access:  read_only
        .address_space:  global
        .offset:         64
        .size:           8
        .value_kind:     global_buffer
      - .offset:         72
        .size:           4
        .value_kind:     by_value
      - .offset:         76
        .size:           4
        .value_kind:     by_value
      - .offset:         80
        .size:           4
        .value_kind:     by_value
      - .address_space:  global
        .offset:         88
        .size:           8
        .value_kind:     global_buffer
      - .address_space:  global
        .offset:         96
        .size:           8
        .value_kind:     global_buffer
      - .offset:         104
        .size:           4
        .value_kind:     by_value
      - .offset:         108
        .size:           4
        .value_kind:     by_value
      - .offset:         112
        .size:           4
        .value_kind:     by_value
      - .offset:         116
        .size:           4
        .value_kind:     by_value
      - .offset:         120
        .size:           4
        .value_kind:     by_value
      - .offset:         128
        .size:           4
        .value_kind:     hidden_block_count_x
      - .offset:         132
        .size:           4
        .value_kind:     hidden_block_count_y
      - .offset:         136
        .size:           4
        .value_kind:     hidden_block_count_z
      - .offset:         140
        .size:           2
        .value_kind:     hidden_group_size_x
      - .offset:         142
        .size:           2
        .value_kind:     hidden_group_size_y
      - .offset:         144
        .size:           2
        .value_kind:     hidden_group_size_z
      - .offset:         146
        .size:           2
        .value_kind:     hidden_remainder_x
      - .offset:         148
        .size:           2
        .value_kind:     hidden_remainder_y
      - .offset:         150
        .size:           2
        .value_kind:     hidden_remainder_z
      - .offset:         168
        .size:           8
        .value_kind:     hidden_global_offset_x
      - .offset:         176
        .size:           8
        .value_kind:     hidden_global_offset_y
      - .offset:         184
        .size:           8
        .value_kind:     hidden_global_offset_z
      - .offset:         192
        .size:           2
        .value_kind:     hidden_grid_dims
      - .offset:         248
        .size:           4
        .value_kind:     hidden_dynamic_lds_size
    .group_segment_fixed_size: 336
    .kernarg_segment_align: 8
    .kernarg_segment_size: 384
    .language:       OpenCL C
    .language_version:
      - 2
      - 0
    .max_flat_workgroup_size: 1024
    .name:           _ZN4vllm25paged_attention_v1_kernelIfhLi80ELi16ELi128ELNS_18Fp8KVCacheDataTypeE1ELb1EEEvPT_PKS2_PKT0_S8_ifPKiSA_iPKfiiiSC_SC_iiiii
    .private_segment_fixed_size: 0
    .sgpr_count:     54
    .sgpr_spill_count: 0
    .symbol:         _ZN4vllm25paged_attention_v1_kernelIfhLi80ELi16ELi128ELNS_18Fp8KVCacheDataTypeE1ELb1EEEvPT_PKS2_PKT0_S8_ifPKiSA_iPKfiiiSC_SC_iiiii.kd
    .uniform_work_group_size: 1
    .uses_dynamic_stack: false
    .vgpr_count:     67
    .vgpr_spill_count: 0
    .wavefront_size: 64
  - .agpr_count:     0
    .args:
      - .actual_access:  write_only
        .address_space:  global
        .offset:         0
        .size:           8
        .value_kind:     global_buffer
      - .actual_access:  read_only
        .address_space:  global
        .offset:         8
        .size:           8
        .value_kind:     global_buffer
      - .actual_access:  read_only
        .address_space:  global
        .offset:         16
        .size:           8
        .value_kind:     global_buffer
      - .actual_access:  read_only
        .address_space:  global
        .offset:         24
        .size:           8
        .value_kind:     global_buffer
      - .offset:         32
        .size:           4
        .value_kind:     by_value
      - .offset:         36
        .size:           4
        .value_kind:     by_value
      - .actual_access:  read_only
        .address_space:  global
        .offset:         40
        .size:           8
        .value_kind:     global_buffer
      - .actual_access:  read_only
        .address_space:  global
        .offset:         48
        .size:           8
        .value_kind:     global_buffer
      - .offset:         56
        .size:           4
        .value_kind:     by_value
      - .actual_access:  read_only
        .address_space:  global
        .offset:         64
        .size:           8
        .value_kind:     global_buffer
      - .offset:         72
        .size:           4
        .value_kind:     by_value
      - .offset:         76
        .size:           4
        .value_kind:     by_value
      - .offset:         80
        .size:           4
        .value_kind:     by_value
      - .address_space:  global
        .offset:         88
        .size:           8
        .value_kind:     global_buffer
      - .address_space:  global
        .offset:         96
        .size:           8
        .value_kind:     global_buffer
      - .offset:         104
        .size:           4
        .value_kind:     by_value
      - .offset:         108
        .size:           4
        .value_kind:     by_value
      - .offset:         112
        .size:           4
        .value_kind:     by_value
      - .offset:         116
        .size:           4
        .value_kind:     by_value
      - .offset:         120
        .size:           4
        .value_kind:     by_value
      - .offset:         128
        .size:           4
        .value_kind:     hidden_block_count_x
      - .offset:         132
        .size:           4
        .value_kind:     hidden_block_count_y
      - .offset:         136
        .size:           4
        .value_kind:     hidden_block_count_z
      - .offset:         140
        .size:           2
        .value_kind:     hidden_group_size_x
      - .offset:         142
        .size:           2
        .value_kind:     hidden_group_size_y
      - .offset:         144
        .size:           2
        .value_kind:     hidden_group_size_z
      - .offset:         146
        .size:           2
        .value_kind:     hidden_remainder_x
      - .offset:         148
        .size:           2
        .value_kind:     hidden_remainder_y
      - .offset:         150
        .size:           2
        .value_kind:     hidden_remainder_z
      - .offset:         168
        .size:           8
        .value_kind:     hidden_global_offset_x
      - .offset:         176
        .size:           8
        .value_kind:     hidden_global_offset_y
      - .offset:         184
        .size:           8
        .value_kind:     hidden_global_offset_z
      - .offset:         192
        .size:           2
        .value_kind:     hidden_grid_dims
      - .offset:         248
        .size:           4
        .value_kind:     hidden_dynamic_lds_size
    .group_segment_fixed_size: 400
    .kernarg_segment_align: 8
    .kernarg_segment_size: 384
    .language:       OpenCL C
    .language_version:
      - 2
      - 0
    .max_flat_workgroup_size: 1024
    .name:           _ZN4vllm25paged_attention_v1_kernelIfhLi96ELi16ELi128ELNS_18Fp8KVCacheDataTypeE1ELb1EEEvPT_PKS2_PKT0_S8_ifPKiSA_iPKfiiiSC_SC_iiiii
    .private_segment_fixed_size: 0
    .sgpr_count:     54
    .sgpr_spill_count: 0
    .symbol:         _ZN4vllm25paged_attention_v1_kernelIfhLi96ELi16ELi128ELNS_18Fp8KVCacheDataTypeE1ELb1EEEvPT_PKS2_PKT0_S8_ifPKiSA_iPKfiiiSC_SC_iiiii.kd
    .uniform_work_group_size: 1
    .uses_dynamic_stack: false
    .vgpr_count:     75
    .vgpr_spill_count: 0
    .wavefront_size: 64
  - .agpr_count:     0
    .args:
      - .actual_access:  write_only
        .address_space:  global
        .offset:         0
        .size:           8
        .value_kind:     global_buffer
      - .actual_access:  read_only
        .address_space:  global
        .offset:         8
        .size:           8
        .value_kind:     global_buffer
      - .actual_access:  read_only
        .address_space:  global
        .offset:         16
        .size:           8
        .value_kind:     global_buffer
      - .actual_access:  read_only
        .address_space:  global
        .offset:         24
        .size:           8
        .value_kind:     global_buffer
      - .offset:         32
        .size:           4
        .value_kind:     by_value
      - .offset:         36
        .size:           4
        .value_kind:     by_value
      - .actual_access:  read_only
        .address_space:  global
        .offset:         40
        .size:           8
        .value_kind:     global_buffer
      - .actual_access:  read_only
        .address_space:  global
        .offset:         48
        .size:           8
        .value_kind:     global_buffer
      - .offset:         56
        .size:           4
        .value_kind:     by_value
      - .actual_access:  read_only
        .address_space:  global
        .offset:         64
        .size:           8
        .value_kind:     global_buffer
      - .offset:         72
        .size:           4
        .value_kind:     by_value
      - .offset:         76
        .size:           4
        .value_kind:     by_value
      - .offset:         80
        .size:           4
        .value_kind:     by_value
      - .address_space:  global
        .offset:         88
        .size:           8
        .value_kind:     global_buffer
      - .address_space:  global
        .offset:         96
        .size:           8
        .value_kind:     global_buffer
      - .offset:         104
        .size:           4
        .value_kind:     by_value
      - .offset:         108
        .size:           4
        .value_kind:     by_value
      - .offset:         112
        .size:           4
        .value_kind:     by_value
      - .offset:         116
        .size:           4
        .value_kind:     by_value
      - .offset:         120
        .size:           4
        .value_kind:     by_value
      - .offset:         128
        .size:           4
        .value_kind:     hidden_block_count_x
      - .offset:         132
        .size:           4
        .value_kind:     hidden_block_count_y
      - .offset:         136
        .size:           4
        .value_kind:     hidden_block_count_z
      - .offset:         140
        .size:           2
        .value_kind:     hidden_group_size_x
      - .offset:         142
        .size:           2
        .value_kind:     hidden_group_size_y
      - .offset:         144
        .size:           2
        .value_kind:     hidden_group_size_z
      - .offset:         146
        .size:           2
        .value_kind:     hidden_remainder_x
      - .offset:         148
        .size:           2
        .value_kind:     hidden_remainder_y
      - .offset:         150
        .size:           2
        .value_kind:     hidden_remainder_z
      - .offset:         168
        .size:           8
        .value_kind:     hidden_global_offset_x
      - .offset:         176
        .size:           8
        .value_kind:     hidden_global_offset_y
      - .offset:         184
        .size:           8
        .value_kind:     hidden_global_offset_z
      - .offset:         192
        .size:           2
        .value_kind:     hidden_grid_dims
      - .offset:         248
        .size:           4
        .value_kind:     hidden_dynamic_lds_size
    .group_segment_fixed_size: 464
    .kernarg_segment_align: 8
    .kernarg_segment_size: 384
    .language:       OpenCL C
    .language_version:
      - 2
      - 0
    .max_flat_workgroup_size: 1024
    .name:           _ZN4vllm25paged_attention_v1_kernelIfhLi112ELi16ELi128ELNS_18Fp8KVCacheDataTypeE1ELb1EEEvPT_PKS2_PKT0_S8_ifPKiSA_iPKfiiiSC_SC_iiiii
    .private_segment_fixed_size: 0
    .sgpr_count:     54
    .sgpr_spill_count: 0
    .symbol:         _ZN4vllm25paged_attention_v1_kernelIfhLi112ELi16ELi128ELNS_18Fp8KVCacheDataTypeE1ELb1EEEvPT_PKS2_PKT0_S8_ifPKiSA_iPKfiiiSC_SC_iiiii.kd
    .uniform_work_group_size: 1
    .uses_dynamic_stack: false
    .vgpr_count:     83
    .vgpr_spill_count: 0
    .wavefront_size: 64
  - .agpr_count:     0
    .args:
      - .actual_access:  write_only
        .address_space:  global
        .offset:         0
        .size:           8
        .value_kind:     global_buffer
      - .actual_access:  read_only
        .address_space:  global
        .offset:         8
        .size:           8
        .value_kind:     global_buffer
      - .actual_access:  read_only
        .address_space:  global
        .offset:         16
        .size:           8
        .value_kind:     global_buffer
      - .actual_access:  read_only
        .address_space:  global
        .offset:         24
        .size:           8
        .value_kind:     global_buffer
      - .offset:         32
        .size:           4
        .value_kind:     by_value
      - .offset:         36
        .size:           4
        .value_kind:     by_value
      - .actual_access:  read_only
        .address_space:  global
        .offset:         40
        .size:           8
        .value_kind:     global_buffer
      - .actual_access:  read_only
        .address_space:  global
        .offset:         48
        .size:           8
        .value_kind:     global_buffer
      - .offset:         56
        .size:           4
        .value_kind:     by_value
      - .actual_access:  read_only
        .address_space:  global
        .offset:         64
        .size:           8
        .value_kind:     global_buffer
      - .offset:         72
        .size:           4
        .value_kind:     by_value
      - .offset:         76
        .size:           4
        .value_kind:     by_value
      - .offset:         80
        .size:           4
        .value_kind:     by_value
      - .address_space:  global
        .offset:         88
        .size:           8
        .value_kind:     global_buffer
      - .address_space:  global
        .offset:         96
        .size:           8
        .value_kind:     global_buffer
      - .offset:         104
        .size:           4
        .value_kind:     by_value
      - .offset:         108
        .size:           4
        .value_kind:     by_value
      - .offset:         112
        .size:           4
        .value_kind:     by_value
      - .offset:         116
        .size:           4
        .value_kind:     by_value
      - .offset:         120
        .size:           4
        .value_kind:     by_value
      - .offset:         128
        .size:           4
        .value_kind:     hidden_block_count_x
      - .offset:         132
        .size:           4
        .value_kind:     hidden_block_count_y
      - .offset:         136
        .size:           4
        .value_kind:     hidden_block_count_z
      - .offset:         140
        .size:           2
        .value_kind:     hidden_group_size_x
      - .offset:         142
        .size:           2
        .value_kind:     hidden_group_size_y
      - .offset:         144
        .size:           2
        .value_kind:     hidden_group_size_z
      - .offset:         146
        .size:           2
        .value_kind:     hidden_remainder_x
      - .offset:         148
        .size:           2
        .value_kind:     hidden_remainder_y
      - .offset:         150
        .size:           2
        .value_kind:     hidden_remainder_z
      - .offset:         168
        .size:           8
        .value_kind:     hidden_global_offset_x
      - .offset:         176
        .size:           8
        .value_kind:     hidden_global_offset_y
      - .offset:         184
        .size:           8
        .value_kind:     hidden_global_offset_z
      - .offset:         192
        .size:           2
        .value_kind:     hidden_grid_dims
      - .offset:         248
        .size:           4
        .value_kind:     hidden_dynamic_lds_size
    .group_segment_fixed_size: 496
    .kernarg_segment_align: 8
    .kernarg_segment_size: 384
    .language:       OpenCL C
    .language_version:
      - 2
      - 0
    .max_flat_workgroup_size: 1024
    .name:           _ZN4vllm25paged_attention_v1_kernelIfhLi120ELi16ELi128ELNS_18Fp8KVCacheDataTypeE1ELb1EEEvPT_PKS2_PKT0_S8_ifPKiSA_iPKfiiiSC_SC_iiiii
    .private_segment_fixed_size: 0
    .sgpr_count:     54
    .sgpr_spill_count: 0
    .symbol:         _ZN4vllm25paged_attention_v1_kernelIfhLi120ELi16ELi128ELNS_18Fp8KVCacheDataTypeE1ELb1EEEvPT_PKS2_PKT0_S8_ifPKiSA_iPKfiiiSC_SC_iiiii.kd
    .uniform_work_group_size: 1
    .uses_dynamic_stack: false
    .vgpr_count:     87
    .vgpr_spill_count: 0
    .wavefront_size: 64
  - .agpr_count:     0
    .args:
      - .actual_access:  write_only
        .address_space:  global
        .offset:         0
        .size:           8
        .value_kind:     global_buffer
      - .actual_access:  read_only
        .address_space:  global
        .offset:         8
        .size:           8
        .value_kind:     global_buffer
      - .actual_access:  read_only
        .address_space:  global
        .offset:         16
        .size:           8
        .value_kind:     global_buffer
      - .actual_access:  read_only
        .address_space:  global
        .offset:         24
        .size:           8
        .value_kind:     global_buffer
      - .offset:         32
        .size:           4
        .value_kind:     by_value
      - .offset:         36
        .size:           4
        .value_kind:     by_value
      - .actual_access:  read_only
        .address_space:  global
        .offset:         40
        .size:           8
        .value_kind:     global_buffer
      - .actual_access:  read_only
        .address_space:  global
        .offset:         48
        .size:           8
        .value_kind:     global_buffer
      - .offset:         56
        .size:           4
        .value_kind:     by_value
      - .actual_access:  read_only
        .address_space:  global
        .offset:         64
        .size:           8
        .value_kind:     global_buffer
      - .offset:         72
        .size:           4
        .value_kind:     by_value
      - .offset:         76
        .size:           4
        .value_kind:     by_value
      - .offset:         80
        .size:           4
        .value_kind:     by_value
      - .address_space:  global
        .offset:         88
        .size:           8
        .value_kind:     global_buffer
      - .address_space:  global
        .offset:         96
        .size:           8
        .value_kind:     global_buffer
      - .offset:         104
        .size:           4
        .value_kind:     by_value
      - .offset:         108
        .size:           4
        .value_kind:     by_value
      - .offset:         112
        .size:           4
        .value_kind:     by_value
      - .offset:         116
        .size:           4
        .value_kind:     by_value
      - .offset:         120
        .size:           4
        .value_kind:     by_value
      - .offset:         128
        .size:           4
        .value_kind:     hidden_block_count_x
      - .offset:         132
        .size:           4
        .value_kind:     hidden_block_count_y
      - .offset:         136
        .size:           4
        .value_kind:     hidden_block_count_z
      - .offset:         140
        .size:           2
        .value_kind:     hidden_group_size_x
      - .offset:         142
        .size:           2
        .value_kind:     hidden_group_size_y
      - .offset:         144
        .size:           2
        .value_kind:     hidden_group_size_z
      - .offset:         146
        .size:           2
        .value_kind:     hidden_remainder_x
      - .offset:         148
        .size:           2
        .value_kind:     hidden_remainder_y
      - .offset:         150
        .size:           2
        .value_kind:     hidden_remainder_z
      - .offset:         168
        .size:           8
        .value_kind:     hidden_global_offset_x
      - .offset:         176
        .size:           8
        .value_kind:     hidden_global_offset_y
      - .offset:         184
        .size:           8
        .value_kind:     hidden_global_offset_z
      - .offset:         192
        .size:           2
        .value_kind:     hidden_grid_dims
      - .offset:         248
        .size:           4
        .value_kind:     hidden_dynamic_lds_size
    .group_segment_fixed_size: 528
    .kernarg_segment_align: 8
    .kernarg_segment_size: 384
    .language:       OpenCL C
    .language_version:
      - 2
      - 0
    .max_flat_workgroup_size: 1024
    .name:           _ZN4vllm25paged_attention_v1_kernelIfhLi128ELi16ELi128ELNS_18Fp8KVCacheDataTypeE1ELb1EEEvPT_PKS2_PKT0_S8_ifPKiSA_iPKfiiiSC_SC_iiiii
    .private_segment_fixed_size: 0
    .sgpr_count:     54
    .sgpr_spill_count: 0
    .symbol:         _ZN4vllm25paged_attention_v1_kernelIfhLi128ELi16ELi128ELNS_18Fp8KVCacheDataTypeE1ELb1EEEvPT_PKS2_PKT0_S8_ifPKiSA_iPKfiiiSC_SC_iiiii.kd
    .uniform_work_group_size: 1
    .uses_dynamic_stack: false
    .vgpr_count:     91
    .vgpr_spill_count: 0
    .wavefront_size: 64
  - .agpr_count:     0
    .args:
      - .actual_access:  write_only
        .address_space:  global
        .offset:         0
        .size:           8
        .value_kind:     global_buffer
      - .actual_access:  read_only
        .address_space:  global
        .offset:         8
        .size:           8
        .value_kind:     global_buffer
      - .actual_access:  read_only
        .address_space:  global
        .offset:         16
        .size:           8
        .value_kind:     global_buffer
      - .actual_access:  read_only
        .address_space:  global
        .offset:         24
        .size:           8
        .value_kind:     global_buffer
      - .offset:         32
        .size:           4
        .value_kind:     by_value
      - .offset:         36
        .size:           4
        .value_kind:     by_value
      - .actual_access:  read_only
        .address_space:  global
        .offset:         40
        .size:           8
        .value_kind:     global_buffer
      - .actual_access:  read_only
        .address_space:  global
        .offset:         48
        .size:           8
        .value_kind:     global_buffer
      - .offset:         56
        .size:           4
        .value_kind:     by_value
      - .actual_access:  read_only
        .address_space:  global
        .offset:         64
        .size:           8
        .value_kind:     global_buffer
      - .offset:         72
        .size:           4
        .value_kind:     by_value
      - .offset:         76
        .size:           4
        .value_kind:     by_value
      - .offset:         80
        .size:           4
        .value_kind:     by_value
      - .address_space:  global
        .offset:         88
        .size:           8
        .value_kind:     global_buffer
      - .address_space:  global
        .offset:         96
        .size:           8
        .value_kind:     global_buffer
      - .offset:         104
        .size:           4
        .value_kind:     by_value
      - .offset:         108
        .size:           4
        .value_kind:     by_value
      - .offset:         112
        .size:           4
        .value_kind:     by_value
      - .offset:         116
        .size:           4
        .value_kind:     by_value
      - .offset:         120
        .size:           4
        .value_kind:     by_value
      - .offset:         128
        .size:           4
        .value_kind:     hidden_block_count_x
      - .offset:         132
        .size:           4
        .value_kind:     hidden_block_count_y
      - .offset:         136
        .size:           4
        .value_kind:     hidden_block_count_z
      - .offset:         140
        .size:           2
        .value_kind:     hidden_group_size_x
      - .offset:         142
        .size:           2
        .value_kind:     hidden_group_size_y
      - .offset:         144
        .size:           2
        .value_kind:     hidden_group_size_z
      - .offset:         146
        .size:           2
        .value_kind:     hidden_remainder_x
      - .offset:         148
        .size:           2
        .value_kind:     hidden_remainder_y
      - .offset:         150
        .size:           2
        .value_kind:     hidden_remainder_z
      - .offset:         168
        .size:           8
        .value_kind:     hidden_global_offset_x
      - .offset:         176
        .size:           8
        .value_kind:     hidden_global_offset_y
      - .offset:         184
        .size:           8
        .value_kind:     hidden_global_offset_z
      - .offset:         192
        .size:           2
        .value_kind:     hidden_grid_dims
      - .offset:         248
        .size:           4
        .value_kind:     hidden_dynamic_lds_size
    .group_segment_fixed_size: 784
    .kernarg_segment_align: 8
    .kernarg_segment_size: 384
    .language:       OpenCL C
    .language_version:
      - 2
      - 0
    .max_flat_workgroup_size: 1024
    .name:           _ZN4vllm25paged_attention_v1_kernelIfhLi192ELi16ELi128ELNS_18Fp8KVCacheDataTypeE1ELb1EEEvPT_PKS2_PKT0_S8_ifPKiSA_iPKfiiiSC_SC_iiiii
    .private_segment_fixed_size: 0
    .sgpr_count:     54
    .sgpr_spill_count: 0
    .symbol:         _ZN4vllm25paged_attention_v1_kernelIfhLi192ELi16ELi128ELNS_18Fp8KVCacheDataTypeE1ELb1EEEvPT_PKS2_PKT0_S8_ifPKiSA_iPKfiiiSC_SC_iiiii.kd
    .uniform_work_group_size: 1
    .uses_dynamic_stack: false
    .vgpr_count:     108
    .vgpr_spill_count: 0
    .wavefront_size: 64
  - .agpr_count:     0
    .args:
      - .actual_access:  write_only
        .address_space:  global
        .offset:         0
        .size:           8
        .value_kind:     global_buffer
      - .actual_access:  read_only
        .address_space:  global
        .offset:         8
        .size:           8
        .value_kind:     global_buffer
      - .actual_access:  read_only
        .address_space:  global
        .offset:         16
        .size:           8
        .value_kind:     global_buffer
      - .actual_access:  read_only
        .address_space:  global
        .offset:         24
        .size:           8
        .value_kind:     global_buffer
      - .offset:         32
        .size:           4
        .value_kind:     by_value
      - .offset:         36
        .size:           4
        .value_kind:     by_value
      - .actual_access:  read_only
        .address_space:  global
        .offset:         40
        .size:           8
        .value_kind:     global_buffer
      - .actual_access:  read_only
        .address_space:  global
        .offset:         48
        .size:           8
        .value_kind:     global_buffer
      - .offset:         56
        .size:           4
        .value_kind:     by_value
      - .actual_access:  read_only
        .address_space:  global
        .offset:         64
        .size:           8
        .value_kind:     global_buffer
      - .offset:         72
        .size:           4
        .value_kind:     by_value
      - .offset:         76
        .size:           4
        .value_kind:     by_value
      - .offset:         80
        .size:           4
        .value_kind:     by_value
      - .address_space:  global
        .offset:         88
        .size:           8
        .value_kind:     global_buffer
      - .address_space:  global
        .offset:         96
        .size:           8
        .value_kind:     global_buffer
      - .offset:         104
        .size:           4
        .value_kind:     by_value
      - .offset:         108
        .size:           4
        .value_kind:     by_value
      - .offset:         112
        .size:           4
        .value_kind:     by_value
      - .offset:         116
        .size:           4
        .value_kind:     by_value
      - .offset:         120
        .size:           4
        .value_kind:     by_value
      - .offset:         128
        .size:           4
        .value_kind:     hidden_block_count_x
      - .offset:         132
        .size:           4
        .value_kind:     hidden_block_count_y
      - .offset:         136
        .size:           4
        .value_kind:     hidden_block_count_z
      - .offset:         140
        .size:           2
        .value_kind:     hidden_group_size_x
      - .offset:         142
        .size:           2
        .value_kind:     hidden_group_size_y
      - .offset:         144
        .size:           2
        .value_kind:     hidden_group_size_z
      - .offset:         146
        .size:           2
        .value_kind:     hidden_remainder_x
      - .offset:         148
        .size:           2
        .value_kind:     hidden_remainder_y
      - .offset:         150
        .size:           2
        .value_kind:     hidden_remainder_z
      - .offset:         168
        .size:           8
        .value_kind:     hidden_global_offset_x
      - .offset:         176
        .size:           8
        .value_kind:     hidden_global_offset_y
      - .offset:         184
        .size:           8
        .value_kind:     hidden_global_offset_z
      - .offset:         192
        .size:           2
        .value_kind:     hidden_grid_dims
      - .offset:         248
        .size:           4
        .value_kind:     hidden_dynamic_lds_size
    .group_segment_fixed_size: 1040
    .kernarg_segment_align: 8
    .kernarg_segment_size: 384
    .language:       OpenCL C
    .language_version:
      - 2
      - 0
    .max_flat_workgroup_size: 1024
    .name:           _ZN4vllm25paged_attention_v1_kernelIfhLi256ELi16ELi128ELNS_18Fp8KVCacheDataTypeE1ELb1EEEvPT_PKS2_PKT0_S8_ifPKiSA_iPKfiiiSC_SC_iiiii
    .private_segment_fixed_size: 0
    .sgpr_count:     54
    .sgpr_spill_count: 0
    .symbol:         _ZN4vllm25paged_attention_v1_kernelIfhLi256ELi16ELi128ELNS_18Fp8KVCacheDataTypeE1ELb1EEEvPT_PKS2_PKT0_S8_ifPKiSA_iPKfiiiSC_SC_iiiii.kd
    .uniform_work_group_size: 1
    .uses_dynamic_stack: false
    .vgpr_count:     106
    .vgpr_spill_count: 0
    .wavefront_size: 64
  - .agpr_count:     0
    .args:
      - .actual_access:  write_only
        .address_space:  global
        .offset:         0
        .size:           8
        .value_kind:     global_buffer
      - .actual_access:  read_only
        .address_space:  global
        .offset:         8
        .size:           8
        .value_kind:     global_buffer
      - .actual_access:  read_only
        .address_space:  global
        .offset:         16
        .size:           8
        .value_kind:     global_buffer
      - .actual_access:  read_only
        .address_space:  global
        .offset:         24
        .size:           8
        .value_kind:     global_buffer
      - .offset:         32
        .size:           4
        .value_kind:     by_value
      - .offset:         36
        .size:           4
        .value_kind:     by_value
      - .actual_access:  read_only
        .address_space:  global
        .offset:         40
        .size:           8
        .value_kind:     global_buffer
      - .actual_access:  read_only
        .address_space:  global
        .offset:         48
        .size:           8
        .value_kind:     global_buffer
      - .offset:         56
        .size:           4
        .value_kind:     by_value
      - .actual_access:  read_only
        .address_space:  global
        .offset:         64
        .size:           8
        .value_kind:     global_buffer
      - .offset:         72
        .size:           4
        .value_kind:     by_value
      - .offset:         76
        .size:           4
        .value_kind:     by_value
      - .offset:         80
        .size:           4
        .value_kind:     by_value
      - .address_space:  global
        .offset:         88
        .size:           8
        .value_kind:     global_buffer
      - .address_space:  global
        .offset:         96
        .size:           8
        .value_kind:     global_buffer
      - .offset:         104
        .size:           4
        .value_kind:     by_value
      - .offset:         108
        .size:           4
        .value_kind:     by_value
      - .offset:         112
        .size:           4
        .value_kind:     by_value
      - .offset:         116
        .size:           4
        .value_kind:     by_value
      - .offset:         120
        .size:           4
        .value_kind:     by_value
      - .offset:         128
        .size:           4
        .value_kind:     hidden_block_count_x
      - .offset:         132
        .size:           4
        .value_kind:     hidden_block_count_y
      - .offset:         136
        .size:           4
        .value_kind:     hidden_block_count_z
      - .offset:         140
        .size:           2
        .value_kind:     hidden_group_size_x
      - .offset:         142
        .size:           2
        .value_kind:     hidden_group_size_y
      - .offset:         144
        .size:           2
        .value_kind:     hidden_group_size_z
      - .offset:         146
        .size:           2
        .value_kind:     hidden_remainder_x
      - .offset:         148
        .size:           2
        .value_kind:     hidden_remainder_y
      - .offset:         150
        .size:           2
        .value_kind:     hidden_remainder_z
      - .offset:         168
        .size:           8
        .value_kind:     hidden_global_offset_x
      - .offset:         176
        .size:           8
        .value_kind:     hidden_global_offset_y
      - .offset:         184
        .size:           8
        .value_kind:     hidden_global_offset_z
      - .offset:         192
        .size:           2
        .value_kind:     hidden_grid_dims
      - .offset:         248
        .size:           4
        .value_kind:     hidden_dynamic_lds_size
    .group_segment_fixed_size: 144
    .kernarg_segment_align: 8
    .kernarg_segment_size: 384
    .language:       OpenCL C
    .language_version:
      - 2
      - 0
    .max_flat_workgroup_size: 1024
    .name:           _ZN4vllm25paged_attention_v1_kernelIfhLi32ELi16ELi128ELNS_18Fp8KVCacheDataTypeE1ELb0EEEvPT_PKS2_PKT0_S8_ifPKiSA_iPKfiiiSC_SC_iiiii
    .private_segment_fixed_size: 0
    .sgpr_count:     43
    .sgpr_spill_count: 0
    .symbol:         _ZN4vllm25paged_attention_v1_kernelIfhLi32ELi16ELi128ELNS_18Fp8KVCacheDataTypeE1ELb0EEEvPT_PKS2_PKT0_S8_ifPKiSA_iPKfiiiSC_SC_iiiii.kd
    .uniform_work_group_size: 1
    .uses_dynamic_stack: false
    .vgpr_count:     38
    .vgpr_spill_count: 0
    .wavefront_size: 64
  - .agpr_count:     0
    .args:
      - .actual_access:  write_only
        .address_space:  global
        .offset:         0
        .size:           8
        .value_kind:     global_buffer
      - .actual_access:  read_only
        .address_space:  global
        .offset:         8
        .size:           8
        .value_kind:     global_buffer
      - .actual_access:  read_only
        .address_space:  global
        .offset:         16
        .size:           8
        .value_kind:     global_buffer
      - .actual_access:  read_only
        .address_space:  global
        .offset:         24
        .size:           8
        .value_kind:     global_buffer
      - .offset:         32
        .size:           4
        .value_kind:     by_value
      - .offset:         36
        .size:           4
        .value_kind:     by_value
      - .actual_access:  read_only
        .address_space:  global
        .offset:         40
        .size:           8
        .value_kind:     global_buffer
      - .actual_access:  read_only
        .address_space:  global
        .offset:         48
        .size:           8
        .value_kind:     global_buffer
      - .offset:         56
        .size:           4
        .value_kind:     by_value
      - .actual_access:  read_only
        .address_space:  global
        .offset:         64
        .size:           8
        .value_kind:     global_buffer
      - .offset:         72
        .size:           4
        .value_kind:     by_value
      - .offset:         76
        .size:           4
        .value_kind:     by_value
      - .offset:         80
        .size:           4
        .value_kind:     by_value
      - .address_space:  global
        .offset:         88
        .size:           8
        .value_kind:     global_buffer
      - .address_space:  global
        .offset:         96
        .size:           8
        .value_kind:     global_buffer
      - .offset:         104
        .size:           4
        .value_kind:     by_value
      - .offset:         108
        .size:           4
        .value_kind:     by_value
      - .offset:         112
        .size:           4
        .value_kind:     by_value
      - .offset:         116
        .size:           4
        .value_kind:     by_value
      - .offset:         120
        .size:           4
        .value_kind:     by_value
      - .offset:         128
        .size:           4
        .value_kind:     hidden_block_count_x
      - .offset:         132
        .size:           4
        .value_kind:     hidden_block_count_y
      - .offset:         136
        .size:           4
        .value_kind:     hidden_block_count_z
      - .offset:         140
        .size:           2
        .value_kind:     hidden_group_size_x
      - .offset:         142
        .size:           2
        .value_kind:     hidden_group_size_y
      - .offset:         144
        .size:           2
        .value_kind:     hidden_group_size_z
      - .offset:         146
        .size:           2
        .value_kind:     hidden_remainder_x
      - .offset:         148
        .size:           2
        .value_kind:     hidden_remainder_y
      - .offset:         150
        .size:           2
        .value_kind:     hidden_remainder_z
      - .offset:         168
        .size:           8
        .value_kind:     hidden_global_offset_x
      - .offset:         176
        .size:           8
        .value_kind:     hidden_global_offset_y
      - .offset:         184
        .size:           8
        .value_kind:     hidden_global_offset_z
      - .offset:         192
        .size:           2
        .value_kind:     hidden_grid_dims
      - .offset:         248
        .size:           4
        .value_kind:     hidden_dynamic_lds_size
    .group_segment_fixed_size: 272
    .kernarg_segment_align: 8
    .kernarg_segment_size: 384
    .language:       OpenCL C
    .language_version:
      - 2
      - 0
    .max_flat_workgroup_size: 1024
    .name:           _ZN4vllm25paged_attention_v1_kernelIfhLi64ELi16ELi128ELNS_18Fp8KVCacheDataTypeE1ELb0EEEvPT_PKS2_PKT0_S8_ifPKiSA_iPKfiiiSC_SC_iiiii
    .private_segment_fixed_size: 0
    .sgpr_count:     45
    .sgpr_spill_count: 0
    .symbol:         _ZN4vllm25paged_attention_v1_kernelIfhLi64ELi16ELi128ELNS_18Fp8KVCacheDataTypeE1ELb0EEEvPT_PKS2_PKT0_S8_ifPKiSA_iPKfiiiSC_SC_iiiii.kd
    .uniform_work_group_size: 1
    .uses_dynamic_stack: false
    .vgpr_count:     53
    .vgpr_spill_count: 0
    .wavefront_size: 64
  - .agpr_count:     0
    .args:
      - .actual_access:  write_only
        .address_space:  global
        .offset:         0
        .size:           8
        .value_kind:     global_buffer
      - .actual_access:  read_only
        .address_space:  global
        .offset:         8
        .size:           8
        .value_kind:     global_buffer
      - .actual_access:  read_only
        .address_space:  global
        .offset:         16
        .size:           8
        .value_kind:     global_buffer
      - .actual_access:  read_only
        .address_space:  global
        .offset:         24
        .size:           8
        .value_kind:     global_buffer
      - .offset:         32
        .size:           4
        .value_kind:     by_value
      - .offset:         36
        .size:           4
        .value_kind:     by_value
      - .actual_access:  read_only
        .address_space:  global
        .offset:         40
        .size:           8
        .value_kind:     global_buffer
      - .actual_access:  read_only
        .address_space:  global
        .offset:         48
        .size:           8
        .value_kind:     global_buffer
      - .offset:         56
        .size:           4
        .value_kind:     by_value
      - .actual_access:  read_only
        .address_space:  global
        .offset:         64
        .size:           8
        .value_kind:     global_buffer
      - .offset:         72
        .size:           4
        .value_kind:     by_value
      - .offset:         76
        .size:           4
        .value_kind:     by_value
      - .offset:         80
        .size:           4
        .value_kind:     by_value
      - .address_space:  global
        .offset:         88
        .size:           8
        .value_kind:     global_buffer
      - .address_space:  global
        .offset:         96
        .size:           8
        .value_kind:     global_buffer
      - .offset:         104
        .size:           4
        .value_kind:     by_value
      - .offset:         108
        .size:           4
        .value_kind:     by_value
      - .offset:         112
        .size:           4
        .value_kind:     by_value
      - .offset:         116
        .size:           4
        .value_kind:     by_value
      - .offset:         120
        .size:           4
        .value_kind:     by_value
      - .offset:         128
        .size:           4
        .value_kind:     hidden_block_count_x
      - .offset:         132
        .size:           4
        .value_kind:     hidden_block_count_y
      - .offset:         136
        .size:           4
        .value_kind:     hidden_block_count_z
      - .offset:         140
        .size:           2
        .value_kind:     hidden_group_size_x
      - .offset:         142
        .size:           2
        .value_kind:     hidden_group_size_y
      - .offset:         144
        .size:           2
        .value_kind:     hidden_group_size_z
      - .offset:         146
        .size:           2
        .value_kind:     hidden_remainder_x
      - .offset:         148
        .size:           2
        .value_kind:     hidden_remainder_y
      - .offset:         150
        .size:           2
        .value_kind:     hidden_remainder_z
      - .offset:         168
        .size:           8
        .value_kind:     hidden_global_offset_x
      - .offset:         176
        .size:           8
        .value_kind:     hidden_global_offset_y
      - .offset:         184
        .size:           8
        .value_kind:     hidden_global_offset_z
      - .offset:         192
        .size:           2
        .value_kind:     hidden_grid_dims
      - .offset:         248
        .size:           4
        .value_kind:     hidden_dynamic_lds_size
    .group_segment_fixed_size: 336
    .kernarg_segment_align: 8
    .kernarg_segment_size: 384
    .language:       OpenCL C
    .language_version:
      - 2
      - 0
    .max_flat_workgroup_size: 1024
    .name:           _ZN4vllm25paged_attention_v1_kernelIfhLi80ELi16ELi128ELNS_18Fp8KVCacheDataTypeE1ELb0EEEvPT_PKS2_PKT0_S8_ifPKiSA_iPKfiiiSC_SC_iiiii
    .private_segment_fixed_size: 0
    .sgpr_count:     43
    .sgpr_spill_count: 0
    .symbol:         _ZN4vllm25paged_attention_v1_kernelIfhLi80ELi16ELi128ELNS_18Fp8KVCacheDataTypeE1ELb0EEEvPT_PKS2_PKT0_S8_ifPKiSA_iPKfiiiSC_SC_iiiii.kd
    .uniform_work_group_size: 1
    .uses_dynamic_stack: false
    .vgpr_count:     62
    .vgpr_spill_count: 0
    .wavefront_size: 64
  - .agpr_count:     0
    .args:
      - .actual_access:  write_only
        .address_space:  global
        .offset:         0
        .size:           8
        .value_kind:     global_buffer
      - .actual_access:  read_only
        .address_space:  global
        .offset:         8
        .size:           8
        .value_kind:     global_buffer
      - .actual_access:  read_only
        .address_space:  global
        .offset:         16
        .size:           8
        .value_kind:     global_buffer
      - .actual_access:  read_only
        .address_space:  global
        .offset:         24
        .size:           8
        .value_kind:     global_buffer
      - .offset:         32
        .size:           4
        .value_kind:     by_value
      - .offset:         36
        .size:           4
        .value_kind:     by_value
      - .actual_access:  read_only
        .address_space:  global
        .offset:         40
        .size:           8
        .value_kind:     global_buffer
      - .actual_access:  read_only
        .address_space:  global
        .offset:         48
        .size:           8
        .value_kind:     global_buffer
      - .offset:         56
        .size:           4
        .value_kind:     by_value
      - .actual_access:  read_only
        .address_space:  global
        .offset:         64
        .size:           8
        .value_kind:     global_buffer
      - .offset:         72
        .size:           4
        .value_kind:     by_value
      - .offset:         76
        .size:           4
        .value_kind:     by_value
      - .offset:         80
        .size:           4
        .value_kind:     by_value
      - .address_space:  global
        .offset:         88
        .size:           8
        .value_kind:     global_buffer
      - .address_space:  global
        .offset:         96
        .size:           8
        .value_kind:     global_buffer
      - .offset:         104
        .size:           4
        .value_kind:     by_value
      - .offset:         108
        .size:           4
        .value_kind:     by_value
      - .offset:         112
        .size:           4
        .value_kind:     by_value
      - .offset:         116
        .size:           4
        .value_kind:     by_value
      - .offset:         120
        .size:           4
        .value_kind:     by_value
      - .offset:         128
        .size:           4
        .value_kind:     hidden_block_count_x
      - .offset:         132
        .size:           4
        .value_kind:     hidden_block_count_y
      - .offset:         136
        .size:           4
        .value_kind:     hidden_block_count_z
      - .offset:         140
        .size:           2
        .value_kind:     hidden_group_size_x
      - .offset:         142
        .size:           2
        .value_kind:     hidden_group_size_y
      - .offset:         144
        .size:           2
        .value_kind:     hidden_group_size_z
      - .offset:         146
        .size:           2
        .value_kind:     hidden_remainder_x
      - .offset:         148
        .size:           2
        .value_kind:     hidden_remainder_y
      - .offset:         150
        .size:           2
        .value_kind:     hidden_remainder_z
      - .offset:         168
        .size:           8
        .value_kind:     hidden_global_offset_x
      - .offset:         176
        .size:           8
        .value_kind:     hidden_global_offset_y
      - .offset:         184
        .size:           8
        .value_kind:     hidden_global_offset_z
      - .offset:         192
        .size:           2
        .value_kind:     hidden_grid_dims
      - .offset:         248
        .size:           4
        .value_kind:     hidden_dynamic_lds_size
    .group_segment_fixed_size: 400
    .kernarg_segment_align: 8
    .kernarg_segment_size: 384
    .language:       OpenCL C
    .language_version:
      - 2
      - 0
    .max_flat_workgroup_size: 1024
    .name:           _ZN4vllm25paged_attention_v1_kernelIfhLi96ELi16ELi128ELNS_18Fp8KVCacheDataTypeE1ELb0EEEvPT_PKS2_PKT0_S8_ifPKiSA_iPKfiiiSC_SC_iiiii
    .private_segment_fixed_size: 0
    .sgpr_count:     43
    .sgpr_spill_count: 0
    .symbol:         _ZN4vllm25paged_attention_v1_kernelIfhLi96ELi16ELi128ELNS_18Fp8KVCacheDataTypeE1ELb0EEEvPT_PKS2_PKT0_S8_ifPKiSA_iPKfiiiSC_SC_iiiii.kd
    .uniform_work_group_size: 1
    .uses_dynamic_stack: false
    .vgpr_count:     69
    .vgpr_spill_count: 0
    .wavefront_size: 64
  - .agpr_count:     0
    .args:
      - .actual_access:  write_only
        .address_space:  global
        .offset:         0
        .size:           8
        .value_kind:     global_buffer
      - .actual_access:  read_only
        .address_space:  global
        .offset:         8
        .size:           8
        .value_kind:     global_buffer
      - .actual_access:  read_only
        .address_space:  global
        .offset:         16
        .size:           8
        .value_kind:     global_buffer
      - .actual_access:  read_only
        .address_space:  global
        .offset:         24
        .size:           8
        .value_kind:     global_buffer
      - .offset:         32
        .size:           4
        .value_kind:     by_value
      - .offset:         36
        .size:           4
        .value_kind:     by_value
      - .actual_access:  read_only
        .address_space:  global
        .offset:         40
        .size:           8
        .value_kind:     global_buffer
      - .actual_access:  read_only
        .address_space:  global
        .offset:         48
        .size:           8
        .value_kind:     global_buffer
      - .offset:         56
        .size:           4
        .value_kind:     by_value
      - .actual_access:  read_only
        .address_space:  global
        .offset:         64
        .size:           8
        .value_kind:     global_buffer
      - .offset:         72
        .size:           4
        .value_kind:     by_value
      - .offset:         76
        .size:           4
        .value_kind:     by_value
      - .offset:         80
        .size:           4
        .value_kind:     by_value
      - .address_space:  global
        .offset:         88
        .size:           8
        .value_kind:     global_buffer
      - .address_space:  global
        .offset:         96
        .size:           8
        .value_kind:     global_buffer
      - .offset:         104
        .size:           4
        .value_kind:     by_value
      - .offset:         108
        .size:           4
        .value_kind:     by_value
      - .offset:         112
        .size:           4
        .value_kind:     by_value
      - .offset:         116
        .size:           4
        .value_kind:     by_value
      - .offset:         120
        .size:           4
        .value_kind:     by_value
      - .offset:         128
        .size:           4
        .value_kind:     hidden_block_count_x
      - .offset:         132
        .size:           4
        .value_kind:     hidden_block_count_y
      - .offset:         136
        .size:           4
        .value_kind:     hidden_block_count_z
      - .offset:         140
        .size:           2
        .value_kind:     hidden_group_size_x
      - .offset:         142
        .size:           2
        .value_kind:     hidden_group_size_y
      - .offset:         144
        .size:           2
        .value_kind:     hidden_group_size_z
      - .offset:         146
        .size:           2
        .value_kind:     hidden_remainder_x
      - .offset:         148
        .size:           2
        .value_kind:     hidden_remainder_y
      - .offset:         150
        .size:           2
        .value_kind:     hidden_remainder_z
      - .offset:         168
        .size:           8
        .value_kind:     hidden_global_offset_x
      - .offset:         176
        .size:           8
        .value_kind:     hidden_global_offset_y
      - .offset:         184
        .size:           8
        .value_kind:     hidden_global_offset_z
      - .offset:         192
        .size:           2
        .value_kind:     hidden_grid_dims
      - .offset:         248
        .size:           4
        .value_kind:     hidden_dynamic_lds_size
    .group_segment_fixed_size: 464
    .kernarg_segment_align: 8
    .kernarg_segment_size: 384
    .language:       OpenCL C
    .language_version:
      - 2
      - 0
    .max_flat_workgroup_size: 1024
    .name:           _ZN4vllm25paged_attention_v1_kernelIfhLi112ELi16ELi128ELNS_18Fp8KVCacheDataTypeE1ELb0EEEvPT_PKS2_PKT0_S8_ifPKiSA_iPKfiiiSC_SC_iiiii
    .private_segment_fixed_size: 0
    .sgpr_count:     43
    .sgpr_spill_count: 0
    .symbol:         _ZN4vllm25paged_attention_v1_kernelIfhLi112ELi16ELi128ELNS_18Fp8KVCacheDataTypeE1ELb0EEEvPT_PKS2_PKT0_S8_ifPKiSA_iPKfiiiSC_SC_iiiii.kd
    .uniform_work_group_size: 1
    .uses_dynamic_stack: false
    .vgpr_count:     77
    .vgpr_spill_count: 0
    .wavefront_size: 64
  - .agpr_count:     0
    .args:
      - .actual_access:  write_only
        .address_space:  global
        .offset:         0
        .size:           8
        .value_kind:     global_buffer
      - .actual_access:  read_only
        .address_space:  global
        .offset:         8
        .size:           8
        .value_kind:     global_buffer
      - .actual_access:  read_only
        .address_space:  global
        .offset:         16
        .size:           8
        .value_kind:     global_buffer
      - .actual_access:  read_only
        .address_space:  global
        .offset:         24
        .size:           8
        .value_kind:     global_buffer
      - .offset:         32
        .size:           4
        .value_kind:     by_value
      - .offset:         36
        .size:           4
        .value_kind:     by_value
      - .actual_access:  read_only
        .address_space:  global
        .offset:         40
        .size:           8
        .value_kind:     global_buffer
      - .actual_access:  read_only
        .address_space:  global
        .offset:         48
        .size:           8
        .value_kind:     global_buffer
      - .offset:         56
        .size:           4
        .value_kind:     by_value
      - .actual_access:  read_only
        .address_space:  global
        .offset:         64
        .size:           8
        .value_kind:     global_buffer
      - .offset:         72
        .size:           4
        .value_kind:     by_value
      - .offset:         76
        .size:           4
        .value_kind:     by_value
      - .offset:         80
        .size:           4
        .value_kind:     by_value
      - .address_space:  global
        .offset:         88
        .size:           8
        .value_kind:     global_buffer
      - .address_space:  global
        .offset:         96
        .size:           8
        .value_kind:     global_buffer
      - .offset:         104
        .size:           4
        .value_kind:     by_value
      - .offset:         108
        .size:           4
        .value_kind:     by_value
      - .offset:         112
        .size:           4
        .value_kind:     by_value
      - .offset:         116
        .size:           4
        .value_kind:     by_value
      - .offset:         120
        .size:           4
        .value_kind:     by_value
      - .offset:         128
        .size:           4
        .value_kind:     hidden_block_count_x
      - .offset:         132
        .size:           4
        .value_kind:     hidden_block_count_y
      - .offset:         136
        .size:           4
        .value_kind:     hidden_block_count_z
      - .offset:         140
        .size:           2
        .value_kind:     hidden_group_size_x
      - .offset:         142
        .size:           2
        .value_kind:     hidden_group_size_y
      - .offset:         144
        .size:           2
        .value_kind:     hidden_group_size_z
      - .offset:         146
        .size:           2
        .value_kind:     hidden_remainder_x
      - .offset:         148
        .size:           2
        .value_kind:     hidden_remainder_y
      - .offset:         150
        .size:           2
        .value_kind:     hidden_remainder_z
      - .offset:         168
        .size:           8
        .value_kind:     hidden_global_offset_x
      - .offset:         176
        .size:           8
        .value_kind:     hidden_global_offset_y
      - .offset:         184
        .size:           8
        .value_kind:     hidden_global_offset_z
      - .offset:         192
        .size:           2
        .value_kind:     hidden_grid_dims
      - .offset:         248
        .size:           4
        .value_kind:     hidden_dynamic_lds_size
    .group_segment_fixed_size: 496
    .kernarg_segment_align: 8
    .kernarg_segment_size: 384
    .language:       OpenCL C
    .language_version:
      - 2
      - 0
    .max_flat_workgroup_size: 1024
    .name:           _ZN4vllm25paged_attention_v1_kernelIfhLi120ELi16ELi128ELNS_18Fp8KVCacheDataTypeE1ELb0EEEvPT_PKS2_PKT0_S8_ifPKiSA_iPKfiiiSC_SC_iiiii
    .private_segment_fixed_size: 0
    .sgpr_count:     43
    .sgpr_spill_count: 0
    .symbol:         _ZN4vllm25paged_attention_v1_kernelIfhLi120ELi16ELi128ELNS_18Fp8KVCacheDataTypeE1ELb0EEEvPT_PKS2_PKT0_S8_ifPKiSA_iPKfiiiSC_SC_iiiii.kd
    .uniform_work_group_size: 1
    .uses_dynamic_stack: false
    .vgpr_count:     81
    .vgpr_spill_count: 0
    .wavefront_size: 64
  - .agpr_count:     0
    .args:
      - .actual_access:  write_only
        .address_space:  global
        .offset:         0
        .size:           8
        .value_kind:     global_buffer
      - .actual_access:  read_only
        .address_space:  global
        .offset:         8
        .size:           8
        .value_kind:     global_buffer
      - .actual_access:  read_only
        .address_space:  global
        .offset:         16
        .size:           8
        .value_kind:     global_buffer
      - .actual_access:  read_only
        .address_space:  global
        .offset:         24
        .size:           8
        .value_kind:     global_buffer
      - .offset:         32
        .size:           4
        .value_kind:     by_value
      - .offset:         36
        .size:           4
        .value_kind:     by_value
      - .actual_access:  read_only
        .address_space:  global
        .offset:         40
        .size:           8
        .value_kind:     global_buffer
      - .actual_access:  read_only
        .address_space:  global
        .offset:         48
        .size:           8
        .value_kind:     global_buffer
      - .offset:         56
        .size:           4
        .value_kind:     by_value
      - .actual_access:  read_only
        .address_space:  global
        .offset:         64
        .size:           8
        .value_kind:     global_buffer
      - .offset:         72
        .size:           4
        .value_kind:     by_value
      - .offset:         76
        .size:           4
        .value_kind:     by_value
      - .offset:         80
        .size:           4
        .value_kind:     by_value
      - .address_space:  global
        .offset:         88
        .size:           8
        .value_kind:     global_buffer
      - .address_space:  global
        .offset:         96
        .size:           8
        .value_kind:     global_buffer
      - .offset:         104
        .size:           4
        .value_kind:     by_value
      - .offset:         108
        .size:           4
        .value_kind:     by_value
      - .offset:         112
        .size:           4
        .value_kind:     by_value
      - .offset:         116
        .size:           4
        .value_kind:     by_value
      - .offset:         120
        .size:           4
        .value_kind:     by_value
      - .offset:         128
        .size:           4
        .value_kind:     hidden_block_count_x
      - .offset:         132
        .size:           4
        .value_kind:     hidden_block_count_y
      - .offset:         136
        .size:           4
        .value_kind:     hidden_block_count_z
      - .offset:         140
        .size:           2
        .value_kind:     hidden_group_size_x
      - .offset:         142
        .size:           2
        .value_kind:     hidden_group_size_y
      - .offset:         144
        .size:           2
        .value_kind:     hidden_group_size_z
      - .offset:         146
        .size:           2
        .value_kind:     hidden_remainder_x
      - .offset:         148
        .size:           2
        .value_kind:     hidden_remainder_y
      - .offset:         150
        .size:           2
        .value_kind:     hidden_remainder_z
      - .offset:         168
        .size:           8
        .value_kind:     hidden_global_offset_x
      - .offset:         176
        .size:           8
        .value_kind:     hidden_global_offset_y
      - .offset:         184
        .size:           8
        .value_kind:     hidden_global_offset_z
      - .offset:         192
        .size:           2
        .value_kind:     hidden_grid_dims
      - .offset:         248
        .size:           4
        .value_kind:     hidden_dynamic_lds_size
    .group_segment_fixed_size: 528
    .kernarg_segment_align: 8
    .kernarg_segment_size: 384
    .language:       OpenCL C
    .language_version:
      - 2
      - 0
    .max_flat_workgroup_size: 1024
    .name:           _ZN4vllm25paged_attention_v1_kernelIfhLi128ELi16ELi128ELNS_18Fp8KVCacheDataTypeE1ELb0EEEvPT_PKS2_PKT0_S8_ifPKiSA_iPKfiiiSC_SC_iiiii
    .private_segment_fixed_size: 0
    .sgpr_count:     43
    .sgpr_spill_count: 0
    .symbol:         _ZN4vllm25paged_attention_v1_kernelIfhLi128ELi16ELi128ELNS_18Fp8KVCacheDataTypeE1ELb0EEEvPT_PKS2_PKT0_S8_ifPKiSA_iPKfiiiSC_SC_iiiii.kd
    .uniform_work_group_size: 1
    .uses_dynamic_stack: false
    .vgpr_count:     85
    .vgpr_spill_count: 0
    .wavefront_size: 64
  - .agpr_count:     0
    .args:
      - .actual_access:  write_only
        .address_space:  global
        .offset:         0
        .size:           8
        .value_kind:     global_buffer
      - .actual_access:  read_only
        .address_space:  global
        .offset:         8
        .size:           8
        .value_kind:     global_buffer
      - .actual_access:  read_only
        .address_space:  global
        .offset:         16
        .size:           8
        .value_kind:     global_buffer
      - .actual_access:  read_only
        .address_space:  global
        .offset:         24
        .size:           8
        .value_kind:     global_buffer
      - .offset:         32
        .size:           4
        .value_kind:     by_value
      - .offset:         36
        .size:           4
        .value_kind:     by_value
      - .actual_access:  read_only
        .address_space:  global
        .offset:         40
        .size:           8
        .value_kind:     global_buffer
      - .actual_access:  read_only
        .address_space:  global
        .offset:         48
        .size:           8
        .value_kind:     global_buffer
      - .offset:         56
        .size:           4
        .value_kind:     by_value
      - .actual_access:  read_only
        .address_space:  global
        .offset:         64
        .size:           8
        .value_kind:     global_buffer
      - .offset:         72
        .size:           4
        .value_kind:     by_value
      - .offset:         76
        .size:           4
        .value_kind:     by_value
      - .offset:         80
        .size:           4
        .value_kind:     by_value
      - .address_space:  global
        .offset:         88
        .size:           8
        .value_kind:     global_buffer
      - .address_space:  global
        .offset:         96
        .size:           8
        .value_kind:     global_buffer
      - .offset:         104
        .size:           4
        .value_kind:     by_value
      - .offset:         108
        .size:           4
        .value_kind:     by_value
      - .offset:         112
        .size:           4
        .value_kind:     by_value
      - .offset:         116
        .size:           4
        .value_kind:     by_value
      - .offset:         120
        .size:           4
        .value_kind:     by_value
      - .offset:         128
        .size:           4
        .value_kind:     hidden_block_count_x
      - .offset:         132
        .size:           4
        .value_kind:     hidden_block_count_y
      - .offset:         136
        .size:           4
        .value_kind:     hidden_block_count_z
      - .offset:         140
        .size:           2
        .value_kind:     hidden_group_size_x
      - .offset:         142
        .size:           2
        .value_kind:     hidden_group_size_y
      - .offset:         144
        .size:           2
        .value_kind:     hidden_group_size_z
      - .offset:         146
        .size:           2
        .value_kind:     hidden_remainder_x
      - .offset:         148
        .size:           2
        .value_kind:     hidden_remainder_y
      - .offset:         150
        .size:           2
        .value_kind:     hidden_remainder_z
      - .offset:         168
        .size:           8
        .value_kind:     hidden_global_offset_x
      - .offset:         176
        .size:           8
        .value_kind:     hidden_global_offset_y
      - .offset:         184
        .size:           8
        .value_kind:     hidden_global_offset_z
      - .offset:         192
        .size:           2
        .value_kind:     hidden_grid_dims
      - .offset:         248
        .size:           4
        .value_kind:     hidden_dynamic_lds_size
    .group_segment_fixed_size: 784
    .kernarg_segment_align: 8
    .kernarg_segment_size: 384
    .language:       OpenCL C
    .language_version:
      - 2
      - 0
    .max_flat_workgroup_size: 1024
    .name:           _ZN4vllm25paged_attention_v1_kernelIfhLi192ELi16ELi128ELNS_18Fp8KVCacheDataTypeE1ELb0EEEvPT_PKS2_PKT0_S8_ifPKiSA_iPKfiiiSC_SC_iiiii
    .private_segment_fixed_size: 0
    .sgpr_count:     43
    .sgpr_spill_count: 0
    .symbol:         _ZN4vllm25paged_attention_v1_kernelIfhLi192ELi16ELi128ELNS_18Fp8KVCacheDataTypeE1ELb0EEEvPT_PKS2_PKT0_S8_ifPKiSA_iPKfiiiSC_SC_iiiii.kd
    .uniform_work_group_size: 1
    .uses_dynamic_stack: false
    .vgpr_count:     117
    .vgpr_spill_count: 0
    .wavefront_size: 64
  - .agpr_count:     0
    .args:
      - .actual_access:  write_only
        .address_space:  global
        .offset:         0
        .size:           8
        .value_kind:     global_buffer
      - .actual_access:  read_only
        .address_space:  global
        .offset:         8
        .size:           8
        .value_kind:     global_buffer
      - .actual_access:  read_only
        .address_space:  global
        .offset:         16
        .size:           8
        .value_kind:     global_buffer
      - .actual_access:  read_only
        .address_space:  global
        .offset:         24
        .size:           8
        .value_kind:     global_buffer
      - .offset:         32
        .size:           4
        .value_kind:     by_value
      - .offset:         36
        .size:           4
        .value_kind:     by_value
      - .actual_access:  read_only
        .address_space:  global
        .offset:         40
        .size:           8
        .value_kind:     global_buffer
      - .actual_access:  read_only
        .address_space:  global
        .offset:         48
        .size:           8
        .value_kind:     global_buffer
      - .offset:         56
        .size:           4
        .value_kind:     by_value
      - .actual_access:  read_only
        .address_space:  global
        .offset:         64
        .size:           8
        .value_kind:     global_buffer
      - .offset:         72
        .size:           4
        .value_kind:     by_value
      - .offset:         76
        .size:           4
        .value_kind:     by_value
      - .offset:         80
        .size:           4
        .value_kind:     by_value
      - .address_space:  global
        .offset:         88
        .size:           8
        .value_kind:     global_buffer
      - .address_space:  global
        .offset:         96
        .size:           8
        .value_kind:     global_buffer
      - .offset:         104
        .size:           4
        .value_kind:     by_value
      - .offset:         108
        .size:           4
        .value_kind:     by_value
      - .offset:         112
        .size:           4
        .value_kind:     by_value
      - .offset:         116
        .size:           4
        .value_kind:     by_value
      - .offset:         120
        .size:           4
        .value_kind:     by_value
      - .offset:         128
        .size:           4
        .value_kind:     hidden_block_count_x
      - .offset:         132
        .size:           4
        .value_kind:     hidden_block_count_y
      - .offset:         136
        .size:           4
        .value_kind:     hidden_block_count_z
      - .offset:         140
        .size:           2
        .value_kind:     hidden_group_size_x
      - .offset:         142
        .size:           2
        .value_kind:     hidden_group_size_y
      - .offset:         144
        .size:           2
        .value_kind:     hidden_group_size_z
      - .offset:         146
        .size:           2
        .value_kind:     hidden_remainder_x
      - .offset:         148
        .size:           2
        .value_kind:     hidden_remainder_y
      - .offset:         150
        .size:           2
        .value_kind:     hidden_remainder_z
      - .offset:         168
        .size:           8
        .value_kind:     hidden_global_offset_x
      - .offset:         176
        .size:           8
        .value_kind:     hidden_global_offset_y
      - .offset:         184
        .size:           8
        .value_kind:     hidden_global_offset_z
      - .offset:         192
        .size:           2
        .value_kind:     hidden_grid_dims
      - .offset:         248
        .size:           4
        .value_kind:     hidden_dynamic_lds_size
    .group_segment_fixed_size: 1040
    .kernarg_segment_align: 8
    .kernarg_segment_size: 384
    .language:       OpenCL C
    .language_version:
      - 2
      - 0
    .max_flat_workgroup_size: 1024
    .name:           _ZN4vllm25paged_attention_v1_kernelIfhLi256ELi16ELi128ELNS_18Fp8KVCacheDataTypeE1ELb0EEEvPT_PKS2_PKT0_S8_ifPKiSA_iPKfiiiSC_SC_iiiii
    .private_segment_fixed_size: 84
    .sgpr_count:     43
    .sgpr_spill_count: 0
    .symbol:         _ZN4vllm25paged_attention_v1_kernelIfhLi256ELi16ELi128ELNS_18Fp8KVCacheDataTypeE1ELb0EEEvPT_PKS2_PKT0_S8_ifPKiSA_iPKfiiiSC_SC_iiiii.kd
    .uniform_work_group_size: 1
    .uses_dynamic_stack: false
    .vgpr_count:     128
    .vgpr_spill_count: 21
    .wavefront_size: 64
  - .agpr_count:     0
    .args:
      - .actual_access:  write_only
        .address_space:  global
        .offset:         0
        .size:           8
        .value_kind:     global_buffer
      - .actual_access:  read_only
        .address_space:  global
        .offset:         8
        .size:           8
        .value_kind:     global_buffer
      - .actual_access:  read_only
        .address_space:  global
        .offset:         16
        .size:           8
        .value_kind:     global_buffer
      - .actual_access:  read_only
        .address_space:  global
        .offset:         24
        .size:           8
        .value_kind:     global_buffer
      - .offset:         32
        .size:           4
        .value_kind:     by_value
      - .offset:         36
        .size:           4
        .value_kind:     by_value
      - .actual_access:  read_only
        .address_space:  global
        .offset:         40
        .size:           8
        .value_kind:     global_buffer
      - .actual_access:  read_only
        .address_space:  global
        .offset:         48
        .size:           8
        .value_kind:     global_buffer
      - .offset:         56
        .size:           4
        .value_kind:     by_value
      - .actual_access:  read_only
        .address_space:  global
        .offset:         64
        .size:           8
        .value_kind:     global_buffer
      - .offset:         72
        .size:           4
        .value_kind:     by_value
      - .offset:         76
        .size:           4
        .value_kind:     by_value
      - .offset:         80
        .size:           4
        .value_kind:     by_value
      - .address_space:  global
        .offset:         88
        .size:           8
        .value_kind:     global_buffer
      - .address_space:  global
        .offset:         96
        .size:           8
        .value_kind:     global_buffer
      - .offset:         104
        .size:           4
        .value_kind:     by_value
      - .offset:         108
        .size:           4
        .value_kind:     by_value
      - .offset:         112
        .size:           4
        .value_kind:     by_value
      - .offset:         116
        .size:           4
        .value_kind:     by_value
      - .offset:         120
        .size:           4
        .value_kind:     by_value
      - .offset:         128
        .size:           4
        .value_kind:     hidden_block_count_x
      - .offset:         132
        .size:           4
        .value_kind:     hidden_block_count_y
      - .offset:         136
        .size:           4
        .value_kind:     hidden_block_count_z
      - .offset:         140
        .size:           2
        .value_kind:     hidden_group_size_x
      - .offset:         142
        .size:           2
        .value_kind:     hidden_group_size_y
      - .offset:         144
        .size:           2
        .value_kind:     hidden_group_size_z
      - .offset:         146
        .size:           2
        .value_kind:     hidden_remainder_x
      - .offset:         148
        .size:           2
        .value_kind:     hidden_remainder_y
      - .offset:         150
        .size:           2
        .value_kind:     hidden_remainder_z
      - .offset:         168
        .size:           8
        .value_kind:     hidden_global_offset_x
      - .offset:         176
        .size:           8
        .value_kind:     hidden_global_offset_y
      - .offset:         184
        .size:           8
        .value_kind:     hidden_global_offset_z
      - .offset:         192
        .size:           2
        .value_kind:     hidden_grid_dims
      - .offset:         248
        .size:           4
        .value_kind:     hidden_dynamic_lds_size
    .group_segment_fixed_size: 144
    .kernarg_segment_align: 8
    .kernarg_segment_size: 384
    .language:       OpenCL C
    .language_version:
      - 2
      - 0
    .max_flat_workgroup_size: 1024
    .name:           _ZN4vllm25paged_attention_v1_kernelIfhLi32ELi32ELi128ELNS_18Fp8KVCacheDataTypeE1ELb1EEEvPT_PKS2_PKT0_S8_ifPKiSA_iPKfiiiSC_SC_iiiii
    .private_segment_fixed_size: 0
    .sgpr_count:     54
    .sgpr_spill_count: 0
    .symbol:         _ZN4vllm25paged_attention_v1_kernelIfhLi32ELi32ELi128ELNS_18Fp8KVCacheDataTypeE1ELb1EEEvPT_PKS2_PKT0_S8_ifPKiSA_iPKfiiiSC_SC_iiiii.kd
    .uniform_work_group_size: 1
    .uses_dynamic_stack: false
    .vgpr_count:     57
    .vgpr_spill_count: 0
    .wavefront_size: 64
  - .agpr_count:     0
    .args:
      - .actual_access:  write_only
        .address_space:  global
        .offset:         0
        .size:           8
        .value_kind:     global_buffer
      - .actual_access:  read_only
        .address_space:  global
        .offset:         8
        .size:           8
        .value_kind:     global_buffer
      - .actual_access:  read_only
        .address_space:  global
        .offset:         16
        .size:           8
        .value_kind:     global_buffer
      - .actual_access:  read_only
        .address_space:  global
        .offset:         24
        .size:           8
        .value_kind:     global_buffer
      - .offset:         32
        .size:           4
        .value_kind:     by_value
      - .offset:         36
        .size:           4
        .value_kind:     by_value
      - .actual_access:  read_only
        .address_space:  global
        .offset:         40
        .size:           8
        .value_kind:     global_buffer
      - .actual_access:  read_only
        .address_space:  global
        .offset:         48
        .size:           8
        .value_kind:     global_buffer
      - .offset:         56
        .size:           4
        .value_kind:     by_value
      - .actual_access:  read_only
        .address_space:  global
        .offset:         64
        .size:           8
        .value_kind:     global_buffer
      - .offset:         72
        .size:           4
        .value_kind:     by_value
      - .offset:         76
        .size:           4
        .value_kind:     by_value
      - .offset:         80
        .size:           4
        .value_kind:     by_value
      - .address_space:  global
        .offset:         88
        .size:           8
        .value_kind:     global_buffer
      - .address_space:  global
        .offset:         96
        .size:           8
        .value_kind:     global_buffer
      - .offset:         104
        .size:           4
        .value_kind:     by_value
      - .offset:         108
        .size:           4
        .value_kind:     by_value
      - .offset:         112
        .size:           4
        .value_kind:     by_value
      - .offset:         116
        .size:           4
        .value_kind:     by_value
      - .offset:         120
        .size:           4
        .value_kind:     by_value
      - .offset:         128
        .size:           4
        .value_kind:     hidden_block_count_x
      - .offset:         132
        .size:           4
        .value_kind:     hidden_block_count_y
      - .offset:         136
        .size:           4
        .value_kind:     hidden_block_count_z
      - .offset:         140
        .size:           2
        .value_kind:     hidden_group_size_x
      - .offset:         142
        .size:           2
        .value_kind:     hidden_group_size_y
      - .offset:         144
        .size:           2
        .value_kind:     hidden_group_size_z
      - .offset:         146
        .size:           2
        .value_kind:     hidden_remainder_x
      - .offset:         148
        .size:           2
        .value_kind:     hidden_remainder_y
      - .offset:         150
        .size:           2
        .value_kind:     hidden_remainder_z
      - .offset:         168
        .size:           8
        .value_kind:     hidden_global_offset_x
      - .offset:         176
        .size:           8
        .value_kind:     hidden_global_offset_y
      - .offset:         184
        .size:           8
        .value_kind:     hidden_global_offset_z
      - .offset:         192
        .size:           2
        .value_kind:     hidden_grid_dims
      - .offset:         248
        .size:           4
        .value_kind:     hidden_dynamic_lds_size
    .group_segment_fixed_size: 272
    .kernarg_segment_align: 8
    .kernarg_segment_size: 384
    .language:       OpenCL C
    .language_version:
      - 2
      - 0
    .max_flat_workgroup_size: 1024
    .name:           _ZN4vllm25paged_attention_v1_kernelIfhLi64ELi32ELi128ELNS_18Fp8KVCacheDataTypeE1ELb1EEEvPT_PKS2_PKT0_S8_ifPKiSA_iPKfiiiSC_SC_iiiii
    .private_segment_fixed_size: 0
    .sgpr_count:     54
    .sgpr_spill_count: 0
    .symbol:         _ZN4vllm25paged_attention_v1_kernelIfhLi64ELi32ELi128ELNS_18Fp8KVCacheDataTypeE1ELb1EEEvPT_PKS2_PKT0_S8_ifPKiSA_iPKfiiiSC_SC_iiiii.kd
    .uniform_work_group_size: 1
    .uses_dynamic_stack: false
    .vgpr_count:     89
    .vgpr_spill_count: 0
    .wavefront_size: 64
  - .agpr_count:     0
    .args:
      - .actual_access:  write_only
        .address_space:  global
        .offset:         0
        .size:           8
        .value_kind:     global_buffer
      - .actual_access:  read_only
        .address_space:  global
        .offset:         8
        .size:           8
        .value_kind:     global_buffer
      - .actual_access:  read_only
        .address_space:  global
        .offset:         16
        .size:           8
        .value_kind:     global_buffer
      - .actual_access:  read_only
        .address_space:  global
        .offset:         24
        .size:           8
        .value_kind:     global_buffer
      - .offset:         32
        .size:           4
        .value_kind:     by_value
      - .offset:         36
        .size:           4
        .value_kind:     by_value
      - .actual_access:  read_only
        .address_space:  global
        .offset:         40
        .size:           8
        .value_kind:     global_buffer
      - .actual_access:  read_only
        .address_space:  global
        .offset:         48
        .size:           8
        .value_kind:     global_buffer
      - .offset:         56
        .size:           4
        .value_kind:     by_value
      - .actual_access:  read_only
        .address_space:  global
        .offset:         64
        .size:           8
        .value_kind:     global_buffer
      - .offset:         72
        .size:           4
        .value_kind:     by_value
      - .offset:         76
        .size:           4
        .value_kind:     by_value
      - .offset:         80
        .size:           4
        .value_kind:     by_value
      - .address_space:  global
        .offset:         88
        .size:           8
        .value_kind:     global_buffer
      - .address_space:  global
        .offset:         96
        .size:           8
        .value_kind:     global_buffer
      - .offset:         104
        .size:           4
        .value_kind:     by_value
      - .offset:         108
        .size:           4
        .value_kind:     by_value
      - .offset:         112
        .size:           4
        .value_kind:     by_value
      - .offset:         116
        .size:           4
        .value_kind:     by_value
      - .offset:         120
        .size:           4
        .value_kind:     by_value
      - .offset:         128
        .size:           4
        .value_kind:     hidden_block_count_x
      - .offset:         132
        .size:           4
        .value_kind:     hidden_block_count_y
      - .offset:         136
        .size:           4
        .value_kind:     hidden_block_count_z
      - .offset:         140
        .size:           2
        .value_kind:     hidden_group_size_x
      - .offset:         142
        .size:           2
        .value_kind:     hidden_group_size_y
      - .offset:         144
        .size:           2
        .value_kind:     hidden_group_size_z
      - .offset:         146
        .size:           2
        .value_kind:     hidden_remainder_x
      - .offset:         148
        .size:           2
        .value_kind:     hidden_remainder_y
      - .offset:         150
        .size:           2
        .value_kind:     hidden_remainder_z
      - .offset:         168
        .size:           8
        .value_kind:     hidden_global_offset_x
      - .offset:         176
        .size:           8
        .value_kind:     hidden_global_offset_y
      - .offset:         184
        .size:           8
        .value_kind:     hidden_global_offset_z
      - .offset:         192
        .size:           2
        .value_kind:     hidden_grid_dims
      - .offset:         248
        .size:           4
        .value_kind:     hidden_dynamic_lds_size
    .group_segment_fixed_size: 336
    .kernarg_segment_align: 8
    .kernarg_segment_size: 384
    .language:       OpenCL C
    .language_version:
      - 2
      - 0
    .max_flat_workgroup_size: 1024
    .name:           _ZN4vllm25paged_attention_v1_kernelIfhLi80ELi32ELi128ELNS_18Fp8KVCacheDataTypeE1ELb1EEEvPT_PKS2_PKT0_S8_ifPKiSA_iPKfiiiSC_SC_iiiii
    .private_segment_fixed_size: 0
    .sgpr_count:     55
    .sgpr_spill_count: 0
    .symbol:         _ZN4vllm25paged_attention_v1_kernelIfhLi80ELi32ELi128ELNS_18Fp8KVCacheDataTypeE1ELb1EEEvPT_PKS2_PKT0_S8_ifPKiSA_iPKfiiiSC_SC_iiiii.kd
    .uniform_work_group_size: 1
    .uses_dynamic_stack: false
    .vgpr_count:     91
    .vgpr_spill_count: 0
    .wavefront_size: 64
  - .agpr_count:     0
    .args:
      - .actual_access:  write_only
        .address_space:  global
        .offset:         0
        .size:           8
        .value_kind:     global_buffer
      - .actual_access:  read_only
        .address_space:  global
        .offset:         8
        .size:           8
        .value_kind:     global_buffer
      - .actual_access:  read_only
        .address_space:  global
        .offset:         16
        .size:           8
        .value_kind:     global_buffer
      - .actual_access:  read_only
        .address_space:  global
        .offset:         24
        .size:           8
        .value_kind:     global_buffer
      - .offset:         32
        .size:           4
        .value_kind:     by_value
      - .offset:         36
        .size:           4
        .value_kind:     by_value
      - .actual_access:  read_only
        .address_space:  global
        .offset:         40
        .size:           8
        .value_kind:     global_buffer
      - .actual_access:  read_only
        .address_space:  global
        .offset:         48
        .size:           8
        .value_kind:     global_buffer
      - .offset:         56
        .size:           4
        .value_kind:     by_value
      - .actual_access:  read_only
        .address_space:  global
        .offset:         64
        .size:           8
        .value_kind:     global_buffer
      - .offset:         72
        .size:           4
        .value_kind:     by_value
      - .offset:         76
        .size:           4
        .value_kind:     by_value
      - .offset:         80
        .size:           4
        .value_kind:     by_value
      - .address_space:  global
        .offset:         88
        .size:           8
        .value_kind:     global_buffer
      - .address_space:  global
        .offset:         96
        .size:           8
        .value_kind:     global_buffer
      - .offset:         104
        .size:           4
        .value_kind:     by_value
      - .offset:         108
        .size:           4
        .value_kind:     by_value
      - .offset:         112
        .size:           4
        .value_kind:     by_value
      - .offset:         116
        .size:           4
        .value_kind:     by_value
      - .offset:         120
        .size:           4
        .value_kind:     by_value
      - .offset:         128
        .size:           4
        .value_kind:     hidden_block_count_x
      - .offset:         132
        .size:           4
        .value_kind:     hidden_block_count_y
      - .offset:         136
        .size:           4
        .value_kind:     hidden_block_count_z
      - .offset:         140
        .size:           2
        .value_kind:     hidden_group_size_x
      - .offset:         142
        .size:           2
        .value_kind:     hidden_group_size_y
      - .offset:         144
        .size:           2
        .value_kind:     hidden_group_size_z
      - .offset:         146
        .size:           2
        .value_kind:     hidden_remainder_x
      - .offset:         148
        .size:           2
        .value_kind:     hidden_remainder_y
      - .offset:         150
        .size:           2
        .value_kind:     hidden_remainder_z
      - .offset:         168
        .size:           8
        .value_kind:     hidden_global_offset_x
      - .offset:         176
        .size:           8
        .value_kind:     hidden_global_offset_y
      - .offset:         184
        .size:           8
        .value_kind:     hidden_global_offset_z
      - .offset:         192
        .size:           2
        .value_kind:     hidden_grid_dims
      - .offset:         248
        .size:           4
        .value_kind:     hidden_dynamic_lds_size
    .group_segment_fixed_size: 400
    .kernarg_segment_align: 8
    .kernarg_segment_size: 384
    .language:       OpenCL C
    .language_version:
      - 2
      - 0
    .max_flat_workgroup_size: 1024
    .name:           _ZN4vllm25paged_attention_v1_kernelIfhLi96ELi32ELi128ELNS_18Fp8KVCacheDataTypeE1ELb1EEEvPT_PKS2_PKT0_S8_ifPKiSA_iPKfiiiSC_SC_iiiii
    .private_segment_fixed_size: 0
    .sgpr_count:     55
    .sgpr_spill_count: 0
    .symbol:         _ZN4vllm25paged_attention_v1_kernelIfhLi96ELi32ELi128ELNS_18Fp8KVCacheDataTypeE1ELb1EEEvPT_PKS2_PKT0_S8_ifPKiSA_iPKfiiiSC_SC_iiiii.kd
    .uniform_work_group_size: 1
    .uses_dynamic_stack: false
    .vgpr_count:     107
    .vgpr_spill_count: 0
    .wavefront_size: 64
  - .agpr_count:     0
    .args:
      - .actual_access:  write_only
        .address_space:  global
        .offset:         0
        .size:           8
        .value_kind:     global_buffer
      - .actual_access:  read_only
        .address_space:  global
        .offset:         8
        .size:           8
        .value_kind:     global_buffer
      - .actual_access:  read_only
        .address_space:  global
        .offset:         16
        .size:           8
        .value_kind:     global_buffer
      - .actual_access:  read_only
        .address_space:  global
        .offset:         24
        .size:           8
        .value_kind:     global_buffer
      - .offset:         32
        .size:           4
        .value_kind:     by_value
      - .offset:         36
        .size:           4
        .value_kind:     by_value
      - .actual_access:  read_only
        .address_space:  global
        .offset:         40
        .size:           8
        .value_kind:     global_buffer
      - .actual_access:  read_only
        .address_space:  global
        .offset:         48
        .size:           8
        .value_kind:     global_buffer
      - .offset:         56
        .size:           4
        .value_kind:     by_value
      - .actual_access:  read_only
        .address_space:  global
        .offset:         64
        .size:           8
        .value_kind:     global_buffer
      - .offset:         72
        .size:           4
        .value_kind:     by_value
      - .offset:         76
        .size:           4
        .value_kind:     by_value
      - .offset:         80
        .size:           4
        .value_kind:     by_value
      - .address_space:  global
        .offset:         88
        .size:           8
        .value_kind:     global_buffer
      - .address_space:  global
        .offset:         96
        .size:           8
        .value_kind:     global_buffer
      - .offset:         104
        .size:           4
        .value_kind:     by_value
      - .offset:         108
        .size:           4
        .value_kind:     by_value
      - .offset:         112
        .size:           4
        .value_kind:     by_value
      - .offset:         116
        .size:           4
        .value_kind:     by_value
      - .offset:         120
        .size:           4
        .value_kind:     by_value
      - .offset:         128
        .size:           4
        .value_kind:     hidden_block_count_x
      - .offset:         132
        .size:           4
        .value_kind:     hidden_block_count_y
      - .offset:         136
        .size:           4
        .value_kind:     hidden_block_count_z
      - .offset:         140
        .size:           2
        .value_kind:     hidden_group_size_x
      - .offset:         142
        .size:           2
        .value_kind:     hidden_group_size_y
      - .offset:         144
        .size:           2
        .value_kind:     hidden_group_size_z
      - .offset:         146
        .size:           2
        .value_kind:     hidden_remainder_x
      - .offset:         148
        .size:           2
        .value_kind:     hidden_remainder_y
      - .offset:         150
        .size:           2
        .value_kind:     hidden_remainder_z
      - .offset:         168
        .size:           8
        .value_kind:     hidden_global_offset_x
      - .offset:         176
        .size:           8
        .value_kind:     hidden_global_offset_y
      - .offset:         184
        .size:           8
        .value_kind:     hidden_global_offset_z
      - .offset:         192
        .size:           2
        .value_kind:     hidden_grid_dims
      - .offset:         248
        .size:           4
        .value_kind:     hidden_dynamic_lds_size
    .group_segment_fixed_size: 464
    .kernarg_segment_align: 8
    .kernarg_segment_size: 384
    .language:       OpenCL C
    .language_version:
      - 2
      - 0
    .max_flat_workgroup_size: 1024
    .name:           _ZN4vllm25paged_attention_v1_kernelIfhLi112ELi32ELi128ELNS_18Fp8KVCacheDataTypeE1ELb1EEEvPT_PKS2_PKT0_S8_ifPKiSA_iPKfiiiSC_SC_iiiii
    .private_segment_fixed_size: 0
    .sgpr_count:     55
    .sgpr_spill_count: 0
    .symbol:         _ZN4vllm25paged_attention_v1_kernelIfhLi112ELi32ELi128ELNS_18Fp8KVCacheDataTypeE1ELb1EEEvPT_PKS2_PKT0_S8_ifPKiSA_iPKfiiiSC_SC_iiiii.kd
    .uniform_work_group_size: 1
    .uses_dynamic_stack: false
    .vgpr_count:     107
    .vgpr_spill_count: 0
    .wavefront_size: 64
  - .agpr_count:     0
    .args:
      - .actual_access:  write_only
        .address_space:  global
        .offset:         0
        .size:           8
        .value_kind:     global_buffer
      - .actual_access:  read_only
        .address_space:  global
        .offset:         8
        .size:           8
        .value_kind:     global_buffer
      - .actual_access:  read_only
        .address_space:  global
        .offset:         16
        .size:           8
        .value_kind:     global_buffer
      - .actual_access:  read_only
        .address_space:  global
        .offset:         24
        .size:           8
        .value_kind:     global_buffer
      - .offset:         32
        .size:           4
        .value_kind:     by_value
      - .offset:         36
        .size:           4
        .value_kind:     by_value
      - .actual_access:  read_only
        .address_space:  global
        .offset:         40
        .size:           8
        .value_kind:     global_buffer
      - .actual_access:  read_only
        .address_space:  global
        .offset:         48
        .size:           8
        .value_kind:     global_buffer
      - .offset:         56
        .size:           4
        .value_kind:     by_value
      - .actual_access:  read_only
        .address_space:  global
        .offset:         64
        .size:           8
        .value_kind:     global_buffer
      - .offset:         72
        .size:           4
        .value_kind:     by_value
      - .offset:         76
        .size:           4
        .value_kind:     by_value
      - .offset:         80
        .size:           4
        .value_kind:     by_value
      - .address_space:  global
        .offset:         88
        .size:           8
        .value_kind:     global_buffer
      - .address_space:  global
        .offset:         96
        .size:           8
        .value_kind:     global_buffer
      - .offset:         104
        .size:           4
        .value_kind:     by_value
      - .offset:         108
        .size:           4
        .value_kind:     by_value
      - .offset:         112
        .size:           4
        .value_kind:     by_value
      - .offset:         116
        .size:           4
        .value_kind:     by_value
      - .offset:         120
        .size:           4
        .value_kind:     by_value
      - .offset:         128
        .size:           4
        .value_kind:     hidden_block_count_x
      - .offset:         132
        .size:           4
        .value_kind:     hidden_block_count_y
      - .offset:         136
        .size:           4
        .value_kind:     hidden_block_count_z
      - .offset:         140
        .size:           2
        .value_kind:     hidden_group_size_x
      - .offset:         142
        .size:           2
        .value_kind:     hidden_group_size_y
      - .offset:         144
        .size:           2
        .value_kind:     hidden_group_size_z
      - .offset:         146
        .size:           2
        .value_kind:     hidden_remainder_x
      - .offset:         148
        .size:           2
        .value_kind:     hidden_remainder_y
      - .offset:         150
        .size:           2
        .value_kind:     hidden_remainder_z
      - .offset:         168
        .size:           8
        .value_kind:     hidden_global_offset_x
      - .offset:         176
        .size:           8
        .value_kind:     hidden_global_offset_y
      - .offset:         184
        .size:           8
        .value_kind:     hidden_global_offset_z
      - .offset:         192
        .size:           2
        .value_kind:     hidden_grid_dims
      - .offset:         248
        .size:           4
        .value_kind:     hidden_dynamic_lds_size
    .group_segment_fixed_size: 496
    .kernarg_segment_align: 8
    .kernarg_segment_size: 384
    .language:       OpenCL C
    .language_version:
      - 2
      - 0
    .max_flat_workgroup_size: 1024
    .name:           _ZN4vllm25paged_attention_v1_kernelIfhLi120ELi32ELi128ELNS_18Fp8KVCacheDataTypeE1ELb1EEEvPT_PKS2_PKT0_S8_ifPKiSA_iPKfiiiSC_SC_iiiii
    .private_segment_fixed_size: 0
    .sgpr_count:     55
    .sgpr_spill_count: 0
    .symbol:         _ZN4vllm25paged_attention_v1_kernelIfhLi120ELi32ELi128ELNS_18Fp8KVCacheDataTypeE1ELb1EEEvPT_PKS2_PKT0_S8_ifPKiSA_iPKfiiiSC_SC_iiiii.kd
    .uniform_work_group_size: 1
    .uses_dynamic_stack: false
    .vgpr_count:     98
    .vgpr_spill_count: 0
    .wavefront_size: 64
  - .agpr_count:     0
    .args:
      - .actual_access:  write_only
        .address_space:  global
        .offset:         0
        .size:           8
        .value_kind:     global_buffer
      - .actual_access:  read_only
        .address_space:  global
        .offset:         8
        .size:           8
        .value_kind:     global_buffer
      - .actual_access:  read_only
        .address_space:  global
        .offset:         16
        .size:           8
        .value_kind:     global_buffer
      - .actual_access:  read_only
        .address_space:  global
        .offset:         24
        .size:           8
        .value_kind:     global_buffer
      - .offset:         32
        .size:           4
        .value_kind:     by_value
      - .offset:         36
        .size:           4
        .value_kind:     by_value
      - .actual_access:  read_only
        .address_space:  global
        .offset:         40
        .size:           8
        .value_kind:     global_buffer
      - .actual_access:  read_only
        .address_space:  global
        .offset:         48
        .size:           8
        .value_kind:     global_buffer
      - .offset:         56
        .size:           4
        .value_kind:     by_value
      - .actual_access:  read_only
        .address_space:  global
        .offset:         64
        .size:           8
        .value_kind:     global_buffer
      - .offset:         72
        .size:           4
        .value_kind:     by_value
      - .offset:         76
        .size:           4
        .value_kind:     by_value
      - .offset:         80
        .size:           4
        .value_kind:     by_value
      - .address_space:  global
        .offset:         88
        .size:           8
        .value_kind:     global_buffer
      - .address_space:  global
        .offset:         96
        .size:           8
        .value_kind:     global_buffer
      - .offset:         104
        .size:           4
        .value_kind:     by_value
      - .offset:         108
        .size:           4
        .value_kind:     by_value
      - .offset:         112
        .size:           4
        .value_kind:     by_value
      - .offset:         116
        .size:           4
        .value_kind:     by_value
      - .offset:         120
        .size:           4
        .value_kind:     by_value
      - .offset:         128
        .size:           4
        .value_kind:     hidden_block_count_x
      - .offset:         132
        .size:           4
        .value_kind:     hidden_block_count_y
      - .offset:         136
        .size:           4
        .value_kind:     hidden_block_count_z
      - .offset:         140
        .size:           2
        .value_kind:     hidden_group_size_x
      - .offset:         142
        .size:           2
        .value_kind:     hidden_group_size_y
      - .offset:         144
        .size:           2
        .value_kind:     hidden_group_size_z
      - .offset:         146
        .size:           2
        .value_kind:     hidden_remainder_x
      - .offset:         148
        .size:           2
        .value_kind:     hidden_remainder_y
      - .offset:         150
        .size:           2
        .value_kind:     hidden_remainder_z
      - .offset:         168
        .size:           8
        .value_kind:     hidden_global_offset_x
      - .offset:         176
        .size:           8
        .value_kind:     hidden_global_offset_y
      - .offset:         184
        .size:           8
        .value_kind:     hidden_global_offset_z
      - .offset:         192
        .size:           2
        .value_kind:     hidden_grid_dims
      - .offset:         248
        .size:           4
        .value_kind:     hidden_dynamic_lds_size
    .group_segment_fixed_size: 528
    .kernarg_segment_align: 8
    .kernarg_segment_size: 384
    .language:       OpenCL C
    .language_version:
      - 2
      - 0
    .max_flat_workgroup_size: 1024
    .name:           _ZN4vllm25paged_attention_v1_kernelIfhLi128ELi32ELi128ELNS_18Fp8KVCacheDataTypeE1ELb1EEEvPT_PKS2_PKT0_S8_ifPKiSA_iPKfiiiSC_SC_iiiii
    .private_segment_fixed_size: 0
    .sgpr_count:     57
    .sgpr_spill_count: 0
    .symbol:         _ZN4vllm25paged_attention_v1_kernelIfhLi128ELi32ELi128ELNS_18Fp8KVCacheDataTypeE1ELb1EEEvPT_PKS2_PKT0_S8_ifPKiSA_iPKfiiiSC_SC_iiiii.kd
    .uniform_work_group_size: 1
    .uses_dynamic_stack: false
    .vgpr_count:     106
    .vgpr_spill_count: 0
    .wavefront_size: 64
  - .agpr_count:     0
    .args:
      - .actual_access:  write_only
        .address_space:  global
        .offset:         0
        .size:           8
        .value_kind:     global_buffer
      - .actual_access:  read_only
        .address_space:  global
        .offset:         8
        .size:           8
        .value_kind:     global_buffer
      - .actual_access:  read_only
        .address_space:  global
        .offset:         16
        .size:           8
        .value_kind:     global_buffer
      - .actual_access:  read_only
        .address_space:  global
        .offset:         24
        .size:           8
        .value_kind:     global_buffer
      - .offset:         32
        .size:           4
        .value_kind:     by_value
      - .offset:         36
        .size:           4
        .value_kind:     by_value
      - .actual_access:  read_only
        .address_space:  global
        .offset:         40
        .size:           8
        .value_kind:     global_buffer
      - .actual_access:  read_only
        .address_space:  global
        .offset:         48
        .size:           8
        .value_kind:     global_buffer
      - .offset:         56
        .size:           4
        .value_kind:     by_value
      - .actual_access:  read_only
        .address_space:  global
        .offset:         64
        .size:           8
        .value_kind:     global_buffer
      - .offset:         72
        .size:           4
        .value_kind:     by_value
      - .offset:         76
        .size:           4
        .value_kind:     by_value
      - .offset:         80
        .size:           4
        .value_kind:     by_value
      - .address_space:  global
        .offset:         88
        .size:           8
        .value_kind:     global_buffer
      - .address_space:  global
        .offset:         96
        .size:           8
        .value_kind:     global_buffer
      - .offset:         104
        .size:           4
        .value_kind:     by_value
      - .offset:         108
        .size:           4
        .value_kind:     by_value
      - .offset:         112
        .size:           4
        .value_kind:     by_value
      - .offset:         116
        .size:           4
        .value_kind:     by_value
      - .offset:         120
        .size:           4
        .value_kind:     by_value
      - .offset:         128
        .size:           4
        .value_kind:     hidden_block_count_x
      - .offset:         132
        .size:           4
        .value_kind:     hidden_block_count_y
      - .offset:         136
        .size:           4
        .value_kind:     hidden_block_count_z
      - .offset:         140
        .size:           2
        .value_kind:     hidden_group_size_x
      - .offset:         142
        .size:           2
        .value_kind:     hidden_group_size_y
      - .offset:         144
        .size:           2
        .value_kind:     hidden_group_size_z
      - .offset:         146
        .size:           2
        .value_kind:     hidden_remainder_x
      - .offset:         148
        .size:           2
        .value_kind:     hidden_remainder_y
      - .offset:         150
        .size:           2
        .value_kind:     hidden_remainder_z
      - .offset:         168
        .size:           8
        .value_kind:     hidden_global_offset_x
      - .offset:         176
        .size:           8
        .value_kind:     hidden_global_offset_y
      - .offset:         184
        .size:           8
        .value_kind:     hidden_global_offset_z
      - .offset:         192
        .size:           2
        .value_kind:     hidden_grid_dims
      - .offset:         248
        .size:           4
        .value_kind:     hidden_dynamic_lds_size
    .group_segment_fixed_size: 784
    .kernarg_segment_align: 8
    .kernarg_segment_size: 384
    .language:       OpenCL C
    .language_version:
      - 2
      - 0
    .max_flat_workgroup_size: 1024
    .name:           _ZN4vllm25paged_attention_v1_kernelIfhLi192ELi32ELi128ELNS_18Fp8KVCacheDataTypeE1ELb1EEEvPT_PKS2_PKT0_S8_ifPKiSA_iPKfiiiSC_SC_iiiii
    .private_segment_fixed_size: 76
    .sgpr_count:     63
    .sgpr_spill_count: 0
    .symbol:         _ZN4vllm25paged_attention_v1_kernelIfhLi192ELi32ELi128ELNS_18Fp8KVCacheDataTypeE1ELb1EEEvPT_PKS2_PKT0_S8_ifPKiSA_iPKfiiiSC_SC_iiiii.kd
    .uniform_work_group_size: 1
    .uses_dynamic_stack: false
    .vgpr_count:     128
    .vgpr_spill_count: 18
    .wavefront_size: 64
  - .agpr_count:     0
    .args:
      - .actual_access:  write_only
        .address_space:  global
        .offset:         0
        .size:           8
        .value_kind:     global_buffer
      - .actual_access:  read_only
        .address_space:  global
        .offset:         8
        .size:           8
        .value_kind:     global_buffer
      - .actual_access:  read_only
        .address_space:  global
        .offset:         16
        .size:           8
        .value_kind:     global_buffer
      - .actual_access:  read_only
        .address_space:  global
        .offset:         24
        .size:           8
        .value_kind:     global_buffer
      - .offset:         32
        .size:           4
        .value_kind:     by_value
      - .offset:         36
        .size:           4
        .value_kind:     by_value
      - .actual_access:  read_only
        .address_space:  global
        .offset:         40
        .size:           8
        .value_kind:     global_buffer
      - .actual_access:  read_only
        .address_space:  global
        .offset:         48
        .size:           8
        .value_kind:     global_buffer
      - .offset:         56
        .size:           4
        .value_kind:     by_value
      - .actual_access:  read_only
        .address_space:  global
        .offset:         64
        .size:           8
        .value_kind:     global_buffer
      - .offset:         72
        .size:           4
        .value_kind:     by_value
      - .offset:         76
        .size:           4
        .value_kind:     by_value
      - .offset:         80
        .size:           4
        .value_kind:     by_value
      - .address_space:  global
        .offset:         88
        .size:           8
        .value_kind:     global_buffer
      - .address_space:  global
        .offset:         96
        .size:           8
        .value_kind:     global_buffer
      - .offset:         104
        .size:           4
        .value_kind:     by_value
      - .offset:         108
        .size:           4
        .value_kind:     by_value
      - .offset:         112
        .size:           4
        .value_kind:     by_value
      - .offset:         116
        .size:           4
        .value_kind:     by_value
      - .offset:         120
        .size:           4
        .value_kind:     by_value
      - .offset:         128
        .size:           4
        .value_kind:     hidden_block_count_x
      - .offset:         132
        .size:           4
        .value_kind:     hidden_block_count_y
      - .offset:         136
        .size:           4
        .value_kind:     hidden_block_count_z
      - .offset:         140
        .size:           2
        .value_kind:     hidden_group_size_x
      - .offset:         142
        .size:           2
        .value_kind:     hidden_group_size_y
      - .offset:         144
        .size:           2
        .value_kind:     hidden_group_size_z
      - .offset:         146
        .size:           2
        .value_kind:     hidden_remainder_x
      - .offset:         148
        .size:           2
        .value_kind:     hidden_remainder_y
      - .offset:         150
        .size:           2
        .value_kind:     hidden_remainder_z
      - .offset:         168
        .size:           8
        .value_kind:     hidden_global_offset_x
      - .offset:         176
        .size:           8
        .value_kind:     hidden_global_offset_y
      - .offset:         184
        .size:           8
        .value_kind:     hidden_global_offset_z
      - .offset:         192
        .size:           2
        .value_kind:     hidden_grid_dims
      - .offset:         248
        .size:           4
        .value_kind:     hidden_dynamic_lds_size
    .group_segment_fixed_size: 1040
    .kernarg_segment_align: 8
    .kernarg_segment_size: 384
    .language:       OpenCL C
    .language_version:
      - 2
      - 0
    .max_flat_workgroup_size: 1024
    .name:           _ZN4vllm25paged_attention_v1_kernelIfhLi256ELi32ELi128ELNS_18Fp8KVCacheDataTypeE1ELb1EEEvPT_PKS2_PKT0_S8_ifPKiSA_iPKfiiiSC_SC_iiiii
    .private_segment_fixed_size: 252
    .sgpr_count:     71
    .sgpr_spill_count: 0
    .symbol:         _ZN4vllm25paged_attention_v1_kernelIfhLi256ELi32ELi128ELNS_18Fp8KVCacheDataTypeE1ELb1EEEvPT_PKS2_PKT0_S8_ifPKiSA_iPKfiiiSC_SC_iiiii.kd
    .uniform_work_group_size: 1
    .uses_dynamic_stack: false
    .vgpr_count:     128
    .vgpr_spill_count: 128
    .wavefront_size: 64
  - .agpr_count:     0
    .args:
      - .actual_access:  write_only
        .address_space:  global
        .offset:         0
        .size:           8
        .value_kind:     global_buffer
      - .actual_access:  read_only
        .address_space:  global
        .offset:         8
        .size:           8
        .value_kind:     global_buffer
      - .actual_access:  read_only
        .address_space:  global
        .offset:         16
        .size:           8
        .value_kind:     global_buffer
      - .actual_access:  read_only
        .address_space:  global
        .offset:         24
        .size:           8
        .value_kind:     global_buffer
      - .offset:         32
        .size:           4
        .value_kind:     by_value
      - .offset:         36
        .size:           4
        .value_kind:     by_value
      - .actual_access:  read_only
        .address_space:  global
        .offset:         40
        .size:           8
        .value_kind:     global_buffer
      - .actual_access:  read_only
        .address_space:  global
        .offset:         48
        .size:           8
        .value_kind:     global_buffer
      - .offset:         56
        .size:           4
        .value_kind:     by_value
      - .actual_access:  read_only
        .address_space:  global
        .offset:         64
        .size:           8
        .value_kind:     global_buffer
      - .offset:         72
        .size:           4
        .value_kind:     by_value
      - .offset:         76
        .size:           4
        .value_kind:     by_value
      - .offset:         80
        .size:           4
        .value_kind:     by_value
      - .address_space:  global
        .offset:         88
        .size:           8
        .value_kind:     global_buffer
      - .address_space:  global
        .offset:         96
        .size:           8
        .value_kind:     global_buffer
      - .offset:         104
        .size:           4
        .value_kind:     by_value
      - .offset:         108
        .size:           4
        .value_kind:     by_value
      - .offset:         112
        .size:           4
        .value_kind:     by_value
      - .offset:         116
        .size:           4
        .value_kind:     by_value
      - .offset:         120
        .size:           4
        .value_kind:     by_value
      - .offset:         128
        .size:           4
        .value_kind:     hidden_block_count_x
      - .offset:         132
        .size:           4
        .value_kind:     hidden_block_count_y
      - .offset:         136
        .size:           4
        .value_kind:     hidden_block_count_z
      - .offset:         140
        .size:           2
        .value_kind:     hidden_group_size_x
      - .offset:         142
        .size:           2
        .value_kind:     hidden_group_size_y
      - .offset:         144
        .size:           2
        .value_kind:     hidden_group_size_z
      - .offset:         146
        .size:           2
        .value_kind:     hidden_remainder_x
      - .offset:         148
        .size:           2
        .value_kind:     hidden_remainder_y
      - .offset:         150
        .size:           2
        .value_kind:     hidden_remainder_z
      - .offset:         168
        .size:           8
        .value_kind:     hidden_global_offset_x
      - .offset:         176
        .size:           8
        .value_kind:     hidden_global_offset_y
      - .offset:         184
        .size:           8
        .value_kind:     hidden_global_offset_z
      - .offset:         192
        .size:           2
        .value_kind:     hidden_grid_dims
      - .offset:         248
        .size:           4
        .value_kind:     hidden_dynamic_lds_size
    .group_segment_fixed_size: 144
    .kernarg_segment_align: 8
    .kernarg_segment_size: 384
    .language:       OpenCL C
    .language_version:
      - 2
      - 0
    .max_flat_workgroup_size: 1024
    .name:           _ZN4vllm25paged_attention_v1_kernelIfhLi32ELi32ELi128ELNS_18Fp8KVCacheDataTypeE1ELb0EEEvPT_PKS2_PKT0_S8_ifPKiSA_iPKfiiiSC_SC_iiiii
    .private_segment_fixed_size: 0
    .sgpr_count:     44
    .sgpr_spill_count: 0
    .symbol:         _ZN4vllm25paged_attention_v1_kernelIfhLi32ELi32ELi128ELNS_18Fp8KVCacheDataTypeE1ELb0EEEvPT_PKS2_PKT0_S8_ifPKiSA_iPKfiiiSC_SC_iiiii.kd
    .uniform_work_group_size: 1
    .uses_dynamic_stack: false
    .vgpr_count:     48
    .vgpr_spill_count: 0
    .wavefront_size: 64
  - .agpr_count:     0
    .args:
      - .actual_access:  write_only
        .address_space:  global
        .offset:         0
        .size:           8
        .value_kind:     global_buffer
      - .actual_access:  read_only
        .address_space:  global
        .offset:         8
        .size:           8
        .value_kind:     global_buffer
      - .actual_access:  read_only
        .address_space:  global
        .offset:         16
        .size:           8
        .value_kind:     global_buffer
      - .actual_access:  read_only
        .address_space:  global
        .offset:         24
        .size:           8
        .value_kind:     global_buffer
      - .offset:         32
        .size:           4
        .value_kind:     by_value
      - .offset:         36
        .size:           4
        .value_kind:     by_value
      - .actual_access:  read_only
        .address_space:  global
        .offset:         40
        .size:           8
        .value_kind:     global_buffer
      - .actual_access:  read_only
        .address_space:  global
        .offset:         48
        .size:           8
        .value_kind:     global_buffer
      - .offset:         56
        .size:           4
        .value_kind:     by_value
      - .actual_access:  read_only
        .address_space:  global
        .offset:         64
        .size:           8
        .value_kind:     global_buffer
      - .offset:         72
        .size:           4
        .value_kind:     by_value
      - .offset:         76
        .size:           4
        .value_kind:     by_value
      - .offset:         80
        .size:           4
        .value_kind:     by_value
      - .address_space:  global
        .offset:         88
        .size:           8
        .value_kind:     global_buffer
      - .address_space:  global
        .offset:         96
        .size:           8
        .value_kind:     global_buffer
      - .offset:         104
        .size:           4
        .value_kind:     by_value
      - .offset:         108
        .size:           4
        .value_kind:     by_value
      - .offset:         112
        .size:           4
        .value_kind:     by_value
      - .offset:         116
        .size:           4
        .value_kind:     by_value
      - .offset:         120
        .size:           4
        .value_kind:     by_value
      - .offset:         128
        .size:           4
        .value_kind:     hidden_block_count_x
      - .offset:         132
        .size:           4
        .value_kind:     hidden_block_count_y
      - .offset:         136
        .size:           4
        .value_kind:     hidden_block_count_z
      - .offset:         140
        .size:           2
        .value_kind:     hidden_group_size_x
      - .offset:         142
        .size:           2
        .value_kind:     hidden_group_size_y
      - .offset:         144
        .size:           2
        .value_kind:     hidden_group_size_z
      - .offset:         146
        .size:           2
        .value_kind:     hidden_remainder_x
      - .offset:         148
        .size:           2
        .value_kind:     hidden_remainder_y
      - .offset:         150
        .size:           2
        .value_kind:     hidden_remainder_z
      - .offset:         168
        .size:           8
        .value_kind:     hidden_global_offset_x
      - .offset:         176
        .size:           8
        .value_kind:     hidden_global_offset_y
      - .offset:         184
        .size:           8
        .value_kind:     hidden_global_offset_z
      - .offset:         192
        .size:           2
        .value_kind:     hidden_grid_dims
      - .offset:         248
        .size:           4
        .value_kind:     hidden_dynamic_lds_size
    .group_segment_fixed_size: 272
    .kernarg_segment_align: 8
    .kernarg_segment_size: 384
    .language:       OpenCL C
    .language_version:
      - 2
      - 0
    .max_flat_workgroup_size: 1024
    .name:           _ZN4vllm25paged_attention_v1_kernelIfhLi64ELi32ELi128ELNS_18Fp8KVCacheDataTypeE1ELb0EEEvPT_PKS2_PKT0_S8_ifPKiSA_iPKfiiiSC_SC_iiiii
    .private_segment_fixed_size: 0
    .sgpr_count:     44
    .sgpr_spill_count: 0
    .symbol:         _ZN4vllm25paged_attention_v1_kernelIfhLi64ELi32ELi128ELNS_18Fp8KVCacheDataTypeE1ELb0EEEvPT_PKS2_PKT0_S8_ifPKiSA_iPKfiiiSC_SC_iiiii.kd
    .uniform_work_group_size: 1
    .uses_dynamic_stack: false
    .vgpr_count:     80
    .vgpr_spill_count: 0
    .wavefront_size: 64
  - .agpr_count:     0
    .args:
      - .actual_access:  write_only
        .address_space:  global
        .offset:         0
        .size:           8
        .value_kind:     global_buffer
      - .actual_access:  read_only
        .address_space:  global
        .offset:         8
        .size:           8
        .value_kind:     global_buffer
      - .actual_access:  read_only
        .address_space:  global
        .offset:         16
        .size:           8
        .value_kind:     global_buffer
      - .actual_access:  read_only
        .address_space:  global
        .offset:         24
        .size:           8
        .value_kind:     global_buffer
      - .offset:         32
        .size:           4
        .value_kind:     by_value
      - .offset:         36
        .size:           4
        .value_kind:     by_value
      - .actual_access:  read_only
        .address_space:  global
        .offset:         40
        .size:           8
        .value_kind:     global_buffer
      - .actual_access:  read_only
        .address_space:  global
        .offset:         48
        .size:           8
        .value_kind:     global_buffer
      - .offset:         56
        .size:           4
        .value_kind:     by_value
      - .actual_access:  read_only
        .address_space:  global
        .offset:         64
        .size:           8
        .value_kind:     global_buffer
      - .offset:         72
        .size:           4
        .value_kind:     by_value
      - .offset:         76
        .size:           4
        .value_kind:     by_value
      - .offset:         80
        .size:           4
        .value_kind:     by_value
      - .address_space:  global
        .offset:         88
        .size:           8
        .value_kind:     global_buffer
      - .address_space:  global
        .offset:         96
        .size:           8
        .value_kind:     global_buffer
      - .offset:         104
        .size:           4
        .value_kind:     by_value
      - .offset:         108
        .size:           4
        .value_kind:     by_value
      - .offset:         112
        .size:           4
        .value_kind:     by_value
      - .offset:         116
        .size:           4
        .value_kind:     by_value
      - .offset:         120
        .size:           4
        .value_kind:     by_value
      - .offset:         128
        .size:           4
        .value_kind:     hidden_block_count_x
      - .offset:         132
        .size:           4
        .value_kind:     hidden_block_count_y
      - .offset:         136
        .size:           4
        .value_kind:     hidden_block_count_z
      - .offset:         140
        .size:           2
        .value_kind:     hidden_group_size_x
      - .offset:         142
        .size:           2
        .value_kind:     hidden_group_size_y
      - .offset:         144
        .size:           2
        .value_kind:     hidden_group_size_z
      - .offset:         146
        .size:           2
        .value_kind:     hidden_remainder_x
      - .offset:         148
        .size:           2
        .value_kind:     hidden_remainder_y
      - .offset:         150
        .size:           2
        .value_kind:     hidden_remainder_z
      - .offset:         168
        .size:           8
        .value_kind:     hidden_global_offset_x
      - .offset:         176
        .size:           8
        .value_kind:     hidden_global_offset_y
      - .offset:         184
        .size:           8
        .value_kind:     hidden_global_offset_z
      - .offset:         192
        .size:           2
        .value_kind:     hidden_grid_dims
      - .offset:         248
        .size:           4
        .value_kind:     hidden_dynamic_lds_size
    .group_segment_fixed_size: 336
    .kernarg_segment_align: 8
    .kernarg_segment_size: 384
    .language:       OpenCL C
    .language_version:
      - 2
      - 0
    .max_flat_workgroup_size: 1024
    .name:           _ZN4vllm25paged_attention_v1_kernelIfhLi80ELi32ELi128ELNS_18Fp8KVCacheDataTypeE1ELb0EEEvPT_PKS2_PKT0_S8_ifPKiSA_iPKfiiiSC_SC_iiiii
    .private_segment_fixed_size: 0
    .sgpr_count:     44
    .sgpr_spill_count: 0
    .symbol:         _ZN4vllm25paged_attention_v1_kernelIfhLi80ELi32ELi128ELNS_18Fp8KVCacheDataTypeE1ELb0EEEvPT_PKS2_PKT0_S8_ifPKiSA_iPKfiiiSC_SC_iiiii.kd
    .uniform_work_group_size: 1
    .uses_dynamic_stack: false
    .vgpr_count:     88
    .vgpr_spill_count: 0
    .wavefront_size: 64
  - .agpr_count:     0
    .args:
      - .actual_access:  write_only
        .address_space:  global
        .offset:         0
        .size:           8
        .value_kind:     global_buffer
      - .actual_access:  read_only
        .address_space:  global
        .offset:         8
        .size:           8
        .value_kind:     global_buffer
      - .actual_access:  read_only
        .address_space:  global
        .offset:         16
        .size:           8
        .value_kind:     global_buffer
      - .actual_access:  read_only
        .address_space:  global
        .offset:         24
        .size:           8
        .value_kind:     global_buffer
      - .offset:         32
        .size:           4
        .value_kind:     by_value
      - .offset:         36
        .size:           4
        .value_kind:     by_value
      - .actual_access:  read_only
        .address_space:  global
        .offset:         40
        .size:           8
        .value_kind:     global_buffer
      - .actual_access:  read_only
        .address_space:  global
        .offset:         48
        .size:           8
        .value_kind:     global_buffer
      - .offset:         56
        .size:           4
        .value_kind:     by_value
      - .actual_access:  read_only
        .address_space:  global
        .offset:         64
        .size:           8
        .value_kind:     global_buffer
      - .offset:         72
        .size:           4
        .value_kind:     by_value
      - .offset:         76
        .size:           4
        .value_kind:     by_value
      - .offset:         80
        .size:           4
        .value_kind:     by_value
      - .address_space:  global
        .offset:         88
        .size:           8
        .value_kind:     global_buffer
      - .address_space:  global
        .offset:         96
        .size:           8
        .value_kind:     global_buffer
      - .offset:         104
        .size:           4
        .value_kind:     by_value
      - .offset:         108
        .size:           4
        .value_kind:     by_value
      - .offset:         112
        .size:           4
        .value_kind:     by_value
      - .offset:         116
        .size:           4
        .value_kind:     by_value
      - .offset:         120
        .size:           4
        .value_kind:     by_value
      - .offset:         128
        .size:           4
        .value_kind:     hidden_block_count_x
      - .offset:         132
        .size:           4
        .value_kind:     hidden_block_count_y
      - .offset:         136
        .size:           4
        .value_kind:     hidden_block_count_z
      - .offset:         140
        .size:           2
        .value_kind:     hidden_group_size_x
      - .offset:         142
        .size:           2
        .value_kind:     hidden_group_size_y
      - .offset:         144
        .size:           2
        .value_kind:     hidden_group_size_z
      - .offset:         146
        .size:           2
        .value_kind:     hidden_remainder_x
      - .offset:         148
        .size:           2
        .value_kind:     hidden_remainder_y
      - .offset:         150
        .size:           2
        .value_kind:     hidden_remainder_z
      - .offset:         168
        .size:           8
        .value_kind:     hidden_global_offset_x
      - .offset:         176
        .size:           8
        .value_kind:     hidden_global_offset_y
      - .offset:         184
        .size:           8
        .value_kind:     hidden_global_offset_z
      - .offset:         192
        .size:           2
        .value_kind:     hidden_grid_dims
      - .offset:         248
        .size:           4
        .value_kind:     hidden_dynamic_lds_size
    .group_segment_fixed_size: 400
    .kernarg_segment_align: 8
    .kernarg_segment_size: 384
    .language:       OpenCL C
    .language_version:
      - 2
      - 0
    .max_flat_workgroup_size: 1024
    .name:           _ZN4vllm25paged_attention_v1_kernelIfhLi96ELi32ELi128ELNS_18Fp8KVCacheDataTypeE1ELb0EEEvPT_PKS2_PKT0_S8_ifPKiSA_iPKfiiiSC_SC_iiiii
    .private_segment_fixed_size: 0
    .sgpr_count:     44
    .sgpr_spill_count: 0
    .symbol:         _ZN4vllm25paged_attention_v1_kernelIfhLi96ELi32ELi128ELNS_18Fp8KVCacheDataTypeE1ELb0EEEvPT_PKS2_PKT0_S8_ifPKiSA_iPKfiiiSC_SC_iiiii.kd
    .uniform_work_group_size: 1
    .uses_dynamic_stack: false
    .vgpr_count:     104
    .vgpr_spill_count: 0
    .wavefront_size: 64
  - .agpr_count:     0
    .args:
      - .actual_access:  write_only
        .address_space:  global
        .offset:         0
        .size:           8
        .value_kind:     global_buffer
      - .actual_access:  read_only
        .address_space:  global
        .offset:         8
        .size:           8
        .value_kind:     global_buffer
      - .actual_access:  read_only
        .address_space:  global
        .offset:         16
        .size:           8
        .value_kind:     global_buffer
      - .actual_access:  read_only
        .address_space:  global
        .offset:         24
        .size:           8
        .value_kind:     global_buffer
      - .offset:         32
        .size:           4
        .value_kind:     by_value
      - .offset:         36
        .size:           4
        .value_kind:     by_value
      - .actual_access:  read_only
        .address_space:  global
        .offset:         40
        .size:           8
        .value_kind:     global_buffer
      - .actual_access:  read_only
        .address_space:  global
        .offset:         48
        .size:           8
        .value_kind:     global_buffer
      - .offset:         56
        .size:           4
        .value_kind:     by_value
      - .actual_access:  read_only
        .address_space:  global
        .offset:         64
        .size:           8
        .value_kind:     global_buffer
      - .offset:         72
        .size:           4
        .value_kind:     by_value
      - .offset:         76
        .size:           4
        .value_kind:     by_value
      - .offset:         80
        .size:           4
        .value_kind:     by_value
      - .address_space:  global
        .offset:         88
        .size:           8
        .value_kind:     global_buffer
      - .address_space:  global
        .offset:         96
        .size:           8
        .value_kind:     global_buffer
      - .offset:         104
        .size:           4
        .value_kind:     by_value
      - .offset:         108
        .size:           4
        .value_kind:     by_value
      - .offset:         112
        .size:           4
        .value_kind:     by_value
      - .offset:         116
        .size:           4
        .value_kind:     by_value
      - .offset:         120
        .size:           4
        .value_kind:     by_value
      - .offset:         128
        .size:           4
        .value_kind:     hidden_block_count_x
      - .offset:         132
        .size:           4
        .value_kind:     hidden_block_count_y
      - .offset:         136
        .size:           4
        .value_kind:     hidden_block_count_z
      - .offset:         140
        .size:           2
        .value_kind:     hidden_group_size_x
      - .offset:         142
        .size:           2
        .value_kind:     hidden_group_size_y
      - .offset:         144
        .size:           2
        .value_kind:     hidden_group_size_z
      - .offset:         146
        .size:           2
        .value_kind:     hidden_remainder_x
      - .offset:         148
        .size:           2
        .value_kind:     hidden_remainder_y
      - .offset:         150
        .size:           2
        .value_kind:     hidden_remainder_z
      - .offset:         168
        .size:           8
        .value_kind:     hidden_global_offset_x
      - .offset:         176
        .size:           8
        .value_kind:     hidden_global_offset_y
      - .offset:         184
        .size:           8
        .value_kind:     hidden_global_offset_z
      - .offset:         192
        .size:           2
        .value_kind:     hidden_grid_dims
      - .offset:         248
        .size:           4
        .value_kind:     hidden_dynamic_lds_size
    .group_segment_fixed_size: 464
    .kernarg_segment_align: 8
    .kernarg_segment_size: 384
    .language:       OpenCL C
    .language_version:
      - 2
      - 0
    .max_flat_workgroup_size: 1024
    .name:           _ZN4vllm25paged_attention_v1_kernelIfhLi112ELi32ELi128ELNS_18Fp8KVCacheDataTypeE1ELb0EEEvPT_PKS2_PKT0_S8_ifPKiSA_iPKfiiiSC_SC_iiiii
    .private_segment_fixed_size: 0
    .sgpr_count:     44
    .sgpr_spill_count: 0
    .symbol:         _ZN4vllm25paged_attention_v1_kernelIfhLi112ELi32ELi128ELNS_18Fp8KVCacheDataTypeE1ELb0EEEvPT_PKS2_PKT0_S8_ifPKiSA_iPKfiiiSC_SC_iiiii.kd
    .uniform_work_group_size: 1
    .uses_dynamic_stack: false
    .vgpr_count:     105
    .vgpr_spill_count: 0
    .wavefront_size: 64
  - .agpr_count:     0
    .args:
      - .actual_access:  write_only
        .address_space:  global
        .offset:         0
        .size:           8
        .value_kind:     global_buffer
      - .actual_access:  read_only
        .address_space:  global
        .offset:         8
        .size:           8
        .value_kind:     global_buffer
      - .actual_access:  read_only
        .address_space:  global
        .offset:         16
        .size:           8
        .value_kind:     global_buffer
      - .actual_access:  read_only
        .address_space:  global
        .offset:         24
        .size:           8
        .value_kind:     global_buffer
      - .offset:         32
        .size:           4
        .value_kind:     by_value
      - .offset:         36
        .size:           4
        .value_kind:     by_value
      - .actual_access:  read_only
        .address_space:  global
        .offset:         40
        .size:           8
        .value_kind:     global_buffer
      - .actual_access:  read_only
        .address_space:  global
        .offset:         48
        .size:           8
        .value_kind:     global_buffer
      - .offset:         56
        .size:           4
        .value_kind:     by_value
      - .actual_access:  read_only
        .address_space:  global
        .offset:         64
        .size:           8
        .value_kind:     global_buffer
      - .offset:         72
        .size:           4
        .value_kind:     by_value
      - .offset:         76
        .size:           4
        .value_kind:     by_value
      - .offset:         80
        .size:           4
        .value_kind:     by_value
      - .address_space:  global
        .offset:         88
        .size:           8
        .value_kind:     global_buffer
      - .address_space:  global
        .offset:         96
        .size:           8
        .value_kind:     global_buffer
      - .offset:         104
        .size:           4
        .value_kind:     by_value
      - .offset:         108
        .size:           4
        .value_kind:     by_value
      - .offset:         112
        .size:           4
        .value_kind:     by_value
      - .offset:         116
        .size:           4
        .value_kind:     by_value
      - .offset:         120
        .size:           4
        .value_kind:     by_value
      - .offset:         128
        .size:           4
        .value_kind:     hidden_block_count_x
      - .offset:         132
        .size:           4
        .value_kind:     hidden_block_count_y
      - .offset:         136
        .size:           4
        .value_kind:     hidden_block_count_z
      - .offset:         140
        .size:           2
        .value_kind:     hidden_group_size_x
      - .offset:         142
        .size:           2
        .value_kind:     hidden_group_size_y
      - .offset:         144
        .size:           2
        .value_kind:     hidden_group_size_z
      - .offset:         146
        .size:           2
        .value_kind:     hidden_remainder_x
      - .offset:         148
        .size:           2
        .value_kind:     hidden_remainder_y
      - .offset:         150
        .size:           2
        .value_kind:     hidden_remainder_z
      - .offset:         168
        .size:           8
        .value_kind:     hidden_global_offset_x
      - .offset:         176
        .size:           8
        .value_kind:     hidden_global_offset_y
      - .offset:         184
        .size:           8
        .value_kind:     hidden_global_offset_z
      - .offset:         192
        .size:           2
        .value_kind:     hidden_grid_dims
      - .offset:         248
        .size:           4
        .value_kind:     hidden_dynamic_lds_size
    .group_segment_fixed_size: 496
    .kernarg_segment_align: 8
    .kernarg_segment_size: 384
    .language:       OpenCL C
    .language_version:
      - 2
      - 0
    .max_flat_workgroup_size: 1024
    .name:           _ZN4vllm25paged_attention_v1_kernelIfhLi120ELi32ELi128ELNS_18Fp8KVCacheDataTypeE1ELb0EEEvPT_PKS2_PKT0_S8_ifPKiSA_iPKfiiiSC_SC_iiiii
    .private_segment_fixed_size: 0
    .sgpr_count:     44
    .sgpr_spill_count: 0
    .symbol:         _ZN4vllm25paged_attention_v1_kernelIfhLi120ELi32ELi128ELNS_18Fp8KVCacheDataTypeE1ELb0EEEvPT_PKS2_PKT0_S8_ifPKiSA_iPKfiiiSC_SC_iiiii.kd
    .uniform_work_group_size: 1
    .uses_dynamic_stack: false
    .vgpr_count:     114
    .vgpr_spill_count: 0
    .wavefront_size: 64
  - .agpr_count:     0
    .args:
      - .actual_access:  write_only
        .address_space:  global
        .offset:         0
        .size:           8
        .value_kind:     global_buffer
      - .actual_access:  read_only
        .address_space:  global
        .offset:         8
        .size:           8
        .value_kind:     global_buffer
      - .actual_access:  read_only
        .address_space:  global
        .offset:         16
        .size:           8
        .value_kind:     global_buffer
      - .actual_access:  read_only
        .address_space:  global
        .offset:         24
        .size:           8
        .value_kind:     global_buffer
      - .offset:         32
        .size:           4
        .value_kind:     by_value
      - .offset:         36
        .size:           4
        .value_kind:     by_value
      - .actual_access:  read_only
        .address_space:  global
        .offset:         40
        .size:           8
        .value_kind:     global_buffer
      - .actual_access:  read_only
        .address_space:  global
        .offset:         48
        .size:           8
        .value_kind:     global_buffer
      - .offset:         56
        .size:           4
        .value_kind:     by_value
      - .actual_access:  read_only
        .address_space:  global
        .offset:         64
        .size:           8
        .value_kind:     global_buffer
      - .offset:         72
        .size:           4
        .value_kind:     by_value
      - .offset:         76
        .size:           4
        .value_kind:     by_value
      - .offset:         80
        .size:           4
        .value_kind:     by_value
      - .address_space:  global
        .offset:         88
        .size:           8
        .value_kind:     global_buffer
      - .address_space:  global
        .offset:         96
        .size:           8
        .value_kind:     global_buffer
      - .offset:         104
        .size:           4
        .value_kind:     by_value
      - .offset:         108
        .size:           4
        .value_kind:     by_value
      - .offset:         112
        .size:           4
        .value_kind:     by_value
      - .offset:         116
        .size:           4
        .value_kind:     by_value
      - .offset:         120
        .size:           4
        .value_kind:     by_value
      - .offset:         128
        .size:           4
        .value_kind:     hidden_block_count_x
      - .offset:         132
        .size:           4
        .value_kind:     hidden_block_count_y
      - .offset:         136
        .size:           4
        .value_kind:     hidden_block_count_z
      - .offset:         140
        .size:           2
        .value_kind:     hidden_group_size_x
      - .offset:         142
        .size:           2
        .value_kind:     hidden_group_size_y
      - .offset:         144
        .size:           2
        .value_kind:     hidden_group_size_z
      - .offset:         146
        .size:           2
        .value_kind:     hidden_remainder_x
      - .offset:         148
        .size:           2
        .value_kind:     hidden_remainder_y
      - .offset:         150
        .size:           2
        .value_kind:     hidden_remainder_z
      - .offset:         168
        .size:           8
        .value_kind:     hidden_global_offset_x
      - .offset:         176
        .size:           8
        .value_kind:     hidden_global_offset_y
      - .offset:         184
        .size:           8
        .value_kind:     hidden_global_offset_z
      - .offset:         192
        .size:           2
        .value_kind:     hidden_grid_dims
      - .offset:         248
        .size:           4
        .value_kind:     hidden_dynamic_lds_size
    .group_segment_fixed_size: 528
    .kernarg_segment_align: 8
    .kernarg_segment_size: 384
    .language:       OpenCL C
    .language_version:
      - 2
      - 0
    .max_flat_workgroup_size: 1024
    .name:           _ZN4vllm25paged_attention_v1_kernelIfhLi128ELi32ELi128ELNS_18Fp8KVCacheDataTypeE1ELb0EEEvPT_PKS2_PKT0_S8_ifPKiSA_iPKfiiiSC_SC_iiiii
    .private_segment_fixed_size: 0
    .sgpr_count:     46
    .sgpr_spill_count: 0
    .symbol:         _ZN4vllm25paged_attention_v1_kernelIfhLi128ELi32ELi128ELNS_18Fp8KVCacheDataTypeE1ELb0EEEvPT_PKS2_PKT0_S8_ifPKiSA_iPKfiiiSC_SC_iiiii.kd
    .uniform_work_group_size: 1
    .uses_dynamic_stack: false
    .vgpr_count:     104
    .vgpr_spill_count: 0
    .wavefront_size: 64
  - .agpr_count:     0
    .args:
      - .actual_access:  write_only
        .address_space:  global
        .offset:         0
        .size:           8
        .value_kind:     global_buffer
      - .actual_access:  read_only
        .address_space:  global
        .offset:         8
        .size:           8
        .value_kind:     global_buffer
      - .actual_access:  read_only
        .address_space:  global
        .offset:         16
        .size:           8
        .value_kind:     global_buffer
      - .actual_access:  read_only
        .address_space:  global
        .offset:         24
        .size:           8
        .value_kind:     global_buffer
      - .offset:         32
        .size:           4
        .value_kind:     by_value
      - .offset:         36
        .size:           4
        .value_kind:     by_value
      - .actual_access:  read_only
        .address_space:  global
        .offset:         40
        .size:           8
        .value_kind:     global_buffer
      - .actual_access:  read_only
        .address_space:  global
        .offset:         48
        .size:           8
        .value_kind:     global_buffer
      - .offset:         56
        .size:           4
        .value_kind:     by_value
      - .actual_access:  read_only
        .address_space:  global
        .offset:         64
        .size:           8
        .value_kind:     global_buffer
      - .offset:         72
        .size:           4
        .value_kind:     by_value
      - .offset:         76
        .size:           4
        .value_kind:     by_value
      - .offset:         80
        .size:           4
        .value_kind:     by_value
      - .address_space:  global
        .offset:         88
        .size:           8
        .value_kind:     global_buffer
      - .address_space:  global
        .offset:         96
        .size:           8
        .value_kind:     global_buffer
      - .offset:         104
        .size:           4
        .value_kind:     by_value
      - .offset:         108
        .size:           4
        .value_kind:     by_value
      - .offset:         112
        .size:           4
        .value_kind:     by_value
      - .offset:         116
        .size:           4
        .value_kind:     by_value
      - .offset:         120
        .size:           4
        .value_kind:     by_value
      - .offset:         128
        .size:           4
        .value_kind:     hidden_block_count_x
      - .offset:         132
        .size:           4
        .value_kind:     hidden_block_count_y
      - .offset:         136
        .size:           4
        .value_kind:     hidden_block_count_z
      - .offset:         140
        .size:           2
        .value_kind:     hidden_group_size_x
      - .offset:         142
        .size:           2
        .value_kind:     hidden_group_size_y
      - .offset:         144
        .size:           2
        .value_kind:     hidden_group_size_z
      - .offset:         146
        .size:           2
        .value_kind:     hidden_remainder_x
      - .offset:         148
        .size:           2
        .value_kind:     hidden_remainder_y
      - .offset:         150
        .size:           2
        .value_kind:     hidden_remainder_z
      - .offset:         168
        .size:           8
        .value_kind:     hidden_global_offset_x
      - .offset:         176
        .size:           8
        .value_kind:     hidden_global_offset_y
      - .offset:         184
        .size:           8
        .value_kind:     hidden_global_offset_z
      - .offset:         192
        .size:           2
        .value_kind:     hidden_grid_dims
      - .offset:         248
        .size:           4
        .value_kind:     hidden_dynamic_lds_size
    .group_segment_fixed_size: 784
    .kernarg_segment_align: 8
    .kernarg_segment_size: 384
    .language:       OpenCL C
    .language_version:
      - 2
      - 0
    .max_flat_workgroup_size: 1024
    .name:           _ZN4vllm25paged_attention_v1_kernelIfhLi192ELi32ELi128ELNS_18Fp8KVCacheDataTypeE1ELb0EEEvPT_PKS2_PKT0_S8_ifPKiSA_iPKfiiiSC_SC_iiiii
    .private_segment_fixed_size: 72
    .sgpr_count:     52
    .sgpr_spill_count: 0
    .symbol:         _ZN4vllm25paged_attention_v1_kernelIfhLi192ELi32ELi128ELNS_18Fp8KVCacheDataTypeE1ELb0EEEvPT_PKS2_PKT0_S8_ifPKiSA_iPKfiiiSC_SC_iiiii.kd
    .uniform_work_group_size: 1
    .uses_dynamic_stack: false
    .vgpr_count:     128
    .vgpr_spill_count: 24
    .wavefront_size: 64
  - .agpr_count:     0
    .args:
      - .actual_access:  write_only
        .address_space:  global
        .offset:         0
        .size:           8
        .value_kind:     global_buffer
      - .actual_access:  read_only
        .address_space:  global
        .offset:         8
        .size:           8
        .value_kind:     global_buffer
      - .actual_access:  read_only
        .address_space:  global
        .offset:         16
        .size:           8
        .value_kind:     global_buffer
      - .actual_access:  read_only
        .address_space:  global
        .offset:         24
        .size:           8
        .value_kind:     global_buffer
      - .offset:         32
        .size:           4
        .value_kind:     by_value
      - .offset:         36
        .size:           4
        .value_kind:     by_value
      - .actual_access:  read_only
        .address_space:  global
        .offset:         40
        .size:           8
        .value_kind:     global_buffer
      - .actual_access:  read_only
        .address_space:  global
        .offset:         48
        .size:           8
        .value_kind:     global_buffer
      - .offset:         56
        .size:           4
        .value_kind:     by_value
      - .actual_access:  read_only
        .address_space:  global
        .offset:         64
        .size:           8
        .value_kind:     global_buffer
      - .offset:         72
        .size:           4
        .value_kind:     by_value
      - .offset:         76
        .size:           4
        .value_kind:     by_value
      - .offset:         80
        .size:           4
        .value_kind:     by_value
      - .address_space:  global
        .offset:         88
        .size:           8
        .value_kind:     global_buffer
      - .address_space:  global
        .offset:         96
        .size:           8
        .value_kind:     global_buffer
      - .offset:         104
        .size:           4
        .value_kind:     by_value
      - .offset:         108
        .size:           4
        .value_kind:     by_value
      - .offset:         112
        .size:           4
        .value_kind:     by_value
      - .offset:         116
        .size:           4
        .value_kind:     by_value
      - .offset:         120
        .size:           4
        .value_kind:     by_value
      - .offset:         128
        .size:           4
        .value_kind:     hidden_block_count_x
      - .offset:         132
        .size:           4
        .value_kind:     hidden_block_count_y
      - .offset:         136
        .size:           4
        .value_kind:     hidden_block_count_z
      - .offset:         140
        .size:           2
        .value_kind:     hidden_group_size_x
      - .offset:         142
        .size:           2
        .value_kind:     hidden_group_size_y
      - .offset:         144
        .size:           2
        .value_kind:     hidden_group_size_z
      - .offset:         146
        .size:           2
        .value_kind:     hidden_remainder_x
      - .offset:         148
        .size:           2
        .value_kind:     hidden_remainder_y
      - .offset:         150
        .size:           2
        .value_kind:     hidden_remainder_z
      - .offset:         168
        .size:           8
        .value_kind:     hidden_global_offset_x
      - .offset:         176
        .size:           8
        .value_kind:     hidden_global_offset_y
      - .offset:         184
        .size:           8
        .value_kind:     hidden_global_offset_z
      - .offset:         192
        .size:           2
        .value_kind:     hidden_grid_dims
      - .offset:         248
        .size:           4
        .value_kind:     hidden_dynamic_lds_size
    .group_segment_fixed_size: 1040
    .kernarg_segment_align: 8
    .kernarg_segment_size: 384
    .language:       OpenCL C
    .language_version:
      - 2
      - 0
    .max_flat_workgroup_size: 1024
    .name:           _ZN4vllm25paged_attention_v1_kernelIfhLi256ELi32ELi128ELNS_18Fp8KVCacheDataTypeE1ELb0EEEvPT_PKS2_PKT0_S8_ifPKiSA_iPKfiiiSC_SC_iiiii
    .private_segment_fixed_size: 292
    .sgpr_count:     60
    .sgpr_spill_count: 0
    .symbol:         _ZN4vllm25paged_attention_v1_kernelIfhLi256ELi32ELi128ELNS_18Fp8KVCacheDataTypeE1ELb0EEEvPT_PKS2_PKT0_S8_ifPKiSA_iPKfiiiSC_SC_iiiii.kd
    .uniform_work_group_size: 1
    .uses_dynamic_stack: false
    .vgpr_count:     128
    .vgpr_spill_count: 140
    .wavefront_size: 64
  - .agpr_count:     0
    .args:
      - .actual_access:  write_only
        .address_space:  global
        .offset:         0
        .size:           8
        .value_kind:     global_buffer
      - .actual_access:  read_only
        .address_space:  global
        .offset:         8
        .size:           8
        .value_kind:     global_buffer
      - .actual_access:  read_only
        .address_space:  global
        .offset:         16
        .size:           8
        .value_kind:     global_buffer
      - .actual_access:  read_only
        .address_space:  global
        .offset:         24
        .size:           8
        .value_kind:     global_buffer
      - .offset:         32
        .size:           4
        .value_kind:     by_value
      - .offset:         36
        .size:           4
        .value_kind:     by_value
      - .actual_access:  read_only
        .address_space:  global
        .offset:         40
        .size:           8
        .value_kind:     global_buffer
      - .actual_access:  read_only
        .address_space:  global
        .offset:         48
        .size:           8
        .value_kind:     global_buffer
      - .offset:         56
        .size:           4
        .value_kind:     by_value
      - .actual_access:  read_only
        .address_space:  global
        .offset:         64
        .size:           8
        .value_kind:     global_buffer
      - .offset:         72
        .size:           4
        .value_kind:     by_value
      - .offset:         76
        .size:           4
        .value_kind:     by_value
      - .offset:         80
        .size:           4
        .value_kind:     by_value
      - .address_space:  global
        .offset:         88
        .size:           8
        .value_kind:     global_buffer
      - .address_space:  global
        .offset:         96
        .size:           8
        .value_kind:     global_buffer
      - .offset:         104
        .size:           4
        .value_kind:     by_value
      - .offset:         108
        .size:           4
        .value_kind:     by_value
      - .offset:         112
        .size:           4
        .value_kind:     by_value
      - .offset:         116
        .size:           4
        .value_kind:     by_value
      - .offset:         120
        .size:           4
        .value_kind:     by_value
      - .offset:         128
        .size:           4
        .value_kind:     hidden_block_count_x
      - .offset:         132
        .size:           4
        .value_kind:     hidden_block_count_y
      - .offset:         136
        .size:           4
        .value_kind:     hidden_block_count_z
      - .offset:         140
        .size:           2
        .value_kind:     hidden_group_size_x
      - .offset:         142
        .size:           2
        .value_kind:     hidden_group_size_y
      - .offset:         144
        .size:           2
        .value_kind:     hidden_group_size_z
      - .offset:         146
        .size:           2
        .value_kind:     hidden_remainder_x
      - .offset:         148
        .size:           2
        .value_kind:     hidden_remainder_y
      - .offset:         150
        .size:           2
        .value_kind:     hidden_remainder_z
      - .offset:         168
        .size:           8
        .value_kind:     hidden_global_offset_x
      - .offset:         176
        .size:           8
        .value_kind:     hidden_global_offset_y
      - .offset:         184
        .size:           8
        .value_kind:     hidden_global_offset_z
      - .offset:         192
        .size:           2
        .value_kind:     hidden_grid_dims
      - .offset:         248
        .size:           4
        .value_kind:     hidden_dynamic_lds_size
    .group_segment_fixed_size: 80
    .kernarg_segment_align: 8
    .kernarg_segment_size: 384
    .language:       OpenCL C
    .language_version:
      - 2
      - 0
    .max_flat_workgroup_size: 1024
    .name:           _ZN4vllm25paged_attention_v1_kernelIthLi32ELi8ELi128ELNS_18Fp8KVCacheDataTypeE1ELb1EEEvPT_PKS2_PKT0_S8_ifPKiSA_iPKfiiiSC_SC_iiiii
    .private_segment_fixed_size: 0
    .sgpr_count:     54
    .sgpr_spill_count: 0
    .symbol:         _ZN4vllm25paged_attention_v1_kernelIthLi32ELi8ELi128ELNS_18Fp8KVCacheDataTypeE1ELb1EEEvPT_PKS2_PKT0_S8_ifPKiSA_iPKfiiiSC_SC_iiiii.kd
    .uniform_work_group_size: 1
    .uses_dynamic_stack: false
    .vgpr_count:     37
    .vgpr_spill_count: 0
    .wavefront_size: 64
  - .agpr_count:     0
    .args:
      - .actual_access:  write_only
        .address_space:  global
        .offset:         0
        .size:           8
        .value_kind:     global_buffer
      - .actual_access:  read_only
        .address_space:  global
        .offset:         8
        .size:           8
        .value_kind:     global_buffer
      - .actual_access:  read_only
        .address_space:  global
        .offset:         16
        .size:           8
        .value_kind:     global_buffer
      - .actual_access:  read_only
        .address_space:  global
        .offset:         24
        .size:           8
        .value_kind:     global_buffer
      - .offset:         32
        .size:           4
        .value_kind:     by_value
      - .offset:         36
        .size:           4
        .value_kind:     by_value
      - .actual_access:  read_only
        .address_space:  global
        .offset:         40
        .size:           8
        .value_kind:     global_buffer
      - .actual_access:  read_only
        .address_space:  global
        .offset:         48
        .size:           8
        .value_kind:     global_buffer
      - .offset:         56
        .size:           4
        .value_kind:     by_value
      - .actual_access:  read_only
        .address_space:  global
        .offset:         64
        .size:           8
        .value_kind:     global_buffer
      - .offset:         72
        .size:           4
        .value_kind:     by_value
      - .offset:         76
        .size:           4
        .value_kind:     by_value
      - .offset:         80
        .size:           4
        .value_kind:     by_value
      - .address_space:  global
        .offset:         88
        .size:           8
        .value_kind:     global_buffer
      - .address_space:  global
        .offset:         96
        .size:           8
        .value_kind:     global_buffer
      - .offset:         104
        .size:           4
        .value_kind:     by_value
      - .offset:         108
        .size:           4
        .value_kind:     by_value
      - .offset:         112
        .size:           4
        .value_kind:     by_value
      - .offset:         116
        .size:           4
        .value_kind:     by_value
      - .offset:         120
        .size:           4
        .value_kind:     by_value
      - .offset:         128
        .size:           4
        .value_kind:     hidden_block_count_x
      - .offset:         132
        .size:           4
        .value_kind:     hidden_block_count_y
      - .offset:         136
        .size:           4
        .value_kind:     hidden_block_count_z
      - .offset:         140
        .size:           2
        .value_kind:     hidden_group_size_x
      - .offset:         142
        .size:           2
        .value_kind:     hidden_group_size_y
      - .offset:         144
        .size:           2
        .value_kind:     hidden_group_size_z
      - .offset:         146
        .size:           2
        .value_kind:     hidden_remainder_x
      - .offset:         148
        .size:           2
        .value_kind:     hidden_remainder_y
      - .offset:         150
        .size:           2
        .value_kind:     hidden_remainder_z
      - .offset:         168
        .size:           8
        .value_kind:     hidden_global_offset_x
      - .offset:         176
        .size:           8
        .value_kind:     hidden_global_offset_y
      - .offset:         184
        .size:           8
        .value_kind:     hidden_global_offset_z
      - .offset:         192
        .size:           2
        .value_kind:     hidden_grid_dims
      - .offset:         248
        .size:           4
        .value_kind:     hidden_dynamic_lds_size
    .group_segment_fixed_size: 144
    .kernarg_segment_align: 8
    .kernarg_segment_size: 384
    .language:       OpenCL C
    .language_version:
      - 2
      - 0
    .max_flat_workgroup_size: 1024
    .name:           _ZN4vllm25paged_attention_v1_kernelIthLi64ELi8ELi128ELNS_18Fp8KVCacheDataTypeE1ELb1EEEvPT_PKS2_PKT0_S8_ifPKiSA_iPKfiiiSC_SC_iiiii
    .private_segment_fixed_size: 0
    .sgpr_count:     56
    .sgpr_spill_count: 0
    .symbol:         _ZN4vllm25paged_attention_v1_kernelIthLi64ELi8ELi128ELNS_18Fp8KVCacheDataTypeE1ELb1EEEvPT_PKS2_PKT0_S8_ifPKiSA_iPKfiiiSC_SC_iiiii.kd
    .uniform_work_group_size: 1
    .uses_dynamic_stack: false
    .vgpr_count:     42
    .vgpr_spill_count: 0
    .wavefront_size: 64
  - .agpr_count:     0
    .args:
      - .actual_access:  write_only
        .address_space:  global
        .offset:         0
        .size:           8
        .value_kind:     global_buffer
      - .actual_access:  read_only
        .address_space:  global
        .offset:         8
        .size:           8
        .value_kind:     global_buffer
      - .actual_access:  read_only
        .address_space:  global
        .offset:         16
        .size:           8
        .value_kind:     global_buffer
      - .actual_access:  read_only
        .address_space:  global
        .offset:         24
        .size:           8
        .value_kind:     global_buffer
      - .offset:         32
        .size:           4
        .value_kind:     by_value
      - .offset:         36
        .size:           4
        .value_kind:     by_value
      - .actual_access:  read_only
        .address_space:  global
        .offset:         40
        .size:           8
        .value_kind:     global_buffer
      - .actual_access:  read_only
        .address_space:  global
        .offset:         48
        .size:           8
        .value_kind:     global_buffer
      - .offset:         56
        .size:           4
        .value_kind:     by_value
      - .actual_access:  read_only
        .address_space:  global
        .offset:         64
        .size:           8
        .value_kind:     global_buffer
      - .offset:         72
        .size:           4
        .value_kind:     by_value
      - .offset:         76
        .size:           4
        .value_kind:     by_value
      - .offset:         80
        .size:           4
        .value_kind:     by_value
      - .address_space:  global
        .offset:         88
        .size:           8
        .value_kind:     global_buffer
      - .address_space:  global
        .offset:         96
        .size:           8
        .value_kind:     global_buffer
      - .offset:         104
        .size:           4
        .value_kind:     by_value
      - .offset:         108
        .size:           4
        .value_kind:     by_value
      - .offset:         112
        .size:           4
        .value_kind:     by_value
      - .offset:         116
        .size:           4
        .value_kind:     by_value
      - .offset:         120
        .size:           4
        .value_kind:     by_value
      - .offset:         128
        .size:           4
        .value_kind:     hidden_block_count_x
      - .offset:         132
        .size:           4
        .value_kind:     hidden_block_count_y
      - .offset:         136
        .size:           4
        .value_kind:     hidden_block_count_z
      - .offset:         140
        .size:           2
        .value_kind:     hidden_group_size_x
      - .offset:         142
        .size:           2
        .value_kind:     hidden_group_size_y
      - .offset:         144
        .size:           2
        .value_kind:     hidden_group_size_z
      - .offset:         146
        .size:           2
        .value_kind:     hidden_remainder_x
      - .offset:         148
        .size:           2
        .value_kind:     hidden_remainder_y
      - .offset:         150
        .size:           2
        .value_kind:     hidden_remainder_z
      - .offset:         168
        .size:           8
        .value_kind:     hidden_global_offset_x
      - .offset:         176
        .size:           8
        .value_kind:     hidden_global_offset_y
      - .offset:         184
        .size:           8
        .value_kind:     hidden_global_offset_z
      - .offset:         192
        .size:           2
        .value_kind:     hidden_grid_dims
      - .offset:         248
        .size:           4
        .value_kind:     hidden_dynamic_lds_size
    .group_segment_fixed_size: 176
    .kernarg_segment_align: 8
    .kernarg_segment_size: 384
    .language:       OpenCL C
    .language_version:
      - 2
      - 0
    .max_flat_workgroup_size: 1024
    .name:           _ZN4vllm25paged_attention_v1_kernelIthLi80ELi8ELi128ELNS_18Fp8KVCacheDataTypeE1ELb1EEEvPT_PKS2_PKT0_S8_ifPKiSA_iPKfiiiSC_SC_iiiii
    .private_segment_fixed_size: 0
    .sgpr_count:     56
    .sgpr_spill_count: 0
    .symbol:         _ZN4vllm25paged_attention_v1_kernelIthLi80ELi8ELi128ELNS_18Fp8KVCacheDataTypeE1ELb1EEEvPT_PKS2_PKT0_S8_ifPKiSA_iPKfiiiSC_SC_iiiii.kd
    .uniform_work_group_size: 1
    .uses_dynamic_stack: false
    .vgpr_count:     45
    .vgpr_spill_count: 0
    .wavefront_size: 64
  - .agpr_count:     0
    .args:
      - .actual_access:  write_only
        .address_space:  global
        .offset:         0
        .size:           8
        .value_kind:     global_buffer
      - .actual_access:  read_only
        .address_space:  global
        .offset:         8
        .size:           8
        .value_kind:     global_buffer
      - .actual_access:  read_only
        .address_space:  global
        .offset:         16
        .size:           8
        .value_kind:     global_buffer
      - .actual_access:  read_only
        .address_space:  global
        .offset:         24
        .size:           8
        .value_kind:     global_buffer
      - .offset:         32
        .size:           4
        .value_kind:     by_value
      - .offset:         36
        .size:           4
        .value_kind:     by_value
      - .actual_access:  read_only
        .address_space:  global
        .offset:         40
        .size:           8
        .value_kind:     global_buffer
      - .actual_access:  read_only
        .address_space:  global
        .offset:         48
        .size:           8
        .value_kind:     global_buffer
      - .offset:         56
        .size:           4
        .value_kind:     by_value
      - .actual_access:  read_only
        .address_space:  global
        .offset:         64
        .size:           8
        .value_kind:     global_buffer
      - .offset:         72
        .size:           4
        .value_kind:     by_value
      - .offset:         76
        .size:           4
        .value_kind:     by_value
      - .offset:         80
        .size:           4
        .value_kind:     by_value
      - .address_space:  global
        .offset:         88
        .size:           8
        .value_kind:     global_buffer
      - .address_space:  global
        .offset:         96
        .size:           8
        .value_kind:     global_buffer
      - .offset:         104
        .size:           4
        .value_kind:     by_value
      - .offset:         108
        .size:           4
        .value_kind:     by_value
      - .offset:         112
        .size:           4
        .value_kind:     by_value
      - .offset:         116
        .size:           4
        .value_kind:     by_value
      - .offset:         120
        .size:           4
        .value_kind:     by_value
      - .offset:         128
        .size:           4
        .value_kind:     hidden_block_count_x
      - .offset:         132
        .size:           4
        .value_kind:     hidden_block_count_y
      - .offset:         136
        .size:           4
        .value_kind:     hidden_block_count_z
      - .offset:         140
        .size:           2
        .value_kind:     hidden_group_size_x
      - .offset:         142
        .size:           2
        .value_kind:     hidden_group_size_y
      - .offset:         144
        .size:           2
        .value_kind:     hidden_group_size_z
      - .offset:         146
        .size:           2
        .value_kind:     hidden_remainder_x
      - .offset:         148
        .size:           2
        .value_kind:     hidden_remainder_y
      - .offset:         150
        .size:           2
        .value_kind:     hidden_remainder_z
      - .offset:         168
        .size:           8
        .value_kind:     hidden_global_offset_x
      - .offset:         176
        .size:           8
        .value_kind:     hidden_global_offset_y
      - .offset:         184
        .size:           8
        .value_kind:     hidden_global_offset_z
      - .offset:         192
        .size:           2
        .value_kind:     hidden_grid_dims
      - .offset:         248
        .size:           4
        .value_kind:     hidden_dynamic_lds_size
    .group_segment_fixed_size: 208
    .kernarg_segment_align: 8
    .kernarg_segment_size: 384
    .language:       OpenCL C
    .language_version:
      - 2
      - 0
    .max_flat_workgroup_size: 1024
    .name:           _ZN4vllm25paged_attention_v1_kernelIthLi96ELi8ELi128ELNS_18Fp8KVCacheDataTypeE1ELb1EEEvPT_PKS2_PKT0_S8_ifPKiSA_iPKfiiiSC_SC_iiiii
    .private_segment_fixed_size: 0
    .sgpr_count:     56
    .sgpr_spill_count: 0
    .symbol:         _ZN4vllm25paged_attention_v1_kernelIthLi96ELi8ELi128ELNS_18Fp8KVCacheDataTypeE1ELb1EEEvPT_PKS2_PKT0_S8_ifPKiSA_iPKfiiiSC_SC_iiiii.kd
    .uniform_work_group_size: 1
    .uses_dynamic_stack: false
    .vgpr_count:     49
    .vgpr_spill_count: 0
    .wavefront_size: 64
  - .agpr_count:     0
    .args:
      - .actual_access:  write_only
        .address_space:  global
        .offset:         0
        .size:           8
        .value_kind:     global_buffer
      - .actual_access:  read_only
        .address_space:  global
        .offset:         8
        .size:           8
        .value_kind:     global_buffer
      - .actual_access:  read_only
        .address_space:  global
        .offset:         16
        .size:           8
        .value_kind:     global_buffer
      - .actual_access:  read_only
        .address_space:  global
        .offset:         24
        .size:           8
        .value_kind:     global_buffer
      - .offset:         32
        .size:           4
        .value_kind:     by_value
      - .offset:         36
        .size:           4
        .value_kind:     by_value
      - .actual_access:  read_only
        .address_space:  global
        .offset:         40
        .size:           8
        .value_kind:     global_buffer
      - .actual_access:  read_only
        .address_space:  global
        .offset:         48
        .size:           8
        .value_kind:     global_buffer
      - .offset:         56
        .size:           4
        .value_kind:     by_value
      - .actual_access:  read_only
        .address_space:  global
        .offset:         64
        .size:           8
        .value_kind:     global_buffer
      - .offset:         72
        .size:           4
        .value_kind:     by_value
      - .offset:         76
        .size:           4
        .value_kind:     by_value
      - .offset:         80
        .size:           4
        .value_kind:     by_value
      - .address_space:  global
        .offset:         88
        .size:           8
        .value_kind:     global_buffer
      - .address_space:  global
        .offset:         96
        .size:           8
        .value_kind:     global_buffer
      - .offset:         104
        .size:           4
        .value_kind:     by_value
      - .offset:         108
        .size:           4
        .value_kind:     by_value
      - .offset:         112
        .size:           4
        .value_kind:     by_value
      - .offset:         116
        .size:           4
        .value_kind:     by_value
      - .offset:         120
        .size:           4
        .value_kind:     by_value
      - .offset:         128
        .size:           4
        .value_kind:     hidden_block_count_x
      - .offset:         132
        .size:           4
        .value_kind:     hidden_block_count_y
      - .offset:         136
        .size:           4
        .value_kind:     hidden_block_count_z
      - .offset:         140
        .size:           2
        .value_kind:     hidden_group_size_x
      - .offset:         142
        .size:           2
        .value_kind:     hidden_group_size_y
      - .offset:         144
        .size:           2
        .value_kind:     hidden_group_size_z
      - .offset:         146
        .size:           2
        .value_kind:     hidden_remainder_x
      - .offset:         148
        .size:           2
        .value_kind:     hidden_remainder_y
      - .offset:         150
        .size:           2
        .value_kind:     hidden_remainder_z
      - .offset:         168
        .size:           8
        .value_kind:     hidden_global_offset_x
      - .offset:         176
        .size:           8
        .value_kind:     hidden_global_offset_y
      - .offset:         184
        .size:           8
        .value_kind:     hidden_global_offset_z
      - .offset:         192
        .size:           2
        .value_kind:     hidden_grid_dims
      - .offset:         248
        .size:           4
        .value_kind:     hidden_dynamic_lds_size
    .group_segment_fixed_size: 240
    .kernarg_segment_align: 8
    .kernarg_segment_size: 384
    .language:       OpenCL C
    .language_version:
      - 2
      - 0
    .max_flat_workgroup_size: 1024
    .name:           _ZN4vllm25paged_attention_v1_kernelIthLi112ELi8ELi128ELNS_18Fp8KVCacheDataTypeE1ELb1EEEvPT_PKS2_PKT0_S8_ifPKiSA_iPKfiiiSC_SC_iiiii
    .private_segment_fixed_size: 0
    .sgpr_count:     56
    .sgpr_spill_count: 0
    .symbol:         _ZN4vllm25paged_attention_v1_kernelIthLi112ELi8ELi128ELNS_18Fp8KVCacheDataTypeE1ELb1EEEvPT_PKS2_PKT0_S8_ifPKiSA_iPKfiiiSC_SC_iiiii.kd
    .uniform_work_group_size: 1
    .uses_dynamic_stack: false
    .vgpr_count:     53
    .vgpr_spill_count: 0
    .wavefront_size: 64
  - .agpr_count:     0
    .args:
      - .actual_access:  write_only
        .address_space:  global
        .offset:         0
        .size:           8
        .value_kind:     global_buffer
      - .actual_access:  read_only
        .address_space:  global
        .offset:         8
        .size:           8
        .value_kind:     global_buffer
      - .actual_access:  read_only
        .address_space:  global
        .offset:         16
        .size:           8
        .value_kind:     global_buffer
      - .actual_access:  read_only
        .address_space:  global
        .offset:         24
        .size:           8
        .value_kind:     global_buffer
      - .offset:         32
        .size:           4
        .value_kind:     by_value
      - .offset:         36
        .size:           4
        .value_kind:     by_value
      - .actual_access:  read_only
        .address_space:  global
        .offset:         40
        .size:           8
        .value_kind:     global_buffer
      - .actual_access:  read_only
        .address_space:  global
        .offset:         48
        .size:           8
        .value_kind:     global_buffer
      - .offset:         56
        .size:           4
        .value_kind:     by_value
      - .actual_access:  read_only
        .address_space:  global
        .offset:         64
        .size:           8
        .value_kind:     global_buffer
      - .offset:         72
        .size:           4
        .value_kind:     by_value
      - .offset:         76
        .size:           4
        .value_kind:     by_value
      - .offset:         80
        .size:           4
        .value_kind:     by_value
      - .address_space:  global
        .offset:         88
        .size:           8
        .value_kind:     global_buffer
      - .address_space:  global
        .offset:         96
        .size:           8
        .value_kind:     global_buffer
      - .offset:         104
        .size:           4
        .value_kind:     by_value
      - .offset:         108
        .size:           4
        .value_kind:     by_value
      - .offset:         112
        .size:           4
        .value_kind:     by_value
      - .offset:         116
        .size:           4
        .value_kind:     by_value
      - .offset:         120
        .size:           4
        .value_kind:     by_value
      - .offset:         128
        .size:           4
        .value_kind:     hidden_block_count_x
      - .offset:         132
        .size:           4
        .value_kind:     hidden_block_count_y
      - .offset:         136
        .size:           4
        .value_kind:     hidden_block_count_z
      - .offset:         140
        .size:           2
        .value_kind:     hidden_group_size_x
      - .offset:         142
        .size:           2
        .value_kind:     hidden_group_size_y
      - .offset:         144
        .size:           2
        .value_kind:     hidden_group_size_z
      - .offset:         146
        .size:           2
        .value_kind:     hidden_remainder_x
      - .offset:         148
        .size:           2
        .value_kind:     hidden_remainder_y
      - .offset:         150
        .size:           2
        .value_kind:     hidden_remainder_z
      - .offset:         168
        .size:           8
        .value_kind:     hidden_global_offset_x
      - .offset:         176
        .size:           8
        .value_kind:     hidden_global_offset_y
      - .offset:         184
        .size:           8
        .value_kind:     hidden_global_offset_z
      - .offset:         192
        .size:           2
        .value_kind:     hidden_grid_dims
      - .offset:         248
        .size:           4
        .value_kind:     hidden_dynamic_lds_size
    .group_segment_fixed_size: 256
    .kernarg_segment_align: 8
    .kernarg_segment_size: 384
    .language:       OpenCL C
    .language_version:
      - 2
      - 0
    .max_flat_workgroup_size: 1024
    .name:           _ZN4vllm25paged_attention_v1_kernelIthLi120ELi8ELi128ELNS_18Fp8KVCacheDataTypeE1ELb1EEEvPT_PKS2_PKT0_S8_ifPKiSA_iPKfiiiSC_SC_iiiii
    .private_segment_fixed_size: 0
    .sgpr_count:     56
    .sgpr_spill_count: 0
    .symbol:         _ZN4vllm25paged_attention_v1_kernelIthLi120ELi8ELi128ELNS_18Fp8KVCacheDataTypeE1ELb1EEEvPT_PKS2_PKT0_S8_ifPKiSA_iPKfiiiSC_SC_iiiii.kd
    .uniform_work_group_size: 1
    .uses_dynamic_stack: false
    .vgpr_count:     54
    .vgpr_spill_count: 0
    .wavefront_size: 64
  - .agpr_count:     0
    .args:
      - .actual_access:  write_only
        .address_space:  global
        .offset:         0
        .size:           8
        .value_kind:     global_buffer
      - .actual_access:  read_only
        .address_space:  global
        .offset:         8
        .size:           8
        .value_kind:     global_buffer
      - .actual_access:  read_only
        .address_space:  global
        .offset:         16
        .size:           8
        .value_kind:     global_buffer
      - .actual_access:  read_only
        .address_space:  global
        .offset:         24
        .size:           8
        .value_kind:     global_buffer
      - .offset:         32
        .size:           4
        .value_kind:     by_value
      - .offset:         36
        .size:           4
        .value_kind:     by_value
      - .actual_access:  read_only
        .address_space:  global
        .offset:         40
        .size:           8
        .value_kind:     global_buffer
      - .actual_access:  read_only
        .address_space:  global
        .offset:         48
        .size:           8
        .value_kind:     global_buffer
      - .offset:         56
        .size:           4
        .value_kind:     by_value
      - .actual_access:  read_only
        .address_space:  global
        .offset:         64
        .size:           8
        .value_kind:     global_buffer
      - .offset:         72
        .size:           4
        .value_kind:     by_value
      - .offset:         76
        .size:           4
        .value_kind:     by_value
      - .offset:         80
        .size:           4
        .value_kind:     by_value
      - .address_space:  global
        .offset:         88
        .size:           8
        .value_kind:     global_buffer
      - .address_space:  global
        .offset:         96
        .size:           8
        .value_kind:     global_buffer
      - .offset:         104
        .size:           4
        .value_kind:     by_value
      - .offset:         108
        .size:           4
        .value_kind:     by_value
      - .offset:         112
        .size:           4
        .value_kind:     by_value
      - .offset:         116
        .size:           4
        .value_kind:     by_value
      - .offset:         120
        .size:           4
        .value_kind:     by_value
      - .offset:         128
        .size:           4
        .value_kind:     hidden_block_count_x
      - .offset:         132
        .size:           4
        .value_kind:     hidden_block_count_y
      - .offset:         136
        .size:           4
        .value_kind:     hidden_block_count_z
      - .offset:         140
        .size:           2
        .value_kind:     hidden_group_size_x
      - .offset:         142
        .size:           2
        .value_kind:     hidden_group_size_y
      - .offset:         144
        .size:           2
        .value_kind:     hidden_group_size_z
      - .offset:         146
        .size:           2
        .value_kind:     hidden_remainder_x
      - .offset:         148
        .size:           2
        .value_kind:     hidden_remainder_y
      - .offset:         150
        .size:           2
        .value_kind:     hidden_remainder_z
      - .offset:         168
        .size:           8
        .value_kind:     hidden_global_offset_x
      - .offset:         176
        .size:           8
        .value_kind:     hidden_global_offset_y
      - .offset:         184
        .size:           8
        .value_kind:     hidden_global_offset_z
      - .offset:         192
        .size:           2
        .value_kind:     hidden_grid_dims
      - .offset:         248
        .size:           4
        .value_kind:     hidden_dynamic_lds_size
    .group_segment_fixed_size: 272
    .kernarg_segment_align: 8
    .kernarg_segment_size: 384
    .language:       OpenCL C
    .language_version:
      - 2
      - 0
    .max_flat_workgroup_size: 1024
    .name:           _ZN4vllm25paged_attention_v1_kernelIthLi128ELi8ELi128ELNS_18Fp8KVCacheDataTypeE1ELb1EEEvPT_PKS2_PKT0_S8_ifPKiSA_iPKfiiiSC_SC_iiiii
    .private_segment_fixed_size: 0
    .sgpr_count:     54
    .sgpr_spill_count: 0
    .symbol:         _ZN4vllm25paged_attention_v1_kernelIthLi128ELi8ELi128ELNS_18Fp8KVCacheDataTypeE1ELb1EEEvPT_PKS2_PKT0_S8_ifPKiSA_iPKfiiiSC_SC_iiiii.kd
    .uniform_work_group_size: 1
    .uses_dynamic_stack: false
    .vgpr_count:     56
    .vgpr_spill_count: 0
    .wavefront_size: 64
  - .agpr_count:     0
    .args:
      - .actual_access:  write_only
        .address_space:  global
        .offset:         0
        .size:           8
        .value_kind:     global_buffer
      - .actual_access:  read_only
        .address_space:  global
        .offset:         8
        .size:           8
        .value_kind:     global_buffer
      - .actual_access:  read_only
        .address_space:  global
        .offset:         16
        .size:           8
        .value_kind:     global_buffer
      - .actual_access:  read_only
        .address_space:  global
        .offset:         24
        .size:           8
        .value_kind:     global_buffer
      - .offset:         32
        .size:           4
        .value_kind:     by_value
      - .offset:         36
        .size:           4
        .value_kind:     by_value
      - .actual_access:  read_only
        .address_space:  global
        .offset:         40
        .size:           8
        .value_kind:     global_buffer
      - .actual_access:  read_only
        .address_space:  global
        .offset:         48
        .size:           8
        .value_kind:     global_buffer
      - .offset:         56
        .size:           4
        .value_kind:     by_value
      - .actual_access:  read_only
        .address_space:  global
        .offset:         64
        .size:           8
        .value_kind:     global_buffer
      - .offset:         72
        .size:           4
        .value_kind:     by_value
      - .offset:         76
        .size:           4
        .value_kind:     by_value
      - .offset:         80
        .size:           4
        .value_kind:     by_value
      - .address_space:  global
        .offset:         88
        .size:           8
        .value_kind:     global_buffer
      - .address_space:  global
        .offset:         96
        .size:           8
        .value_kind:     global_buffer
      - .offset:         104
        .size:           4
        .value_kind:     by_value
      - .offset:         108
        .size:           4
        .value_kind:     by_value
      - .offset:         112
        .size:           4
        .value_kind:     by_value
      - .offset:         116
        .size:           4
        .value_kind:     by_value
      - .offset:         120
        .size:           4
        .value_kind:     by_value
      - .offset:         128
        .size:           4
        .value_kind:     hidden_block_count_x
      - .offset:         132
        .size:           4
        .value_kind:     hidden_block_count_y
      - .offset:         136
        .size:           4
        .value_kind:     hidden_block_count_z
      - .offset:         140
        .size:           2
        .value_kind:     hidden_group_size_x
      - .offset:         142
        .size:           2
        .value_kind:     hidden_group_size_y
      - .offset:         144
        .size:           2
        .value_kind:     hidden_group_size_z
      - .offset:         146
        .size:           2
        .value_kind:     hidden_remainder_x
      - .offset:         148
        .size:           2
        .value_kind:     hidden_remainder_y
      - .offset:         150
        .size:           2
        .value_kind:     hidden_remainder_z
      - .offset:         168
        .size:           8
        .value_kind:     hidden_global_offset_x
      - .offset:         176
        .size:           8
        .value_kind:     hidden_global_offset_y
      - .offset:         184
        .size:           8
        .value_kind:     hidden_global_offset_z
      - .offset:         192
        .size:           2
        .value_kind:     hidden_grid_dims
      - .offset:         248
        .size:           4
        .value_kind:     hidden_dynamic_lds_size
    .group_segment_fixed_size: 400
    .kernarg_segment_align: 8
    .kernarg_segment_size: 384
    .language:       OpenCL C
    .language_version:
      - 2
      - 0
    .max_flat_workgroup_size: 1024
    .name:           _ZN4vllm25paged_attention_v1_kernelIthLi192ELi8ELi128ELNS_18Fp8KVCacheDataTypeE1ELb1EEEvPT_PKS2_PKT0_S8_ifPKiSA_iPKfiiiSC_SC_iiiii
    .private_segment_fixed_size: 0
    .sgpr_count:     54
    .sgpr_spill_count: 0
    .symbol:         _ZN4vllm25paged_attention_v1_kernelIthLi192ELi8ELi128ELNS_18Fp8KVCacheDataTypeE1ELb1EEEvPT_PKS2_PKT0_S8_ifPKiSA_iPKfiiiSC_SC_iiiii.kd
    .uniform_work_group_size: 1
    .uses_dynamic_stack: false
    .vgpr_count:     70
    .vgpr_spill_count: 0
    .wavefront_size: 64
  - .agpr_count:     0
    .args:
      - .actual_access:  write_only
        .address_space:  global
        .offset:         0
        .size:           8
        .value_kind:     global_buffer
      - .actual_access:  read_only
        .address_space:  global
        .offset:         8
        .size:           8
        .value_kind:     global_buffer
      - .actual_access:  read_only
        .address_space:  global
        .offset:         16
        .size:           8
        .value_kind:     global_buffer
      - .actual_access:  read_only
        .address_space:  global
        .offset:         24
        .size:           8
        .value_kind:     global_buffer
      - .offset:         32
        .size:           4
        .value_kind:     by_value
      - .offset:         36
        .size:           4
        .value_kind:     by_value
      - .actual_access:  read_only
        .address_space:  global
        .offset:         40
        .size:           8
        .value_kind:     global_buffer
      - .actual_access:  read_only
        .address_space:  global
        .offset:         48
        .size:           8
        .value_kind:     global_buffer
      - .offset:         56
        .size:           4
        .value_kind:     by_value
      - .actual_access:  read_only
        .address_space:  global
        .offset:         64
        .size:           8
        .value_kind:     global_buffer
      - .offset:         72
        .size:           4
        .value_kind:     by_value
      - .offset:         76
        .size:           4
        .value_kind:     by_value
      - .offset:         80
        .size:           4
        .value_kind:     by_value
      - .address_space:  global
        .offset:         88
        .size:           8
        .value_kind:     global_buffer
      - .address_space:  global
        .offset:         96
        .size:           8
        .value_kind:     global_buffer
      - .offset:         104
        .size:           4
        .value_kind:     by_value
      - .offset:         108
        .size:           4
        .value_kind:     by_value
      - .offset:         112
        .size:           4
        .value_kind:     by_value
      - .offset:         116
        .size:           4
        .value_kind:     by_value
      - .offset:         120
        .size:           4
        .value_kind:     by_value
      - .offset:         128
        .size:           4
        .value_kind:     hidden_block_count_x
      - .offset:         132
        .size:           4
        .value_kind:     hidden_block_count_y
      - .offset:         136
        .size:           4
        .value_kind:     hidden_block_count_z
      - .offset:         140
        .size:           2
        .value_kind:     hidden_group_size_x
      - .offset:         142
        .size:           2
        .value_kind:     hidden_group_size_y
      - .offset:         144
        .size:           2
        .value_kind:     hidden_group_size_z
      - .offset:         146
        .size:           2
        .value_kind:     hidden_remainder_x
      - .offset:         148
        .size:           2
        .value_kind:     hidden_remainder_y
      - .offset:         150
        .size:           2
        .value_kind:     hidden_remainder_z
      - .offset:         168
        .size:           8
        .value_kind:     hidden_global_offset_x
      - .offset:         176
        .size:           8
        .value_kind:     hidden_global_offset_y
      - .offset:         184
        .size:           8
        .value_kind:     hidden_global_offset_z
      - .offset:         192
        .size:           2
        .value_kind:     hidden_grid_dims
      - .offset:         248
        .size:           4
        .value_kind:     hidden_dynamic_lds_size
    .group_segment_fixed_size: 528
    .kernarg_segment_align: 8
    .kernarg_segment_size: 384
    .language:       OpenCL C
    .language_version:
      - 2
      - 0
    .max_flat_workgroup_size: 1024
    .name:           _ZN4vllm25paged_attention_v1_kernelIthLi256ELi8ELi128ELNS_18Fp8KVCacheDataTypeE1ELb1EEEvPT_PKS2_PKT0_S8_ifPKiSA_iPKfiiiSC_SC_iiiii
    .private_segment_fixed_size: 0
    .sgpr_count:     54
    .sgpr_spill_count: 0
    .symbol:         _ZN4vllm25paged_attention_v1_kernelIthLi256ELi8ELi128ELNS_18Fp8KVCacheDataTypeE1ELb1EEEvPT_PKS2_PKT0_S8_ifPKiSA_iPKfiiiSC_SC_iiiii.kd
    .uniform_work_group_size: 1
    .uses_dynamic_stack: false
    .vgpr_count:     84
    .vgpr_spill_count: 0
    .wavefront_size: 64
  - .agpr_count:     0
    .args:
      - .actual_access:  write_only
        .address_space:  global
        .offset:         0
        .size:           8
        .value_kind:     global_buffer
      - .actual_access:  read_only
        .address_space:  global
        .offset:         8
        .size:           8
        .value_kind:     global_buffer
      - .actual_access:  read_only
        .address_space:  global
        .offset:         16
        .size:           8
        .value_kind:     global_buffer
      - .actual_access:  read_only
        .address_space:  global
        .offset:         24
        .size:           8
        .value_kind:     global_buffer
      - .offset:         32
        .size:           4
        .value_kind:     by_value
      - .offset:         36
        .size:           4
        .value_kind:     by_value
      - .actual_access:  read_only
        .address_space:  global
        .offset:         40
        .size:           8
        .value_kind:     global_buffer
      - .actual_access:  read_only
        .address_space:  global
        .offset:         48
        .size:           8
        .value_kind:     global_buffer
      - .offset:         56
        .size:           4
        .value_kind:     by_value
      - .actual_access:  read_only
        .address_space:  global
        .offset:         64
        .size:           8
        .value_kind:     global_buffer
      - .offset:         72
        .size:           4
        .value_kind:     by_value
      - .offset:         76
        .size:           4
        .value_kind:     by_value
      - .offset:         80
        .size:           4
        .value_kind:     by_value
      - .address_space:  global
        .offset:         88
        .size:           8
        .value_kind:     global_buffer
      - .address_space:  global
        .offset:         96
        .size:           8
        .value_kind:     global_buffer
      - .offset:         104
        .size:           4
        .value_kind:     by_value
      - .offset:         108
        .size:           4
        .value_kind:     by_value
      - .offset:         112
        .size:           4
        .value_kind:     by_value
      - .offset:         116
        .size:           4
        .value_kind:     by_value
      - .offset:         120
        .size:           4
        .value_kind:     by_value
      - .offset:         128
        .size:           4
        .value_kind:     hidden_block_count_x
      - .offset:         132
        .size:           4
        .value_kind:     hidden_block_count_y
      - .offset:         136
        .size:           4
        .value_kind:     hidden_block_count_z
      - .offset:         140
        .size:           2
        .value_kind:     hidden_group_size_x
      - .offset:         142
        .size:           2
        .value_kind:     hidden_group_size_y
      - .offset:         144
        .size:           2
        .value_kind:     hidden_group_size_z
      - .offset:         146
        .size:           2
        .value_kind:     hidden_remainder_x
      - .offset:         148
        .size:           2
        .value_kind:     hidden_remainder_y
      - .offset:         150
        .size:           2
        .value_kind:     hidden_remainder_z
      - .offset:         168
        .size:           8
        .value_kind:     hidden_global_offset_x
      - .offset:         176
        .size:           8
        .value_kind:     hidden_global_offset_y
      - .offset:         184
        .size:           8
        .value_kind:     hidden_global_offset_z
      - .offset:         192
        .size:           2
        .value_kind:     hidden_grid_dims
      - .offset:         248
        .size:           4
        .value_kind:     hidden_dynamic_lds_size
    .group_segment_fixed_size: 80
    .kernarg_segment_align: 8
    .kernarg_segment_size: 384
    .language:       OpenCL C
    .language_version:
      - 2
      - 0
    .max_flat_workgroup_size: 1024
    .name:           _ZN4vllm25paged_attention_v1_kernelIthLi32ELi8ELi128ELNS_18Fp8KVCacheDataTypeE1ELb0EEEvPT_PKS2_PKT0_S8_ifPKiSA_iPKfiiiSC_SC_iiiii
    .private_segment_fixed_size: 0
    .sgpr_count:     44
    .sgpr_spill_count: 0
    .symbol:         _ZN4vllm25paged_attention_v1_kernelIthLi32ELi8ELi128ELNS_18Fp8KVCacheDataTypeE1ELb0EEEvPT_PKS2_PKT0_S8_ifPKiSA_iPKfiiiSC_SC_iiiii.kd
    .uniform_work_group_size: 1
    .uses_dynamic_stack: false
    .vgpr_count:     36
    .vgpr_spill_count: 0
    .wavefront_size: 64
  - .agpr_count:     0
    .args:
      - .actual_access:  write_only
        .address_space:  global
        .offset:         0
        .size:           8
        .value_kind:     global_buffer
      - .actual_access:  read_only
        .address_space:  global
        .offset:         8
        .size:           8
        .value_kind:     global_buffer
      - .actual_access:  read_only
        .address_space:  global
        .offset:         16
        .size:           8
        .value_kind:     global_buffer
      - .actual_access:  read_only
        .address_space:  global
        .offset:         24
        .size:           8
        .value_kind:     global_buffer
      - .offset:         32
        .size:           4
        .value_kind:     by_value
      - .offset:         36
        .size:           4
        .value_kind:     by_value
      - .actual_access:  read_only
        .address_space:  global
        .offset:         40
        .size:           8
        .value_kind:     global_buffer
      - .actual_access:  read_only
        .address_space:  global
        .offset:         48
        .size:           8
        .value_kind:     global_buffer
      - .offset:         56
        .size:           4
        .value_kind:     by_value
      - .actual_access:  read_only
        .address_space:  global
        .offset:         64
        .size:           8
        .value_kind:     global_buffer
      - .offset:         72
        .size:           4
        .value_kind:     by_value
      - .offset:         76
        .size:           4
        .value_kind:     by_value
      - .offset:         80
        .size:           4
        .value_kind:     by_value
      - .address_space:  global
        .offset:         88
        .size:           8
        .value_kind:     global_buffer
      - .address_space:  global
        .offset:         96
        .size:           8
        .value_kind:     global_buffer
      - .offset:         104
        .size:           4
        .value_kind:     by_value
      - .offset:         108
        .size:           4
        .value_kind:     by_value
      - .offset:         112
        .size:           4
        .value_kind:     by_value
      - .offset:         116
        .size:           4
        .value_kind:     by_value
      - .offset:         120
        .size:           4
        .value_kind:     by_value
      - .offset:         128
        .size:           4
        .value_kind:     hidden_block_count_x
      - .offset:         132
        .size:           4
        .value_kind:     hidden_block_count_y
      - .offset:         136
        .size:           4
        .value_kind:     hidden_block_count_z
      - .offset:         140
        .size:           2
        .value_kind:     hidden_group_size_x
      - .offset:         142
        .size:           2
        .value_kind:     hidden_group_size_y
      - .offset:         144
        .size:           2
        .value_kind:     hidden_group_size_z
      - .offset:         146
        .size:           2
        .value_kind:     hidden_remainder_x
      - .offset:         148
        .size:           2
        .value_kind:     hidden_remainder_y
      - .offset:         150
        .size:           2
        .value_kind:     hidden_remainder_z
      - .offset:         168
        .size:           8
        .value_kind:     hidden_global_offset_x
      - .offset:         176
        .size:           8
        .value_kind:     hidden_global_offset_y
      - .offset:         184
        .size:           8
        .value_kind:     hidden_global_offset_z
      - .offset:         192
        .size:           2
        .value_kind:     hidden_grid_dims
      - .offset:         248
        .size:           4
        .value_kind:     hidden_dynamic_lds_size
    .group_segment_fixed_size: 144
    .kernarg_segment_align: 8
    .kernarg_segment_size: 384
    .language:       OpenCL C
    .language_version:
      - 2
      - 0
    .max_flat_workgroup_size: 1024
    .name:           _ZN4vllm25paged_attention_v1_kernelIthLi64ELi8ELi128ELNS_18Fp8KVCacheDataTypeE1ELb0EEEvPT_PKS2_PKT0_S8_ifPKiSA_iPKfiiiSC_SC_iiiii
    .private_segment_fixed_size: 0
    .sgpr_count:     46
    .sgpr_spill_count: 0
    .symbol:         _ZN4vllm25paged_attention_v1_kernelIthLi64ELi8ELi128ELNS_18Fp8KVCacheDataTypeE1ELb0EEEvPT_PKS2_PKT0_S8_ifPKiSA_iPKfiiiSC_SC_iiiii.kd
    .uniform_work_group_size: 1
    .uses_dynamic_stack: false
    .vgpr_count:     41
    .vgpr_spill_count: 0
    .wavefront_size: 64
  - .agpr_count:     0
    .args:
      - .actual_access:  write_only
        .address_space:  global
        .offset:         0
        .size:           8
        .value_kind:     global_buffer
      - .actual_access:  read_only
        .address_space:  global
        .offset:         8
        .size:           8
        .value_kind:     global_buffer
      - .actual_access:  read_only
        .address_space:  global
        .offset:         16
        .size:           8
        .value_kind:     global_buffer
      - .actual_access:  read_only
        .address_space:  global
        .offset:         24
        .size:           8
        .value_kind:     global_buffer
      - .offset:         32
        .size:           4
        .value_kind:     by_value
      - .offset:         36
        .size:           4
        .value_kind:     by_value
      - .actual_access:  read_only
        .address_space:  global
        .offset:         40
        .size:           8
        .value_kind:     global_buffer
      - .actual_access:  read_only
        .address_space:  global
        .offset:         48
        .size:           8
        .value_kind:     global_buffer
      - .offset:         56
        .size:           4
        .value_kind:     by_value
      - .actual_access:  read_only
        .address_space:  global
        .offset:         64
        .size:           8
        .value_kind:     global_buffer
      - .offset:         72
        .size:           4
        .value_kind:     by_value
      - .offset:         76
        .size:           4
        .value_kind:     by_value
      - .offset:         80
        .size:           4
        .value_kind:     by_value
      - .address_space:  global
        .offset:         88
        .size:           8
        .value_kind:     global_buffer
      - .address_space:  global
        .offset:         96
        .size:           8
        .value_kind:     global_buffer
      - .offset:         104
        .size:           4
        .value_kind:     by_value
      - .offset:         108
        .size:           4
        .value_kind:     by_value
      - .offset:         112
        .size:           4
        .value_kind:     by_value
      - .offset:         116
        .size:           4
        .value_kind:     by_value
      - .offset:         120
        .size:           4
        .value_kind:     by_value
      - .offset:         128
        .size:           4
        .value_kind:     hidden_block_count_x
      - .offset:         132
        .size:           4
        .value_kind:     hidden_block_count_y
      - .offset:         136
        .size:           4
        .value_kind:     hidden_block_count_z
      - .offset:         140
        .size:           2
        .value_kind:     hidden_group_size_x
      - .offset:         142
        .size:           2
        .value_kind:     hidden_group_size_y
      - .offset:         144
        .size:           2
        .value_kind:     hidden_group_size_z
      - .offset:         146
        .size:           2
        .value_kind:     hidden_remainder_x
      - .offset:         148
        .size:           2
        .value_kind:     hidden_remainder_y
      - .offset:         150
        .size:           2
        .value_kind:     hidden_remainder_z
      - .offset:         168
        .size:           8
        .value_kind:     hidden_global_offset_x
      - .offset:         176
        .size:           8
        .value_kind:     hidden_global_offset_y
      - .offset:         184
        .size:           8
        .value_kind:     hidden_global_offset_z
      - .offset:         192
        .size:           2
        .value_kind:     hidden_grid_dims
      - .offset:         248
        .size:           4
        .value_kind:     hidden_dynamic_lds_size
    .group_segment_fixed_size: 176
    .kernarg_segment_align: 8
    .kernarg_segment_size: 384
    .language:       OpenCL C
    .language_version:
      - 2
      - 0
    .max_flat_workgroup_size: 1024
    .name:           _ZN4vllm25paged_attention_v1_kernelIthLi80ELi8ELi128ELNS_18Fp8KVCacheDataTypeE1ELb0EEEvPT_PKS2_PKT0_S8_ifPKiSA_iPKfiiiSC_SC_iiiii
    .private_segment_fixed_size: 0
    .sgpr_count:     46
    .sgpr_spill_count: 0
    .symbol:         _ZN4vllm25paged_attention_v1_kernelIthLi80ELi8ELi128ELNS_18Fp8KVCacheDataTypeE1ELb0EEEvPT_PKS2_PKT0_S8_ifPKiSA_iPKfiiiSC_SC_iiiii.kd
    .uniform_work_group_size: 1
    .uses_dynamic_stack: false
    .vgpr_count:     44
    .vgpr_spill_count: 0
    .wavefront_size: 64
  - .agpr_count:     0
    .args:
      - .actual_access:  write_only
        .address_space:  global
        .offset:         0
        .size:           8
        .value_kind:     global_buffer
      - .actual_access:  read_only
        .address_space:  global
        .offset:         8
        .size:           8
        .value_kind:     global_buffer
      - .actual_access:  read_only
        .address_space:  global
        .offset:         16
        .size:           8
        .value_kind:     global_buffer
      - .actual_access:  read_only
        .address_space:  global
        .offset:         24
        .size:           8
        .value_kind:     global_buffer
      - .offset:         32
        .size:           4
        .value_kind:     by_value
      - .offset:         36
        .size:           4
        .value_kind:     by_value
      - .actual_access:  read_only
        .address_space:  global
        .offset:         40
        .size:           8
        .value_kind:     global_buffer
      - .actual_access:  read_only
        .address_space:  global
        .offset:         48
        .size:           8
        .value_kind:     global_buffer
      - .offset:         56
        .size:           4
        .value_kind:     by_value
      - .actual_access:  read_only
        .address_space:  global
        .offset:         64
        .size:           8
        .value_kind:     global_buffer
      - .offset:         72
        .size:           4
        .value_kind:     by_value
      - .offset:         76
        .size:           4
        .value_kind:     by_value
      - .offset:         80
        .size:           4
        .value_kind:     by_value
      - .address_space:  global
        .offset:         88
        .size:           8
        .value_kind:     global_buffer
      - .address_space:  global
        .offset:         96
        .size:           8
        .value_kind:     global_buffer
      - .offset:         104
        .size:           4
        .value_kind:     by_value
      - .offset:         108
        .size:           4
        .value_kind:     by_value
      - .offset:         112
        .size:           4
        .value_kind:     by_value
      - .offset:         116
        .size:           4
        .value_kind:     by_value
      - .offset:         120
        .size:           4
        .value_kind:     by_value
      - .offset:         128
        .size:           4
        .value_kind:     hidden_block_count_x
      - .offset:         132
        .size:           4
        .value_kind:     hidden_block_count_y
      - .offset:         136
        .size:           4
        .value_kind:     hidden_block_count_z
      - .offset:         140
        .size:           2
        .value_kind:     hidden_group_size_x
      - .offset:         142
        .size:           2
        .value_kind:     hidden_group_size_y
      - .offset:         144
        .size:           2
        .value_kind:     hidden_group_size_z
      - .offset:         146
        .size:           2
        .value_kind:     hidden_remainder_x
      - .offset:         148
        .size:           2
        .value_kind:     hidden_remainder_y
      - .offset:         150
        .size:           2
        .value_kind:     hidden_remainder_z
      - .offset:         168
        .size:           8
        .value_kind:     hidden_global_offset_x
      - .offset:         176
        .size:           8
        .value_kind:     hidden_global_offset_y
      - .offset:         184
        .size:           8
        .value_kind:     hidden_global_offset_z
      - .offset:         192
        .size:           2
        .value_kind:     hidden_grid_dims
      - .offset:         248
        .size:           4
        .value_kind:     hidden_dynamic_lds_size
    .group_segment_fixed_size: 208
    .kernarg_segment_align: 8
    .kernarg_segment_size: 384
    .language:       OpenCL C
    .language_version:
      - 2
      - 0
    .max_flat_workgroup_size: 1024
    .name:           _ZN4vllm25paged_attention_v1_kernelIthLi96ELi8ELi128ELNS_18Fp8KVCacheDataTypeE1ELb0EEEvPT_PKS2_PKT0_S8_ifPKiSA_iPKfiiiSC_SC_iiiii
    .private_segment_fixed_size: 0
    .sgpr_count:     46
    .sgpr_spill_count: 0
    .symbol:         _ZN4vllm25paged_attention_v1_kernelIthLi96ELi8ELi128ELNS_18Fp8KVCacheDataTypeE1ELb0EEEvPT_PKS2_PKT0_S8_ifPKiSA_iPKfiiiSC_SC_iiiii.kd
    .uniform_work_group_size: 1
    .uses_dynamic_stack: false
    .vgpr_count:     44
    .vgpr_spill_count: 0
    .wavefront_size: 64
  - .agpr_count:     0
    .args:
      - .actual_access:  write_only
        .address_space:  global
        .offset:         0
        .size:           8
        .value_kind:     global_buffer
      - .actual_access:  read_only
        .address_space:  global
        .offset:         8
        .size:           8
        .value_kind:     global_buffer
      - .actual_access:  read_only
        .address_space:  global
        .offset:         16
        .size:           8
        .value_kind:     global_buffer
      - .actual_access:  read_only
        .address_space:  global
        .offset:         24
        .size:           8
        .value_kind:     global_buffer
      - .offset:         32
        .size:           4
        .value_kind:     by_value
      - .offset:         36
        .size:           4
        .value_kind:     by_value
      - .actual_access:  read_only
        .address_space:  global
        .offset:         40
        .size:           8
        .value_kind:     global_buffer
      - .actual_access:  read_only
        .address_space:  global
        .offset:         48
        .size:           8
        .value_kind:     global_buffer
      - .offset:         56
        .size:           4
        .value_kind:     by_value
      - .actual_access:  read_only
        .address_space:  global
        .offset:         64
        .size:           8
        .value_kind:     global_buffer
      - .offset:         72
        .size:           4
        .value_kind:     by_value
      - .offset:         76
        .size:           4
        .value_kind:     by_value
      - .offset:         80
        .size:           4
        .value_kind:     by_value
      - .address_space:  global
        .offset:         88
        .size:           8
        .value_kind:     global_buffer
      - .address_space:  global
        .offset:         96
        .size:           8
        .value_kind:     global_buffer
      - .offset:         104
        .size:           4
        .value_kind:     by_value
      - .offset:         108
        .size:           4
        .value_kind:     by_value
      - .offset:         112
        .size:           4
        .value_kind:     by_value
      - .offset:         116
        .size:           4
        .value_kind:     by_value
      - .offset:         120
        .size:           4
        .value_kind:     by_value
      - .offset:         128
        .size:           4
        .value_kind:     hidden_block_count_x
      - .offset:         132
        .size:           4
        .value_kind:     hidden_block_count_y
      - .offset:         136
        .size:           4
        .value_kind:     hidden_block_count_z
      - .offset:         140
        .size:           2
        .value_kind:     hidden_group_size_x
      - .offset:         142
        .size:           2
        .value_kind:     hidden_group_size_y
      - .offset:         144
        .size:           2
        .value_kind:     hidden_group_size_z
      - .offset:         146
        .size:           2
        .value_kind:     hidden_remainder_x
      - .offset:         148
        .size:           2
        .value_kind:     hidden_remainder_y
      - .offset:         150
        .size:           2
        .value_kind:     hidden_remainder_z
      - .offset:         168
        .size:           8
        .value_kind:     hidden_global_offset_x
      - .offset:         176
        .size:           8
        .value_kind:     hidden_global_offset_y
      - .offset:         184
        .size:           8
        .value_kind:     hidden_global_offset_z
      - .offset:         192
        .size:           2
        .value_kind:     hidden_grid_dims
      - .offset:         248
        .size:           4
        .value_kind:     hidden_dynamic_lds_size
    .group_segment_fixed_size: 240
    .kernarg_segment_align: 8
    .kernarg_segment_size: 384
    .language:       OpenCL C
    .language_version:
      - 2
      - 0
    .max_flat_workgroup_size: 1024
    .name:           _ZN4vllm25paged_attention_v1_kernelIthLi112ELi8ELi128ELNS_18Fp8KVCacheDataTypeE1ELb0EEEvPT_PKS2_PKT0_S8_ifPKiSA_iPKfiiiSC_SC_iiiii
    .private_segment_fixed_size: 0
    .sgpr_count:     46
    .sgpr_spill_count: 0
    .symbol:         _ZN4vllm25paged_attention_v1_kernelIthLi112ELi8ELi128ELNS_18Fp8KVCacheDataTypeE1ELb0EEEvPT_PKS2_PKT0_S8_ifPKiSA_iPKfiiiSC_SC_iiiii.kd
    .uniform_work_group_size: 1
    .uses_dynamic_stack: false
    .vgpr_count:     48
    .vgpr_spill_count: 0
    .wavefront_size: 64
  - .agpr_count:     0
    .args:
      - .actual_access:  write_only
        .address_space:  global
        .offset:         0
        .size:           8
        .value_kind:     global_buffer
      - .actual_access:  read_only
        .address_space:  global
        .offset:         8
        .size:           8
        .value_kind:     global_buffer
      - .actual_access:  read_only
        .address_space:  global
        .offset:         16
        .size:           8
        .value_kind:     global_buffer
      - .actual_access:  read_only
        .address_space:  global
        .offset:         24
        .size:           8
        .value_kind:     global_buffer
      - .offset:         32
        .size:           4
        .value_kind:     by_value
      - .offset:         36
        .size:           4
        .value_kind:     by_value
      - .actual_access:  read_only
        .address_space:  global
        .offset:         40
        .size:           8
        .value_kind:     global_buffer
      - .actual_access:  read_only
        .address_space:  global
        .offset:         48
        .size:           8
        .value_kind:     global_buffer
      - .offset:         56
        .size:           4
        .value_kind:     by_value
      - .actual_access:  read_only
        .address_space:  global
        .offset:         64
        .size:           8
        .value_kind:     global_buffer
      - .offset:         72
        .size:           4
        .value_kind:     by_value
      - .offset:         76
        .size:           4
        .value_kind:     by_value
      - .offset:         80
        .size:           4
        .value_kind:     by_value
      - .address_space:  global
        .offset:         88
        .size:           8
        .value_kind:     global_buffer
      - .address_space:  global
        .offset:         96
        .size:           8
        .value_kind:     global_buffer
      - .offset:         104
        .size:           4
        .value_kind:     by_value
      - .offset:         108
        .size:           4
        .value_kind:     by_value
      - .offset:         112
        .size:           4
        .value_kind:     by_value
      - .offset:         116
        .size:           4
        .value_kind:     by_value
      - .offset:         120
        .size:           4
        .value_kind:     by_value
      - .offset:         128
        .size:           4
        .value_kind:     hidden_block_count_x
      - .offset:         132
        .size:           4
        .value_kind:     hidden_block_count_y
      - .offset:         136
        .size:           4
        .value_kind:     hidden_block_count_z
      - .offset:         140
        .size:           2
        .value_kind:     hidden_group_size_x
      - .offset:         142
        .size:           2
        .value_kind:     hidden_group_size_y
      - .offset:         144
        .size:           2
        .value_kind:     hidden_group_size_z
      - .offset:         146
        .size:           2
        .value_kind:     hidden_remainder_x
      - .offset:         148
        .size:           2
        .value_kind:     hidden_remainder_y
      - .offset:         150
        .size:           2
        .value_kind:     hidden_remainder_z
      - .offset:         168
        .size:           8
        .value_kind:     hidden_global_offset_x
      - .offset:         176
        .size:           8
        .value_kind:     hidden_global_offset_y
      - .offset:         184
        .size:           8
        .value_kind:     hidden_global_offset_z
      - .offset:         192
        .size:           2
        .value_kind:     hidden_grid_dims
      - .offset:         248
        .size:           4
        .value_kind:     hidden_dynamic_lds_size
    .group_segment_fixed_size: 256
    .kernarg_segment_align: 8
    .kernarg_segment_size: 384
    .language:       OpenCL C
    .language_version:
      - 2
      - 0
    .max_flat_workgroup_size: 1024
    .name:           _ZN4vllm25paged_attention_v1_kernelIthLi120ELi8ELi128ELNS_18Fp8KVCacheDataTypeE1ELb0EEEvPT_PKS2_PKT0_S8_ifPKiSA_iPKfiiiSC_SC_iiiii
    .private_segment_fixed_size: 0
    .sgpr_count:     46
    .sgpr_spill_count: 0
    .symbol:         _ZN4vllm25paged_attention_v1_kernelIthLi120ELi8ELi128ELNS_18Fp8KVCacheDataTypeE1ELb0EEEvPT_PKS2_PKT0_S8_ifPKiSA_iPKfiiiSC_SC_iiiii.kd
    .uniform_work_group_size: 1
    .uses_dynamic_stack: false
    .vgpr_count:     49
    .vgpr_spill_count: 0
    .wavefront_size: 64
  - .agpr_count:     0
    .args:
      - .actual_access:  write_only
        .address_space:  global
        .offset:         0
        .size:           8
        .value_kind:     global_buffer
      - .actual_access:  read_only
        .address_space:  global
        .offset:         8
        .size:           8
        .value_kind:     global_buffer
      - .actual_access:  read_only
        .address_space:  global
        .offset:         16
        .size:           8
        .value_kind:     global_buffer
      - .actual_access:  read_only
        .address_space:  global
        .offset:         24
        .size:           8
        .value_kind:     global_buffer
      - .offset:         32
        .size:           4
        .value_kind:     by_value
      - .offset:         36
        .size:           4
        .value_kind:     by_value
      - .actual_access:  read_only
        .address_space:  global
        .offset:         40
        .size:           8
        .value_kind:     global_buffer
      - .actual_access:  read_only
        .address_space:  global
        .offset:         48
        .size:           8
        .value_kind:     global_buffer
      - .offset:         56
        .size:           4
        .value_kind:     by_value
      - .actual_access:  read_only
        .address_space:  global
        .offset:         64
        .size:           8
        .value_kind:     global_buffer
      - .offset:         72
        .size:           4
        .value_kind:     by_value
      - .offset:         76
        .size:           4
        .value_kind:     by_value
      - .offset:         80
        .size:           4
        .value_kind:     by_value
      - .address_space:  global
        .offset:         88
        .size:           8
        .value_kind:     global_buffer
      - .address_space:  global
        .offset:         96
        .size:           8
        .value_kind:     global_buffer
      - .offset:         104
        .size:           4
        .value_kind:     by_value
      - .offset:         108
        .size:           4
        .value_kind:     by_value
      - .offset:         112
        .size:           4
        .value_kind:     by_value
      - .offset:         116
        .size:           4
        .value_kind:     by_value
      - .offset:         120
        .size:           4
        .value_kind:     by_value
      - .offset:         128
        .size:           4
        .value_kind:     hidden_block_count_x
      - .offset:         132
        .size:           4
        .value_kind:     hidden_block_count_y
      - .offset:         136
        .size:           4
        .value_kind:     hidden_block_count_z
      - .offset:         140
        .size:           2
        .value_kind:     hidden_group_size_x
      - .offset:         142
        .size:           2
        .value_kind:     hidden_group_size_y
      - .offset:         144
        .size:           2
        .value_kind:     hidden_group_size_z
      - .offset:         146
        .size:           2
        .value_kind:     hidden_remainder_x
      - .offset:         148
        .size:           2
        .value_kind:     hidden_remainder_y
      - .offset:         150
        .size:           2
        .value_kind:     hidden_remainder_z
      - .offset:         168
        .size:           8
        .value_kind:     hidden_global_offset_x
      - .offset:         176
        .size:           8
        .value_kind:     hidden_global_offset_y
      - .offset:         184
        .size:           8
        .value_kind:     hidden_global_offset_z
      - .offset:         192
        .size:           2
        .value_kind:     hidden_grid_dims
      - .offset:         248
        .size:           4
        .value_kind:     hidden_dynamic_lds_size
    .group_segment_fixed_size: 272
    .kernarg_segment_align: 8
    .kernarg_segment_size: 384
    .language:       OpenCL C
    .language_version:
      - 2
      - 0
    .max_flat_workgroup_size: 1024
    .name:           _ZN4vllm25paged_attention_v1_kernelIthLi128ELi8ELi128ELNS_18Fp8KVCacheDataTypeE1ELb0EEEvPT_PKS2_PKT0_S8_ifPKiSA_iPKfiiiSC_SC_iiiii
    .private_segment_fixed_size: 0
    .sgpr_count:     44
    .sgpr_spill_count: 0
    .symbol:         _ZN4vllm25paged_attention_v1_kernelIthLi128ELi8ELi128ELNS_18Fp8KVCacheDataTypeE1ELb0EEEvPT_PKS2_PKT0_S8_ifPKiSA_iPKfiiiSC_SC_iiiii.kd
    .uniform_work_group_size: 1
    .uses_dynamic_stack: false
    .vgpr_count:     51
    .vgpr_spill_count: 0
    .wavefront_size: 64
  - .agpr_count:     0
    .args:
      - .actual_access:  write_only
        .address_space:  global
        .offset:         0
        .size:           8
        .value_kind:     global_buffer
      - .actual_access:  read_only
        .address_space:  global
        .offset:         8
        .size:           8
        .value_kind:     global_buffer
      - .actual_access:  read_only
        .address_space:  global
        .offset:         16
        .size:           8
        .value_kind:     global_buffer
      - .actual_access:  read_only
        .address_space:  global
        .offset:         24
        .size:           8
        .value_kind:     global_buffer
      - .offset:         32
        .size:           4
        .value_kind:     by_value
      - .offset:         36
        .size:           4
        .value_kind:     by_value
      - .actual_access:  read_only
        .address_space:  global
        .offset:         40
        .size:           8
        .value_kind:     global_buffer
      - .actual_access:  read_only
        .address_space:  global
        .offset:         48
        .size:           8
        .value_kind:     global_buffer
      - .offset:         56
        .size:           4
        .value_kind:     by_value
      - .actual_access:  read_only
        .address_space:  global
        .offset:         64
        .size:           8
        .value_kind:     global_buffer
      - .offset:         72
        .size:           4
        .value_kind:     by_value
      - .offset:         76
        .size:           4
        .value_kind:     by_value
      - .offset:         80
        .size:           4
        .value_kind:     by_value
      - .address_space:  global
        .offset:         88
        .size:           8
        .value_kind:     global_buffer
      - .address_space:  global
        .offset:         96
        .size:           8
        .value_kind:     global_buffer
      - .offset:         104
        .size:           4
        .value_kind:     by_value
      - .offset:         108
        .size:           4
        .value_kind:     by_value
      - .offset:         112
        .size:           4
        .value_kind:     by_value
      - .offset:         116
        .size:           4
        .value_kind:     by_value
      - .offset:         120
        .size:           4
        .value_kind:     by_value
      - .offset:         128
        .size:           4
        .value_kind:     hidden_block_count_x
      - .offset:         132
        .size:           4
        .value_kind:     hidden_block_count_y
      - .offset:         136
        .size:           4
        .value_kind:     hidden_block_count_z
      - .offset:         140
        .size:           2
        .value_kind:     hidden_group_size_x
      - .offset:         142
        .size:           2
        .value_kind:     hidden_group_size_y
      - .offset:         144
        .size:           2
        .value_kind:     hidden_group_size_z
      - .offset:         146
        .size:           2
        .value_kind:     hidden_remainder_x
      - .offset:         148
        .size:           2
        .value_kind:     hidden_remainder_y
      - .offset:         150
        .size:           2
        .value_kind:     hidden_remainder_z
      - .offset:         168
        .size:           8
        .value_kind:     hidden_global_offset_x
      - .offset:         176
        .size:           8
        .value_kind:     hidden_global_offset_y
      - .offset:         184
        .size:           8
        .value_kind:     hidden_global_offset_z
      - .offset:         192
        .size:           2
        .value_kind:     hidden_grid_dims
      - .offset:         248
        .size:           4
        .value_kind:     hidden_dynamic_lds_size
    .group_segment_fixed_size: 400
    .kernarg_segment_align: 8
    .kernarg_segment_size: 384
    .language:       OpenCL C
    .language_version:
      - 2
      - 0
    .max_flat_workgroup_size: 1024
    .name:           _ZN4vllm25paged_attention_v1_kernelIthLi192ELi8ELi128ELNS_18Fp8KVCacheDataTypeE1ELb0EEEvPT_PKS2_PKT0_S8_ifPKiSA_iPKfiiiSC_SC_iiiii
    .private_segment_fixed_size: 0
    .sgpr_count:     44
    .sgpr_spill_count: 0
    .symbol:         _ZN4vllm25paged_attention_v1_kernelIthLi192ELi8ELi128ELNS_18Fp8KVCacheDataTypeE1ELb0EEEvPT_PKS2_PKT0_S8_ifPKiSA_iPKfiiiSC_SC_iiiii.kd
    .uniform_work_group_size: 1
    .uses_dynamic_stack: false
    .vgpr_count:     65
    .vgpr_spill_count: 0
    .wavefront_size: 64
  - .agpr_count:     0
    .args:
      - .actual_access:  write_only
        .address_space:  global
        .offset:         0
        .size:           8
        .value_kind:     global_buffer
      - .actual_access:  read_only
        .address_space:  global
        .offset:         8
        .size:           8
        .value_kind:     global_buffer
      - .actual_access:  read_only
        .address_space:  global
        .offset:         16
        .size:           8
        .value_kind:     global_buffer
      - .actual_access:  read_only
        .address_space:  global
        .offset:         24
        .size:           8
        .value_kind:     global_buffer
      - .offset:         32
        .size:           4
        .value_kind:     by_value
      - .offset:         36
        .size:           4
        .value_kind:     by_value
      - .actual_access:  read_only
        .address_space:  global
        .offset:         40
        .size:           8
        .value_kind:     global_buffer
      - .actual_access:  read_only
        .address_space:  global
        .offset:         48
        .size:           8
        .value_kind:     global_buffer
      - .offset:         56
        .size:           4
        .value_kind:     by_value
      - .actual_access:  read_only
        .address_space:  global
        .offset:         64
        .size:           8
        .value_kind:     global_buffer
      - .offset:         72
        .size:           4
        .value_kind:     by_value
      - .offset:         76
        .size:           4
        .value_kind:     by_value
      - .offset:         80
        .size:           4
        .value_kind:     by_value
      - .address_space:  global
        .offset:         88
        .size:           8
        .value_kind:     global_buffer
      - .address_space:  global
        .offset:         96
        .size:           8
        .value_kind:     global_buffer
      - .offset:         104
        .size:           4
        .value_kind:     by_value
      - .offset:         108
        .size:           4
        .value_kind:     by_value
      - .offset:         112
        .size:           4
        .value_kind:     by_value
      - .offset:         116
        .size:           4
        .value_kind:     by_value
      - .offset:         120
        .size:           4
        .value_kind:     by_value
      - .offset:         128
        .size:           4
        .value_kind:     hidden_block_count_x
      - .offset:         132
        .size:           4
        .value_kind:     hidden_block_count_y
      - .offset:         136
        .size:           4
        .value_kind:     hidden_block_count_z
      - .offset:         140
        .size:           2
        .value_kind:     hidden_group_size_x
      - .offset:         142
        .size:           2
        .value_kind:     hidden_group_size_y
      - .offset:         144
        .size:           2
        .value_kind:     hidden_group_size_z
      - .offset:         146
        .size:           2
        .value_kind:     hidden_remainder_x
      - .offset:         148
        .size:           2
        .value_kind:     hidden_remainder_y
      - .offset:         150
        .size:           2
        .value_kind:     hidden_remainder_z
      - .offset:         168
        .size:           8
        .value_kind:     hidden_global_offset_x
      - .offset:         176
        .size:           8
        .value_kind:     hidden_global_offset_y
      - .offset:         184
        .size:           8
        .value_kind:     hidden_global_offset_z
      - .offset:         192
        .size:           2
        .value_kind:     hidden_grid_dims
      - .offset:         248
        .size:           4
        .value_kind:     hidden_dynamic_lds_size
    .group_segment_fixed_size: 528
    .kernarg_segment_align: 8
    .kernarg_segment_size: 384
    .language:       OpenCL C
    .language_version:
      - 2
      - 0
    .max_flat_workgroup_size: 1024
    .name:           _ZN4vllm25paged_attention_v1_kernelIthLi256ELi8ELi128ELNS_18Fp8KVCacheDataTypeE1ELb0EEEvPT_PKS2_PKT0_S8_ifPKiSA_iPKfiiiSC_SC_iiiii
    .private_segment_fixed_size: 0
    .sgpr_count:     44
    .sgpr_spill_count: 0
    .symbol:         _ZN4vllm25paged_attention_v1_kernelIthLi256ELi8ELi128ELNS_18Fp8KVCacheDataTypeE1ELb0EEEvPT_PKS2_PKT0_S8_ifPKiSA_iPKfiiiSC_SC_iiiii.kd
    .uniform_work_group_size: 1
    .uses_dynamic_stack: false
    .vgpr_count:     63
    .vgpr_spill_count: 0
    .wavefront_size: 64
  - .agpr_count:     0
    .args:
      - .actual_access:  write_only
        .address_space:  global
        .offset:         0
        .size:           8
        .value_kind:     global_buffer
      - .actual_access:  read_only
        .address_space:  global
        .offset:         8
        .size:           8
        .value_kind:     global_buffer
      - .actual_access:  read_only
        .address_space:  global
        .offset:         16
        .size:           8
        .value_kind:     global_buffer
      - .actual_access:  read_only
        .address_space:  global
        .offset:         24
        .size:           8
        .value_kind:     global_buffer
      - .offset:         32
        .size:           4
        .value_kind:     by_value
      - .offset:         36
        .size:           4
        .value_kind:     by_value
      - .actual_access:  read_only
        .address_space:  global
        .offset:         40
        .size:           8
        .value_kind:     global_buffer
      - .actual_access:  read_only
        .address_space:  global
        .offset:         48
        .size:           8
        .value_kind:     global_buffer
      - .offset:         56
        .size:           4
        .value_kind:     by_value
      - .actual_access:  read_only
        .address_space:  global
        .offset:         64
        .size:           8
        .value_kind:     global_buffer
      - .offset:         72
        .size:           4
        .value_kind:     by_value
      - .offset:         76
        .size:           4
        .value_kind:     by_value
      - .offset:         80
        .size:           4
        .value_kind:     by_value
      - .address_space:  global
        .offset:         88
        .size:           8
        .value_kind:     global_buffer
      - .address_space:  global
        .offset:         96
        .size:           8
        .value_kind:     global_buffer
      - .offset:         104
        .size:           4
        .value_kind:     by_value
      - .offset:         108
        .size:           4
        .value_kind:     by_value
      - .offset:         112
        .size:           4
        .value_kind:     by_value
      - .offset:         116
        .size:           4
        .value_kind:     by_value
      - .offset:         120
        .size:           4
        .value_kind:     by_value
      - .offset:         128
        .size:           4
        .value_kind:     hidden_block_count_x
      - .offset:         132
        .size:           4
        .value_kind:     hidden_block_count_y
      - .offset:         136
        .size:           4
        .value_kind:     hidden_block_count_z
      - .offset:         140
        .size:           2
        .value_kind:     hidden_group_size_x
      - .offset:         142
        .size:           2
        .value_kind:     hidden_group_size_y
      - .offset:         144
        .size:           2
        .value_kind:     hidden_group_size_z
      - .offset:         146
        .size:           2
        .value_kind:     hidden_remainder_x
      - .offset:         148
        .size:           2
        .value_kind:     hidden_remainder_y
      - .offset:         150
        .size:           2
        .value_kind:     hidden_remainder_z
      - .offset:         168
        .size:           8
        .value_kind:     hidden_global_offset_x
      - .offset:         176
        .size:           8
        .value_kind:     hidden_global_offset_y
      - .offset:         184
        .size:           8
        .value_kind:     hidden_global_offset_z
      - .offset:         192
        .size:           2
        .value_kind:     hidden_grid_dims
      - .offset:         248
        .size:           4
        .value_kind:     hidden_dynamic_lds_size
    .group_segment_fixed_size: 80
    .kernarg_segment_align: 8
    .kernarg_segment_size: 384
    .language:       OpenCL C
    .language_version:
      - 2
      - 0
    .max_flat_workgroup_size: 1024
    .name:           _ZN4vllm25paged_attention_v1_kernelIthLi32ELi16ELi128ELNS_18Fp8KVCacheDataTypeE1ELb1EEEvPT_PKS2_PKT0_S8_ifPKiSA_iPKfiiiSC_SC_iiiii
    .private_segment_fixed_size: 0
    .sgpr_count:     61
    .sgpr_spill_count: 0
    .symbol:         _ZN4vllm25paged_attention_v1_kernelIthLi32ELi16ELi128ELNS_18Fp8KVCacheDataTypeE1ELb1EEEvPT_PKS2_PKT0_S8_ifPKiSA_iPKfiiiSC_SC_iiiii.kd
    .uniform_work_group_size: 1
    .uses_dynamic_stack: false
    .vgpr_count:     44
    .vgpr_spill_count: 0
    .wavefront_size: 64
  - .agpr_count:     0
    .args:
      - .actual_access:  write_only
        .address_space:  global
        .offset:         0
        .size:           8
        .value_kind:     global_buffer
      - .actual_access:  read_only
        .address_space:  global
        .offset:         8
        .size:           8
        .value_kind:     global_buffer
      - .actual_access:  read_only
        .address_space:  global
        .offset:         16
        .size:           8
        .value_kind:     global_buffer
      - .actual_access:  read_only
        .address_space:  global
        .offset:         24
        .size:           8
        .value_kind:     global_buffer
      - .offset:         32
        .size:           4
        .value_kind:     by_value
      - .offset:         36
        .size:           4
        .value_kind:     by_value
      - .actual_access:  read_only
        .address_space:  global
        .offset:         40
        .size:           8
        .value_kind:     global_buffer
      - .actual_access:  read_only
        .address_space:  global
        .offset:         48
        .size:           8
        .value_kind:     global_buffer
      - .offset:         56
        .size:           4
        .value_kind:     by_value
      - .actual_access:  read_only
        .address_space:  global
        .offset:         64
        .size:           8
        .value_kind:     global_buffer
      - .offset:         72
        .size:           4
        .value_kind:     by_value
      - .offset:         76
        .size:           4
        .value_kind:     by_value
      - .offset:         80
        .size:           4
        .value_kind:     by_value
      - .address_space:  global
        .offset:         88
        .size:           8
        .value_kind:     global_buffer
      - .address_space:  global
        .offset:         96
        .size:           8
        .value_kind:     global_buffer
      - .offset:         104
        .size:           4
        .value_kind:     by_value
      - .offset:         108
        .size:           4
        .value_kind:     by_value
      - .offset:         112
        .size:           4
        .value_kind:     by_value
      - .offset:         116
        .size:           4
        .value_kind:     by_value
      - .offset:         120
        .size:           4
        .value_kind:     by_value
      - .offset:         128
        .size:           4
        .value_kind:     hidden_block_count_x
      - .offset:         132
        .size:           4
        .value_kind:     hidden_block_count_y
      - .offset:         136
        .size:           4
        .value_kind:     hidden_block_count_z
      - .offset:         140
        .size:           2
        .value_kind:     hidden_group_size_x
      - .offset:         142
        .size:           2
        .value_kind:     hidden_group_size_y
      - .offset:         144
        .size:           2
        .value_kind:     hidden_group_size_z
      - .offset:         146
        .size:           2
        .value_kind:     hidden_remainder_x
      - .offset:         148
        .size:           2
        .value_kind:     hidden_remainder_y
      - .offset:         150
        .size:           2
        .value_kind:     hidden_remainder_z
      - .offset:         168
        .size:           8
        .value_kind:     hidden_global_offset_x
      - .offset:         176
        .size:           8
        .value_kind:     hidden_global_offset_y
      - .offset:         184
        .size:           8
        .value_kind:     hidden_global_offset_z
      - .offset:         192
        .size:           2
        .value_kind:     hidden_grid_dims
      - .offset:         248
        .size:           4
        .value_kind:     hidden_dynamic_lds_size
    .group_segment_fixed_size: 144
    .kernarg_segment_align: 8
    .kernarg_segment_size: 384
    .language:       OpenCL C
    .language_version:
      - 2
      - 0
    .max_flat_workgroup_size: 1024
    .name:           _ZN4vllm25paged_attention_v1_kernelIthLi64ELi16ELi128ELNS_18Fp8KVCacheDataTypeE1ELb1EEEvPT_PKS2_PKT0_S8_ifPKiSA_iPKfiiiSC_SC_iiiii
    .private_segment_fixed_size: 0
    .sgpr_count:     61
    .sgpr_spill_count: 0
    .symbol:         _ZN4vllm25paged_attention_v1_kernelIthLi64ELi16ELi128ELNS_18Fp8KVCacheDataTypeE1ELb1EEEvPT_PKS2_PKT0_S8_ifPKiSA_iPKfiiiSC_SC_iiiii.kd
    .uniform_work_group_size: 1
    .uses_dynamic_stack: false
    .vgpr_count:     48
    .vgpr_spill_count: 0
    .wavefront_size: 64
  - .agpr_count:     0
    .args:
      - .actual_access:  write_only
        .address_space:  global
        .offset:         0
        .size:           8
        .value_kind:     global_buffer
      - .actual_access:  read_only
        .address_space:  global
        .offset:         8
        .size:           8
        .value_kind:     global_buffer
      - .actual_access:  read_only
        .address_space:  global
        .offset:         16
        .size:           8
        .value_kind:     global_buffer
      - .actual_access:  read_only
        .address_space:  global
        .offset:         24
        .size:           8
        .value_kind:     global_buffer
      - .offset:         32
        .size:           4
        .value_kind:     by_value
      - .offset:         36
        .size:           4
        .value_kind:     by_value
      - .actual_access:  read_only
        .address_space:  global
        .offset:         40
        .size:           8
        .value_kind:     global_buffer
      - .actual_access:  read_only
        .address_space:  global
        .offset:         48
        .size:           8
        .value_kind:     global_buffer
      - .offset:         56
        .size:           4
        .value_kind:     by_value
      - .actual_access:  read_only
        .address_space:  global
        .offset:         64
        .size:           8
        .value_kind:     global_buffer
      - .offset:         72
        .size:           4
        .value_kind:     by_value
      - .offset:         76
        .size:           4
        .value_kind:     by_value
      - .offset:         80
        .size:           4
        .value_kind:     by_value
      - .address_space:  global
        .offset:         88
        .size:           8
        .value_kind:     global_buffer
      - .address_space:  global
        .offset:         96
        .size:           8
        .value_kind:     global_buffer
      - .offset:         104
        .size:           4
        .value_kind:     by_value
      - .offset:         108
        .size:           4
        .value_kind:     by_value
      - .offset:         112
        .size:           4
        .value_kind:     by_value
      - .offset:         116
        .size:           4
        .value_kind:     by_value
      - .offset:         120
        .size:           4
        .value_kind:     by_value
      - .offset:         128
        .size:           4
        .value_kind:     hidden_block_count_x
      - .offset:         132
        .size:           4
        .value_kind:     hidden_block_count_y
      - .offset:         136
        .size:           4
        .value_kind:     hidden_block_count_z
      - .offset:         140
        .size:           2
        .value_kind:     hidden_group_size_x
      - .offset:         142
        .size:           2
        .value_kind:     hidden_group_size_y
      - .offset:         144
        .size:           2
        .value_kind:     hidden_group_size_z
      - .offset:         146
        .size:           2
        .value_kind:     hidden_remainder_x
      - .offset:         148
        .size:           2
        .value_kind:     hidden_remainder_y
      - .offset:         150
        .size:           2
        .value_kind:     hidden_remainder_z
      - .offset:         168
        .size:           8
        .value_kind:     hidden_global_offset_x
      - .offset:         176
        .size:           8
        .value_kind:     hidden_global_offset_y
      - .offset:         184
        .size:           8
        .value_kind:     hidden_global_offset_z
      - .offset:         192
        .size:           2
        .value_kind:     hidden_grid_dims
      - .offset:         248
        .size:           4
        .value_kind:     hidden_dynamic_lds_size
    .group_segment_fixed_size: 176
    .kernarg_segment_align: 8
    .kernarg_segment_size: 384
    .language:       OpenCL C
    .language_version:
      - 2
      - 0
    .max_flat_workgroup_size: 1024
    .name:           _ZN4vllm25paged_attention_v1_kernelIthLi80ELi16ELi128ELNS_18Fp8KVCacheDataTypeE1ELb1EEEvPT_PKS2_PKT0_S8_ifPKiSA_iPKfiiiSC_SC_iiiii
    .private_segment_fixed_size: 0
    .sgpr_count:     61
    .sgpr_spill_count: 0
    .symbol:         _ZN4vllm25paged_attention_v1_kernelIthLi80ELi16ELi128ELNS_18Fp8KVCacheDataTypeE1ELb1EEEvPT_PKS2_PKT0_S8_ifPKiSA_iPKfiiiSC_SC_iiiii.kd
    .uniform_work_group_size: 1
    .uses_dynamic_stack: false
    .vgpr_count:     53
    .vgpr_spill_count: 0
    .wavefront_size: 64
  - .agpr_count:     0
    .args:
      - .actual_access:  write_only
        .address_space:  global
        .offset:         0
        .size:           8
        .value_kind:     global_buffer
      - .actual_access:  read_only
        .address_space:  global
        .offset:         8
        .size:           8
        .value_kind:     global_buffer
      - .actual_access:  read_only
        .address_space:  global
        .offset:         16
        .size:           8
        .value_kind:     global_buffer
      - .actual_access:  read_only
        .address_space:  global
        .offset:         24
        .size:           8
        .value_kind:     global_buffer
      - .offset:         32
        .size:           4
        .value_kind:     by_value
      - .offset:         36
        .size:           4
        .value_kind:     by_value
      - .actual_access:  read_only
        .address_space:  global
        .offset:         40
        .size:           8
        .value_kind:     global_buffer
      - .actual_access:  read_only
        .address_space:  global
        .offset:         48
        .size:           8
        .value_kind:     global_buffer
      - .offset:         56
        .size:           4
        .value_kind:     by_value
      - .actual_access:  read_only
        .address_space:  global
        .offset:         64
        .size:           8
        .value_kind:     global_buffer
      - .offset:         72
        .size:           4
        .value_kind:     by_value
      - .offset:         76
        .size:           4
        .value_kind:     by_value
      - .offset:         80
        .size:           4
        .value_kind:     by_value
      - .address_space:  global
        .offset:         88
        .size:           8
        .value_kind:     global_buffer
      - .address_space:  global
        .offset:         96
        .size:           8
        .value_kind:     global_buffer
      - .offset:         104
        .size:           4
        .value_kind:     by_value
      - .offset:         108
        .size:           4
        .value_kind:     by_value
      - .offset:         112
        .size:           4
        .value_kind:     by_value
      - .offset:         116
        .size:           4
        .value_kind:     by_value
      - .offset:         120
        .size:           4
        .value_kind:     by_value
      - .offset:         128
        .size:           4
        .value_kind:     hidden_block_count_x
      - .offset:         132
        .size:           4
        .value_kind:     hidden_block_count_y
      - .offset:         136
        .size:           4
        .value_kind:     hidden_block_count_z
      - .offset:         140
        .size:           2
        .value_kind:     hidden_group_size_x
      - .offset:         142
        .size:           2
        .value_kind:     hidden_group_size_y
      - .offset:         144
        .size:           2
        .value_kind:     hidden_group_size_z
      - .offset:         146
        .size:           2
        .value_kind:     hidden_remainder_x
      - .offset:         148
        .size:           2
        .value_kind:     hidden_remainder_y
      - .offset:         150
        .size:           2
        .value_kind:     hidden_remainder_z
      - .offset:         168
        .size:           8
        .value_kind:     hidden_global_offset_x
      - .offset:         176
        .size:           8
        .value_kind:     hidden_global_offset_y
      - .offset:         184
        .size:           8
        .value_kind:     hidden_global_offset_z
      - .offset:         192
        .size:           2
        .value_kind:     hidden_grid_dims
      - .offset:         248
        .size:           4
        .value_kind:     hidden_dynamic_lds_size
    .group_segment_fixed_size: 208
    .kernarg_segment_align: 8
    .kernarg_segment_size: 384
    .language:       OpenCL C
    .language_version:
      - 2
      - 0
    .max_flat_workgroup_size: 1024
    .name:           _ZN4vllm25paged_attention_v1_kernelIthLi96ELi16ELi128ELNS_18Fp8KVCacheDataTypeE1ELb1EEEvPT_PKS2_PKT0_S8_ifPKiSA_iPKfiiiSC_SC_iiiii
    .private_segment_fixed_size: 0
    .sgpr_count:     61
    .sgpr_spill_count: 0
    .symbol:         _ZN4vllm25paged_attention_v1_kernelIthLi96ELi16ELi128ELNS_18Fp8KVCacheDataTypeE1ELb1EEEvPT_PKS2_PKT0_S8_ifPKiSA_iPKfiiiSC_SC_iiiii.kd
    .uniform_work_group_size: 1
    .uses_dynamic_stack: false
    .vgpr_count:     59
    .vgpr_spill_count: 0
    .wavefront_size: 64
  - .agpr_count:     0
    .args:
      - .actual_access:  write_only
        .address_space:  global
        .offset:         0
        .size:           8
        .value_kind:     global_buffer
      - .actual_access:  read_only
        .address_space:  global
        .offset:         8
        .size:           8
        .value_kind:     global_buffer
      - .actual_access:  read_only
        .address_space:  global
        .offset:         16
        .size:           8
        .value_kind:     global_buffer
      - .actual_access:  read_only
        .address_space:  global
        .offset:         24
        .size:           8
        .value_kind:     global_buffer
      - .offset:         32
        .size:           4
        .value_kind:     by_value
      - .offset:         36
        .size:           4
        .value_kind:     by_value
      - .actual_access:  read_only
        .address_space:  global
        .offset:         40
        .size:           8
        .value_kind:     global_buffer
      - .actual_access:  read_only
        .address_space:  global
        .offset:         48
        .size:           8
        .value_kind:     global_buffer
      - .offset:         56
        .size:           4
        .value_kind:     by_value
      - .actual_access:  read_only
        .address_space:  global
        .offset:         64
        .size:           8
        .value_kind:     global_buffer
      - .offset:         72
        .size:           4
        .value_kind:     by_value
      - .offset:         76
        .size:           4
        .value_kind:     by_value
      - .offset:         80
        .size:           4
        .value_kind:     by_value
      - .address_space:  global
        .offset:         88
        .size:           8
        .value_kind:     global_buffer
      - .address_space:  global
        .offset:         96
        .size:           8
        .value_kind:     global_buffer
      - .offset:         104
        .size:           4
        .value_kind:     by_value
      - .offset:         108
        .size:           4
        .value_kind:     by_value
      - .offset:         112
        .size:           4
        .value_kind:     by_value
      - .offset:         116
        .size:           4
        .value_kind:     by_value
      - .offset:         120
        .size:           4
        .value_kind:     by_value
      - .offset:         128
        .size:           4
        .value_kind:     hidden_block_count_x
      - .offset:         132
        .size:           4
        .value_kind:     hidden_block_count_y
      - .offset:         136
        .size:           4
        .value_kind:     hidden_block_count_z
      - .offset:         140
        .size:           2
        .value_kind:     hidden_group_size_x
      - .offset:         142
        .size:           2
        .value_kind:     hidden_group_size_y
      - .offset:         144
        .size:           2
        .value_kind:     hidden_group_size_z
      - .offset:         146
        .size:           2
        .value_kind:     hidden_remainder_x
      - .offset:         148
        .size:           2
        .value_kind:     hidden_remainder_y
      - .offset:         150
        .size:           2
        .value_kind:     hidden_remainder_z
      - .offset:         168
        .size:           8
        .value_kind:     hidden_global_offset_x
      - .offset:         176
        .size:           8
        .value_kind:     hidden_global_offset_y
      - .offset:         184
        .size:           8
        .value_kind:     hidden_global_offset_z
      - .offset:         192
        .size:           2
        .value_kind:     hidden_grid_dims
      - .offset:         248
        .size:           4
        .value_kind:     hidden_dynamic_lds_size
    .group_segment_fixed_size: 240
    .kernarg_segment_align: 8
    .kernarg_segment_size: 384
    .language:       OpenCL C
    .language_version:
      - 2
      - 0
    .max_flat_workgroup_size: 1024
    .name:           _ZN4vllm25paged_attention_v1_kernelIthLi112ELi16ELi128ELNS_18Fp8KVCacheDataTypeE1ELb1EEEvPT_PKS2_PKT0_S8_ifPKiSA_iPKfiiiSC_SC_iiiii
    .private_segment_fixed_size: 0
    .sgpr_count:     61
    .sgpr_spill_count: 0
    .symbol:         _ZN4vllm25paged_attention_v1_kernelIthLi112ELi16ELi128ELNS_18Fp8KVCacheDataTypeE1ELb1EEEvPT_PKS2_PKT0_S8_ifPKiSA_iPKfiiiSC_SC_iiiii.kd
    .uniform_work_group_size: 1
    .uses_dynamic_stack: false
    .vgpr_count:     65
    .vgpr_spill_count: 0
    .wavefront_size: 64
  - .agpr_count:     0
    .args:
      - .actual_access:  write_only
        .address_space:  global
        .offset:         0
        .size:           8
        .value_kind:     global_buffer
      - .actual_access:  read_only
        .address_space:  global
        .offset:         8
        .size:           8
        .value_kind:     global_buffer
      - .actual_access:  read_only
        .address_space:  global
        .offset:         16
        .size:           8
        .value_kind:     global_buffer
      - .actual_access:  read_only
        .address_space:  global
        .offset:         24
        .size:           8
        .value_kind:     global_buffer
      - .offset:         32
        .size:           4
        .value_kind:     by_value
      - .offset:         36
        .size:           4
        .value_kind:     by_value
      - .actual_access:  read_only
        .address_space:  global
        .offset:         40
        .size:           8
        .value_kind:     global_buffer
      - .actual_access:  read_only
        .address_space:  global
        .offset:         48
        .size:           8
        .value_kind:     global_buffer
      - .offset:         56
        .size:           4
        .value_kind:     by_value
      - .actual_access:  read_only
        .address_space:  global
        .offset:         64
        .size:           8
        .value_kind:     global_buffer
      - .offset:         72
        .size:           4
        .value_kind:     by_value
      - .offset:         76
        .size:           4
        .value_kind:     by_value
      - .offset:         80
        .size:           4
        .value_kind:     by_value
      - .address_space:  global
        .offset:         88
        .size:           8
        .value_kind:     global_buffer
      - .address_space:  global
        .offset:         96
        .size:           8
        .value_kind:     global_buffer
      - .offset:         104
        .size:           4
        .value_kind:     by_value
      - .offset:         108
        .size:           4
        .value_kind:     by_value
      - .offset:         112
        .size:           4
        .value_kind:     by_value
      - .offset:         116
        .size:           4
        .value_kind:     by_value
      - .offset:         120
        .size:           4
        .value_kind:     by_value
      - .offset:         128
        .size:           4
        .value_kind:     hidden_block_count_x
      - .offset:         132
        .size:           4
        .value_kind:     hidden_block_count_y
      - .offset:         136
        .size:           4
        .value_kind:     hidden_block_count_z
      - .offset:         140
        .size:           2
        .value_kind:     hidden_group_size_x
      - .offset:         142
        .size:           2
        .value_kind:     hidden_group_size_y
      - .offset:         144
        .size:           2
        .value_kind:     hidden_group_size_z
      - .offset:         146
        .size:           2
        .value_kind:     hidden_remainder_x
      - .offset:         148
        .size:           2
        .value_kind:     hidden_remainder_y
      - .offset:         150
        .size:           2
        .value_kind:     hidden_remainder_z
      - .offset:         168
        .size:           8
        .value_kind:     hidden_global_offset_x
      - .offset:         176
        .size:           8
        .value_kind:     hidden_global_offset_y
      - .offset:         184
        .size:           8
        .value_kind:     hidden_global_offset_z
      - .offset:         192
        .size:           2
        .value_kind:     hidden_grid_dims
      - .offset:         248
        .size:           4
        .value_kind:     hidden_dynamic_lds_size
    .group_segment_fixed_size: 256
    .kernarg_segment_align: 8
    .kernarg_segment_size: 384
    .language:       OpenCL C
    .language_version:
      - 2
      - 0
    .max_flat_workgroup_size: 1024
    .name:           _ZN4vllm25paged_attention_v1_kernelIthLi120ELi16ELi128ELNS_18Fp8KVCacheDataTypeE1ELb1EEEvPT_PKS2_PKT0_S8_ifPKiSA_iPKfiiiSC_SC_iiiii
    .private_segment_fixed_size: 0
    .sgpr_count:     61
    .sgpr_spill_count: 0
    .symbol:         _ZN4vllm25paged_attention_v1_kernelIthLi120ELi16ELi128ELNS_18Fp8KVCacheDataTypeE1ELb1EEEvPT_PKS2_PKT0_S8_ifPKiSA_iPKfiiiSC_SC_iiiii.kd
    .uniform_work_group_size: 1
    .uses_dynamic_stack: false
    .vgpr_count:     68
    .vgpr_spill_count: 0
    .wavefront_size: 64
  - .agpr_count:     0
    .args:
      - .actual_access:  write_only
        .address_space:  global
        .offset:         0
        .size:           8
        .value_kind:     global_buffer
      - .actual_access:  read_only
        .address_space:  global
        .offset:         8
        .size:           8
        .value_kind:     global_buffer
      - .actual_access:  read_only
        .address_space:  global
        .offset:         16
        .size:           8
        .value_kind:     global_buffer
      - .actual_access:  read_only
        .address_space:  global
        .offset:         24
        .size:           8
        .value_kind:     global_buffer
      - .offset:         32
        .size:           4
        .value_kind:     by_value
      - .offset:         36
        .size:           4
        .value_kind:     by_value
      - .actual_access:  read_only
        .address_space:  global
        .offset:         40
        .size:           8
        .value_kind:     global_buffer
      - .actual_access:  read_only
        .address_space:  global
        .offset:         48
        .size:           8
        .value_kind:     global_buffer
      - .offset:         56
        .size:           4
        .value_kind:     by_value
      - .actual_access:  read_only
        .address_space:  global
        .offset:         64
        .size:           8
        .value_kind:     global_buffer
      - .offset:         72
        .size:           4
        .value_kind:     by_value
      - .offset:         76
        .size:           4
        .value_kind:     by_value
      - .offset:         80
        .size:           4
        .value_kind:     by_value
      - .address_space:  global
        .offset:         88
        .size:           8
        .value_kind:     global_buffer
      - .address_space:  global
        .offset:         96
        .size:           8
        .value_kind:     global_buffer
      - .offset:         104
        .size:           4
        .value_kind:     by_value
      - .offset:         108
        .size:           4
        .value_kind:     by_value
      - .offset:         112
        .size:           4
        .value_kind:     by_value
      - .offset:         116
        .size:           4
        .value_kind:     by_value
      - .offset:         120
        .size:           4
        .value_kind:     by_value
      - .offset:         128
        .size:           4
        .value_kind:     hidden_block_count_x
      - .offset:         132
        .size:           4
        .value_kind:     hidden_block_count_y
      - .offset:         136
        .size:           4
        .value_kind:     hidden_block_count_z
      - .offset:         140
        .size:           2
        .value_kind:     hidden_group_size_x
      - .offset:         142
        .size:           2
        .value_kind:     hidden_group_size_y
      - .offset:         144
        .size:           2
        .value_kind:     hidden_group_size_z
      - .offset:         146
        .size:           2
        .value_kind:     hidden_remainder_x
      - .offset:         148
        .size:           2
        .value_kind:     hidden_remainder_y
      - .offset:         150
        .size:           2
        .value_kind:     hidden_remainder_z
      - .offset:         168
        .size:           8
        .value_kind:     hidden_global_offset_x
      - .offset:         176
        .size:           8
        .value_kind:     hidden_global_offset_y
      - .offset:         184
        .size:           8
        .value_kind:     hidden_global_offset_z
      - .offset:         192
        .size:           2
        .value_kind:     hidden_grid_dims
      - .offset:         248
        .size:           4
        .value_kind:     hidden_dynamic_lds_size
    .group_segment_fixed_size: 272
    .kernarg_segment_align: 8
    .kernarg_segment_size: 384
    .language:       OpenCL C
    .language_version:
      - 2
      - 0
    .max_flat_workgroup_size: 1024
    .name:           _ZN4vllm25paged_attention_v1_kernelIthLi128ELi16ELi128ELNS_18Fp8KVCacheDataTypeE1ELb1EEEvPT_PKS2_PKT0_S8_ifPKiSA_iPKfiiiSC_SC_iiiii
    .private_segment_fixed_size: 0
    .sgpr_count:     63
    .sgpr_spill_count: 0
    .symbol:         _ZN4vllm25paged_attention_v1_kernelIthLi128ELi16ELi128ELNS_18Fp8KVCacheDataTypeE1ELb1EEEvPT_PKS2_PKT0_S8_ifPKiSA_iPKfiiiSC_SC_iiiii.kd
    .uniform_work_group_size: 1
    .uses_dynamic_stack: false
    .vgpr_count:     71
    .vgpr_spill_count: 0
    .wavefront_size: 64
  - .agpr_count:     0
    .args:
      - .actual_access:  write_only
        .address_space:  global
        .offset:         0
        .size:           8
        .value_kind:     global_buffer
      - .actual_access:  read_only
        .address_space:  global
        .offset:         8
        .size:           8
        .value_kind:     global_buffer
      - .actual_access:  read_only
        .address_space:  global
        .offset:         16
        .size:           8
        .value_kind:     global_buffer
      - .actual_access:  read_only
        .address_space:  global
        .offset:         24
        .size:           8
        .value_kind:     global_buffer
      - .offset:         32
        .size:           4
        .value_kind:     by_value
      - .offset:         36
        .size:           4
        .value_kind:     by_value
      - .actual_access:  read_only
        .address_space:  global
        .offset:         40
        .size:           8
        .value_kind:     global_buffer
      - .actual_access:  read_only
        .address_space:  global
        .offset:         48
        .size:           8
        .value_kind:     global_buffer
      - .offset:         56
        .size:           4
        .value_kind:     by_value
      - .actual_access:  read_only
        .address_space:  global
        .offset:         64
        .size:           8
        .value_kind:     global_buffer
      - .offset:         72
        .size:           4
        .value_kind:     by_value
      - .offset:         76
        .size:           4
        .value_kind:     by_value
      - .offset:         80
        .size:           4
        .value_kind:     by_value
      - .address_space:  global
        .offset:         88
        .size:           8
        .value_kind:     global_buffer
      - .address_space:  global
        .offset:         96
        .size:           8
        .value_kind:     global_buffer
      - .offset:         104
        .size:           4
        .value_kind:     by_value
      - .offset:         108
        .size:           4
        .value_kind:     by_value
      - .offset:         112
        .size:           4
        .value_kind:     by_value
      - .offset:         116
        .size:           4
        .value_kind:     by_value
      - .offset:         120
        .size:           4
        .value_kind:     by_value
      - .offset:         128
        .size:           4
        .value_kind:     hidden_block_count_x
      - .offset:         132
        .size:           4
        .value_kind:     hidden_block_count_y
      - .offset:         136
        .size:           4
        .value_kind:     hidden_block_count_z
      - .offset:         140
        .size:           2
        .value_kind:     hidden_group_size_x
      - .offset:         142
        .size:           2
        .value_kind:     hidden_group_size_y
      - .offset:         144
        .size:           2
        .value_kind:     hidden_group_size_z
      - .offset:         146
        .size:           2
        .value_kind:     hidden_remainder_x
      - .offset:         148
        .size:           2
        .value_kind:     hidden_remainder_y
      - .offset:         150
        .size:           2
        .value_kind:     hidden_remainder_z
      - .offset:         168
        .size:           8
        .value_kind:     hidden_global_offset_x
      - .offset:         176
        .size:           8
        .value_kind:     hidden_global_offset_y
      - .offset:         184
        .size:           8
        .value_kind:     hidden_global_offset_z
      - .offset:         192
        .size:           2
        .value_kind:     hidden_grid_dims
      - .offset:         248
        .size:           4
        .value_kind:     hidden_dynamic_lds_size
    .group_segment_fixed_size: 400
    .kernarg_segment_align: 8
    .kernarg_segment_size: 384
    .language:       OpenCL C
    .language_version:
      - 2
      - 0
    .max_flat_workgroup_size: 1024
    .name:           _ZN4vllm25paged_attention_v1_kernelIthLi192ELi16ELi128ELNS_18Fp8KVCacheDataTypeE1ELb1EEEvPT_PKS2_PKT0_S8_ifPKiSA_iPKfiiiSC_SC_iiiii
    .private_segment_fixed_size: 0
    .sgpr_count:     61
    .sgpr_spill_count: 0
    .symbol:         _ZN4vllm25paged_attention_v1_kernelIthLi192ELi16ELi128ELNS_18Fp8KVCacheDataTypeE1ELb1EEEvPT_PKS2_PKT0_S8_ifPKiSA_iPKfiiiSC_SC_iiiii.kd
    .uniform_work_group_size: 1
    .uses_dynamic_stack: false
    .vgpr_count:     95
    .vgpr_spill_count: 0
    .wavefront_size: 64
  - .agpr_count:     0
    .args:
      - .actual_access:  write_only
        .address_space:  global
        .offset:         0
        .size:           8
        .value_kind:     global_buffer
      - .actual_access:  read_only
        .address_space:  global
        .offset:         8
        .size:           8
        .value_kind:     global_buffer
      - .actual_access:  read_only
        .address_space:  global
        .offset:         16
        .size:           8
        .value_kind:     global_buffer
      - .actual_access:  read_only
        .address_space:  global
        .offset:         24
        .size:           8
        .value_kind:     global_buffer
      - .offset:         32
        .size:           4
        .value_kind:     by_value
      - .offset:         36
        .size:           4
        .value_kind:     by_value
      - .actual_access:  read_only
        .address_space:  global
        .offset:         40
        .size:           8
        .value_kind:     global_buffer
      - .actual_access:  read_only
        .address_space:  global
        .offset:         48
        .size:           8
        .value_kind:     global_buffer
      - .offset:         56
        .size:           4
        .value_kind:     by_value
      - .actual_access:  read_only
        .address_space:  global
        .offset:         64
        .size:           8
        .value_kind:     global_buffer
      - .offset:         72
        .size:           4
        .value_kind:     by_value
      - .offset:         76
        .size:           4
        .value_kind:     by_value
      - .offset:         80
        .size:           4
        .value_kind:     by_value
      - .address_space:  global
        .offset:         88
        .size:           8
        .value_kind:     global_buffer
      - .address_space:  global
        .offset:         96
        .size:           8
        .value_kind:     global_buffer
      - .offset:         104
        .size:           4
        .value_kind:     by_value
      - .offset:         108
        .size:           4
        .value_kind:     by_value
      - .offset:         112
        .size:           4
        .value_kind:     by_value
      - .offset:         116
        .size:           4
        .value_kind:     by_value
      - .offset:         120
        .size:           4
        .value_kind:     by_value
      - .offset:         128
        .size:           4
        .value_kind:     hidden_block_count_x
      - .offset:         132
        .size:           4
        .value_kind:     hidden_block_count_y
      - .offset:         136
        .size:           4
        .value_kind:     hidden_block_count_z
      - .offset:         140
        .size:           2
        .value_kind:     hidden_group_size_x
      - .offset:         142
        .size:           2
        .value_kind:     hidden_group_size_y
      - .offset:         144
        .size:           2
        .value_kind:     hidden_group_size_z
      - .offset:         146
        .size:           2
        .value_kind:     hidden_remainder_x
      - .offset:         148
        .size:           2
        .value_kind:     hidden_remainder_y
      - .offset:         150
        .size:           2
        .value_kind:     hidden_remainder_z
      - .offset:         168
        .size:           8
        .value_kind:     hidden_global_offset_x
      - .offset:         176
        .size:           8
        .value_kind:     hidden_global_offset_y
      - .offset:         184
        .size:           8
        .value_kind:     hidden_global_offset_z
      - .offset:         192
        .size:           2
        .value_kind:     hidden_grid_dims
      - .offset:         248
        .size:           4
        .value_kind:     hidden_dynamic_lds_size
    .group_segment_fixed_size: 528
    .kernarg_segment_align: 8
    .kernarg_segment_size: 384
    .language:       OpenCL C
    .language_version:
      - 2
      - 0
    .max_flat_workgroup_size: 1024
    .name:           _ZN4vllm25paged_attention_v1_kernelIthLi256ELi16ELi128ELNS_18Fp8KVCacheDataTypeE1ELb1EEEvPT_PKS2_PKT0_S8_ifPKiSA_iPKfiiiSC_SC_iiiii
    .private_segment_fixed_size: 0
    .sgpr_count:     61
    .sgpr_spill_count: 0
    .symbol:         _ZN4vllm25paged_attention_v1_kernelIthLi256ELi16ELi128ELNS_18Fp8KVCacheDataTypeE1ELb1EEEvPT_PKS2_PKT0_S8_ifPKiSA_iPKfiiiSC_SC_iiiii.kd
    .uniform_work_group_size: 1
    .uses_dynamic_stack: false
    .vgpr_count:     108
    .vgpr_spill_count: 0
    .wavefront_size: 64
  - .agpr_count:     0
    .args:
      - .actual_access:  write_only
        .address_space:  global
        .offset:         0
        .size:           8
        .value_kind:     global_buffer
      - .actual_access:  read_only
        .address_space:  global
        .offset:         8
        .size:           8
        .value_kind:     global_buffer
      - .actual_access:  read_only
        .address_space:  global
        .offset:         16
        .size:           8
        .value_kind:     global_buffer
      - .actual_access:  read_only
        .address_space:  global
        .offset:         24
        .size:           8
        .value_kind:     global_buffer
      - .offset:         32
        .size:           4
        .value_kind:     by_value
      - .offset:         36
        .size:           4
        .value_kind:     by_value
      - .actual_access:  read_only
        .address_space:  global
        .offset:         40
        .size:           8
        .value_kind:     global_buffer
      - .actual_access:  read_only
        .address_space:  global
        .offset:         48
        .size:           8
        .value_kind:     global_buffer
      - .offset:         56
        .size:           4
        .value_kind:     by_value
      - .actual_access:  read_only
        .address_space:  global
        .offset:         64
        .size:           8
        .value_kind:     global_buffer
      - .offset:         72
        .size:           4
        .value_kind:     by_value
      - .offset:         76
        .size:           4
        .value_kind:     by_value
      - .offset:         80
        .size:           4
        .value_kind:     by_value
      - .address_space:  global
        .offset:         88
        .size:           8
        .value_kind:     global_buffer
      - .address_space:  global
        .offset:         96
        .size:           8
        .value_kind:     global_buffer
      - .offset:         104
        .size:           4
        .value_kind:     by_value
      - .offset:         108
        .size:           4
        .value_kind:     by_value
      - .offset:         112
        .size:           4
        .value_kind:     by_value
      - .offset:         116
        .size:           4
        .value_kind:     by_value
      - .offset:         120
        .size:           4
        .value_kind:     by_value
      - .offset:         128
        .size:           4
        .value_kind:     hidden_block_count_x
      - .offset:         132
        .size:           4
        .value_kind:     hidden_block_count_y
      - .offset:         136
        .size:           4
        .value_kind:     hidden_block_count_z
      - .offset:         140
        .size:           2
        .value_kind:     hidden_group_size_x
      - .offset:         142
        .size:           2
        .value_kind:     hidden_group_size_y
      - .offset:         144
        .size:           2
        .value_kind:     hidden_group_size_z
      - .offset:         146
        .size:           2
        .value_kind:     hidden_remainder_x
      - .offset:         148
        .size:           2
        .value_kind:     hidden_remainder_y
      - .offset:         150
        .size:           2
        .value_kind:     hidden_remainder_z
      - .offset:         168
        .size:           8
        .value_kind:     hidden_global_offset_x
      - .offset:         176
        .size:           8
        .value_kind:     hidden_global_offset_y
      - .offset:         184
        .size:           8
        .value_kind:     hidden_global_offset_z
      - .offset:         192
        .size:           2
        .value_kind:     hidden_grid_dims
      - .offset:         248
        .size:           4
        .value_kind:     hidden_dynamic_lds_size
    .group_segment_fixed_size: 80
    .kernarg_segment_align: 8
    .kernarg_segment_size: 384
    .language:       OpenCL C
    .language_version:
      - 2
      - 0
    .max_flat_workgroup_size: 1024
    .name:           _ZN4vllm25paged_attention_v1_kernelIthLi32ELi16ELi128ELNS_18Fp8KVCacheDataTypeE1ELb0EEEvPT_PKS2_PKT0_S8_ifPKiSA_iPKfiiiSC_SC_iiiii
    .private_segment_fixed_size: 0
    .sgpr_count:     51
    .sgpr_spill_count: 0
    .symbol:         _ZN4vllm25paged_attention_v1_kernelIthLi32ELi16ELi128ELNS_18Fp8KVCacheDataTypeE1ELb0EEEvPT_PKS2_PKT0_S8_ifPKiSA_iPKfiiiSC_SC_iiiii.kd
    .uniform_work_group_size: 1
    .uses_dynamic_stack: false
    .vgpr_count:     42
    .vgpr_spill_count: 0
    .wavefront_size: 64
  - .agpr_count:     0
    .args:
      - .actual_access:  write_only
        .address_space:  global
        .offset:         0
        .size:           8
        .value_kind:     global_buffer
      - .actual_access:  read_only
        .address_space:  global
        .offset:         8
        .size:           8
        .value_kind:     global_buffer
      - .actual_access:  read_only
        .address_space:  global
        .offset:         16
        .size:           8
        .value_kind:     global_buffer
      - .actual_access:  read_only
        .address_space:  global
        .offset:         24
        .size:           8
        .value_kind:     global_buffer
      - .offset:         32
        .size:           4
        .value_kind:     by_value
      - .offset:         36
        .size:           4
        .value_kind:     by_value
      - .actual_access:  read_only
        .address_space:  global
        .offset:         40
        .size:           8
        .value_kind:     global_buffer
      - .actual_access:  read_only
        .address_space:  global
        .offset:         48
        .size:           8
        .value_kind:     global_buffer
      - .offset:         56
        .size:           4
        .value_kind:     by_value
      - .actual_access:  read_only
        .address_space:  global
        .offset:         64
        .size:           8
        .value_kind:     global_buffer
      - .offset:         72
        .size:           4
        .value_kind:     by_value
      - .offset:         76
        .size:           4
        .value_kind:     by_value
      - .offset:         80
        .size:           4
        .value_kind:     by_value
      - .address_space:  global
        .offset:         88
        .size:           8
        .value_kind:     global_buffer
      - .address_space:  global
        .offset:         96
        .size:           8
        .value_kind:     global_buffer
      - .offset:         104
        .size:           4
        .value_kind:     by_value
      - .offset:         108
        .size:           4
        .value_kind:     by_value
      - .offset:         112
        .size:           4
        .value_kind:     by_value
      - .offset:         116
        .size:           4
        .value_kind:     by_value
      - .offset:         120
        .size:           4
        .value_kind:     by_value
      - .offset:         128
        .size:           4
        .value_kind:     hidden_block_count_x
      - .offset:         132
        .size:           4
        .value_kind:     hidden_block_count_y
      - .offset:         136
        .size:           4
        .value_kind:     hidden_block_count_z
      - .offset:         140
        .size:           2
        .value_kind:     hidden_group_size_x
      - .offset:         142
        .size:           2
        .value_kind:     hidden_group_size_y
      - .offset:         144
        .size:           2
        .value_kind:     hidden_group_size_z
      - .offset:         146
        .size:           2
        .value_kind:     hidden_remainder_x
      - .offset:         148
        .size:           2
        .value_kind:     hidden_remainder_y
      - .offset:         150
        .size:           2
        .value_kind:     hidden_remainder_z
      - .offset:         168
        .size:           8
        .value_kind:     hidden_global_offset_x
      - .offset:         176
        .size:           8
        .value_kind:     hidden_global_offset_y
      - .offset:         184
        .size:           8
        .value_kind:     hidden_global_offset_z
      - .offset:         192
        .size:           2
        .value_kind:     hidden_grid_dims
      - .offset:         248
        .size:           4
        .value_kind:     hidden_dynamic_lds_size
    .group_segment_fixed_size: 144
    .kernarg_segment_align: 8
    .kernarg_segment_size: 384
    .language:       OpenCL C
    .language_version:
      - 2
      - 0
    .max_flat_workgroup_size: 1024
    .name:           _ZN4vllm25paged_attention_v1_kernelIthLi64ELi16ELi128ELNS_18Fp8KVCacheDataTypeE1ELb0EEEvPT_PKS2_PKT0_S8_ifPKiSA_iPKfiiiSC_SC_iiiii
    .private_segment_fixed_size: 0
    .sgpr_count:     51
    .sgpr_spill_count: 0
    .symbol:         _ZN4vllm25paged_attention_v1_kernelIthLi64ELi16ELi128ELNS_18Fp8KVCacheDataTypeE1ELb0EEEvPT_PKS2_PKT0_S8_ifPKiSA_iPKfiiiSC_SC_iiiii.kd
    .uniform_work_group_size: 1
    .uses_dynamic_stack: false
    .vgpr_count:     44
    .vgpr_spill_count: 0
    .wavefront_size: 64
  - .agpr_count:     0
    .args:
      - .actual_access:  write_only
        .address_space:  global
        .offset:         0
        .size:           8
        .value_kind:     global_buffer
      - .actual_access:  read_only
        .address_space:  global
        .offset:         8
        .size:           8
        .value_kind:     global_buffer
      - .actual_access:  read_only
        .address_space:  global
        .offset:         16
        .size:           8
        .value_kind:     global_buffer
      - .actual_access:  read_only
        .address_space:  global
        .offset:         24
        .size:           8
        .value_kind:     global_buffer
      - .offset:         32
        .size:           4
        .value_kind:     by_value
      - .offset:         36
        .size:           4
        .value_kind:     by_value
      - .actual_access:  read_only
        .address_space:  global
        .offset:         40
        .size:           8
        .value_kind:     global_buffer
      - .actual_access:  read_only
        .address_space:  global
        .offset:         48
        .size:           8
        .value_kind:     global_buffer
      - .offset:         56
        .size:           4
        .value_kind:     by_value
      - .actual_access:  read_only
        .address_space:  global
        .offset:         64
        .size:           8
        .value_kind:     global_buffer
      - .offset:         72
        .size:           4
        .value_kind:     by_value
      - .offset:         76
        .size:           4
        .value_kind:     by_value
      - .offset:         80
        .size:           4
        .value_kind:     by_value
      - .address_space:  global
        .offset:         88
        .size:           8
        .value_kind:     global_buffer
      - .address_space:  global
        .offset:         96
        .size:           8
        .value_kind:     global_buffer
      - .offset:         104
        .size:           4
        .value_kind:     by_value
      - .offset:         108
        .size:           4
        .value_kind:     by_value
      - .offset:         112
        .size:           4
        .value_kind:     by_value
      - .offset:         116
        .size:           4
        .value_kind:     by_value
      - .offset:         120
        .size:           4
        .value_kind:     by_value
      - .offset:         128
        .size:           4
        .value_kind:     hidden_block_count_x
      - .offset:         132
        .size:           4
        .value_kind:     hidden_block_count_y
      - .offset:         136
        .size:           4
        .value_kind:     hidden_block_count_z
      - .offset:         140
        .size:           2
        .value_kind:     hidden_group_size_x
      - .offset:         142
        .size:           2
        .value_kind:     hidden_group_size_y
      - .offset:         144
        .size:           2
        .value_kind:     hidden_group_size_z
      - .offset:         146
        .size:           2
        .value_kind:     hidden_remainder_x
      - .offset:         148
        .size:           2
        .value_kind:     hidden_remainder_y
      - .offset:         150
        .size:           2
        .value_kind:     hidden_remainder_z
      - .offset:         168
        .size:           8
        .value_kind:     hidden_global_offset_x
      - .offset:         176
        .size:           8
        .value_kind:     hidden_global_offset_y
      - .offset:         184
        .size:           8
        .value_kind:     hidden_global_offset_z
      - .offset:         192
        .size:           2
        .value_kind:     hidden_grid_dims
      - .offset:         248
        .size:           4
        .value_kind:     hidden_dynamic_lds_size
    .group_segment_fixed_size: 176
    .kernarg_segment_align: 8
    .kernarg_segment_size: 384
    .language:       OpenCL C
    .language_version:
      - 2
      - 0
    .max_flat_workgroup_size: 1024
    .name:           _ZN4vllm25paged_attention_v1_kernelIthLi80ELi16ELi128ELNS_18Fp8KVCacheDataTypeE1ELb0EEEvPT_PKS2_PKT0_S8_ifPKiSA_iPKfiiiSC_SC_iiiii
    .private_segment_fixed_size: 0
    .sgpr_count:     51
    .sgpr_spill_count: 0
    .symbol:         _ZN4vllm25paged_attention_v1_kernelIthLi80ELi16ELi128ELNS_18Fp8KVCacheDataTypeE1ELb0EEEvPT_PKS2_PKT0_S8_ifPKiSA_iPKfiiiSC_SC_iiiii.kd
    .uniform_work_group_size: 1
    .uses_dynamic_stack: false
    .vgpr_count:     48
    .vgpr_spill_count: 0
    .wavefront_size: 64
  - .agpr_count:     0
    .args:
      - .actual_access:  write_only
        .address_space:  global
        .offset:         0
        .size:           8
        .value_kind:     global_buffer
      - .actual_access:  read_only
        .address_space:  global
        .offset:         8
        .size:           8
        .value_kind:     global_buffer
      - .actual_access:  read_only
        .address_space:  global
        .offset:         16
        .size:           8
        .value_kind:     global_buffer
      - .actual_access:  read_only
        .address_space:  global
        .offset:         24
        .size:           8
        .value_kind:     global_buffer
      - .offset:         32
        .size:           4
        .value_kind:     by_value
      - .offset:         36
        .size:           4
        .value_kind:     by_value
      - .actual_access:  read_only
        .address_space:  global
        .offset:         40
        .size:           8
        .value_kind:     global_buffer
      - .actual_access:  read_only
        .address_space:  global
        .offset:         48
        .size:           8
        .value_kind:     global_buffer
      - .offset:         56
        .size:           4
        .value_kind:     by_value
      - .actual_access:  read_only
        .address_space:  global
        .offset:         64
        .size:           8
        .value_kind:     global_buffer
      - .offset:         72
        .size:           4
        .value_kind:     by_value
      - .offset:         76
        .size:           4
        .value_kind:     by_value
      - .offset:         80
        .size:           4
        .value_kind:     by_value
      - .address_space:  global
        .offset:         88
        .size:           8
        .value_kind:     global_buffer
      - .address_space:  global
        .offset:         96
        .size:           8
        .value_kind:     global_buffer
      - .offset:         104
        .size:           4
        .value_kind:     by_value
      - .offset:         108
        .size:           4
        .value_kind:     by_value
      - .offset:         112
        .size:           4
        .value_kind:     by_value
      - .offset:         116
        .size:           4
        .value_kind:     by_value
      - .offset:         120
        .size:           4
        .value_kind:     by_value
      - .offset:         128
        .size:           4
        .value_kind:     hidden_block_count_x
      - .offset:         132
        .size:           4
        .value_kind:     hidden_block_count_y
      - .offset:         136
        .size:           4
        .value_kind:     hidden_block_count_z
      - .offset:         140
        .size:           2
        .value_kind:     hidden_group_size_x
      - .offset:         142
        .size:           2
        .value_kind:     hidden_group_size_y
      - .offset:         144
        .size:           2
        .value_kind:     hidden_group_size_z
      - .offset:         146
        .size:           2
        .value_kind:     hidden_remainder_x
      - .offset:         148
        .size:           2
        .value_kind:     hidden_remainder_y
      - .offset:         150
        .size:           2
        .value_kind:     hidden_remainder_z
      - .offset:         168
        .size:           8
        .value_kind:     hidden_global_offset_x
      - .offset:         176
        .size:           8
        .value_kind:     hidden_global_offset_y
      - .offset:         184
        .size:           8
        .value_kind:     hidden_global_offset_z
      - .offset:         192
        .size:           2
        .value_kind:     hidden_grid_dims
      - .offset:         248
        .size:           4
        .value_kind:     hidden_dynamic_lds_size
    .group_segment_fixed_size: 208
    .kernarg_segment_align: 8
    .kernarg_segment_size: 384
    .language:       OpenCL C
    .language_version:
      - 2
      - 0
    .max_flat_workgroup_size: 1024
    .name:           _ZN4vllm25paged_attention_v1_kernelIthLi96ELi16ELi128ELNS_18Fp8KVCacheDataTypeE1ELb0EEEvPT_PKS2_PKT0_S8_ifPKiSA_iPKfiiiSC_SC_iiiii
    .private_segment_fixed_size: 0
    .sgpr_count:     51
    .sgpr_spill_count: 0
    .symbol:         _ZN4vllm25paged_attention_v1_kernelIthLi96ELi16ELi128ELNS_18Fp8KVCacheDataTypeE1ELb0EEEvPT_PKS2_PKT0_S8_ifPKiSA_iPKfiiiSC_SC_iiiii.kd
    .uniform_work_group_size: 1
    .uses_dynamic_stack: false
    .vgpr_count:     53
    .vgpr_spill_count: 0
    .wavefront_size: 64
  - .agpr_count:     0
    .args:
      - .actual_access:  write_only
        .address_space:  global
        .offset:         0
        .size:           8
        .value_kind:     global_buffer
      - .actual_access:  read_only
        .address_space:  global
        .offset:         8
        .size:           8
        .value_kind:     global_buffer
      - .actual_access:  read_only
        .address_space:  global
        .offset:         16
        .size:           8
        .value_kind:     global_buffer
      - .actual_access:  read_only
        .address_space:  global
        .offset:         24
        .size:           8
        .value_kind:     global_buffer
      - .offset:         32
        .size:           4
        .value_kind:     by_value
      - .offset:         36
        .size:           4
        .value_kind:     by_value
      - .actual_access:  read_only
        .address_space:  global
        .offset:         40
        .size:           8
        .value_kind:     global_buffer
      - .actual_access:  read_only
        .address_space:  global
        .offset:         48
        .size:           8
        .value_kind:     global_buffer
      - .offset:         56
        .size:           4
        .value_kind:     by_value
      - .actual_access:  read_only
        .address_space:  global
        .offset:         64
        .size:           8
        .value_kind:     global_buffer
      - .offset:         72
        .size:           4
        .value_kind:     by_value
      - .offset:         76
        .size:           4
        .value_kind:     by_value
      - .offset:         80
        .size:           4
        .value_kind:     by_value
      - .address_space:  global
        .offset:         88
        .size:           8
        .value_kind:     global_buffer
      - .address_space:  global
        .offset:         96
        .size:           8
        .value_kind:     global_buffer
      - .offset:         104
        .size:           4
        .value_kind:     by_value
      - .offset:         108
        .size:           4
        .value_kind:     by_value
      - .offset:         112
        .size:           4
        .value_kind:     by_value
      - .offset:         116
        .size:           4
        .value_kind:     by_value
      - .offset:         120
        .size:           4
        .value_kind:     by_value
      - .offset:         128
        .size:           4
        .value_kind:     hidden_block_count_x
      - .offset:         132
        .size:           4
        .value_kind:     hidden_block_count_y
      - .offset:         136
        .size:           4
        .value_kind:     hidden_block_count_z
      - .offset:         140
        .size:           2
        .value_kind:     hidden_group_size_x
      - .offset:         142
        .size:           2
        .value_kind:     hidden_group_size_y
      - .offset:         144
        .size:           2
        .value_kind:     hidden_group_size_z
      - .offset:         146
        .size:           2
        .value_kind:     hidden_remainder_x
      - .offset:         148
        .size:           2
        .value_kind:     hidden_remainder_y
      - .offset:         150
        .size:           2
        .value_kind:     hidden_remainder_z
      - .offset:         168
        .size:           8
        .value_kind:     hidden_global_offset_x
      - .offset:         176
        .size:           8
        .value_kind:     hidden_global_offset_y
      - .offset:         184
        .size:           8
        .value_kind:     hidden_global_offset_z
      - .offset:         192
        .size:           2
        .value_kind:     hidden_grid_dims
      - .offset:         248
        .size:           4
        .value_kind:     hidden_dynamic_lds_size
    .group_segment_fixed_size: 240
    .kernarg_segment_align: 8
    .kernarg_segment_size: 384
    .language:       OpenCL C
    .language_version:
      - 2
      - 0
    .max_flat_workgroup_size: 1024
    .name:           _ZN4vllm25paged_attention_v1_kernelIthLi112ELi16ELi128ELNS_18Fp8KVCacheDataTypeE1ELb0EEEvPT_PKS2_PKT0_S8_ifPKiSA_iPKfiiiSC_SC_iiiii
    .private_segment_fixed_size: 0
    .sgpr_count:     51
    .sgpr_spill_count: 0
    .symbol:         _ZN4vllm25paged_attention_v1_kernelIthLi112ELi16ELi128ELNS_18Fp8KVCacheDataTypeE1ELb0EEEvPT_PKS2_PKT0_S8_ifPKiSA_iPKfiiiSC_SC_iiiii.kd
    .uniform_work_group_size: 1
    .uses_dynamic_stack: false
    .vgpr_count:     59
    .vgpr_spill_count: 0
    .wavefront_size: 64
  - .agpr_count:     0
    .args:
      - .actual_access:  write_only
        .address_space:  global
        .offset:         0
        .size:           8
        .value_kind:     global_buffer
      - .actual_access:  read_only
        .address_space:  global
        .offset:         8
        .size:           8
        .value_kind:     global_buffer
      - .actual_access:  read_only
        .address_space:  global
        .offset:         16
        .size:           8
        .value_kind:     global_buffer
      - .actual_access:  read_only
        .address_space:  global
        .offset:         24
        .size:           8
        .value_kind:     global_buffer
      - .offset:         32
        .size:           4
        .value_kind:     by_value
      - .offset:         36
        .size:           4
        .value_kind:     by_value
      - .actual_access:  read_only
        .address_space:  global
        .offset:         40
        .size:           8
        .value_kind:     global_buffer
      - .actual_access:  read_only
        .address_space:  global
        .offset:         48
        .size:           8
        .value_kind:     global_buffer
      - .offset:         56
        .size:           4
        .value_kind:     by_value
      - .actual_access:  read_only
        .address_space:  global
        .offset:         64
        .size:           8
        .value_kind:     global_buffer
      - .offset:         72
        .size:           4
        .value_kind:     by_value
      - .offset:         76
        .size:           4
        .value_kind:     by_value
      - .offset:         80
        .size:           4
        .value_kind:     by_value
      - .address_space:  global
        .offset:         88
        .size:           8
        .value_kind:     global_buffer
      - .address_space:  global
        .offset:         96
        .size:           8
        .value_kind:     global_buffer
      - .offset:         104
        .size:           4
        .value_kind:     by_value
      - .offset:         108
        .size:           4
        .value_kind:     by_value
      - .offset:         112
        .size:           4
        .value_kind:     by_value
      - .offset:         116
        .size:           4
        .value_kind:     by_value
      - .offset:         120
        .size:           4
        .value_kind:     by_value
      - .offset:         128
        .size:           4
        .value_kind:     hidden_block_count_x
      - .offset:         132
        .size:           4
        .value_kind:     hidden_block_count_y
      - .offset:         136
        .size:           4
        .value_kind:     hidden_block_count_z
      - .offset:         140
        .size:           2
        .value_kind:     hidden_group_size_x
      - .offset:         142
        .size:           2
        .value_kind:     hidden_group_size_y
      - .offset:         144
        .size:           2
        .value_kind:     hidden_group_size_z
      - .offset:         146
        .size:           2
        .value_kind:     hidden_remainder_x
      - .offset:         148
        .size:           2
        .value_kind:     hidden_remainder_y
      - .offset:         150
        .size:           2
        .value_kind:     hidden_remainder_z
      - .offset:         168
        .size:           8
        .value_kind:     hidden_global_offset_x
      - .offset:         176
        .size:           8
        .value_kind:     hidden_global_offset_y
      - .offset:         184
        .size:           8
        .value_kind:     hidden_global_offset_z
      - .offset:         192
        .size:           2
        .value_kind:     hidden_grid_dims
      - .offset:         248
        .size:           4
        .value_kind:     hidden_dynamic_lds_size
    .group_segment_fixed_size: 256
    .kernarg_segment_align: 8
    .kernarg_segment_size: 384
    .language:       OpenCL C
    .language_version:
      - 2
      - 0
    .max_flat_workgroup_size: 1024
    .name:           _ZN4vllm25paged_attention_v1_kernelIthLi120ELi16ELi128ELNS_18Fp8KVCacheDataTypeE1ELb0EEEvPT_PKS2_PKT0_S8_ifPKiSA_iPKfiiiSC_SC_iiiii
    .private_segment_fixed_size: 0
    .sgpr_count:     51
    .sgpr_spill_count: 0
    .symbol:         _ZN4vllm25paged_attention_v1_kernelIthLi120ELi16ELi128ELNS_18Fp8KVCacheDataTypeE1ELb0EEEvPT_PKS2_PKT0_S8_ifPKiSA_iPKfiiiSC_SC_iiiii.kd
    .uniform_work_group_size: 1
    .uses_dynamic_stack: false
    .vgpr_count:     62
    .vgpr_spill_count: 0
    .wavefront_size: 64
  - .agpr_count:     0
    .args:
      - .actual_access:  write_only
        .address_space:  global
        .offset:         0
        .size:           8
        .value_kind:     global_buffer
      - .actual_access:  read_only
        .address_space:  global
        .offset:         8
        .size:           8
        .value_kind:     global_buffer
      - .actual_access:  read_only
        .address_space:  global
        .offset:         16
        .size:           8
        .value_kind:     global_buffer
      - .actual_access:  read_only
        .address_space:  global
        .offset:         24
        .size:           8
        .value_kind:     global_buffer
      - .offset:         32
        .size:           4
        .value_kind:     by_value
      - .offset:         36
        .size:           4
        .value_kind:     by_value
      - .actual_access:  read_only
        .address_space:  global
        .offset:         40
        .size:           8
        .value_kind:     global_buffer
      - .actual_access:  read_only
        .address_space:  global
        .offset:         48
        .size:           8
        .value_kind:     global_buffer
      - .offset:         56
        .size:           4
        .value_kind:     by_value
      - .actual_access:  read_only
        .address_space:  global
        .offset:         64
        .size:           8
        .value_kind:     global_buffer
      - .offset:         72
        .size:           4
        .value_kind:     by_value
      - .offset:         76
        .size:           4
        .value_kind:     by_value
      - .offset:         80
        .size:           4
        .value_kind:     by_value
      - .address_space:  global
        .offset:         88
        .size:           8
        .value_kind:     global_buffer
      - .address_space:  global
        .offset:         96
        .size:           8
        .value_kind:     global_buffer
      - .offset:         104
        .size:           4
        .value_kind:     by_value
      - .offset:         108
        .size:           4
        .value_kind:     by_value
      - .offset:         112
        .size:           4
        .value_kind:     by_value
      - .offset:         116
        .size:           4
        .value_kind:     by_value
      - .offset:         120
        .size:           4
        .value_kind:     by_value
      - .offset:         128
        .size:           4
        .value_kind:     hidden_block_count_x
      - .offset:         132
        .size:           4
        .value_kind:     hidden_block_count_y
      - .offset:         136
        .size:           4
        .value_kind:     hidden_block_count_z
      - .offset:         140
        .size:           2
        .value_kind:     hidden_group_size_x
      - .offset:         142
        .size:           2
        .value_kind:     hidden_group_size_y
      - .offset:         144
        .size:           2
        .value_kind:     hidden_group_size_z
      - .offset:         146
        .size:           2
        .value_kind:     hidden_remainder_x
      - .offset:         148
        .size:           2
        .value_kind:     hidden_remainder_y
      - .offset:         150
        .size:           2
        .value_kind:     hidden_remainder_z
      - .offset:         168
        .size:           8
        .value_kind:     hidden_global_offset_x
      - .offset:         176
        .size:           8
        .value_kind:     hidden_global_offset_y
      - .offset:         184
        .size:           8
        .value_kind:     hidden_global_offset_z
      - .offset:         192
        .size:           2
        .value_kind:     hidden_grid_dims
      - .offset:         248
        .size:           4
        .value_kind:     hidden_dynamic_lds_size
    .group_segment_fixed_size: 272
    .kernarg_segment_align: 8
    .kernarg_segment_size: 384
    .language:       OpenCL C
    .language_version:
      - 2
      - 0
    .max_flat_workgroup_size: 1024
    .name:           _ZN4vllm25paged_attention_v1_kernelIthLi128ELi16ELi128ELNS_18Fp8KVCacheDataTypeE1ELb0EEEvPT_PKS2_PKT0_S8_ifPKiSA_iPKfiiiSC_SC_iiiii
    .private_segment_fixed_size: 0
    .sgpr_count:     53
    .sgpr_spill_count: 0
    .symbol:         _ZN4vllm25paged_attention_v1_kernelIthLi128ELi16ELi128ELNS_18Fp8KVCacheDataTypeE1ELb0EEEvPT_PKS2_PKT0_S8_ifPKiSA_iPKfiiiSC_SC_iiiii.kd
    .uniform_work_group_size: 1
    .uses_dynamic_stack: false
    .vgpr_count:     65
    .vgpr_spill_count: 0
    .wavefront_size: 64
  - .agpr_count:     0
    .args:
      - .actual_access:  write_only
        .address_space:  global
        .offset:         0
        .size:           8
        .value_kind:     global_buffer
      - .actual_access:  read_only
        .address_space:  global
        .offset:         8
        .size:           8
        .value_kind:     global_buffer
      - .actual_access:  read_only
        .address_space:  global
        .offset:         16
        .size:           8
        .value_kind:     global_buffer
      - .actual_access:  read_only
        .address_space:  global
        .offset:         24
        .size:           8
        .value_kind:     global_buffer
      - .offset:         32
        .size:           4
        .value_kind:     by_value
      - .offset:         36
        .size:           4
        .value_kind:     by_value
      - .actual_access:  read_only
        .address_space:  global
        .offset:         40
        .size:           8
        .value_kind:     global_buffer
      - .actual_access:  read_only
        .address_space:  global
        .offset:         48
        .size:           8
        .value_kind:     global_buffer
      - .offset:         56
        .size:           4
        .value_kind:     by_value
      - .actual_access:  read_only
        .address_space:  global
        .offset:         64
        .size:           8
        .value_kind:     global_buffer
      - .offset:         72
        .size:           4
        .value_kind:     by_value
      - .offset:         76
        .size:           4
        .value_kind:     by_value
      - .offset:         80
        .size:           4
        .value_kind:     by_value
      - .address_space:  global
        .offset:         88
        .size:           8
        .value_kind:     global_buffer
      - .address_space:  global
        .offset:         96
        .size:           8
        .value_kind:     global_buffer
      - .offset:         104
        .size:           4
        .value_kind:     by_value
      - .offset:         108
        .size:           4
        .value_kind:     by_value
      - .offset:         112
        .size:           4
        .value_kind:     by_value
      - .offset:         116
        .size:           4
        .value_kind:     by_value
      - .offset:         120
        .size:           4
        .value_kind:     by_value
      - .offset:         128
        .size:           4
        .value_kind:     hidden_block_count_x
      - .offset:         132
        .size:           4
        .value_kind:     hidden_block_count_y
      - .offset:         136
        .size:           4
        .value_kind:     hidden_block_count_z
      - .offset:         140
        .size:           2
        .value_kind:     hidden_group_size_x
      - .offset:         142
        .size:           2
        .value_kind:     hidden_group_size_y
      - .offset:         144
        .size:           2
        .value_kind:     hidden_group_size_z
      - .offset:         146
        .size:           2
        .value_kind:     hidden_remainder_x
      - .offset:         148
        .size:           2
        .value_kind:     hidden_remainder_y
      - .offset:         150
        .size:           2
        .value_kind:     hidden_remainder_z
      - .offset:         168
        .size:           8
        .value_kind:     hidden_global_offset_x
      - .offset:         176
        .size:           8
        .value_kind:     hidden_global_offset_y
      - .offset:         184
        .size:           8
        .value_kind:     hidden_global_offset_z
      - .offset:         192
        .size:           2
        .value_kind:     hidden_grid_dims
      - .offset:         248
        .size:           4
        .value_kind:     hidden_dynamic_lds_size
    .group_segment_fixed_size: 400
    .kernarg_segment_align: 8
    .kernarg_segment_size: 384
    .language:       OpenCL C
    .language_version:
      - 2
      - 0
    .max_flat_workgroup_size: 1024
    .name:           _ZN4vllm25paged_attention_v1_kernelIthLi192ELi16ELi128ELNS_18Fp8KVCacheDataTypeE1ELb0EEEvPT_PKS2_PKT0_S8_ifPKiSA_iPKfiiiSC_SC_iiiii
    .private_segment_fixed_size: 0
    .sgpr_count:     51
    .sgpr_spill_count: 0
    .symbol:         _ZN4vllm25paged_attention_v1_kernelIthLi192ELi16ELi128ELNS_18Fp8KVCacheDataTypeE1ELb0EEEvPT_PKS2_PKT0_S8_ifPKiSA_iPKfiiiSC_SC_iiiii.kd
    .uniform_work_group_size: 1
    .uses_dynamic_stack: false
    .vgpr_count:     81
    .vgpr_spill_count: 0
    .wavefront_size: 64
  - .agpr_count:     0
    .args:
      - .actual_access:  write_only
        .address_space:  global
        .offset:         0
        .size:           8
        .value_kind:     global_buffer
      - .actual_access:  read_only
        .address_space:  global
        .offset:         8
        .size:           8
        .value_kind:     global_buffer
      - .actual_access:  read_only
        .address_space:  global
        .offset:         16
        .size:           8
        .value_kind:     global_buffer
      - .actual_access:  read_only
        .address_space:  global
        .offset:         24
        .size:           8
        .value_kind:     global_buffer
      - .offset:         32
        .size:           4
        .value_kind:     by_value
      - .offset:         36
        .size:           4
        .value_kind:     by_value
      - .actual_access:  read_only
        .address_space:  global
        .offset:         40
        .size:           8
        .value_kind:     global_buffer
      - .actual_access:  read_only
        .address_space:  global
        .offset:         48
        .size:           8
        .value_kind:     global_buffer
      - .offset:         56
        .size:           4
        .value_kind:     by_value
      - .actual_access:  read_only
        .address_space:  global
        .offset:         64
        .size:           8
        .value_kind:     global_buffer
      - .offset:         72
        .size:           4
        .value_kind:     by_value
      - .offset:         76
        .size:           4
        .value_kind:     by_value
      - .offset:         80
        .size:           4
        .value_kind:     by_value
      - .address_space:  global
        .offset:         88
        .size:           8
        .value_kind:     global_buffer
      - .address_space:  global
        .offset:         96
        .size:           8
        .value_kind:     global_buffer
      - .offset:         104
        .size:           4
        .value_kind:     by_value
      - .offset:         108
        .size:           4
        .value_kind:     by_value
      - .offset:         112
        .size:           4
        .value_kind:     by_value
      - .offset:         116
        .size:           4
        .value_kind:     by_value
      - .offset:         120
        .size:           4
        .value_kind:     by_value
      - .offset:         128
        .size:           4
        .value_kind:     hidden_block_count_x
      - .offset:         132
        .size:           4
        .value_kind:     hidden_block_count_y
      - .offset:         136
        .size:           4
        .value_kind:     hidden_block_count_z
      - .offset:         140
        .size:           2
        .value_kind:     hidden_group_size_x
      - .offset:         142
        .size:           2
        .value_kind:     hidden_group_size_y
      - .offset:         144
        .size:           2
        .value_kind:     hidden_group_size_z
      - .offset:         146
        .size:           2
        .value_kind:     hidden_remainder_x
      - .offset:         148
        .size:           2
        .value_kind:     hidden_remainder_y
      - .offset:         150
        .size:           2
        .value_kind:     hidden_remainder_z
      - .offset:         168
        .size:           8
        .value_kind:     hidden_global_offset_x
      - .offset:         176
        .size:           8
        .value_kind:     hidden_global_offset_y
      - .offset:         184
        .size:           8
        .value_kind:     hidden_global_offset_z
      - .offset:         192
        .size:           2
        .value_kind:     hidden_grid_dims
      - .offset:         248
        .size:           4
        .value_kind:     hidden_dynamic_lds_size
    .group_segment_fixed_size: 528
    .kernarg_segment_align: 8
    .kernarg_segment_size: 384
    .language:       OpenCL C
    .language_version:
      - 2
      - 0
    .max_flat_workgroup_size: 1024
    .name:           _ZN4vllm25paged_attention_v1_kernelIthLi256ELi16ELi128ELNS_18Fp8KVCacheDataTypeE1ELb0EEEvPT_PKS2_PKT0_S8_ifPKiSA_iPKfiiiSC_SC_iiiii
    .private_segment_fixed_size: 0
    .sgpr_count:     51
    .sgpr_spill_count: 0
    .symbol:         _ZN4vllm25paged_attention_v1_kernelIthLi256ELi16ELi128ELNS_18Fp8KVCacheDataTypeE1ELb0EEEvPT_PKS2_PKT0_S8_ifPKiSA_iPKfiiiSC_SC_iiiii.kd
    .uniform_work_group_size: 1
    .uses_dynamic_stack: false
    .vgpr_count:     102
    .vgpr_spill_count: 0
    .wavefront_size: 64
  - .agpr_count:     0
    .args:
      - .actual_access:  write_only
        .address_space:  global
        .offset:         0
        .size:           8
        .value_kind:     global_buffer
      - .actual_access:  read_only
        .address_space:  global
        .offset:         8
        .size:           8
        .value_kind:     global_buffer
      - .actual_access:  read_only
        .address_space:  global
        .offset:         16
        .size:           8
        .value_kind:     global_buffer
      - .actual_access:  read_only
        .address_space:  global
        .offset:         24
        .size:           8
        .value_kind:     global_buffer
      - .offset:         32
        .size:           4
        .value_kind:     by_value
      - .offset:         36
        .size:           4
        .value_kind:     by_value
      - .actual_access:  read_only
        .address_space:  global
        .offset:         40
        .size:           8
        .value_kind:     global_buffer
      - .actual_access:  read_only
        .address_space:  global
        .offset:         48
        .size:           8
        .value_kind:     global_buffer
      - .offset:         56
        .size:           4
        .value_kind:     by_value
      - .actual_access:  read_only
        .address_space:  global
        .offset:         64
        .size:           8
        .value_kind:     global_buffer
      - .offset:         72
        .size:           4
        .value_kind:     by_value
      - .offset:         76
        .size:           4
        .value_kind:     by_value
      - .offset:         80
        .size:           4
        .value_kind:     by_value
      - .address_space:  global
        .offset:         88
        .size:           8
        .value_kind:     global_buffer
      - .address_space:  global
        .offset:         96
        .size:           8
        .value_kind:     global_buffer
      - .offset:         104
        .size:           4
        .value_kind:     by_value
      - .offset:         108
        .size:           4
        .value_kind:     by_value
      - .offset:         112
        .size:           4
        .value_kind:     by_value
      - .offset:         116
        .size:           4
        .value_kind:     by_value
      - .offset:         120
        .size:           4
        .value_kind:     by_value
      - .offset:         128
        .size:           4
        .value_kind:     hidden_block_count_x
      - .offset:         132
        .size:           4
        .value_kind:     hidden_block_count_y
      - .offset:         136
        .size:           4
        .value_kind:     hidden_block_count_z
      - .offset:         140
        .size:           2
        .value_kind:     hidden_group_size_x
      - .offset:         142
        .size:           2
        .value_kind:     hidden_group_size_y
      - .offset:         144
        .size:           2
        .value_kind:     hidden_group_size_z
      - .offset:         146
        .size:           2
        .value_kind:     hidden_remainder_x
      - .offset:         148
        .size:           2
        .value_kind:     hidden_remainder_y
      - .offset:         150
        .size:           2
        .value_kind:     hidden_remainder_z
      - .offset:         168
        .size:           8
        .value_kind:     hidden_global_offset_x
      - .offset:         176
        .size:           8
        .value_kind:     hidden_global_offset_y
      - .offset:         184
        .size:           8
        .value_kind:     hidden_global_offset_z
      - .offset:         192
        .size:           2
        .value_kind:     hidden_grid_dims
      - .offset:         248
        .size:           4
        .value_kind:     hidden_dynamic_lds_size
    .group_segment_fixed_size: 80
    .kernarg_segment_align: 8
    .kernarg_segment_size: 384
    .language:       OpenCL C
    .language_version:
      - 2
      - 0
    .max_flat_workgroup_size: 1024
    .name:           _ZN4vllm25paged_attention_v1_kernelIthLi32ELi32ELi128ELNS_18Fp8KVCacheDataTypeE1ELb1EEEvPT_PKS2_PKT0_S8_ifPKiSA_iPKfiiiSC_SC_iiiii
    .private_segment_fixed_size: 0
    .sgpr_count:     62
    .sgpr_spill_count: 0
    .symbol:         _ZN4vllm25paged_attention_v1_kernelIthLi32ELi32ELi128ELNS_18Fp8KVCacheDataTypeE1ELb1EEEvPT_PKS2_PKT0_S8_ifPKiSA_iPKfiiiSC_SC_iiiii.kd
    .uniform_work_group_size: 1
    .uses_dynamic_stack: false
    .vgpr_count:     48
    .vgpr_spill_count: 0
    .wavefront_size: 64
  - .agpr_count:     0
    .args:
      - .actual_access:  write_only
        .address_space:  global
        .offset:         0
        .size:           8
        .value_kind:     global_buffer
      - .actual_access:  read_only
        .address_space:  global
        .offset:         8
        .size:           8
        .value_kind:     global_buffer
      - .actual_access:  read_only
        .address_space:  global
        .offset:         16
        .size:           8
        .value_kind:     global_buffer
      - .actual_access:  read_only
        .address_space:  global
        .offset:         24
        .size:           8
        .value_kind:     global_buffer
      - .offset:         32
        .size:           4
        .value_kind:     by_value
      - .offset:         36
        .size:           4
        .value_kind:     by_value
      - .actual_access:  read_only
        .address_space:  global
        .offset:         40
        .size:           8
        .value_kind:     global_buffer
      - .actual_access:  read_only
        .address_space:  global
        .offset:         48
        .size:           8
        .value_kind:     global_buffer
      - .offset:         56
        .size:           4
        .value_kind:     by_value
      - .actual_access:  read_only
        .address_space:  global
        .offset:         64
        .size:           8
        .value_kind:     global_buffer
      - .offset:         72
        .size:           4
        .value_kind:     by_value
      - .offset:         76
        .size:           4
        .value_kind:     by_value
      - .offset:         80
        .size:           4
        .value_kind:     by_value
      - .address_space:  global
        .offset:         88
        .size:           8
        .value_kind:     global_buffer
      - .address_space:  global
        .offset:         96
        .size:           8
        .value_kind:     global_buffer
      - .offset:         104
        .size:           4
        .value_kind:     by_value
      - .offset:         108
        .size:           4
        .value_kind:     by_value
      - .offset:         112
        .size:           4
        .value_kind:     by_value
      - .offset:         116
        .size:           4
        .value_kind:     by_value
      - .offset:         120
        .size:           4
        .value_kind:     by_value
      - .offset:         128
        .size:           4
        .value_kind:     hidden_block_count_x
      - .offset:         132
        .size:           4
        .value_kind:     hidden_block_count_y
      - .offset:         136
        .size:           4
        .value_kind:     hidden_block_count_z
      - .offset:         140
        .size:           2
        .value_kind:     hidden_group_size_x
      - .offset:         142
        .size:           2
        .value_kind:     hidden_group_size_y
      - .offset:         144
        .size:           2
        .value_kind:     hidden_group_size_z
      - .offset:         146
        .size:           2
        .value_kind:     hidden_remainder_x
      - .offset:         148
        .size:           2
        .value_kind:     hidden_remainder_y
      - .offset:         150
        .size:           2
        .value_kind:     hidden_remainder_z
      - .offset:         168
        .size:           8
        .value_kind:     hidden_global_offset_x
      - .offset:         176
        .size:           8
        .value_kind:     hidden_global_offset_y
      - .offset:         184
        .size:           8
        .value_kind:     hidden_global_offset_z
      - .offset:         192
        .size:           2
        .value_kind:     hidden_grid_dims
      - .offset:         248
        .size:           4
        .value_kind:     hidden_dynamic_lds_size
    .group_segment_fixed_size: 144
    .kernarg_segment_align: 8
    .kernarg_segment_size: 384
    .language:       OpenCL C
    .language_version:
      - 2
      - 0
    .max_flat_workgroup_size: 1024
    .name:           _ZN4vllm25paged_attention_v1_kernelIthLi64ELi32ELi128ELNS_18Fp8KVCacheDataTypeE1ELb1EEEvPT_PKS2_PKT0_S8_ifPKiSA_iPKfiiiSC_SC_iiiii
    .private_segment_fixed_size: 0
    .sgpr_count:     62
    .sgpr_spill_count: 0
    .symbol:         _ZN4vllm25paged_attention_v1_kernelIthLi64ELi32ELi128ELNS_18Fp8KVCacheDataTypeE1ELb1EEEvPT_PKS2_PKT0_S8_ifPKiSA_iPKfiiiSC_SC_iiiii.kd
    .uniform_work_group_size: 1
    .uses_dynamic_stack: false
    .vgpr_count:     62
    .vgpr_spill_count: 0
    .wavefront_size: 64
  - .agpr_count:     0
    .args:
      - .actual_access:  write_only
        .address_space:  global
        .offset:         0
        .size:           8
        .value_kind:     global_buffer
      - .actual_access:  read_only
        .address_space:  global
        .offset:         8
        .size:           8
        .value_kind:     global_buffer
      - .actual_access:  read_only
        .address_space:  global
        .offset:         16
        .size:           8
        .value_kind:     global_buffer
      - .actual_access:  read_only
        .address_space:  global
        .offset:         24
        .size:           8
        .value_kind:     global_buffer
      - .offset:         32
        .size:           4
        .value_kind:     by_value
      - .offset:         36
        .size:           4
        .value_kind:     by_value
      - .actual_access:  read_only
        .address_space:  global
        .offset:         40
        .size:           8
        .value_kind:     global_buffer
      - .actual_access:  read_only
        .address_space:  global
        .offset:         48
        .size:           8
        .value_kind:     global_buffer
      - .offset:         56
        .size:           4
        .value_kind:     by_value
      - .actual_access:  read_only
        .address_space:  global
        .offset:         64
        .size:           8
        .value_kind:     global_buffer
      - .offset:         72
        .size:           4
        .value_kind:     by_value
      - .offset:         76
        .size:           4
        .value_kind:     by_value
      - .offset:         80
        .size:           4
        .value_kind:     by_value
      - .address_space:  global
        .offset:         88
        .size:           8
        .value_kind:     global_buffer
      - .address_space:  global
        .offset:         96
        .size:           8
        .value_kind:     global_buffer
      - .offset:         104
        .size:           4
        .value_kind:     by_value
      - .offset:         108
        .size:           4
        .value_kind:     by_value
      - .offset:         112
        .size:           4
        .value_kind:     by_value
      - .offset:         116
        .size:           4
        .value_kind:     by_value
      - .offset:         120
        .size:           4
        .value_kind:     by_value
      - .offset:         128
        .size:           4
        .value_kind:     hidden_block_count_x
      - .offset:         132
        .size:           4
        .value_kind:     hidden_block_count_y
      - .offset:         136
        .size:           4
        .value_kind:     hidden_block_count_z
      - .offset:         140
        .size:           2
        .value_kind:     hidden_group_size_x
      - .offset:         142
        .size:           2
        .value_kind:     hidden_group_size_y
      - .offset:         144
        .size:           2
        .value_kind:     hidden_group_size_z
      - .offset:         146
        .size:           2
        .value_kind:     hidden_remainder_x
      - .offset:         148
        .size:           2
        .value_kind:     hidden_remainder_y
      - .offset:         150
        .size:           2
        .value_kind:     hidden_remainder_z
      - .offset:         168
        .size:           8
        .value_kind:     hidden_global_offset_x
      - .offset:         176
        .size:           8
        .value_kind:     hidden_global_offset_y
      - .offset:         184
        .size:           8
        .value_kind:     hidden_global_offset_z
      - .offset:         192
        .size:           2
        .value_kind:     hidden_grid_dims
      - .offset:         248
        .size:           4
        .value_kind:     hidden_dynamic_lds_size
    .group_segment_fixed_size: 176
    .kernarg_segment_align: 8
    .kernarg_segment_size: 384
    .language:       OpenCL C
    .language_version:
      - 2
      - 0
    .max_flat_workgroup_size: 1024
    .name:           _ZN4vllm25paged_attention_v1_kernelIthLi80ELi32ELi128ELNS_18Fp8KVCacheDataTypeE1ELb1EEEvPT_PKS2_PKT0_S8_ifPKiSA_iPKfiiiSC_SC_iiiii
    .private_segment_fixed_size: 0
    .sgpr_count:     62
    .sgpr_spill_count: 0
    .symbol:         _ZN4vllm25paged_attention_v1_kernelIthLi80ELi32ELi128ELNS_18Fp8KVCacheDataTypeE1ELb1EEEvPT_PKS2_PKT0_S8_ifPKiSA_iPKfiiiSC_SC_iiiii.kd
    .uniform_work_group_size: 1
    .uses_dynamic_stack: false
    .vgpr_count:     72
    .vgpr_spill_count: 0
    .wavefront_size: 64
  - .agpr_count:     0
    .args:
      - .actual_access:  write_only
        .address_space:  global
        .offset:         0
        .size:           8
        .value_kind:     global_buffer
      - .actual_access:  read_only
        .address_space:  global
        .offset:         8
        .size:           8
        .value_kind:     global_buffer
      - .actual_access:  read_only
        .address_space:  global
        .offset:         16
        .size:           8
        .value_kind:     global_buffer
      - .actual_access:  read_only
        .address_space:  global
        .offset:         24
        .size:           8
        .value_kind:     global_buffer
      - .offset:         32
        .size:           4
        .value_kind:     by_value
      - .offset:         36
        .size:           4
        .value_kind:     by_value
      - .actual_access:  read_only
        .address_space:  global
        .offset:         40
        .size:           8
        .value_kind:     global_buffer
      - .actual_access:  read_only
        .address_space:  global
        .offset:         48
        .size:           8
        .value_kind:     global_buffer
      - .offset:         56
        .size:           4
        .value_kind:     by_value
      - .actual_access:  read_only
        .address_space:  global
        .offset:         64
        .size:           8
        .value_kind:     global_buffer
      - .offset:         72
        .size:           4
        .value_kind:     by_value
      - .offset:         76
        .size:           4
        .value_kind:     by_value
      - .offset:         80
        .size:           4
        .value_kind:     by_value
      - .address_space:  global
        .offset:         88
        .size:           8
        .value_kind:     global_buffer
      - .address_space:  global
        .offset:         96
        .size:           8
        .value_kind:     global_buffer
      - .offset:         104
        .size:           4
        .value_kind:     by_value
      - .offset:         108
        .size:           4
        .value_kind:     by_value
      - .offset:         112
        .size:           4
        .value_kind:     by_value
      - .offset:         116
        .size:           4
        .value_kind:     by_value
      - .offset:         120
        .size:           4
        .value_kind:     by_value
      - .offset:         128
        .size:           4
        .value_kind:     hidden_block_count_x
      - .offset:         132
        .size:           4
        .value_kind:     hidden_block_count_y
      - .offset:         136
        .size:           4
        .value_kind:     hidden_block_count_z
      - .offset:         140
        .size:           2
        .value_kind:     hidden_group_size_x
      - .offset:         142
        .size:           2
        .value_kind:     hidden_group_size_y
      - .offset:         144
        .size:           2
        .value_kind:     hidden_group_size_z
      - .offset:         146
        .size:           2
        .value_kind:     hidden_remainder_x
      - .offset:         148
        .size:           2
        .value_kind:     hidden_remainder_y
      - .offset:         150
        .size:           2
        .value_kind:     hidden_remainder_z
      - .offset:         168
        .size:           8
        .value_kind:     hidden_global_offset_x
      - .offset:         176
        .size:           8
        .value_kind:     hidden_global_offset_y
      - .offset:         184
        .size:           8
        .value_kind:     hidden_global_offset_z
      - .offset:         192
        .size:           2
        .value_kind:     hidden_grid_dims
      - .offset:         248
        .size:           4
        .value_kind:     hidden_dynamic_lds_size
    .group_segment_fixed_size: 208
    .kernarg_segment_align: 8
    .kernarg_segment_size: 384
    .language:       OpenCL C
    .language_version:
      - 2
      - 0
    .max_flat_workgroup_size: 1024
    .name:           _ZN4vllm25paged_attention_v1_kernelIthLi96ELi32ELi128ELNS_18Fp8KVCacheDataTypeE1ELb1EEEvPT_PKS2_PKT0_S8_ifPKiSA_iPKfiiiSC_SC_iiiii
    .private_segment_fixed_size: 0
    .sgpr_count:     62
    .sgpr_spill_count: 0
    .symbol:         _ZN4vllm25paged_attention_v1_kernelIthLi96ELi32ELi128ELNS_18Fp8KVCacheDataTypeE1ELb1EEEvPT_PKS2_PKT0_S8_ifPKiSA_iPKfiiiSC_SC_iiiii.kd
    .uniform_work_group_size: 1
    .uses_dynamic_stack: false
    .vgpr_count:     80
    .vgpr_spill_count: 0
    .wavefront_size: 64
  - .agpr_count:     0
    .args:
      - .actual_access:  write_only
        .address_space:  global
        .offset:         0
        .size:           8
        .value_kind:     global_buffer
      - .actual_access:  read_only
        .address_space:  global
        .offset:         8
        .size:           8
        .value_kind:     global_buffer
      - .actual_access:  read_only
        .address_space:  global
        .offset:         16
        .size:           8
        .value_kind:     global_buffer
      - .actual_access:  read_only
        .address_space:  global
        .offset:         24
        .size:           8
        .value_kind:     global_buffer
      - .offset:         32
        .size:           4
        .value_kind:     by_value
      - .offset:         36
        .size:           4
        .value_kind:     by_value
      - .actual_access:  read_only
        .address_space:  global
        .offset:         40
        .size:           8
        .value_kind:     global_buffer
      - .actual_access:  read_only
        .address_space:  global
        .offset:         48
        .size:           8
        .value_kind:     global_buffer
      - .offset:         56
        .size:           4
        .value_kind:     by_value
      - .actual_access:  read_only
        .address_space:  global
        .offset:         64
        .size:           8
        .value_kind:     global_buffer
      - .offset:         72
        .size:           4
        .value_kind:     by_value
      - .offset:         76
        .size:           4
        .value_kind:     by_value
      - .offset:         80
        .size:           4
        .value_kind:     by_value
      - .address_space:  global
        .offset:         88
        .size:           8
        .value_kind:     global_buffer
      - .address_space:  global
        .offset:         96
        .size:           8
        .value_kind:     global_buffer
      - .offset:         104
        .size:           4
        .value_kind:     by_value
      - .offset:         108
        .size:           4
        .value_kind:     by_value
      - .offset:         112
        .size:           4
        .value_kind:     by_value
      - .offset:         116
        .size:           4
        .value_kind:     by_value
      - .offset:         120
        .size:           4
        .value_kind:     by_value
      - .offset:         128
        .size:           4
        .value_kind:     hidden_block_count_x
      - .offset:         132
        .size:           4
        .value_kind:     hidden_block_count_y
      - .offset:         136
        .size:           4
        .value_kind:     hidden_block_count_z
      - .offset:         140
        .size:           2
        .value_kind:     hidden_group_size_x
      - .offset:         142
        .size:           2
        .value_kind:     hidden_group_size_y
      - .offset:         144
        .size:           2
        .value_kind:     hidden_group_size_z
      - .offset:         146
        .size:           2
        .value_kind:     hidden_remainder_x
      - .offset:         148
        .size:           2
        .value_kind:     hidden_remainder_y
      - .offset:         150
        .size:           2
        .value_kind:     hidden_remainder_z
      - .offset:         168
        .size:           8
        .value_kind:     hidden_global_offset_x
      - .offset:         176
        .size:           8
        .value_kind:     hidden_global_offset_y
      - .offset:         184
        .size:           8
        .value_kind:     hidden_global_offset_z
      - .offset:         192
        .size:           2
        .value_kind:     hidden_grid_dims
      - .offset:         248
        .size:           4
        .value_kind:     hidden_dynamic_lds_size
    .group_segment_fixed_size: 240
    .kernarg_segment_align: 8
    .kernarg_segment_size: 384
    .language:       OpenCL C
    .language_version:
      - 2
      - 0
    .max_flat_workgroup_size: 1024
    .name:           _ZN4vllm25paged_attention_v1_kernelIthLi112ELi32ELi128ELNS_18Fp8KVCacheDataTypeE1ELb1EEEvPT_PKS2_PKT0_S8_ifPKiSA_iPKfiiiSC_SC_iiiii
    .private_segment_fixed_size: 0
    .sgpr_count:     62
    .sgpr_spill_count: 0
    .symbol:         _ZN4vllm25paged_attention_v1_kernelIthLi112ELi32ELi128ELNS_18Fp8KVCacheDataTypeE1ELb1EEEvPT_PKS2_PKT0_S8_ifPKiSA_iPKfiiiSC_SC_iiiii.kd
    .uniform_work_group_size: 1
    .uses_dynamic_stack: false
    .vgpr_count:     88
    .vgpr_spill_count: 0
    .wavefront_size: 64
  - .agpr_count:     0
    .args:
      - .actual_access:  write_only
        .address_space:  global
        .offset:         0
        .size:           8
        .value_kind:     global_buffer
      - .actual_access:  read_only
        .address_space:  global
        .offset:         8
        .size:           8
        .value_kind:     global_buffer
      - .actual_access:  read_only
        .address_space:  global
        .offset:         16
        .size:           8
        .value_kind:     global_buffer
      - .actual_access:  read_only
        .address_space:  global
        .offset:         24
        .size:           8
        .value_kind:     global_buffer
      - .offset:         32
        .size:           4
        .value_kind:     by_value
      - .offset:         36
        .size:           4
        .value_kind:     by_value
      - .actual_access:  read_only
        .address_space:  global
        .offset:         40
        .size:           8
        .value_kind:     global_buffer
      - .actual_access:  read_only
        .address_space:  global
        .offset:         48
        .size:           8
        .value_kind:     global_buffer
      - .offset:         56
        .size:           4
        .value_kind:     by_value
      - .actual_access:  read_only
        .address_space:  global
        .offset:         64
        .size:           8
        .value_kind:     global_buffer
      - .offset:         72
        .size:           4
        .value_kind:     by_value
      - .offset:         76
        .size:           4
        .value_kind:     by_value
      - .offset:         80
        .size:           4
        .value_kind:     by_value
      - .address_space:  global
        .offset:         88
        .size:           8
        .value_kind:     global_buffer
      - .address_space:  global
        .offset:         96
        .size:           8
        .value_kind:     global_buffer
      - .offset:         104
        .size:           4
        .value_kind:     by_value
      - .offset:         108
        .size:           4
        .value_kind:     by_value
      - .offset:         112
        .size:           4
        .value_kind:     by_value
      - .offset:         116
        .size:           4
        .value_kind:     by_value
      - .offset:         120
        .size:           4
        .value_kind:     by_value
      - .offset:         128
        .size:           4
        .value_kind:     hidden_block_count_x
      - .offset:         132
        .size:           4
        .value_kind:     hidden_block_count_y
      - .offset:         136
        .size:           4
        .value_kind:     hidden_block_count_z
      - .offset:         140
        .size:           2
        .value_kind:     hidden_group_size_x
      - .offset:         142
        .size:           2
        .value_kind:     hidden_group_size_y
      - .offset:         144
        .size:           2
        .value_kind:     hidden_group_size_z
      - .offset:         146
        .size:           2
        .value_kind:     hidden_remainder_x
      - .offset:         148
        .size:           2
        .value_kind:     hidden_remainder_y
      - .offset:         150
        .size:           2
        .value_kind:     hidden_remainder_z
      - .offset:         168
        .size:           8
        .value_kind:     hidden_global_offset_x
      - .offset:         176
        .size:           8
        .value_kind:     hidden_global_offset_y
      - .offset:         184
        .size:           8
        .value_kind:     hidden_global_offset_z
      - .offset:         192
        .size:           2
        .value_kind:     hidden_grid_dims
      - .offset:         248
        .size:           4
        .value_kind:     hidden_dynamic_lds_size
    .group_segment_fixed_size: 256
    .kernarg_segment_align: 8
    .kernarg_segment_size: 384
    .language:       OpenCL C
    .language_version:
      - 2
      - 0
    .max_flat_workgroup_size: 1024
    .name:           _ZN4vllm25paged_attention_v1_kernelIthLi120ELi32ELi128ELNS_18Fp8KVCacheDataTypeE1ELb1EEEvPT_PKS2_PKT0_S8_ifPKiSA_iPKfiiiSC_SC_iiiii
    .private_segment_fixed_size: 0
    .sgpr_count:     62
    .sgpr_spill_count: 0
    .symbol:         _ZN4vllm25paged_attention_v1_kernelIthLi120ELi32ELi128ELNS_18Fp8KVCacheDataTypeE1ELb1EEEvPT_PKS2_PKT0_S8_ifPKiSA_iPKfiiiSC_SC_iiiii.kd
    .uniform_work_group_size: 1
    .uses_dynamic_stack: false
    .vgpr_count:     92
    .vgpr_spill_count: 0
    .wavefront_size: 64
  - .agpr_count:     0
    .args:
      - .actual_access:  write_only
        .address_space:  global
        .offset:         0
        .size:           8
        .value_kind:     global_buffer
      - .actual_access:  read_only
        .address_space:  global
        .offset:         8
        .size:           8
        .value_kind:     global_buffer
      - .actual_access:  read_only
        .address_space:  global
        .offset:         16
        .size:           8
        .value_kind:     global_buffer
      - .actual_access:  read_only
        .address_space:  global
        .offset:         24
        .size:           8
        .value_kind:     global_buffer
      - .offset:         32
        .size:           4
        .value_kind:     by_value
      - .offset:         36
        .size:           4
        .value_kind:     by_value
      - .actual_access:  read_only
        .address_space:  global
        .offset:         40
        .size:           8
        .value_kind:     global_buffer
      - .actual_access:  read_only
        .address_space:  global
        .offset:         48
        .size:           8
        .value_kind:     global_buffer
      - .offset:         56
        .size:           4
        .value_kind:     by_value
      - .actual_access:  read_only
        .address_space:  global
        .offset:         64
        .size:           8
        .value_kind:     global_buffer
      - .offset:         72
        .size:           4
        .value_kind:     by_value
      - .offset:         76
        .size:           4
        .value_kind:     by_value
      - .offset:         80
        .size:           4
        .value_kind:     by_value
      - .address_space:  global
        .offset:         88
        .size:           8
        .value_kind:     global_buffer
      - .address_space:  global
        .offset:         96
        .size:           8
        .value_kind:     global_buffer
      - .offset:         104
        .size:           4
        .value_kind:     by_value
      - .offset:         108
        .size:           4
        .value_kind:     by_value
      - .offset:         112
        .size:           4
        .value_kind:     by_value
      - .offset:         116
        .size:           4
        .value_kind:     by_value
      - .offset:         120
        .size:           4
        .value_kind:     by_value
      - .offset:         128
        .size:           4
        .value_kind:     hidden_block_count_x
      - .offset:         132
        .size:           4
        .value_kind:     hidden_block_count_y
      - .offset:         136
        .size:           4
        .value_kind:     hidden_block_count_z
      - .offset:         140
        .size:           2
        .value_kind:     hidden_group_size_x
      - .offset:         142
        .size:           2
        .value_kind:     hidden_group_size_y
      - .offset:         144
        .size:           2
        .value_kind:     hidden_group_size_z
      - .offset:         146
        .size:           2
        .value_kind:     hidden_remainder_x
      - .offset:         148
        .size:           2
        .value_kind:     hidden_remainder_y
      - .offset:         150
        .size:           2
        .value_kind:     hidden_remainder_z
      - .offset:         168
        .size:           8
        .value_kind:     hidden_global_offset_x
      - .offset:         176
        .size:           8
        .value_kind:     hidden_global_offset_y
      - .offset:         184
        .size:           8
        .value_kind:     hidden_global_offset_z
      - .offset:         192
        .size:           2
        .value_kind:     hidden_grid_dims
      - .offset:         248
        .size:           4
        .value_kind:     hidden_dynamic_lds_size
    .group_segment_fixed_size: 272
    .kernarg_segment_align: 8
    .kernarg_segment_size: 384
    .language:       OpenCL C
    .language_version:
      - 2
      - 0
    .max_flat_workgroup_size: 1024
    .name:           _ZN4vllm25paged_attention_v1_kernelIthLi128ELi32ELi128ELNS_18Fp8KVCacheDataTypeE1ELb1EEEvPT_PKS2_PKT0_S8_ifPKiSA_iPKfiiiSC_SC_iiiii
    .private_segment_fixed_size: 0
    .sgpr_count:     62
    .sgpr_spill_count: 0
    .symbol:         _ZN4vllm25paged_attention_v1_kernelIthLi128ELi32ELi128ELNS_18Fp8KVCacheDataTypeE1ELb1EEEvPT_PKS2_PKT0_S8_ifPKiSA_iPKfiiiSC_SC_iiiii.kd
    .uniform_work_group_size: 1
    .uses_dynamic_stack: false
    .vgpr_count:     96
    .vgpr_spill_count: 0
    .wavefront_size: 64
  - .agpr_count:     0
    .args:
      - .actual_access:  write_only
        .address_space:  global
        .offset:         0
        .size:           8
        .value_kind:     global_buffer
      - .actual_access:  read_only
        .address_space:  global
        .offset:         8
        .size:           8
        .value_kind:     global_buffer
      - .actual_access:  read_only
        .address_space:  global
        .offset:         16
        .size:           8
        .value_kind:     global_buffer
      - .actual_access:  read_only
        .address_space:  global
        .offset:         24
        .size:           8
        .value_kind:     global_buffer
      - .offset:         32
        .size:           4
        .value_kind:     by_value
      - .offset:         36
        .size:           4
        .value_kind:     by_value
      - .actual_access:  read_only
        .address_space:  global
        .offset:         40
        .size:           8
        .value_kind:     global_buffer
      - .actual_access:  read_only
        .address_space:  global
        .offset:         48
        .size:           8
        .value_kind:     global_buffer
      - .offset:         56
        .size:           4
        .value_kind:     by_value
      - .actual_access:  read_only
        .address_space:  global
        .offset:         64
        .size:           8
        .value_kind:     global_buffer
      - .offset:         72
        .size:           4
        .value_kind:     by_value
      - .offset:         76
        .size:           4
        .value_kind:     by_value
      - .offset:         80
        .size:           4
        .value_kind:     by_value
      - .address_space:  global
        .offset:         88
        .size:           8
        .value_kind:     global_buffer
      - .address_space:  global
        .offset:         96
        .size:           8
        .value_kind:     global_buffer
      - .offset:         104
        .size:           4
        .value_kind:     by_value
      - .offset:         108
        .size:           4
        .value_kind:     by_value
      - .offset:         112
        .size:           4
        .value_kind:     by_value
      - .offset:         116
        .size:           4
        .value_kind:     by_value
      - .offset:         120
        .size:           4
        .value_kind:     by_value
      - .offset:         128
        .size:           4
        .value_kind:     hidden_block_count_x
      - .offset:         132
        .size:           4
        .value_kind:     hidden_block_count_y
      - .offset:         136
        .size:           4
        .value_kind:     hidden_block_count_z
      - .offset:         140
        .size:           2
        .value_kind:     hidden_group_size_x
      - .offset:         142
        .size:           2
        .value_kind:     hidden_group_size_y
      - .offset:         144
        .size:           2
        .value_kind:     hidden_group_size_z
      - .offset:         146
        .size:           2
        .value_kind:     hidden_remainder_x
      - .offset:         148
        .size:           2
        .value_kind:     hidden_remainder_y
      - .offset:         150
        .size:           2
        .value_kind:     hidden_remainder_z
      - .offset:         168
        .size:           8
        .value_kind:     hidden_global_offset_x
      - .offset:         176
        .size:           8
        .value_kind:     hidden_global_offset_y
      - .offset:         184
        .size:           8
        .value_kind:     hidden_global_offset_z
      - .offset:         192
        .size:           2
        .value_kind:     hidden_grid_dims
      - .offset:         248
        .size:           4
        .value_kind:     hidden_dynamic_lds_size
    .group_segment_fixed_size: 400
    .kernarg_segment_align: 8
    .kernarg_segment_size: 384
    .language:       OpenCL C
    .language_version:
      - 2
      - 0
    .max_flat_workgroup_size: 1024
    .name:           _ZN4vllm25paged_attention_v1_kernelIthLi192ELi32ELi128ELNS_18Fp8KVCacheDataTypeE1ELb1EEEvPT_PKS2_PKT0_S8_ifPKiSA_iPKfiiiSC_SC_iiiii
    .private_segment_fixed_size: 8
    .sgpr_count:     70
    .sgpr_spill_count: 0
    .symbol:         _ZN4vllm25paged_attention_v1_kernelIthLi192ELi32ELi128ELNS_18Fp8KVCacheDataTypeE1ELb1EEEvPT_PKS2_PKT0_S8_ifPKiSA_iPKfiiiSC_SC_iiiii.kd
    .uniform_work_group_size: 1
    .uses_dynamic_stack: false
    .vgpr_count:     128
    .vgpr_spill_count: 1
    .wavefront_size: 64
  - .agpr_count:     0
    .args:
      - .address_space:  global
        .offset:         0
        .size:           8
        .value_kind:     global_buffer
      - .address_space:  global
        .offset:         8
        .size:           8
        .value_kind:     global_buffer
      - .address_space:  global
        .offset:         16
        .size:           8
        .value_kind:     global_buffer
      - .address_space:  global
        .offset:         24
        .size:           8
        .value_kind:     global_buffer
      - .offset:         32
        .size:           4
        .value_kind:     by_value
      - .offset:         36
        .size:           4
        .value_kind:     by_value
      - .address_space:  global
        .offset:         40
        .size:           8
        .value_kind:     global_buffer
      - .address_space:  global
        .offset:         48
        .size:           8
        .value_kind:     global_buffer
      - .offset:         56
        .size:           4
        .value_kind:     by_value
      - .address_space:  global
        .offset:         64
        .size:           8
        .value_kind:     global_buffer
      - .offset:         72
        .size:           4
        .value_kind:     by_value
      - .offset:         76
        .size:           4
        .value_kind:     by_value
      - .offset:         80
        .size:           4
        .value_kind:     by_value
      - .address_space:  global
        .offset:         88
        .size:           8
        .value_kind:     global_buffer
      - .address_space:  global
        .offset:         96
        .size:           8
        .value_kind:     global_buffer
      - .offset:         104
        .size:           4
        .value_kind:     by_value
      - .offset:         108
        .size:           4
        .value_kind:     by_value
      - .offset:         112
        .size:           4
        .value_kind:     by_value
      - .offset:         116
        .size:           4
        .value_kind:     by_value
      - .offset:         120
        .size:           4
        .value_kind:     by_value
      - .offset:         128
        .size:           4
        .value_kind:     hidden_block_count_x
      - .offset:         132
        .size:           4
        .value_kind:     hidden_block_count_y
      - .offset:         136
        .size:           4
        .value_kind:     hidden_block_count_z
      - .offset:         140
        .size:           2
        .value_kind:     hidden_group_size_x
      - .offset:         142
        .size:           2
        .value_kind:     hidden_group_size_y
      - .offset:         144
        .size:           2
        .value_kind:     hidden_group_size_z
      - .offset:         146
        .size:           2
        .value_kind:     hidden_remainder_x
      - .offset:         148
        .size:           2
        .value_kind:     hidden_remainder_y
      - .offset:         150
        .size:           2
        .value_kind:     hidden_remainder_z
      - .offset:         168
        .size:           8
        .value_kind:     hidden_global_offset_x
      - .offset:         176
        .size:           8
        .value_kind:     hidden_global_offset_y
      - .offset:         184
        .size:           8
        .value_kind:     hidden_global_offset_z
      - .offset:         192
        .size:           2
        .value_kind:     hidden_grid_dims
      - .offset:         248
        .size:           4
        .value_kind:     hidden_dynamic_lds_size
    .group_segment_fixed_size: 528
    .kernarg_segment_align: 8
    .kernarg_segment_size: 384
    .language:       OpenCL C
    .language_version:
      - 2
      - 0
    .max_flat_workgroup_size: 1024
    .name:           _ZN4vllm25paged_attention_v1_kernelIthLi256ELi32ELi128ELNS_18Fp8KVCacheDataTypeE1ELb1EEEvPT_PKS2_PKT0_S8_ifPKiSA_iPKfiiiSC_SC_iiiii
    .private_segment_fixed_size: 560
    .sgpr_count:     82
    .sgpr_spill_count: 0
    .symbol:         _ZN4vllm25paged_attention_v1_kernelIthLi256ELi32ELi128ELNS_18Fp8KVCacheDataTypeE1ELb1EEEvPT_PKS2_PKT0_S8_ifPKiSA_iPKfiiiSC_SC_iiiii.kd
    .uniform_work_group_size: 1
    .uses_dynamic_stack: false
    .vgpr_count:     128
    .vgpr_spill_count: 0
    .wavefront_size: 64
  - .agpr_count:     0
    .args:
      - .actual_access:  write_only
        .address_space:  global
        .offset:         0
        .size:           8
        .value_kind:     global_buffer
      - .actual_access:  read_only
        .address_space:  global
        .offset:         8
        .size:           8
        .value_kind:     global_buffer
      - .actual_access:  read_only
        .address_space:  global
        .offset:         16
        .size:           8
        .value_kind:     global_buffer
      - .actual_access:  read_only
        .address_space:  global
        .offset:         24
        .size:           8
        .value_kind:     global_buffer
      - .offset:         32
        .size:           4
        .value_kind:     by_value
      - .offset:         36
        .size:           4
        .value_kind:     by_value
      - .actual_access:  read_only
        .address_space:  global
        .offset:         40
        .size:           8
        .value_kind:     global_buffer
      - .actual_access:  read_only
        .address_space:  global
        .offset:         48
        .size:           8
        .value_kind:     global_buffer
      - .offset:         56
        .size:           4
        .value_kind:     by_value
      - .actual_access:  read_only
        .address_space:  global
        .offset:         64
        .size:           8
        .value_kind:     global_buffer
      - .offset:         72
        .size:           4
        .value_kind:     by_value
      - .offset:         76
        .size:           4
        .value_kind:     by_value
      - .offset:         80
        .size:           4
        .value_kind:     by_value
      - .address_space:  global
        .offset:         88
        .size:           8
        .value_kind:     global_buffer
      - .address_space:  global
        .offset:         96
        .size:           8
        .value_kind:     global_buffer
      - .offset:         104
        .size:           4
        .value_kind:     by_value
      - .offset:         108
        .size:           4
        .value_kind:     by_value
      - .offset:         112
        .size:           4
        .value_kind:     by_value
      - .offset:         116
        .size:           4
        .value_kind:     by_value
      - .offset:         120
        .size:           4
        .value_kind:     by_value
      - .offset:         128
        .size:           4
        .value_kind:     hidden_block_count_x
      - .offset:         132
        .size:           4
        .value_kind:     hidden_block_count_y
      - .offset:         136
        .size:           4
        .value_kind:     hidden_block_count_z
      - .offset:         140
        .size:           2
        .value_kind:     hidden_group_size_x
      - .offset:         142
        .size:           2
        .value_kind:     hidden_group_size_y
      - .offset:         144
        .size:           2
        .value_kind:     hidden_group_size_z
      - .offset:         146
        .size:           2
        .value_kind:     hidden_remainder_x
      - .offset:         148
        .size:           2
        .value_kind:     hidden_remainder_y
      - .offset:         150
        .size:           2
        .value_kind:     hidden_remainder_z
      - .offset:         168
        .size:           8
        .value_kind:     hidden_global_offset_x
      - .offset:         176
        .size:           8
        .value_kind:     hidden_global_offset_y
      - .offset:         184
        .size:           8
        .value_kind:     hidden_global_offset_z
      - .offset:         192
        .size:           2
        .value_kind:     hidden_grid_dims
      - .offset:         248
        .size:           4
        .value_kind:     hidden_dynamic_lds_size
    .group_segment_fixed_size: 80
    .kernarg_segment_align: 8
    .kernarg_segment_size: 384
    .language:       OpenCL C
    .language_version:
      - 2
      - 0
    .max_flat_workgroup_size: 1024
    .name:           _ZN4vllm25paged_attention_v1_kernelIthLi32ELi32ELi128ELNS_18Fp8KVCacheDataTypeE1ELb0EEEvPT_PKS2_PKT0_S8_ifPKiSA_iPKfiiiSC_SC_iiiii
    .private_segment_fixed_size: 0
    .sgpr_count:     52
    .sgpr_spill_count: 0
    .symbol:         _ZN4vllm25paged_attention_v1_kernelIthLi32ELi32ELi128ELNS_18Fp8KVCacheDataTypeE1ELb0EEEvPT_PKS2_PKT0_S8_ifPKiSA_iPKfiiiSC_SC_iiiii.kd
    .uniform_work_group_size: 1
    .uses_dynamic_stack: false
    .vgpr_count:     45
    .vgpr_spill_count: 0
    .wavefront_size: 64
  - .agpr_count:     0
    .args:
      - .actual_access:  write_only
        .address_space:  global
        .offset:         0
        .size:           8
        .value_kind:     global_buffer
      - .actual_access:  read_only
        .address_space:  global
        .offset:         8
        .size:           8
        .value_kind:     global_buffer
      - .actual_access:  read_only
        .address_space:  global
        .offset:         16
        .size:           8
        .value_kind:     global_buffer
      - .actual_access:  read_only
        .address_space:  global
        .offset:         24
        .size:           8
        .value_kind:     global_buffer
      - .offset:         32
        .size:           4
        .value_kind:     by_value
      - .offset:         36
        .size:           4
        .value_kind:     by_value
      - .actual_access:  read_only
        .address_space:  global
        .offset:         40
        .size:           8
        .value_kind:     global_buffer
      - .actual_access:  read_only
        .address_space:  global
        .offset:         48
        .size:           8
        .value_kind:     global_buffer
      - .offset:         56
        .size:           4
        .value_kind:     by_value
      - .actual_access:  read_only
        .address_space:  global
        .offset:         64
        .size:           8
        .value_kind:     global_buffer
      - .offset:         72
        .size:           4
        .value_kind:     by_value
      - .offset:         76
        .size:           4
        .value_kind:     by_value
      - .offset:         80
        .size:           4
        .value_kind:     by_value
      - .address_space:  global
        .offset:         88
        .size:           8
        .value_kind:     global_buffer
      - .address_space:  global
        .offset:         96
        .size:           8
        .value_kind:     global_buffer
      - .offset:         104
        .size:           4
        .value_kind:     by_value
      - .offset:         108
        .size:           4
        .value_kind:     by_value
      - .offset:         112
        .size:           4
        .value_kind:     by_value
      - .offset:         116
        .size:           4
        .value_kind:     by_value
      - .offset:         120
        .size:           4
        .value_kind:     by_value
      - .offset:         128
        .size:           4
        .value_kind:     hidden_block_count_x
      - .offset:         132
        .size:           4
        .value_kind:     hidden_block_count_y
      - .offset:         136
        .size:           4
        .value_kind:     hidden_block_count_z
      - .offset:         140
        .size:           2
        .value_kind:     hidden_group_size_x
      - .offset:         142
        .size:           2
        .value_kind:     hidden_group_size_y
      - .offset:         144
        .size:           2
        .value_kind:     hidden_group_size_z
      - .offset:         146
        .size:           2
        .value_kind:     hidden_remainder_x
      - .offset:         148
        .size:           2
        .value_kind:     hidden_remainder_y
      - .offset:         150
        .size:           2
        .value_kind:     hidden_remainder_z
      - .offset:         168
        .size:           8
        .value_kind:     hidden_global_offset_x
      - .offset:         176
        .size:           8
        .value_kind:     hidden_global_offset_y
      - .offset:         184
        .size:           8
        .value_kind:     hidden_global_offset_z
      - .offset:         192
        .size:           2
        .value_kind:     hidden_grid_dims
      - .offset:         248
        .size:           4
        .value_kind:     hidden_dynamic_lds_size
    .group_segment_fixed_size: 144
    .kernarg_segment_align: 8
    .kernarg_segment_size: 384
    .language:       OpenCL C
    .language_version:
      - 2
      - 0
    .max_flat_workgroup_size: 1024
    .name:           _ZN4vllm25paged_attention_v1_kernelIthLi64ELi32ELi128ELNS_18Fp8KVCacheDataTypeE1ELb0EEEvPT_PKS2_PKT0_S8_ifPKiSA_iPKfiiiSC_SC_iiiii
    .private_segment_fixed_size: 0
    .sgpr_count:     52
    .sgpr_spill_count: 0
    .symbol:         _ZN4vllm25paged_attention_v1_kernelIthLi64ELi32ELi128ELNS_18Fp8KVCacheDataTypeE1ELb0EEEvPT_PKS2_PKT0_S8_ifPKiSA_iPKfiiiSC_SC_iiiii.kd
    .uniform_work_group_size: 1
    .uses_dynamic_stack: false
    .vgpr_count:     55
    .vgpr_spill_count: 0
    .wavefront_size: 64
  - .agpr_count:     0
    .args:
      - .actual_access:  write_only
        .address_space:  global
        .offset:         0
        .size:           8
        .value_kind:     global_buffer
      - .actual_access:  read_only
        .address_space:  global
        .offset:         8
        .size:           8
        .value_kind:     global_buffer
      - .actual_access:  read_only
        .address_space:  global
        .offset:         16
        .size:           8
        .value_kind:     global_buffer
      - .actual_access:  read_only
        .address_space:  global
        .offset:         24
        .size:           8
        .value_kind:     global_buffer
      - .offset:         32
        .size:           4
        .value_kind:     by_value
      - .offset:         36
        .size:           4
        .value_kind:     by_value
      - .actual_access:  read_only
        .address_space:  global
        .offset:         40
        .size:           8
        .value_kind:     global_buffer
      - .actual_access:  read_only
        .address_space:  global
        .offset:         48
        .size:           8
        .value_kind:     global_buffer
      - .offset:         56
        .size:           4
        .value_kind:     by_value
      - .actual_access:  read_only
        .address_space:  global
        .offset:         64
        .size:           8
        .value_kind:     global_buffer
      - .offset:         72
        .size:           4
        .value_kind:     by_value
      - .offset:         76
        .size:           4
        .value_kind:     by_value
      - .offset:         80
        .size:           4
        .value_kind:     by_value
      - .address_space:  global
        .offset:         88
        .size:           8
        .value_kind:     global_buffer
      - .address_space:  global
        .offset:         96
        .size:           8
        .value_kind:     global_buffer
      - .offset:         104
        .size:           4
        .value_kind:     by_value
      - .offset:         108
        .size:           4
        .value_kind:     by_value
      - .offset:         112
        .size:           4
        .value_kind:     by_value
      - .offset:         116
        .size:           4
        .value_kind:     by_value
      - .offset:         120
        .size:           4
        .value_kind:     by_value
      - .offset:         128
        .size:           4
        .value_kind:     hidden_block_count_x
      - .offset:         132
        .size:           4
        .value_kind:     hidden_block_count_y
      - .offset:         136
        .size:           4
        .value_kind:     hidden_block_count_z
      - .offset:         140
        .size:           2
        .value_kind:     hidden_group_size_x
      - .offset:         142
        .size:           2
        .value_kind:     hidden_group_size_y
      - .offset:         144
        .size:           2
        .value_kind:     hidden_group_size_z
      - .offset:         146
        .size:           2
        .value_kind:     hidden_remainder_x
      - .offset:         148
        .size:           2
        .value_kind:     hidden_remainder_y
      - .offset:         150
        .size:           2
        .value_kind:     hidden_remainder_z
      - .offset:         168
        .size:           8
        .value_kind:     hidden_global_offset_x
      - .offset:         176
        .size:           8
        .value_kind:     hidden_global_offset_y
      - .offset:         184
        .size:           8
        .value_kind:     hidden_global_offset_z
      - .offset:         192
        .size:           2
        .value_kind:     hidden_grid_dims
      - .offset:         248
        .size:           4
        .value_kind:     hidden_dynamic_lds_size
    .group_segment_fixed_size: 176
    .kernarg_segment_align: 8
    .kernarg_segment_size: 384
    .language:       OpenCL C
    .language_version:
      - 2
      - 0
    .max_flat_workgroup_size: 1024
    .name:           _ZN4vllm25paged_attention_v1_kernelIthLi80ELi32ELi128ELNS_18Fp8KVCacheDataTypeE1ELb0EEEvPT_PKS2_PKT0_S8_ifPKiSA_iPKfiiiSC_SC_iiiii
    .private_segment_fixed_size: 0
    .sgpr_count:     52
    .sgpr_spill_count: 0
    .symbol:         _ZN4vllm25paged_attention_v1_kernelIthLi80ELi32ELi128ELNS_18Fp8KVCacheDataTypeE1ELb0EEEvPT_PKS2_PKT0_S8_ifPKiSA_iPKfiiiSC_SC_iiiii.kd
    .uniform_work_group_size: 1
    .uses_dynamic_stack: false
    .vgpr_count:     67
    .vgpr_spill_count: 0
    .wavefront_size: 64
  - .agpr_count:     0
    .args:
      - .actual_access:  write_only
        .address_space:  global
        .offset:         0
        .size:           8
        .value_kind:     global_buffer
      - .actual_access:  read_only
        .address_space:  global
        .offset:         8
        .size:           8
        .value_kind:     global_buffer
      - .actual_access:  read_only
        .address_space:  global
        .offset:         16
        .size:           8
        .value_kind:     global_buffer
      - .actual_access:  read_only
        .address_space:  global
        .offset:         24
        .size:           8
        .value_kind:     global_buffer
      - .offset:         32
        .size:           4
        .value_kind:     by_value
      - .offset:         36
        .size:           4
        .value_kind:     by_value
      - .actual_access:  read_only
        .address_space:  global
        .offset:         40
        .size:           8
        .value_kind:     global_buffer
      - .actual_access:  read_only
        .address_space:  global
        .offset:         48
        .size:           8
        .value_kind:     global_buffer
      - .offset:         56
        .size:           4
        .value_kind:     by_value
      - .actual_access:  read_only
        .address_space:  global
        .offset:         64
        .size:           8
        .value_kind:     global_buffer
      - .offset:         72
        .size:           4
        .value_kind:     by_value
      - .offset:         76
        .size:           4
        .value_kind:     by_value
      - .offset:         80
        .size:           4
        .value_kind:     by_value
      - .address_space:  global
        .offset:         88
        .size:           8
        .value_kind:     global_buffer
      - .address_space:  global
        .offset:         96
        .size:           8
        .value_kind:     global_buffer
      - .offset:         104
        .size:           4
        .value_kind:     by_value
      - .offset:         108
        .size:           4
        .value_kind:     by_value
      - .offset:         112
        .size:           4
        .value_kind:     by_value
      - .offset:         116
        .size:           4
        .value_kind:     by_value
      - .offset:         120
        .size:           4
        .value_kind:     by_value
      - .offset:         128
        .size:           4
        .value_kind:     hidden_block_count_x
      - .offset:         132
        .size:           4
        .value_kind:     hidden_block_count_y
      - .offset:         136
        .size:           4
        .value_kind:     hidden_block_count_z
      - .offset:         140
        .size:           2
        .value_kind:     hidden_group_size_x
      - .offset:         142
        .size:           2
        .value_kind:     hidden_group_size_y
      - .offset:         144
        .size:           2
        .value_kind:     hidden_group_size_z
      - .offset:         146
        .size:           2
        .value_kind:     hidden_remainder_x
      - .offset:         148
        .size:           2
        .value_kind:     hidden_remainder_y
      - .offset:         150
        .size:           2
        .value_kind:     hidden_remainder_z
      - .offset:         168
        .size:           8
        .value_kind:     hidden_global_offset_x
      - .offset:         176
        .size:           8
        .value_kind:     hidden_global_offset_y
      - .offset:         184
        .size:           8
        .value_kind:     hidden_global_offset_z
      - .offset:         192
        .size:           2
        .value_kind:     hidden_grid_dims
      - .offset:         248
        .size:           4
        .value_kind:     hidden_dynamic_lds_size
    .group_segment_fixed_size: 208
    .kernarg_segment_align: 8
    .kernarg_segment_size: 384
    .language:       OpenCL C
    .language_version:
      - 2
      - 0
    .max_flat_workgroup_size: 1024
    .name:           _ZN4vllm25paged_attention_v1_kernelIthLi96ELi32ELi128ELNS_18Fp8KVCacheDataTypeE1ELb0EEEvPT_PKS2_PKT0_S8_ifPKiSA_iPKfiiiSC_SC_iiiii
    .private_segment_fixed_size: 0
    .sgpr_count:     52
    .sgpr_spill_count: 0
    .symbol:         _ZN4vllm25paged_attention_v1_kernelIthLi96ELi32ELi128ELNS_18Fp8KVCacheDataTypeE1ELb0EEEvPT_PKS2_PKT0_S8_ifPKiSA_iPKfiiiSC_SC_iiiii.kd
    .uniform_work_group_size: 1
    .uses_dynamic_stack: false
    .vgpr_count:     76
    .vgpr_spill_count: 0
    .wavefront_size: 64
  - .agpr_count:     0
    .args:
      - .actual_access:  write_only
        .address_space:  global
        .offset:         0
        .size:           8
        .value_kind:     global_buffer
      - .actual_access:  read_only
        .address_space:  global
        .offset:         8
        .size:           8
        .value_kind:     global_buffer
      - .actual_access:  read_only
        .address_space:  global
        .offset:         16
        .size:           8
        .value_kind:     global_buffer
      - .actual_access:  read_only
        .address_space:  global
        .offset:         24
        .size:           8
        .value_kind:     global_buffer
      - .offset:         32
        .size:           4
        .value_kind:     by_value
      - .offset:         36
        .size:           4
        .value_kind:     by_value
      - .actual_access:  read_only
        .address_space:  global
        .offset:         40
        .size:           8
        .value_kind:     global_buffer
      - .actual_access:  read_only
        .address_space:  global
        .offset:         48
        .size:           8
        .value_kind:     global_buffer
      - .offset:         56
        .size:           4
        .value_kind:     by_value
      - .actual_access:  read_only
        .address_space:  global
        .offset:         64
        .size:           8
        .value_kind:     global_buffer
      - .offset:         72
        .size:           4
        .value_kind:     by_value
      - .offset:         76
        .size:           4
        .value_kind:     by_value
      - .offset:         80
        .size:           4
        .value_kind:     by_value
      - .address_space:  global
        .offset:         88
        .size:           8
        .value_kind:     global_buffer
      - .address_space:  global
        .offset:         96
        .size:           8
        .value_kind:     global_buffer
      - .offset:         104
        .size:           4
        .value_kind:     by_value
      - .offset:         108
        .size:           4
        .value_kind:     by_value
      - .offset:         112
        .size:           4
        .value_kind:     by_value
      - .offset:         116
        .size:           4
        .value_kind:     by_value
      - .offset:         120
        .size:           4
        .value_kind:     by_value
      - .offset:         128
        .size:           4
        .value_kind:     hidden_block_count_x
      - .offset:         132
        .size:           4
        .value_kind:     hidden_block_count_y
      - .offset:         136
        .size:           4
        .value_kind:     hidden_block_count_z
      - .offset:         140
        .size:           2
        .value_kind:     hidden_group_size_x
      - .offset:         142
        .size:           2
        .value_kind:     hidden_group_size_y
      - .offset:         144
        .size:           2
        .value_kind:     hidden_group_size_z
      - .offset:         146
        .size:           2
        .value_kind:     hidden_remainder_x
      - .offset:         148
        .size:           2
        .value_kind:     hidden_remainder_y
      - .offset:         150
        .size:           2
        .value_kind:     hidden_remainder_z
      - .offset:         168
        .size:           8
        .value_kind:     hidden_global_offset_x
      - .offset:         176
        .size:           8
        .value_kind:     hidden_global_offset_y
      - .offset:         184
        .size:           8
        .value_kind:     hidden_global_offset_z
      - .offset:         192
        .size:           2
        .value_kind:     hidden_grid_dims
      - .offset:         248
        .size:           4
        .value_kind:     hidden_dynamic_lds_size
    .group_segment_fixed_size: 240
    .kernarg_segment_align: 8
    .kernarg_segment_size: 384
    .language:       OpenCL C
    .language_version:
      - 2
      - 0
    .max_flat_workgroup_size: 1024
    .name:           _ZN4vllm25paged_attention_v1_kernelIthLi112ELi32ELi128ELNS_18Fp8KVCacheDataTypeE1ELb0EEEvPT_PKS2_PKT0_S8_ifPKiSA_iPKfiiiSC_SC_iiiii
    .private_segment_fixed_size: 0
    .sgpr_count:     52
    .sgpr_spill_count: 0
    .symbol:         _ZN4vllm25paged_attention_v1_kernelIthLi112ELi32ELi128ELNS_18Fp8KVCacheDataTypeE1ELb0EEEvPT_PKS2_PKT0_S8_ifPKiSA_iPKfiiiSC_SC_iiiii.kd
    .uniform_work_group_size: 1
    .uses_dynamic_stack: false
    .vgpr_count:     84
    .vgpr_spill_count: 0
    .wavefront_size: 64
  - .agpr_count:     0
    .args:
      - .actual_access:  write_only
        .address_space:  global
        .offset:         0
        .size:           8
        .value_kind:     global_buffer
      - .actual_access:  read_only
        .address_space:  global
        .offset:         8
        .size:           8
        .value_kind:     global_buffer
      - .actual_access:  read_only
        .address_space:  global
        .offset:         16
        .size:           8
        .value_kind:     global_buffer
      - .actual_access:  read_only
        .address_space:  global
        .offset:         24
        .size:           8
        .value_kind:     global_buffer
      - .offset:         32
        .size:           4
        .value_kind:     by_value
      - .offset:         36
        .size:           4
        .value_kind:     by_value
      - .actual_access:  read_only
        .address_space:  global
        .offset:         40
        .size:           8
        .value_kind:     global_buffer
      - .actual_access:  read_only
        .address_space:  global
        .offset:         48
        .size:           8
        .value_kind:     global_buffer
      - .offset:         56
        .size:           4
        .value_kind:     by_value
      - .actual_access:  read_only
        .address_space:  global
        .offset:         64
        .size:           8
        .value_kind:     global_buffer
      - .offset:         72
        .size:           4
        .value_kind:     by_value
      - .offset:         76
        .size:           4
        .value_kind:     by_value
      - .offset:         80
        .size:           4
        .value_kind:     by_value
      - .address_space:  global
        .offset:         88
        .size:           8
        .value_kind:     global_buffer
      - .address_space:  global
        .offset:         96
        .size:           8
        .value_kind:     global_buffer
      - .offset:         104
        .size:           4
        .value_kind:     by_value
      - .offset:         108
        .size:           4
        .value_kind:     by_value
      - .offset:         112
        .size:           4
        .value_kind:     by_value
      - .offset:         116
        .size:           4
        .value_kind:     by_value
      - .offset:         120
        .size:           4
        .value_kind:     by_value
      - .offset:         128
        .size:           4
        .value_kind:     hidden_block_count_x
      - .offset:         132
        .size:           4
        .value_kind:     hidden_block_count_y
      - .offset:         136
        .size:           4
        .value_kind:     hidden_block_count_z
      - .offset:         140
        .size:           2
        .value_kind:     hidden_group_size_x
      - .offset:         142
        .size:           2
        .value_kind:     hidden_group_size_y
      - .offset:         144
        .size:           2
        .value_kind:     hidden_group_size_z
      - .offset:         146
        .size:           2
        .value_kind:     hidden_remainder_x
      - .offset:         148
        .size:           2
        .value_kind:     hidden_remainder_y
      - .offset:         150
        .size:           2
        .value_kind:     hidden_remainder_z
      - .offset:         168
        .size:           8
        .value_kind:     hidden_global_offset_x
      - .offset:         176
        .size:           8
        .value_kind:     hidden_global_offset_y
      - .offset:         184
        .size:           8
        .value_kind:     hidden_global_offset_z
      - .offset:         192
        .size:           2
        .value_kind:     hidden_grid_dims
      - .offset:         248
        .size:           4
        .value_kind:     hidden_dynamic_lds_size
    .group_segment_fixed_size: 256
    .kernarg_segment_align: 8
    .kernarg_segment_size: 384
    .language:       OpenCL C
    .language_version:
      - 2
      - 0
    .max_flat_workgroup_size: 1024
    .name:           _ZN4vllm25paged_attention_v1_kernelIthLi120ELi32ELi128ELNS_18Fp8KVCacheDataTypeE1ELb0EEEvPT_PKS2_PKT0_S8_ifPKiSA_iPKfiiiSC_SC_iiiii
    .private_segment_fixed_size: 0
    .sgpr_count:     52
    .sgpr_spill_count: 0
    .symbol:         _ZN4vllm25paged_attention_v1_kernelIthLi120ELi32ELi128ELNS_18Fp8KVCacheDataTypeE1ELb0EEEvPT_PKS2_PKT0_S8_ifPKiSA_iPKfiiiSC_SC_iiiii.kd
    .uniform_work_group_size: 1
    .uses_dynamic_stack: false
    .vgpr_count:     88
    .vgpr_spill_count: 0
    .wavefront_size: 64
  - .agpr_count:     0
    .args:
      - .actual_access:  write_only
        .address_space:  global
        .offset:         0
        .size:           8
        .value_kind:     global_buffer
      - .actual_access:  read_only
        .address_space:  global
        .offset:         8
        .size:           8
        .value_kind:     global_buffer
      - .actual_access:  read_only
        .address_space:  global
        .offset:         16
        .size:           8
        .value_kind:     global_buffer
      - .actual_access:  read_only
        .address_space:  global
        .offset:         24
        .size:           8
        .value_kind:     global_buffer
      - .offset:         32
        .size:           4
        .value_kind:     by_value
      - .offset:         36
        .size:           4
        .value_kind:     by_value
      - .actual_access:  read_only
        .address_space:  global
        .offset:         40
        .size:           8
        .value_kind:     global_buffer
      - .actual_access:  read_only
        .address_space:  global
        .offset:         48
        .size:           8
        .value_kind:     global_buffer
      - .offset:         56
        .size:           4
        .value_kind:     by_value
      - .actual_access:  read_only
        .address_space:  global
        .offset:         64
        .size:           8
        .value_kind:     global_buffer
      - .offset:         72
        .size:           4
        .value_kind:     by_value
      - .offset:         76
        .size:           4
        .value_kind:     by_value
      - .offset:         80
        .size:           4
        .value_kind:     by_value
      - .address_space:  global
        .offset:         88
        .size:           8
        .value_kind:     global_buffer
      - .address_space:  global
        .offset:         96
        .size:           8
        .value_kind:     global_buffer
      - .offset:         104
        .size:           4
        .value_kind:     by_value
      - .offset:         108
        .size:           4
        .value_kind:     by_value
      - .offset:         112
        .size:           4
        .value_kind:     by_value
      - .offset:         116
        .size:           4
        .value_kind:     by_value
      - .offset:         120
        .size:           4
        .value_kind:     by_value
      - .offset:         128
        .size:           4
        .value_kind:     hidden_block_count_x
      - .offset:         132
        .size:           4
        .value_kind:     hidden_block_count_y
      - .offset:         136
        .size:           4
        .value_kind:     hidden_block_count_z
      - .offset:         140
        .size:           2
        .value_kind:     hidden_group_size_x
      - .offset:         142
        .size:           2
        .value_kind:     hidden_group_size_y
      - .offset:         144
        .size:           2
        .value_kind:     hidden_group_size_z
      - .offset:         146
        .size:           2
        .value_kind:     hidden_remainder_x
      - .offset:         148
        .size:           2
        .value_kind:     hidden_remainder_y
      - .offset:         150
        .size:           2
        .value_kind:     hidden_remainder_z
      - .offset:         168
        .size:           8
        .value_kind:     hidden_global_offset_x
      - .offset:         176
        .size:           8
        .value_kind:     hidden_global_offset_y
      - .offset:         184
        .size:           8
        .value_kind:     hidden_global_offset_z
      - .offset:         192
        .size:           2
        .value_kind:     hidden_grid_dims
      - .offset:         248
        .size:           4
        .value_kind:     hidden_dynamic_lds_size
    .group_segment_fixed_size: 272
    .kernarg_segment_align: 8
    .kernarg_segment_size: 384
    .language:       OpenCL C
    .language_version:
      - 2
      - 0
    .max_flat_workgroup_size: 1024
    .name:           _ZN4vllm25paged_attention_v1_kernelIthLi128ELi32ELi128ELNS_18Fp8KVCacheDataTypeE1ELb0EEEvPT_PKS2_PKT0_S8_ifPKiSA_iPKfiiiSC_SC_iiiii
    .private_segment_fixed_size: 0
    .sgpr_count:     52
    .sgpr_spill_count: 0
    .symbol:         _ZN4vllm25paged_attention_v1_kernelIthLi128ELi32ELi128ELNS_18Fp8KVCacheDataTypeE1ELb0EEEvPT_PKS2_PKT0_S8_ifPKiSA_iPKfiiiSC_SC_iiiii.kd
    .uniform_work_group_size: 1
    .uses_dynamic_stack: false
    .vgpr_count:     92
    .vgpr_spill_count: 0
    .wavefront_size: 64
  - .agpr_count:     0
    .args:
      - .actual_access:  write_only
        .address_space:  global
        .offset:         0
        .size:           8
        .value_kind:     global_buffer
      - .actual_access:  read_only
        .address_space:  global
        .offset:         8
        .size:           8
        .value_kind:     global_buffer
      - .actual_access:  read_only
        .address_space:  global
        .offset:         16
        .size:           8
        .value_kind:     global_buffer
      - .actual_access:  read_only
        .address_space:  global
        .offset:         24
        .size:           8
        .value_kind:     global_buffer
      - .offset:         32
        .size:           4
        .value_kind:     by_value
      - .offset:         36
        .size:           4
        .value_kind:     by_value
      - .actual_access:  read_only
        .address_space:  global
        .offset:         40
        .size:           8
        .value_kind:     global_buffer
      - .actual_access:  read_only
        .address_space:  global
        .offset:         48
        .size:           8
        .value_kind:     global_buffer
      - .offset:         56
        .size:           4
        .value_kind:     by_value
      - .actual_access:  read_only
        .address_space:  global
        .offset:         64
        .size:           8
        .value_kind:     global_buffer
      - .offset:         72
        .size:           4
        .value_kind:     by_value
      - .offset:         76
        .size:           4
        .value_kind:     by_value
      - .offset:         80
        .size:           4
        .value_kind:     by_value
      - .address_space:  global
        .offset:         88
        .size:           8
        .value_kind:     global_buffer
      - .address_space:  global
        .offset:         96
        .size:           8
        .value_kind:     global_buffer
      - .offset:         104
        .size:           4
        .value_kind:     by_value
      - .offset:         108
        .size:           4
        .value_kind:     by_value
      - .offset:         112
        .size:           4
        .value_kind:     by_value
      - .offset:         116
        .size:           4
        .value_kind:     by_value
      - .offset:         120
        .size:           4
        .value_kind:     by_value
      - .offset:         128
        .size:           4
        .value_kind:     hidden_block_count_x
      - .offset:         132
        .size:           4
        .value_kind:     hidden_block_count_y
      - .offset:         136
        .size:           4
        .value_kind:     hidden_block_count_z
      - .offset:         140
        .size:           2
        .value_kind:     hidden_group_size_x
      - .offset:         142
        .size:           2
        .value_kind:     hidden_group_size_y
      - .offset:         144
        .size:           2
        .value_kind:     hidden_group_size_z
      - .offset:         146
        .size:           2
        .value_kind:     hidden_remainder_x
      - .offset:         148
        .size:           2
        .value_kind:     hidden_remainder_y
      - .offset:         150
        .size:           2
        .value_kind:     hidden_remainder_z
      - .offset:         168
        .size:           8
        .value_kind:     hidden_global_offset_x
      - .offset:         176
        .size:           8
        .value_kind:     hidden_global_offset_y
      - .offset:         184
        .size:           8
        .value_kind:     hidden_global_offset_z
      - .offset:         192
        .size:           2
        .value_kind:     hidden_grid_dims
      - .offset:         248
        .size:           4
        .value_kind:     hidden_dynamic_lds_size
    .group_segment_fixed_size: 400
    .kernarg_segment_align: 8
    .kernarg_segment_size: 384
    .language:       OpenCL C
    .language_version:
      - 2
      - 0
    .max_flat_workgroup_size: 1024
    .name:           _ZN4vllm25paged_attention_v1_kernelIthLi192ELi32ELi128ELNS_18Fp8KVCacheDataTypeE1ELb0EEEvPT_PKS2_PKT0_S8_ifPKiSA_iPKfiiiSC_SC_iiiii
    .private_segment_fixed_size: 0
    .sgpr_count:     60
    .sgpr_spill_count: 0
    .symbol:         _ZN4vllm25paged_attention_v1_kernelIthLi192ELi32ELi128ELNS_18Fp8KVCacheDataTypeE1ELb0EEEvPT_PKS2_PKT0_S8_ifPKiSA_iPKfiiiSC_SC_iiiii.kd
    .uniform_work_group_size: 1
    .uses_dynamic_stack: false
    .vgpr_count:     128
    .vgpr_spill_count: 0
    .wavefront_size: 64
  - .agpr_count:     0
    .args:
      - .address_space:  global
        .offset:         0
        .size:           8
        .value_kind:     global_buffer
      - .address_space:  global
        .offset:         8
        .size:           8
        .value_kind:     global_buffer
      - .address_space:  global
        .offset:         16
        .size:           8
        .value_kind:     global_buffer
      - .address_space:  global
        .offset:         24
        .size:           8
        .value_kind:     global_buffer
      - .offset:         32
        .size:           4
        .value_kind:     by_value
      - .offset:         36
        .size:           4
        .value_kind:     by_value
      - .address_space:  global
        .offset:         40
        .size:           8
        .value_kind:     global_buffer
      - .address_space:  global
        .offset:         48
        .size:           8
        .value_kind:     global_buffer
      - .offset:         56
        .size:           4
        .value_kind:     by_value
      - .address_space:  global
        .offset:         64
        .size:           8
        .value_kind:     global_buffer
      - .offset:         72
        .size:           4
        .value_kind:     by_value
      - .offset:         76
        .size:           4
        .value_kind:     by_value
      - .offset:         80
        .size:           4
        .value_kind:     by_value
      - .address_space:  global
        .offset:         88
        .size:           8
        .value_kind:     global_buffer
      - .address_space:  global
        .offset:         96
        .size:           8
        .value_kind:     global_buffer
      - .offset:         104
        .size:           4
        .value_kind:     by_value
      - .offset:         108
        .size:           4
        .value_kind:     by_value
      - .offset:         112
        .size:           4
        .value_kind:     by_value
      - .offset:         116
        .size:           4
        .value_kind:     by_value
      - .offset:         120
        .size:           4
        .value_kind:     by_value
      - .offset:         128
        .size:           4
        .value_kind:     hidden_block_count_x
      - .offset:         132
        .size:           4
        .value_kind:     hidden_block_count_y
      - .offset:         136
        .size:           4
        .value_kind:     hidden_block_count_z
      - .offset:         140
        .size:           2
        .value_kind:     hidden_group_size_x
      - .offset:         142
        .size:           2
        .value_kind:     hidden_group_size_y
      - .offset:         144
        .size:           2
        .value_kind:     hidden_group_size_z
      - .offset:         146
        .size:           2
        .value_kind:     hidden_remainder_x
      - .offset:         148
        .size:           2
        .value_kind:     hidden_remainder_y
      - .offset:         150
        .size:           2
        .value_kind:     hidden_remainder_z
      - .offset:         168
        .size:           8
        .value_kind:     hidden_global_offset_x
      - .offset:         176
        .size:           8
        .value_kind:     hidden_global_offset_y
      - .offset:         184
        .size:           8
        .value_kind:     hidden_global_offset_z
      - .offset:         192
        .size:           2
        .value_kind:     hidden_grid_dims
      - .offset:         248
        .size:           4
        .value_kind:     hidden_dynamic_lds_size
    .group_segment_fixed_size: 528
    .kernarg_segment_align: 8
    .kernarg_segment_size: 384
    .language:       OpenCL C
    .language_version:
      - 2
      - 0
    .max_flat_workgroup_size: 1024
    .name:           _ZN4vllm25paged_attention_v1_kernelIthLi256ELi32ELi128ELNS_18Fp8KVCacheDataTypeE1ELb0EEEvPT_PKS2_PKT0_S8_ifPKiSA_iPKfiiiSC_SC_iiiii
    .private_segment_fixed_size: 456
    .sgpr_count:     79
    .sgpr_spill_count: 0
    .symbol:         _ZN4vllm25paged_attention_v1_kernelIthLi256ELi32ELi128ELNS_18Fp8KVCacheDataTypeE1ELb0EEEvPT_PKS2_PKT0_S8_ifPKiSA_iPKfiiiSC_SC_iiiii.kd
    .uniform_work_group_size: 1
    .uses_dynamic_stack: false
    .vgpr_count:     128
    .vgpr_spill_count: 0
    .wavefront_size: 64
  - .agpr_count:     0
    .args:
      - .actual_access:  write_only
        .address_space:  global
        .offset:         0
        .size:           8
        .value_kind:     global_buffer
      - .actual_access:  read_only
        .address_space:  global
        .offset:         8
        .size:           8
        .value_kind:     global_buffer
      - .actual_access:  read_only
        .address_space:  global
        .offset:         16
        .size:           8
        .value_kind:     global_buffer
      - .actual_access:  read_only
        .address_space:  global
        .offset:         24
        .size:           8
        .value_kind:     global_buffer
      - .offset:         32
        .size:           4
        .value_kind:     by_value
      - .offset:         36
        .size:           4
        .value_kind:     by_value
      - .actual_access:  read_only
        .address_space:  global
        .offset:         40
        .size:           8
        .value_kind:     global_buffer
      - .actual_access:  read_only
        .address_space:  global
        .offset:         48
        .size:           8
        .value_kind:     global_buffer
      - .offset:         56
        .size:           4
        .value_kind:     by_value
      - .actual_access:  read_only
        .address_space:  global
        .offset:         64
        .size:           8
        .value_kind:     global_buffer
      - .offset:         72
        .size:           4
        .value_kind:     by_value
      - .offset:         76
        .size:           4
        .value_kind:     by_value
      - .offset:         80
        .size:           4
        .value_kind:     by_value
      - .address_space:  global
        .offset:         88
        .size:           8
        .value_kind:     global_buffer
      - .address_space:  global
        .offset:         96
        .size:           8
        .value_kind:     global_buffer
      - .offset:         104
        .size:           4
        .value_kind:     by_value
      - .offset:         108
        .size:           4
        .value_kind:     by_value
      - .offset:         112
        .size:           4
        .value_kind:     by_value
      - .offset:         116
        .size:           4
        .value_kind:     by_value
      - .offset:         120
        .size:           4
        .value_kind:     by_value
      - .offset:         128
        .size:           4
        .value_kind:     hidden_block_count_x
      - .offset:         132
        .size:           4
        .value_kind:     hidden_block_count_y
      - .offset:         136
        .size:           4
        .value_kind:     hidden_block_count_z
      - .offset:         140
        .size:           2
        .value_kind:     hidden_group_size_x
      - .offset:         142
        .size:           2
        .value_kind:     hidden_group_size_y
      - .offset:         144
        .size:           2
        .value_kind:     hidden_group_size_z
      - .offset:         146
        .size:           2
        .value_kind:     hidden_remainder_x
      - .offset:         148
        .size:           2
        .value_kind:     hidden_remainder_y
      - .offset:         150
        .size:           2
        .value_kind:     hidden_remainder_z
      - .offset:         168
        .size:           8
        .value_kind:     hidden_global_offset_x
      - .offset:         176
        .size:           8
        .value_kind:     hidden_global_offset_y
      - .offset:         184
        .size:           8
        .value_kind:     hidden_global_offset_z
      - .offset:         192
        .size:           2
        .value_kind:     hidden_grid_dims
      - .offset:         248
        .size:           4
        .value_kind:     hidden_dynamic_lds_size
    .group_segment_fixed_size: 80
    .kernarg_segment_align: 8
    .kernarg_segment_size: 384
    .language:       OpenCL C
    .language_version:
      - 2
      - 0
    .max_flat_workgroup_size: 1024
    .name:           _ZN4vllm25paged_attention_v1_kernelI14__hip_bfloat16hLi32ELi8ELi128ELNS_18Fp8KVCacheDataTypeE1ELb1EEEvPT_PKS3_PKT0_S9_ifPKiSB_iPKfiiiSD_SD_iiiii
    .private_segment_fixed_size: 0
    .sgpr_count:     54
    .sgpr_spill_count: 0
    .symbol:         _ZN4vllm25paged_attention_v1_kernelI14__hip_bfloat16hLi32ELi8ELi128ELNS_18Fp8KVCacheDataTypeE1ELb1EEEvPT_PKS3_PKT0_S9_ifPKiSB_iPKfiiiSD_SD_iiiii.kd
    .uniform_work_group_size: 1
    .uses_dynamic_stack: false
    .vgpr_count:     32
    .vgpr_spill_count: 0
    .wavefront_size: 64
  - .agpr_count:     0
    .args:
      - .actual_access:  write_only
        .address_space:  global
        .offset:         0
        .size:           8
        .value_kind:     global_buffer
      - .actual_access:  read_only
        .address_space:  global
        .offset:         8
        .size:           8
        .value_kind:     global_buffer
      - .actual_access:  read_only
        .address_space:  global
        .offset:         16
        .size:           8
        .value_kind:     global_buffer
      - .actual_access:  read_only
        .address_space:  global
        .offset:         24
        .size:           8
        .value_kind:     global_buffer
      - .offset:         32
        .size:           4
        .value_kind:     by_value
      - .offset:         36
        .size:           4
        .value_kind:     by_value
      - .actual_access:  read_only
        .address_space:  global
        .offset:         40
        .size:           8
        .value_kind:     global_buffer
      - .actual_access:  read_only
        .address_space:  global
        .offset:         48
        .size:           8
        .value_kind:     global_buffer
      - .offset:         56
        .size:           4
        .value_kind:     by_value
      - .actual_access:  read_only
        .address_space:  global
        .offset:         64
        .size:           8
        .value_kind:     global_buffer
      - .offset:         72
        .size:           4
        .value_kind:     by_value
      - .offset:         76
        .size:           4
        .value_kind:     by_value
      - .offset:         80
        .size:           4
        .value_kind:     by_value
      - .address_space:  global
        .offset:         88
        .size:           8
        .value_kind:     global_buffer
      - .address_space:  global
        .offset:         96
        .size:           8
        .value_kind:     global_buffer
      - .offset:         104
        .size:           4
        .value_kind:     by_value
      - .offset:         108
        .size:           4
        .value_kind:     by_value
      - .offset:         112
        .size:           4
        .value_kind:     by_value
      - .offset:         116
        .size:           4
        .value_kind:     by_value
      - .offset:         120
        .size:           4
        .value_kind:     by_value
      - .offset:         128
        .size:           4
        .value_kind:     hidden_block_count_x
      - .offset:         132
        .size:           4
        .value_kind:     hidden_block_count_y
      - .offset:         136
        .size:           4
        .value_kind:     hidden_block_count_z
      - .offset:         140
        .size:           2
        .value_kind:     hidden_group_size_x
      - .offset:         142
        .size:           2
        .value_kind:     hidden_group_size_y
      - .offset:         144
        .size:           2
        .value_kind:     hidden_group_size_z
      - .offset:         146
        .size:           2
        .value_kind:     hidden_remainder_x
      - .offset:         148
        .size:           2
        .value_kind:     hidden_remainder_y
      - .offset:         150
        .size:           2
        .value_kind:     hidden_remainder_z
      - .offset:         168
        .size:           8
        .value_kind:     hidden_global_offset_x
      - .offset:         176
        .size:           8
        .value_kind:     hidden_global_offset_y
      - .offset:         184
        .size:           8
        .value_kind:     hidden_global_offset_z
      - .offset:         192
        .size:           2
        .value_kind:     hidden_grid_dims
      - .offset:         248
        .size:           4
        .value_kind:     hidden_dynamic_lds_size
    .group_segment_fixed_size: 144
    .kernarg_segment_align: 8
    .kernarg_segment_size: 384
    .language:       OpenCL C
    .language_version:
      - 2
      - 0
    .max_flat_workgroup_size: 1024
    .name:           _ZN4vllm25paged_attention_v1_kernelI14__hip_bfloat16hLi64ELi8ELi128ELNS_18Fp8KVCacheDataTypeE1ELb1EEEvPT_PKS3_PKT0_S9_ifPKiSB_iPKfiiiSD_SD_iiiii
    .private_segment_fixed_size: 0
    .sgpr_count:     56
    .sgpr_spill_count: 0
    .symbol:         _ZN4vllm25paged_attention_v1_kernelI14__hip_bfloat16hLi64ELi8ELi128ELNS_18Fp8KVCacheDataTypeE1ELb1EEEvPT_PKS3_PKT0_S9_ifPKiSB_iPKfiiiSD_SD_iiiii.kd
    .uniform_work_group_size: 1
    .uses_dynamic_stack: false
    .vgpr_count:     40
    .vgpr_spill_count: 0
    .wavefront_size: 64
  - .agpr_count:     0
    .args:
      - .actual_access:  write_only
        .address_space:  global
        .offset:         0
        .size:           8
        .value_kind:     global_buffer
      - .actual_access:  read_only
        .address_space:  global
        .offset:         8
        .size:           8
        .value_kind:     global_buffer
      - .actual_access:  read_only
        .address_space:  global
        .offset:         16
        .size:           8
        .value_kind:     global_buffer
      - .actual_access:  read_only
        .address_space:  global
        .offset:         24
        .size:           8
        .value_kind:     global_buffer
      - .offset:         32
        .size:           4
        .value_kind:     by_value
      - .offset:         36
        .size:           4
        .value_kind:     by_value
      - .actual_access:  read_only
        .address_space:  global
        .offset:         40
        .size:           8
        .value_kind:     global_buffer
      - .actual_access:  read_only
        .address_space:  global
        .offset:         48
        .size:           8
        .value_kind:     global_buffer
      - .offset:         56
        .size:           4
        .value_kind:     by_value
      - .actual_access:  read_only
        .address_space:  global
        .offset:         64
        .size:           8
        .value_kind:     global_buffer
      - .offset:         72
        .size:           4
        .value_kind:     by_value
      - .offset:         76
        .size:           4
        .value_kind:     by_value
      - .offset:         80
        .size:           4
        .value_kind:     by_value
      - .address_space:  global
        .offset:         88
        .size:           8
        .value_kind:     global_buffer
      - .address_space:  global
        .offset:         96
        .size:           8
        .value_kind:     global_buffer
      - .offset:         104
        .size:           4
        .value_kind:     by_value
      - .offset:         108
        .size:           4
        .value_kind:     by_value
      - .offset:         112
        .size:           4
        .value_kind:     by_value
      - .offset:         116
        .size:           4
        .value_kind:     by_value
      - .offset:         120
        .size:           4
        .value_kind:     by_value
      - .offset:         128
        .size:           4
        .value_kind:     hidden_block_count_x
      - .offset:         132
        .size:           4
        .value_kind:     hidden_block_count_y
      - .offset:         136
        .size:           4
        .value_kind:     hidden_block_count_z
      - .offset:         140
        .size:           2
        .value_kind:     hidden_group_size_x
      - .offset:         142
        .size:           2
        .value_kind:     hidden_group_size_y
      - .offset:         144
        .size:           2
        .value_kind:     hidden_group_size_z
      - .offset:         146
        .size:           2
        .value_kind:     hidden_remainder_x
      - .offset:         148
        .size:           2
        .value_kind:     hidden_remainder_y
      - .offset:         150
        .size:           2
        .value_kind:     hidden_remainder_z
      - .offset:         168
        .size:           8
        .value_kind:     hidden_global_offset_x
      - .offset:         176
        .size:           8
        .value_kind:     hidden_global_offset_y
      - .offset:         184
        .size:           8
        .value_kind:     hidden_global_offset_z
      - .offset:         192
        .size:           2
        .value_kind:     hidden_grid_dims
      - .offset:         248
        .size:           4
        .value_kind:     hidden_dynamic_lds_size
    .group_segment_fixed_size: 176
    .kernarg_segment_align: 8
    .kernarg_segment_size: 384
    .language:       OpenCL C
    .language_version:
      - 2
      - 0
    .max_flat_workgroup_size: 1024
    .name:           _ZN4vllm25paged_attention_v1_kernelI14__hip_bfloat16hLi80ELi8ELi128ELNS_18Fp8KVCacheDataTypeE1ELb1EEEvPT_PKS3_PKT0_S9_ifPKiSB_iPKfiiiSD_SD_iiiii
    .private_segment_fixed_size: 0
    .sgpr_count:     56
    .sgpr_spill_count: 0
    .symbol:         _ZN4vllm25paged_attention_v1_kernelI14__hip_bfloat16hLi80ELi8ELi128ELNS_18Fp8KVCacheDataTypeE1ELb1EEEvPT_PKS3_PKT0_S9_ifPKiSB_iPKfiiiSD_SD_iiiii.kd
    .uniform_work_group_size: 1
    .uses_dynamic_stack: false
    .vgpr_count:     45
    .vgpr_spill_count: 0
    .wavefront_size: 64
  - .agpr_count:     0
    .args:
      - .actual_access:  write_only
        .address_space:  global
        .offset:         0
        .size:           8
        .value_kind:     global_buffer
      - .actual_access:  read_only
        .address_space:  global
        .offset:         8
        .size:           8
        .value_kind:     global_buffer
      - .actual_access:  read_only
        .address_space:  global
        .offset:         16
        .size:           8
        .value_kind:     global_buffer
      - .actual_access:  read_only
        .address_space:  global
        .offset:         24
        .size:           8
        .value_kind:     global_buffer
      - .offset:         32
        .size:           4
        .value_kind:     by_value
      - .offset:         36
        .size:           4
        .value_kind:     by_value
      - .actual_access:  read_only
        .address_space:  global
        .offset:         40
        .size:           8
        .value_kind:     global_buffer
      - .actual_access:  read_only
        .address_space:  global
        .offset:         48
        .size:           8
        .value_kind:     global_buffer
      - .offset:         56
        .size:           4
        .value_kind:     by_value
      - .actual_access:  read_only
        .address_space:  global
        .offset:         64
        .size:           8
        .value_kind:     global_buffer
      - .offset:         72
        .size:           4
        .value_kind:     by_value
      - .offset:         76
        .size:           4
        .value_kind:     by_value
      - .offset:         80
        .size:           4
        .value_kind:     by_value
      - .address_space:  global
        .offset:         88
        .size:           8
        .value_kind:     global_buffer
      - .address_space:  global
        .offset:         96
        .size:           8
        .value_kind:     global_buffer
      - .offset:         104
        .size:           4
        .value_kind:     by_value
      - .offset:         108
        .size:           4
        .value_kind:     by_value
      - .offset:         112
        .size:           4
        .value_kind:     by_value
      - .offset:         116
        .size:           4
        .value_kind:     by_value
      - .offset:         120
        .size:           4
        .value_kind:     by_value
      - .offset:         128
        .size:           4
        .value_kind:     hidden_block_count_x
      - .offset:         132
        .size:           4
        .value_kind:     hidden_block_count_y
      - .offset:         136
        .size:           4
        .value_kind:     hidden_block_count_z
      - .offset:         140
        .size:           2
        .value_kind:     hidden_group_size_x
      - .offset:         142
        .size:           2
        .value_kind:     hidden_group_size_y
      - .offset:         144
        .size:           2
        .value_kind:     hidden_group_size_z
      - .offset:         146
        .size:           2
        .value_kind:     hidden_remainder_x
      - .offset:         148
        .size:           2
        .value_kind:     hidden_remainder_y
      - .offset:         150
        .size:           2
        .value_kind:     hidden_remainder_z
      - .offset:         168
        .size:           8
        .value_kind:     hidden_global_offset_x
      - .offset:         176
        .size:           8
        .value_kind:     hidden_global_offset_y
      - .offset:         184
        .size:           8
        .value_kind:     hidden_global_offset_z
      - .offset:         192
        .size:           2
        .value_kind:     hidden_grid_dims
      - .offset:         248
        .size:           4
        .value_kind:     hidden_dynamic_lds_size
    .group_segment_fixed_size: 208
    .kernarg_segment_align: 8
    .kernarg_segment_size: 384
    .language:       OpenCL C
    .language_version:
      - 2
      - 0
    .max_flat_workgroup_size: 1024
    .name:           _ZN4vllm25paged_attention_v1_kernelI14__hip_bfloat16hLi96ELi8ELi128ELNS_18Fp8KVCacheDataTypeE1ELb1EEEvPT_PKS3_PKT0_S9_ifPKiSB_iPKfiiiSD_SD_iiiii
    .private_segment_fixed_size: 0
    .sgpr_count:     56
    .sgpr_spill_count: 0
    .symbol:         _ZN4vllm25paged_attention_v1_kernelI14__hip_bfloat16hLi96ELi8ELi128ELNS_18Fp8KVCacheDataTypeE1ELb1EEEvPT_PKS3_PKT0_S9_ifPKiSB_iPKfiiiSD_SD_iiiii.kd
    .uniform_work_group_size: 1
    .uses_dynamic_stack: false
    .vgpr_count:     49
    .vgpr_spill_count: 0
    .wavefront_size: 64
  - .agpr_count:     0
    .args:
      - .actual_access:  write_only
        .address_space:  global
        .offset:         0
        .size:           8
        .value_kind:     global_buffer
      - .actual_access:  read_only
        .address_space:  global
        .offset:         8
        .size:           8
        .value_kind:     global_buffer
      - .actual_access:  read_only
        .address_space:  global
        .offset:         16
        .size:           8
        .value_kind:     global_buffer
      - .actual_access:  read_only
        .address_space:  global
        .offset:         24
        .size:           8
        .value_kind:     global_buffer
      - .offset:         32
        .size:           4
        .value_kind:     by_value
      - .offset:         36
        .size:           4
        .value_kind:     by_value
      - .actual_access:  read_only
        .address_space:  global
        .offset:         40
        .size:           8
        .value_kind:     global_buffer
      - .actual_access:  read_only
        .address_space:  global
        .offset:         48
        .size:           8
        .value_kind:     global_buffer
      - .offset:         56
        .size:           4
        .value_kind:     by_value
      - .actual_access:  read_only
        .address_space:  global
        .offset:         64
        .size:           8
        .value_kind:     global_buffer
      - .offset:         72
        .size:           4
        .value_kind:     by_value
      - .offset:         76
        .size:           4
        .value_kind:     by_value
      - .offset:         80
        .size:           4
        .value_kind:     by_value
      - .address_space:  global
        .offset:         88
        .size:           8
        .value_kind:     global_buffer
      - .address_space:  global
        .offset:         96
        .size:           8
        .value_kind:     global_buffer
      - .offset:         104
        .size:           4
        .value_kind:     by_value
      - .offset:         108
        .size:           4
        .value_kind:     by_value
      - .offset:         112
        .size:           4
        .value_kind:     by_value
      - .offset:         116
        .size:           4
        .value_kind:     by_value
      - .offset:         120
        .size:           4
        .value_kind:     by_value
      - .offset:         128
        .size:           4
        .value_kind:     hidden_block_count_x
      - .offset:         132
        .size:           4
        .value_kind:     hidden_block_count_y
      - .offset:         136
        .size:           4
        .value_kind:     hidden_block_count_z
      - .offset:         140
        .size:           2
        .value_kind:     hidden_group_size_x
      - .offset:         142
        .size:           2
        .value_kind:     hidden_group_size_y
      - .offset:         144
        .size:           2
        .value_kind:     hidden_group_size_z
      - .offset:         146
        .size:           2
        .value_kind:     hidden_remainder_x
      - .offset:         148
        .size:           2
        .value_kind:     hidden_remainder_y
      - .offset:         150
        .size:           2
        .value_kind:     hidden_remainder_z
      - .offset:         168
        .size:           8
        .value_kind:     hidden_global_offset_x
      - .offset:         176
        .size:           8
        .value_kind:     hidden_global_offset_y
      - .offset:         184
        .size:           8
        .value_kind:     hidden_global_offset_z
      - .offset:         192
        .size:           2
        .value_kind:     hidden_grid_dims
      - .offset:         248
        .size:           4
        .value_kind:     hidden_dynamic_lds_size
    .group_segment_fixed_size: 240
    .kernarg_segment_align: 8
    .kernarg_segment_size: 384
    .language:       OpenCL C
    .language_version:
      - 2
      - 0
    .max_flat_workgroup_size: 1024
    .name:           _ZN4vllm25paged_attention_v1_kernelI14__hip_bfloat16hLi112ELi8ELi128ELNS_18Fp8KVCacheDataTypeE1ELb1EEEvPT_PKS3_PKT0_S9_ifPKiSB_iPKfiiiSD_SD_iiiii
    .private_segment_fixed_size: 0
    .sgpr_count:     56
    .sgpr_spill_count: 0
    .symbol:         _ZN4vllm25paged_attention_v1_kernelI14__hip_bfloat16hLi112ELi8ELi128ELNS_18Fp8KVCacheDataTypeE1ELb1EEEvPT_PKS3_PKT0_S9_ifPKiSB_iPKfiiiSD_SD_iiiii.kd
    .uniform_work_group_size: 1
    .uses_dynamic_stack: false
    .vgpr_count:     53
    .vgpr_spill_count: 0
    .wavefront_size: 64
  - .agpr_count:     0
    .args:
      - .actual_access:  write_only
        .address_space:  global
        .offset:         0
        .size:           8
        .value_kind:     global_buffer
      - .actual_access:  read_only
        .address_space:  global
        .offset:         8
        .size:           8
        .value_kind:     global_buffer
      - .actual_access:  read_only
        .address_space:  global
        .offset:         16
        .size:           8
        .value_kind:     global_buffer
      - .actual_access:  read_only
        .address_space:  global
        .offset:         24
        .size:           8
        .value_kind:     global_buffer
      - .offset:         32
        .size:           4
        .value_kind:     by_value
      - .offset:         36
        .size:           4
        .value_kind:     by_value
      - .actual_access:  read_only
        .address_space:  global
        .offset:         40
        .size:           8
        .value_kind:     global_buffer
      - .actual_access:  read_only
        .address_space:  global
        .offset:         48
        .size:           8
        .value_kind:     global_buffer
      - .offset:         56
        .size:           4
        .value_kind:     by_value
      - .actual_access:  read_only
        .address_space:  global
        .offset:         64
        .size:           8
        .value_kind:     global_buffer
      - .offset:         72
        .size:           4
        .value_kind:     by_value
      - .offset:         76
        .size:           4
        .value_kind:     by_value
      - .offset:         80
        .size:           4
        .value_kind:     by_value
      - .address_space:  global
        .offset:         88
        .size:           8
        .value_kind:     global_buffer
      - .address_space:  global
        .offset:         96
        .size:           8
        .value_kind:     global_buffer
      - .offset:         104
        .size:           4
        .value_kind:     by_value
      - .offset:         108
        .size:           4
        .value_kind:     by_value
      - .offset:         112
        .size:           4
        .value_kind:     by_value
      - .offset:         116
        .size:           4
        .value_kind:     by_value
      - .offset:         120
        .size:           4
        .value_kind:     by_value
      - .offset:         128
        .size:           4
        .value_kind:     hidden_block_count_x
      - .offset:         132
        .size:           4
        .value_kind:     hidden_block_count_y
      - .offset:         136
        .size:           4
        .value_kind:     hidden_block_count_z
      - .offset:         140
        .size:           2
        .value_kind:     hidden_group_size_x
      - .offset:         142
        .size:           2
        .value_kind:     hidden_group_size_y
      - .offset:         144
        .size:           2
        .value_kind:     hidden_group_size_z
      - .offset:         146
        .size:           2
        .value_kind:     hidden_remainder_x
      - .offset:         148
        .size:           2
        .value_kind:     hidden_remainder_y
      - .offset:         150
        .size:           2
        .value_kind:     hidden_remainder_z
      - .offset:         168
        .size:           8
        .value_kind:     hidden_global_offset_x
      - .offset:         176
        .size:           8
        .value_kind:     hidden_global_offset_y
      - .offset:         184
        .size:           8
        .value_kind:     hidden_global_offset_z
      - .offset:         192
        .size:           2
        .value_kind:     hidden_grid_dims
      - .offset:         248
        .size:           4
        .value_kind:     hidden_dynamic_lds_size
    .group_segment_fixed_size: 256
    .kernarg_segment_align: 8
    .kernarg_segment_size: 384
    .language:       OpenCL C
    .language_version:
      - 2
      - 0
    .max_flat_workgroup_size: 1024
    .name:           _ZN4vllm25paged_attention_v1_kernelI14__hip_bfloat16hLi120ELi8ELi128ELNS_18Fp8KVCacheDataTypeE1ELb1EEEvPT_PKS3_PKT0_S9_ifPKiSB_iPKfiiiSD_SD_iiiii
    .private_segment_fixed_size: 0
    .sgpr_count:     56
    .sgpr_spill_count: 0
    .symbol:         _ZN4vllm25paged_attention_v1_kernelI14__hip_bfloat16hLi120ELi8ELi128ELNS_18Fp8KVCacheDataTypeE1ELb1EEEvPT_PKS3_PKT0_S9_ifPKiSB_iPKfiiiSD_SD_iiiii.kd
    .uniform_work_group_size: 1
    .uses_dynamic_stack: false
    .vgpr_count:     55
    .vgpr_spill_count: 0
    .wavefront_size: 64
  - .agpr_count:     0
    .args:
      - .actual_access:  write_only
        .address_space:  global
        .offset:         0
        .size:           8
        .value_kind:     global_buffer
      - .actual_access:  read_only
        .address_space:  global
        .offset:         8
        .size:           8
        .value_kind:     global_buffer
      - .actual_access:  read_only
        .address_space:  global
        .offset:         16
        .size:           8
        .value_kind:     global_buffer
      - .actual_access:  read_only
        .address_space:  global
        .offset:         24
        .size:           8
        .value_kind:     global_buffer
      - .offset:         32
        .size:           4
        .value_kind:     by_value
      - .offset:         36
        .size:           4
        .value_kind:     by_value
      - .actual_access:  read_only
        .address_space:  global
        .offset:         40
        .size:           8
        .value_kind:     global_buffer
      - .actual_access:  read_only
        .address_space:  global
        .offset:         48
        .size:           8
        .value_kind:     global_buffer
      - .offset:         56
        .size:           4
        .value_kind:     by_value
      - .actual_access:  read_only
        .address_space:  global
        .offset:         64
        .size:           8
        .value_kind:     global_buffer
      - .offset:         72
        .size:           4
        .value_kind:     by_value
      - .offset:         76
        .size:           4
        .value_kind:     by_value
      - .offset:         80
        .size:           4
        .value_kind:     by_value
      - .address_space:  global
        .offset:         88
        .size:           8
        .value_kind:     global_buffer
      - .address_space:  global
        .offset:         96
        .size:           8
        .value_kind:     global_buffer
      - .offset:         104
        .size:           4
        .value_kind:     by_value
      - .offset:         108
        .size:           4
        .value_kind:     by_value
      - .offset:         112
        .size:           4
        .value_kind:     by_value
      - .offset:         116
        .size:           4
        .value_kind:     by_value
      - .offset:         120
        .size:           4
        .value_kind:     by_value
      - .offset:         128
        .size:           4
        .value_kind:     hidden_block_count_x
      - .offset:         132
        .size:           4
        .value_kind:     hidden_block_count_y
      - .offset:         136
        .size:           4
        .value_kind:     hidden_block_count_z
      - .offset:         140
        .size:           2
        .value_kind:     hidden_group_size_x
      - .offset:         142
        .size:           2
        .value_kind:     hidden_group_size_y
      - .offset:         144
        .size:           2
        .value_kind:     hidden_group_size_z
      - .offset:         146
        .size:           2
        .value_kind:     hidden_remainder_x
      - .offset:         148
        .size:           2
        .value_kind:     hidden_remainder_y
      - .offset:         150
        .size:           2
        .value_kind:     hidden_remainder_z
      - .offset:         168
        .size:           8
        .value_kind:     hidden_global_offset_x
      - .offset:         176
        .size:           8
        .value_kind:     hidden_global_offset_y
      - .offset:         184
        .size:           8
        .value_kind:     hidden_global_offset_z
      - .offset:         192
        .size:           2
        .value_kind:     hidden_grid_dims
      - .offset:         248
        .size:           4
        .value_kind:     hidden_dynamic_lds_size
    .group_segment_fixed_size: 272
    .kernarg_segment_align: 8
    .kernarg_segment_size: 384
    .language:       OpenCL C
    .language_version:
      - 2
      - 0
    .max_flat_workgroup_size: 1024
    .name:           _ZN4vllm25paged_attention_v1_kernelI14__hip_bfloat16hLi128ELi8ELi128ELNS_18Fp8KVCacheDataTypeE1ELb1EEEvPT_PKS3_PKT0_S9_ifPKiSB_iPKfiiiSD_SD_iiiii
    .private_segment_fixed_size: 0
    .sgpr_count:     54
    .sgpr_spill_count: 0
    .symbol:         _ZN4vllm25paged_attention_v1_kernelI14__hip_bfloat16hLi128ELi8ELi128ELNS_18Fp8KVCacheDataTypeE1ELb1EEEvPT_PKS3_PKT0_S9_ifPKiSB_iPKfiiiSD_SD_iiiii.kd
    .uniform_work_group_size: 1
    .uses_dynamic_stack: false
    .vgpr_count:     57
    .vgpr_spill_count: 0
    .wavefront_size: 64
  - .agpr_count:     0
    .args:
      - .actual_access:  write_only
        .address_space:  global
        .offset:         0
        .size:           8
        .value_kind:     global_buffer
      - .actual_access:  read_only
        .address_space:  global
        .offset:         8
        .size:           8
        .value_kind:     global_buffer
      - .actual_access:  read_only
        .address_space:  global
        .offset:         16
        .size:           8
        .value_kind:     global_buffer
      - .actual_access:  read_only
        .address_space:  global
        .offset:         24
        .size:           8
        .value_kind:     global_buffer
      - .offset:         32
        .size:           4
        .value_kind:     by_value
      - .offset:         36
        .size:           4
        .value_kind:     by_value
      - .actual_access:  read_only
        .address_space:  global
        .offset:         40
        .size:           8
        .value_kind:     global_buffer
      - .actual_access:  read_only
        .address_space:  global
        .offset:         48
        .size:           8
        .value_kind:     global_buffer
      - .offset:         56
        .size:           4
        .value_kind:     by_value
      - .actual_access:  read_only
        .address_space:  global
        .offset:         64
        .size:           8
        .value_kind:     global_buffer
      - .offset:         72
        .size:           4
        .value_kind:     by_value
      - .offset:         76
        .size:           4
        .value_kind:     by_value
      - .offset:         80
        .size:           4
        .value_kind:     by_value
      - .address_space:  global
        .offset:         88
        .size:           8
        .value_kind:     global_buffer
      - .address_space:  global
        .offset:         96
        .size:           8
        .value_kind:     global_buffer
      - .offset:         104
        .size:           4
        .value_kind:     by_value
      - .offset:         108
        .size:           4
        .value_kind:     by_value
      - .offset:         112
        .size:           4
        .value_kind:     by_value
      - .offset:         116
        .size:           4
        .value_kind:     by_value
      - .offset:         120
        .size:           4
        .value_kind:     by_value
      - .offset:         128
        .size:           4
        .value_kind:     hidden_block_count_x
      - .offset:         132
        .size:           4
        .value_kind:     hidden_block_count_y
      - .offset:         136
        .size:           4
        .value_kind:     hidden_block_count_z
      - .offset:         140
        .size:           2
        .value_kind:     hidden_group_size_x
      - .offset:         142
        .size:           2
        .value_kind:     hidden_group_size_y
      - .offset:         144
        .size:           2
        .value_kind:     hidden_group_size_z
      - .offset:         146
        .size:           2
        .value_kind:     hidden_remainder_x
      - .offset:         148
        .size:           2
        .value_kind:     hidden_remainder_y
      - .offset:         150
        .size:           2
        .value_kind:     hidden_remainder_z
      - .offset:         168
        .size:           8
        .value_kind:     hidden_global_offset_x
      - .offset:         176
        .size:           8
        .value_kind:     hidden_global_offset_y
      - .offset:         184
        .size:           8
        .value_kind:     hidden_global_offset_z
      - .offset:         192
        .size:           2
        .value_kind:     hidden_grid_dims
      - .offset:         248
        .size:           4
        .value_kind:     hidden_dynamic_lds_size
    .group_segment_fixed_size: 400
    .kernarg_segment_align: 8
    .kernarg_segment_size: 384
    .language:       OpenCL C
    .language_version:
      - 2
      - 0
    .max_flat_workgroup_size: 1024
    .name:           _ZN4vllm25paged_attention_v1_kernelI14__hip_bfloat16hLi192ELi8ELi128ELNS_18Fp8KVCacheDataTypeE1ELb1EEEvPT_PKS3_PKT0_S9_ifPKiSB_iPKfiiiSD_SD_iiiii
    .private_segment_fixed_size: 0
    .sgpr_count:     54
    .sgpr_spill_count: 0
    .symbol:         _ZN4vllm25paged_attention_v1_kernelI14__hip_bfloat16hLi192ELi8ELi128ELNS_18Fp8KVCacheDataTypeE1ELb1EEEvPT_PKS3_PKT0_S9_ifPKiSB_iPKfiiiSD_SD_iiiii.kd
    .uniform_work_group_size: 1
    .uses_dynamic_stack: false
    .vgpr_count:     73
    .vgpr_spill_count: 0
    .wavefront_size: 64
  - .agpr_count:     0
    .args:
      - .actual_access:  write_only
        .address_space:  global
        .offset:         0
        .size:           8
        .value_kind:     global_buffer
      - .actual_access:  read_only
        .address_space:  global
        .offset:         8
        .size:           8
        .value_kind:     global_buffer
      - .actual_access:  read_only
        .address_space:  global
        .offset:         16
        .size:           8
        .value_kind:     global_buffer
      - .actual_access:  read_only
        .address_space:  global
        .offset:         24
        .size:           8
        .value_kind:     global_buffer
      - .offset:         32
        .size:           4
        .value_kind:     by_value
      - .offset:         36
        .size:           4
        .value_kind:     by_value
      - .actual_access:  read_only
        .address_space:  global
        .offset:         40
        .size:           8
        .value_kind:     global_buffer
      - .actual_access:  read_only
        .address_space:  global
        .offset:         48
        .size:           8
        .value_kind:     global_buffer
      - .offset:         56
        .size:           4
        .value_kind:     by_value
      - .actual_access:  read_only
        .address_space:  global
        .offset:         64
        .size:           8
        .value_kind:     global_buffer
      - .offset:         72
        .size:           4
        .value_kind:     by_value
      - .offset:         76
        .size:           4
        .value_kind:     by_value
      - .offset:         80
        .size:           4
        .value_kind:     by_value
      - .address_space:  global
        .offset:         88
        .size:           8
        .value_kind:     global_buffer
      - .address_space:  global
        .offset:         96
        .size:           8
        .value_kind:     global_buffer
      - .offset:         104
        .size:           4
        .value_kind:     by_value
      - .offset:         108
        .size:           4
        .value_kind:     by_value
      - .offset:         112
        .size:           4
        .value_kind:     by_value
      - .offset:         116
        .size:           4
        .value_kind:     by_value
      - .offset:         120
        .size:           4
        .value_kind:     by_value
      - .offset:         128
        .size:           4
        .value_kind:     hidden_block_count_x
      - .offset:         132
        .size:           4
        .value_kind:     hidden_block_count_y
      - .offset:         136
        .size:           4
        .value_kind:     hidden_block_count_z
      - .offset:         140
        .size:           2
        .value_kind:     hidden_group_size_x
      - .offset:         142
        .size:           2
        .value_kind:     hidden_group_size_y
      - .offset:         144
        .size:           2
        .value_kind:     hidden_group_size_z
      - .offset:         146
        .size:           2
        .value_kind:     hidden_remainder_x
      - .offset:         148
        .size:           2
        .value_kind:     hidden_remainder_y
      - .offset:         150
        .size:           2
        .value_kind:     hidden_remainder_z
      - .offset:         168
        .size:           8
        .value_kind:     hidden_global_offset_x
      - .offset:         176
        .size:           8
        .value_kind:     hidden_global_offset_y
      - .offset:         184
        .size:           8
        .value_kind:     hidden_global_offset_z
      - .offset:         192
        .size:           2
        .value_kind:     hidden_grid_dims
      - .offset:         248
        .size:           4
        .value_kind:     hidden_dynamic_lds_size
    .group_segment_fixed_size: 528
    .kernarg_segment_align: 8
    .kernarg_segment_size: 384
    .language:       OpenCL C
    .language_version:
      - 2
      - 0
    .max_flat_workgroup_size: 1024
    .name:           _ZN4vllm25paged_attention_v1_kernelI14__hip_bfloat16hLi256ELi8ELi128ELNS_18Fp8KVCacheDataTypeE1ELb1EEEvPT_PKS3_PKT0_S9_ifPKiSB_iPKfiiiSD_SD_iiiii
    .private_segment_fixed_size: 0
    .sgpr_count:     54
    .sgpr_spill_count: 0
    .symbol:         _ZN4vllm25paged_attention_v1_kernelI14__hip_bfloat16hLi256ELi8ELi128ELNS_18Fp8KVCacheDataTypeE1ELb1EEEvPT_PKS3_PKT0_S9_ifPKiSB_iPKfiiiSD_SD_iiiii.kd
    .uniform_work_group_size: 1
    .uses_dynamic_stack: false
    .vgpr_count:     90
    .vgpr_spill_count: 0
    .wavefront_size: 64
  - .agpr_count:     0
    .args:
      - .actual_access:  write_only
        .address_space:  global
        .offset:         0
        .size:           8
        .value_kind:     global_buffer
      - .actual_access:  read_only
        .address_space:  global
        .offset:         8
        .size:           8
        .value_kind:     global_buffer
      - .actual_access:  read_only
        .address_space:  global
        .offset:         16
        .size:           8
        .value_kind:     global_buffer
      - .actual_access:  read_only
        .address_space:  global
        .offset:         24
        .size:           8
        .value_kind:     global_buffer
      - .offset:         32
        .size:           4
        .value_kind:     by_value
      - .offset:         36
        .size:           4
        .value_kind:     by_value
      - .actual_access:  read_only
        .address_space:  global
        .offset:         40
        .size:           8
        .value_kind:     global_buffer
      - .actual_access:  read_only
        .address_space:  global
        .offset:         48
        .size:           8
        .value_kind:     global_buffer
      - .offset:         56
        .size:           4
        .value_kind:     by_value
      - .actual_access:  read_only
        .address_space:  global
        .offset:         64
        .size:           8
        .value_kind:     global_buffer
      - .offset:         72
        .size:           4
        .value_kind:     by_value
      - .offset:         76
        .size:           4
        .value_kind:     by_value
      - .offset:         80
        .size:           4
        .value_kind:     by_value
      - .address_space:  global
        .offset:         88
        .size:           8
        .value_kind:     global_buffer
      - .address_space:  global
        .offset:         96
        .size:           8
        .value_kind:     global_buffer
      - .offset:         104
        .size:           4
        .value_kind:     by_value
      - .offset:         108
        .size:           4
        .value_kind:     by_value
      - .offset:         112
        .size:           4
        .value_kind:     by_value
      - .offset:         116
        .size:           4
        .value_kind:     by_value
      - .offset:         120
        .size:           4
        .value_kind:     by_value
      - .offset:         128
        .size:           4
        .value_kind:     hidden_block_count_x
      - .offset:         132
        .size:           4
        .value_kind:     hidden_block_count_y
      - .offset:         136
        .size:           4
        .value_kind:     hidden_block_count_z
      - .offset:         140
        .size:           2
        .value_kind:     hidden_group_size_x
      - .offset:         142
        .size:           2
        .value_kind:     hidden_group_size_y
      - .offset:         144
        .size:           2
        .value_kind:     hidden_group_size_z
      - .offset:         146
        .size:           2
        .value_kind:     hidden_remainder_x
      - .offset:         148
        .size:           2
        .value_kind:     hidden_remainder_y
      - .offset:         150
        .size:           2
        .value_kind:     hidden_remainder_z
      - .offset:         168
        .size:           8
        .value_kind:     hidden_global_offset_x
      - .offset:         176
        .size:           8
        .value_kind:     hidden_global_offset_y
      - .offset:         184
        .size:           8
        .value_kind:     hidden_global_offset_z
      - .offset:         192
        .size:           2
        .value_kind:     hidden_grid_dims
      - .offset:         248
        .size:           4
        .value_kind:     hidden_dynamic_lds_size
    .group_segment_fixed_size: 80
    .kernarg_segment_align: 8
    .kernarg_segment_size: 384
    .language:       OpenCL C
    .language_version:
      - 2
      - 0
    .max_flat_workgroup_size: 1024
    .name:           _ZN4vllm25paged_attention_v1_kernelI14__hip_bfloat16hLi32ELi8ELi128ELNS_18Fp8KVCacheDataTypeE1ELb0EEEvPT_PKS3_PKT0_S9_ifPKiSB_iPKfiiiSD_SD_iiiii
    .private_segment_fixed_size: 0
    .sgpr_count:     43
    .sgpr_spill_count: 0
    .symbol:         _ZN4vllm25paged_attention_v1_kernelI14__hip_bfloat16hLi32ELi8ELi128ELNS_18Fp8KVCacheDataTypeE1ELb0EEEvPT_PKS3_PKT0_S9_ifPKiSB_iPKfiiiSD_SD_iiiii.kd
    .uniform_work_group_size: 1
    .uses_dynamic_stack: false
    .vgpr_count:     29
    .vgpr_spill_count: 0
    .wavefront_size: 64
  - .agpr_count:     0
    .args:
      - .actual_access:  write_only
        .address_space:  global
        .offset:         0
        .size:           8
        .value_kind:     global_buffer
      - .actual_access:  read_only
        .address_space:  global
        .offset:         8
        .size:           8
        .value_kind:     global_buffer
      - .actual_access:  read_only
        .address_space:  global
        .offset:         16
        .size:           8
        .value_kind:     global_buffer
      - .actual_access:  read_only
        .address_space:  global
        .offset:         24
        .size:           8
        .value_kind:     global_buffer
      - .offset:         32
        .size:           4
        .value_kind:     by_value
      - .offset:         36
        .size:           4
        .value_kind:     by_value
      - .actual_access:  read_only
        .address_space:  global
        .offset:         40
        .size:           8
        .value_kind:     global_buffer
      - .actual_access:  read_only
        .address_space:  global
        .offset:         48
        .size:           8
        .value_kind:     global_buffer
      - .offset:         56
        .size:           4
        .value_kind:     by_value
      - .actual_access:  read_only
        .address_space:  global
        .offset:         64
        .size:           8
        .value_kind:     global_buffer
      - .offset:         72
        .size:           4
        .value_kind:     by_value
      - .offset:         76
        .size:           4
        .value_kind:     by_value
      - .offset:         80
        .size:           4
        .value_kind:     by_value
      - .address_space:  global
        .offset:         88
        .size:           8
        .value_kind:     global_buffer
      - .address_space:  global
        .offset:         96
        .size:           8
        .value_kind:     global_buffer
      - .offset:         104
        .size:           4
        .value_kind:     by_value
      - .offset:         108
        .size:           4
        .value_kind:     by_value
      - .offset:         112
        .size:           4
        .value_kind:     by_value
      - .offset:         116
        .size:           4
        .value_kind:     by_value
      - .offset:         120
        .size:           4
        .value_kind:     by_value
      - .offset:         128
        .size:           4
        .value_kind:     hidden_block_count_x
      - .offset:         132
        .size:           4
        .value_kind:     hidden_block_count_y
      - .offset:         136
        .size:           4
        .value_kind:     hidden_block_count_z
      - .offset:         140
        .size:           2
        .value_kind:     hidden_group_size_x
      - .offset:         142
        .size:           2
        .value_kind:     hidden_group_size_y
      - .offset:         144
        .size:           2
        .value_kind:     hidden_group_size_z
      - .offset:         146
        .size:           2
        .value_kind:     hidden_remainder_x
      - .offset:         148
        .size:           2
        .value_kind:     hidden_remainder_y
      - .offset:         150
        .size:           2
        .value_kind:     hidden_remainder_z
      - .offset:         168
        .size:           8
        .value_kind:     hidden_global_offset_x
      - .offset:         176
        .size:           8
        .value_kind:     hidden_global_offset_y
      - .offset:         184
        .size:           8
        .value_kind:     hidden_global_offset_z
      - .offset:         192
        .size:           2
        .value_kind:     hidden_grid_dims
      - .offset:         248
        .size:           4
        .value_kind:     hidden_dynamic_lds_size
    .group_segment_fixed_size: 144
    .kernarg_segment_align: 8
    .kernarg_segment_size: 384
    .language:       OpenCL C
    .language_version:
      - 2
      - 0
    .max_flat_workgroup_size: 1024
    .name:           _ZN4vllm25paged_attention_v1_kernelI14__hip_bfloat16hLi64ELi8ELi128ELNS_18Fp8KVCacheDataTypeE1ELb0EEEvPT_PKS3_PKT0_S9_ifPKiSB_iPKfiiiSD_SD_iiiii
    .private_segment_fixed_size: 0
    .sgpr_count:     45
    .sgpr_spill_count: 0
    .symbol:         _ZN4vllm25paged_attention_v1_kernelI14__hip_bfloat16hLi64ELi8ELi128ELNS_18Fp8KVCacheDataTypeE1ELb0EEEvPT_PKS3_PKT0_S9_ifPKiSB_iPKfiiiSD_SD_iiiii.kd
    .uniform_work_group_size: 1
    .uses_dynamic_stack: false
    .vgpr_count:     35
    .vgpr_spill_count: 0
    .wavefront_size: 64
  - .agpr_count:     0
    .args:
      - .actual_access:  write_only
        .address_space:  global
        .offset:         0
        .size:           8
        .value_kind:     global_buffer
      - .actual_access:  read_only
        .address_space:  global
        .offset:         8
        .size:           8
        .value_kind:     global_buffer
      - .actual_access:  read_only
        .address_space:  global
        .offset:         16
        .size:           8
        .value_kind:     global_buffer
      - .actual_access:  read_only
        .address_space:  global
        .offset:         24
        .size:           8
        .value_kind:     global_buffer
      - .offset:         32
        .size:           4
        .value_kind:     by_value
      - .offset:         36
        .size:           4
        .value_kind:     by_value
      - .actual_access:  read_only
        .address_space:  global
        .offset:         40
        .size:           8
        .value_kind:     global_buffer
      - .actual_access:  read_only
        .address_space:  global
        .offset:         48
        .size:           8
        .value_kind:     global_buffer
      - .offset:         56
        .size:           4
        .value_kind:     by_value
      - .actual_access:  read_only
        .address_space:  global
        .offset:         64
        .size:           8
        .value_kind:     global_buffer
      - .offset:         72
        .size:           4
        .value_kind:     by_value
      - .offset:         76
        .size:           4
        .value_kind:     by_value
      - .offset:         80
        .size:           4
        .value_kind:     by_value
      - .address_space:  global
        .offset:         88
        .size:           8
        .value_kind:     global_buffer
      - .address_space:  global
        .offset:         96
        .size:           8
        .value_kind:     global_buffer
      - .offset:         104
        .size:           4
        .value_kind:     by_value
      - .offset:         108
        .size:           4
        .value_kind:     by_value
      - .offset:         112
        .size:           4
        .value_kind:     by_value
      - .offset:         116
        .size:           4
        .value_kind:     by_value
      - .offset:         120
        .size:           4
        .value_kind:     by_value
      - .offset:         128
        .size:           4
        .value_kind:     hidden_block_count_x
      - .offset:         132
        .size:           4
        .value_kind:     hidden_block_count_y
      - .offset:         136
        .size:           4
        .value_kind:     hidden_block_count_z
      - .offset:         140
        .size:           2
        .value_kind:     hidden_group_size_x
      - .offset:         142
        .size:           2
        .value_kind:     hidden_group_size_y
      - .offset:         144
        .size:           2
        .value_kind:     hidden_group_size_z
      - .offset:         146
        .size:           2
        .value_kind:     hidden_remainder_x
      - .offset:         148
        .size:           2
        .value_kind:     hidden_remainder_y
      - .offset:         150
        .size:           2
        .value_kind:     hidden_remainder_z
      - .offset:         168
        .size:           8
        .value_kind:     hidden_global_offset_x
      - .offset:         176
        .size:           8
        .value_kind:     hidden_global_offset_y
      - .offset:         184
        .size:           8
        .value_kind:     hidden_global_offset_z
      - .offset:         192
        .size:           2
        .value_kind:     hidden_grid_dims
      - .offset:         248
        .size:           4
        .value_kind:     hidden_dynamic_lds_size
    .group_segment_fixed_size: 176
    .kernarg_segment_align: 8
    .kernarg_segment_size: 384
    .language:       OpenCL C
    .language_version:
      - 2
      - 0
    .max_flat_workgroup_size: 1024
    .name:           _ZN4vllm25paged_attention_v1_kernelI14__hip_bfloat16hLi80ELi8ELi128ELNS_18Fp8KVCacheDataTypeE1ELb0EEEvPT_PKS3_PKT0_S9_ifPKiSB_iPKfiiiSD_SD_iiiii
    .private_segment_fixed_size: 0
    .sgpr_count:     45
    .sgpr_spill_count: 0
    .symbol:         _ZN4vllm25paged_attention_v1_kernelI14__hip_bfloat16hLi80ELi8ELi128ELNS_18Fp8KVCacheDataTypeE1ELb0EEEvPT_PKS3_PKT0_S9_ifPKiSB_iPKfiiiSD_SD_iiiii.kd
    .uniform_work_group_size: 1
    .uses_dynamic_stack: false
    .vgpr_count:     43
    .vgpr_spill_count: 0
    .wavefront_size: 64
  - .agpr_count:     0
    .args:
      - .actual_access:  write_only
        .address_space:  global
        .offset:         0
        .size:           8
        .value_kind:     global_buffer
      - .actual_access:  read_only
        .address_space:  global
        .offset:         8
        .size:           8
        .value_kind:     global_buffer
      - .actual_access:  read_only
        .address_space:  global
        .offset:         16
        .size:           8
        .value_kind:     global_buffer
      - .actual_access:  read_only
        .address_space:  global
        .offset:         24
        .size:           8
        .value_kind:     global_buffer
      - .offset:         32
        .size:           4
        .value_kind:     by_value
      - .offset:         36
        .size:           4
        .value_kind:     by_value
      - .actual_access:  read_only
        .address_space:  global
        .offset:         40
        .size:           8
        .value_kind:     global_buffer
      - .actual_access:  read_only
        .address_space:  global
        .offset:         48
        .size:           8
        .value_kind:     global_buffer
      - .offset:         56
        .size:           4
        .value_kind:     by_value
      - .actual_access:  read_only
        .address_space:  global
        .offset:         64
        .size:           8
        .value_kind:     global_buffer
      - .offset:         72
        .size:           4
        .value_kind:     by_value
      - .offset:         76
        .size:           4
        .value_kind:     by_value
      - .offset:         80
        .size:           4
        .value_kind:     by_value
      - .address_space:  global
        .offset:         88
        .size:           8
        .value_kind:     global_buffer
      - .address_space:  global
        .offset:         96
        .size:           8
        .value_kind:     global_buffer
      - .offset:         104
        .size:           4
        .value_kind:     by_value
      - .offset:         108
        .size:           4
        .value_kind:     by_value
      - .offset:         112
        .size:           4
        .value_kind:     by_value
      - .offset:         116
        .size:           4
        .value_kind:     by_value
      - .offset:         120
        .size:           4
        .value_kind:     by_value
      - .offset:         128
        .size:           4
        .value_kind:     hidden_block_count_x
      - .offset:         132
        .size:           4
        .value_kind:     hidden_block_count_y
      - .offset:         136
        .size:           4
        .value_kind:     hidden_block_count_z
      - .offset:         140
        .size:           2
        .value_kind:     hidden_group_size_x
      - .offset:         142
        .size:           2
        .value_kind:     hidden_group_size_y
      - .offset:         144
        .size:           2
        .value_kind:     hidden_group_size_z
      - .offset:         146
        .size:           2
        .value_kind:     hidden_remainder_x
      - .offset:         148
        .size:           2
        .value_kind:     hidden_remainder_y
      - .offset:         150
        .size:           2
        .value_kind:     hidden_remainder_z
      - .offset:         168
        .size:           8
        .value_kind:     hidden_global_offset_x
      - .offset:         176
        .size:           8
        .value_kind:     hidden_global_offset_y
      - .offset:         184
        .size:           8
        .value_kind:     hidden_global_offset_z
      - .offset:         192
        .size:           2
        .value_kind:     hidden_grid_dims
      - .offset:         248
        .size:           4
        .value_kind:     hidden_dynamic_lds_size
    .group_segment_fixed_size: 208
    .kernarg_segment_align: 8
    .kernarg_segment_size: 384
    .language:       OpenCL C
    .language_version:
      - 2
      - 0
    .max_flat_workgroup_size: 1024
    .name:           _ZN4vllm25paged_attention_v1_kernelI14__hip_bfloat16hLi96ELi8ELi128ELNS_18Fp8KVCacheDataTypeE1ELb0EEEvPT_PKS3_PKT0_S9_ifPKiSB_iPKfiiiSD_SD_iiiii
    .private_segment_fixed_size: 0
    .sgpr_count:     45
    .sgpr_spill_count: 0
    .symbol:         _ZN4vllm25paged_attention_v1_kernelI14__hip_bfloat16hLi96ELi8ELi128ELNS_18Fp8KVCacheDataTypeE1ELb0EEEvPT_PKS3_PKT0_S9_ifPKiSB_iPKfiiiSD_SD_iiiii.kd
    .uniform_work_group_size: 1
    .uses_dynamic_stack: false
    .vgpr_count:     44
    .vgpr_spill_count: 0
    .wavefront_size: 64
  - .agpr_count:     0
    .args:
      - .actual_access:  write_only
        .address_space:  global
        .offset:         0
        .size:           8
        .value_kind:     global_buffer
      - .actual_access:  read_only
        .address_space:  global
        .offset:         8
        .size:           8
        .value_kind:     global_buffer
      - .actual_access:  read_only
        .address_space:  global
        .offset:         16
        .size:           8
        .value_kind:     global_buffer
      - .actual_access:  read_only
        .address_space:  global
        .offset:         24
        .size:           8
        .value_kind:     global_buffer
      - .offset:         32
        .size:           4
        .value_kind:     by_value
      - .offset:         36
        .size:           4
        .value_kind:     by_value
      - .actual_access:  read_only
        .address_space:  global
        .offset:         40
        .size:           8
        .value_kind:     global_buffer
      - .actual_access:  read_only
        .address_space:  global
        .offset:         48
        .size:           8
        .value_kind:     global_buffer
      - .offset:         56
        .size:           4
        .value_kind:     by_value
      - .actual_access:  read_only
        .address_space:  global
        .offset:         64
        .size:           8
        .value_kind:     global_buffer
      - .offset:         72
        .size:           4
        .value_kind:     by_value
      - .offset:         76
        .size:           4
        .value_kind:     by_value
      - .offset:         80
        .size:           4
        .value_kind:     by_value
      - .address_space:  global
        .offset:         88
        .size:           8
        .value_kind:     global_buffer
      - .address_space:  global
        .offset:         96
        .size:           8
        .value_kind:     global_buffer
      - .offset:         104
        .size:           4
        .value_kind:     by_value
      - .offset:         108
        .size:           4
        .value_kind:     by_value
      - .offset:         112
        .size:           4
        .value_kind:     by_value
      - .offset:         116
        .size:           4
        .value_kind:     by_value
      - .offset:         120
        .size:           4
        .value_kind:     by_value
      - .offset:         128
        .size:           4
        .value_kind:     hidden_block_count_x
      - .offset:         132
        .size:           4
        .value_kind:     hidden_block_count_y
      - .offset:         136
        .size:           4
        .value_kind:     hidden_block_count_z
      - .offset:         140
        .size:           2
        .value_kind:     hidden_group_size_x
      - .offset:         142
        .size:           2
        .value_kind:     hidden_group_size_y
      - .offset:         144
        .size:           2
        .value_kind:     hidden_group_size_z
      - .offset:         146
        .size:           2
        .value_kind:     hidden_remainder_x
      - .offset:         148
        .size:           2
        .value_kind:     hidden_remainder_y
      - .offset:         150
        .size:           2
        .value_kind:     hidden_remainder_z
      - .offset:         168
        .size:           8
        .value_kind:     hidden_global_offset_x
      - .offset:         176
        .size:           8
        .value_kind:     hidden_global_offset_y
      - .offset:         184
        .size:           8
        .value_kind:     hidden_global_offset_z
      - .offset:         192
        .size:           2
        .value_kind:     hidden_grid_dims
      - .offset:         248
        .size:           4
        .value_kind:     hidden_dynamic_lds_size
    .group_segment_fixed_size: 240
    .kernarg_segment_align: 8
    .kernarg_segment_size: 384
    .language:       OpenCL C
    .language_version:
      - 2
      - 0
    .max_flat_workgroup_size: 1024
    .name:           _ZN4vllm25paged_attention_v1_kernelI14__hip_bfloat16hLi112ELi8ELi128ELNS_18Fp8KVCacheDataTypeE1ELb0EEEvPT_PKS3_PKT0_S9_ifPKiSB_iPKfiiiSD_SD_iiiii
    .private_segment_fixed_size: 0
    .sgpr_count:     45
    .sgpr_spill_count: 0
    .symbol:         _ZN4vllm25paged_attention_v1_kernelI14__hip_bfloat16hLi112ELi8ELi128ELNS_18Fp8KVCacheDataTypeE1ELb0EEEvPT_PKS3_PKT0_S9_ifPKiSB_iPKfiiiSD_SD_iiiii.kd
    .uniform_work_group_size: 1
    .uses_dynamic_stack: false
    .vgpr_count:     48
    .vgpr_spill_count: 0
    .wavefront_size: 64
  - .agpr_count:     0
    .args:
      - .actual_access:  write_only
        .address_space:  global
        .offset:         0
        .size:           8
        .value_kind:     global_buffer
      - .actual_access:  read_only
        .address_space:  global
        .offset:         8
        .size:           8
        .value_kind:     global_buffer
      - .actual_access:  read_only
        .address_space:  global
        .offset:         16
        .size:           8
        .value_kind:     global_buffer
      - .actual_access:  read_only
        .address_space:  global
        .offset:         24
        .size:           8
        .value_kind:     global_buffer
      - .offset:         32
        .size:           4
        .value_kind:     by_value
      - .offset:         36
        .size:           4
        .value_kind:     by_value
      - .actual_access:  read_only
        .address_space:  global
        .offset:         40
        .size:           8
        .value_kind:     global_buffer
      - .actual_access:  read_only
        .address_space:  global
        .offset:         48
        .size:           8
        .value_kind:     global_buffer
      - .offset:         56
        .size:           4
        .value_kind:     by_value
      - .actual_access:  read_only
        .address_space:  global
        .offset:         64
        .size:           8
        .value_kind:     global_buffer
      - .offset:         72
        .size:           4
        .value_kind:     by_value
      - .offset:         76
        .size:           4
        .value_kind:     by_value
      - .offset:         80
        .size:           4
        .value_kind:     by_value
      - .address_space:  global
        .offset:         88
        .size:           8
        .value_kind:     global_buffer
      - .address_space:  global
        .offset:         96
        .size:           8
        .value_kind:     global_buffer
      - .offset:         104
        .size:           4
        .value_kind:     by_value
      - .offset:         108
        .size:           4
        .value_kind:     by_value
      - .offset:         112
        .size:           4
        .value_kind:     by_value
      - .offset:         116
        .size:           4
        .value_kind:     by_value
      - .offset:         120
        .size:           4
        .value_kind:     by_value
      - .offset:         128
        .size:           4
        .value_kind:     hidden_block_count_x
      - .offset:         132
        .size:           4
        .value_kind:     hidden_block_count_y
      - .offset:         136
        .size:           4
        .value_kind:     hidden_block_count_z
      - .offset:         140
        .size:           2
        .value_kind:     hidden_group_size_x
      - .offset:         142
        .size:           2
        .value_kind:     hidden_group_size_y
      - .offset:         144
        .size:           2
        .value_kind:     hidden_group_size_z
      - .offset:         146
        .size:           2
        .value_kind:     hidden_remainder_x
      - .offset:         148
        .size:           2
        .value_kind:     hidden_remainder_y
      - .offset:         150
        .size:           2
        .value_kind:     hidden_remainder_z
      - .offset:         168
        .size:           8
        .value_kind:     hidden_global_offset_x
      - .offset:         176
        .size:           8
        .value_kind:     hidden_global_offset_y
      - .offset:         184
        .size:           8
        .value_kind:     hidden_global_offset_z
      - .offset:         192
        .size:           2
        .value_kind:     hidden_grid_dims
      - .offset:         248
        .size:           4
        .value_kind:     hidden_dynamic_lds_size
    .group_segment_fixed_size: 256
    .kernarg_segment_align: 8
    .kernarg_segment_size: 384
    .language:       OpenCL C
    .language_version:
      - 2
      - 0
    .max_flat_workgroup_size: 1024
    .name:           _ZN4vllm25paged_attention_v1_kernelI14__hip_bfloat16hLi120ELi8ELi128ELNS_18Fp8KVCacheDataTypeE1ELb0EEEvPT_PKS3_PKT0_S9_ifPKiSB_iPKfiiiSD_SD_iiiii
    .private_segment_fixed_size: 0
    .sgpr_count:     45
    .sgpr_spill_count: 0
    .symbol:         _ZN4vllm25paged_attention_v1_kernelI14__hip_bfloat16hLi120ELi8ELi128ELNS_18Fp8KVCacheDataTypeE1ELb0EEEvPT_PKS3_PKT0_S9_ifPKiSB_iPKfiiiSD_SD_iiiii.kd
    .uniform_work_group_size: 1
    .uses_dynamic_stack: false
    .vgpr_count:     50
    .vgpr_spill_count: 0
    .wavefront_size: 64
  - .agpr_count:     0
    .args:
      - .actual_access:  write_only
        .address_space:  global
        .offset:         0
        .size:           8
        .value_kind:     global_buffer
      - .actual_access:  read_only
        .address_space:  global
        .offset:         8
        .size:           8
        .value_kind:     global_buffer
      - .actual_access:  read_only
        .address_space:  global
        .offset:         16
        .size:           8
        .value_kind:     global_buffer
      - .actual_access:  read_only
        .address_space:  global
        .offset:         24
        .size:           8
        .value_kind:     global_buffer
      - .offset:         32
        .size:           4
        .value_kind:     by_value
      - .offset:         36
        .size:           4
        .value_kind:     by_value
      - .actual_access:  read_only
        .address_space:  global
        .offset:         40
        .size:           8
        .value_kind:     global_buffer
      - .actual_access:  read_only
        .address_space:  global
        .offset:         48
        .size:           8
        .value_kind:     global_buffer
      - .offset:         56
        .size:           4
        .value_kind:     by_value
      - .actual_access:  read_only
        .address_space:  global
        .offset:         64
        .size:           8
        .value_kind:     global_buffer
      - .offset:         72
        .size:           4
        .value_kind:     by_value
      - .offset:         76
        .size:           4
        .value_kind:     by_value
      - .offset:         80
        .size:           4
        .value_kind:     by_value
      - .address_space:  global
        .offset:         88
        .size:           8
        .value_kind:     global_buffer
      - .address_space:  global
        .offset:         96
        .size:           8
        .value_kind:     global_buffer
      - .offset:         104
        .size:           4
        .value_kind:     by_value
      - .offset:         108
        .size:           4
        .value_kind:     by_value
      - .offset:         112
        .size:           4
        .value_kind:     by_value
      - .offset:         116
        .size:           4
        .value_kind:     by_value
      - .offset:         120
        .size:           4
        .value_kind:     by_value
      - .offset:         128
        .size:           4
        .value_kind:     hidden_block_count_x
      - .offset:         132
        .size:           4
        .value_kind:     hidden_block_count_y
      - .offset:         136
        .size:           4
        .value_kind:     hidden_block_count_z
      - .offset:         140
        .size:           2
        .value_kind:     hidden_group_size_x
      - .offset:         142
        .size:           2
        .value_kind:     hidden_group_size_y
      - .offset:         144
        .size:           2
        .value_kind:     hidden_group_size_z
      - .offset:         146
        .size:           2
        .value_kind:     hidden_remainder_x
      - .offset:         148
        .size:           2
        .value_kind:     hidden_remainder_y
      - .offset:         150
        .size:           2
        .value_kind:     hidden_remainder_z
      - .offset:         168
        .size:           8
        .value_kind:     hidden_global_offset_x
      - .offset:         176
        .size:           8
        .value_kind:     hidden_global_offset_y
      - .offset:         184
        .size:           8
        .value_kind:     hidden_global_offset_z
      - .offset:         192
        .size:           2
        .value_kind:     hidden_grid_dims
      - .offset:         248
        .size:           4
        .value_kind:     hidden_dynamic_lds_size
    .group_segment_fixed_size: 272
    .kernarg_segment_align: 8
    .kernarg_segment_size: 384
    .language:       OpenCL C
    .language_version:
      - 2
      - 0
    .max_flat_workgroup_size: 1024
    .name:           _ZN4vllm25paged_attention_v1_kernelI14__hip_bfloat16hLi128ELi8ELi128ELNS_18Fp8KVCacheDataTypeE1ELb0EEEvPT_PKS3_PKT0_S9_ifPKiSB_iPKfiiiSD_SD_iiiii
    .private_segment_fixed_size: 0
    .sgpr_count:     43
    .sgpr_spill_count: 0
    .symbol:         _ZN4vllm25paged_attention_v1_kernelI14__hip_bfloat16hLi128ELi8ELi128ELNS_18Fp8KVCacheDataTypeE1ELb0EEEvPT_PKS3_PKT0_S9_ifPKiSB_iPKfiiiSD_SD_iiiii.kd
    .uniform_work_group_size: 1
    .uses_dynamic_stack: false
    .vgpr_count:     51
    .vgpr_spill_count: 0
    .wavefront_size: 64
  - .agpr_count:     0
    .args:
      - .actual_access:  write_only
        .address_space:  global
        .offset:         0
        .size:           8
        .value_kind:     global_buffer
      - .actual_access:  read_only
        .address_space:  global
        .offset:         8
        .size:           8
        .value_kind:     global_buffer
      - .actual_access:  read_only
        .address_space:  global
        .offset:         16
        .size:           8
        .value_kind:     global_buffer
      - .actual_access:  read_only
        .address_space:  global
        .offset:         24
        .size:           8
        .value_kind:     global_buffer
      - .offset:         32
        .size:           4
        .value_kind:     by_value
      - .offset:         36
        .size:           4
        .value_kind:     by_value
      - .actual_access:  read_only
        .address_space:  global
        .offset:         40
        .size:           8
        .value_kind:     global_buffer
      - .actual_access:  read_only
        .address_space:  global
        .offset:         48
        .size:           8
        .value_kind:     global_buffer
      - .offset:         56
        .size:           4
        .value_kind:     by_value
      - .actual_access:  read_only
        .address_space:  global
        .offset:         64
        .size:           8
        .value_kind:     global_buffer
      - .offset:         72
        .size:           4
        .value_kind:     by_value
      - .offset:         76
        .size:           4
        .value_kind:     by_value
      - .offset:         80
        .size:           4
        .value_kind:     by_value
      - .address_space:  global
        .offset:         88
        .size:           8
        .value_kind:     global_buffer
      - .address_space:  global
        .offset:         96
        .size:           8
        .value_kind:     global_buffer
      - .offset:         104
        .size:           4
        .value_kind:     by_value
      - .offset:         108
        .size:           4
        .value_kind:     by_value
      - .offset:         112
        .size:           4
        .value_kind:     by_value
      - .offset:         116
        .size:           4
        .value_kind:     by_value
      - .offset:         120
        .size:           4
        .value_kind:     by_value
      - .offset:         128
        .size:           4
        .value_kind:     hidden_block_count_x
      - .offset:         132
        .size:           4
        .value_kind:     hidden_block_count_y
      - .offset:         136
        .size:           4
        .value_kind:     hidden_block_count_z
      - .offset:         140
        .size:           2
        .value_kind:     hidden_group_size_x
      - .offset:         142
        .size:           2
        .value_kind:     hidden_group_size_y
      - .offset:         144
        .size:           2
        .value_kind:     hidden_group_size_z
      - .offset:         146
        .size:           2
        .value_kind:     hidden_remainder_x
      - .offset:         148
        .size:           2
        .value_kind:     hidden_remainder_y
      - .offset:         150
        .size:           2
        .value_kind:     hidden_remainder_z
      - .offset:         168
        .size:           8
        .value_kind:     hidden_global_offset_x
      - .offset:         176
        .size:           8
        .value_kind:     hidden_global_offset_y
      - .offset:         184
        .size:           8
        .value_kind:     hidden_global_offset_z
      - .offset:         192
        .size:           2
        .value_kind:     hidden_grid_dims
      - .offset:         248
        .size:           4
        .value_kind:     hidden_dynamic_lds_size
    .group_segment_fixed_size: 400
    .kernarg_segment_align: 8
    .kernarg_segment_size: 384
    .language:       OpenCL C
    .language_version:
      - 2
      - 0
    .max_flat_workgroup_size: 1024
    .name:           _ZN4vllm25paged_attention_v1_kernelI14__hip_bfloat16hLi192ELi8ELi128ELNS_18Fp8KVCacheDataTypeE1ELb0EEEvPT_PKS3_PKT0_S9_ifPKiSB_iPKfiiiSD_SD_iiiii
    .private_segment_fixed_size: 0
    .sgpr_count:     43
    .sgpr_spill_count: 0
    .symbol:         _ZN4vllm25paged_attention_v1_kernelI14__hip_bfloat16hLi192ELi8ELi128ELNS_18Fp8KVCacheDataTypeE1ELb0EEEvPT_PKS3_PKT0_S9_ifPKiSB_iPKfiiiSD_SD_iiiii.kd
    .uniform_work_group_size: 1
    .uses_dynamic_stack: false
    .vgpr_count:     67
    .vgpr_spill_count: 0
    .wavefront_size: 64
  - .agpr_count:     0
    .args:
      - .actual_access:  write_only
        .address_space:  global
        .offset:         0
        .size:           8
        .value_kind:     global_buffer
      - .actual_access:  read_only
        .address_space:  global
        .offset:         8
        .size:           8
        .value_kind:     global_buffer
      - .actual_access:  read_only
        .address_space:  global
        .offset:         16
        .size:           8
        .value_kind:     global_buffer
      - .actual_access:  read_only
        .address_space:  global
        .offset:         24
        .size:           8
        .value_kind:     global_buffer
      - .offset:         32
        .size:           4
        .value_kind:     by_value
      - .offset:         36
        .size:           4
        .value_kind:     by_value
      - .actual_access:  read_only
        .address_space:  global
        .offset:         40
        .size:           8
        .value_kind:     global_buffer
      - .actual_access:  read_only
        .address_space:  global
        .offset:         48
        .size:           8
        .value_kind:     global_buffer
      - .offset:         56
        .size:           4
        .value_kind:     by_value
      - .actual_access:  read_only
        .address_space:  global
        .offset:         64
        .size:           8
        .value_kind:     global_buffer
      - .offset:         72
        .size:           4
        .value_kind:     by_value
      - .offset:         76
        .size:           4
        .value_kind:     by_value
      - .offset:         80
        .size:           4
        .value_kind:     by_value
      - .address_space:  global
        .offset:         88
        .size:           8
        .value_kind:     global_buffer
      - .address_space:  global
        .offset:         96
        .size:           8
        .value_kind:     global_buffer
      - .offset:         104
        .size:           4
        .value_kind:     by_value
      - .offset:         108
        .size:           4
        .value_kind:     by_value
      - .offset:         112
        .size:           4
        .value_kind:     by_value
      - .offset:         116
        .size:           4
        .value_kind:     by_value
      - .offset:         120
        .size:           4
        .value_kind:     by_value
      - .offset:         128
        .size:           4
        .value_kind:     hidden_block_count_x
      - .offset:         132
        .size:           4
        .value_kind:     hidden_block_count_y
      - .offset:         136
        .size:           4
        .value_kind:     hidden_block_count_z
      - .offset:         140
        .size:           2
        .value_kind:     hidden_group_size_x
      - .offset:         142
        .size:           2
        .value_kind:     hidden_group_size_y
      - .offset:         144
        .size:           2
        .value_kind:     hidden_group_size_z
      - .offset:         146
        .size:           2
        .value_kind:     hidden_remainder_x
      - .offset:         148
        .size:           2
        .value_kind:     hidden_remainder_y
      - .offset:         150
        .size:           2
        .value_kind:     hidden_remainder_z
      - .offset:         168
        .size:           8
        .value_kind:     hidden_global_offset_x
      - .offset:         176
        .size:           8
        .value_kind:     hidden_global_offset_y
      - .offset:         184
        .size:           8
        .value_kind:     hidden_global_offset_z
      - .offset:         192
        .size:           2
        .value_kind:     hidden_grid_dims
      - .offset:         248
        .size:           4
        .value_kind:     hidden_dynamic_lds_size
    .group_segment_fixed_size: 528
    .kernarg_segment_align: 8
    .kernarg_segment_size: 384
    .language:       OpenCL C
    .language_version:
      - 2
      - 0
    .max_flat_workgroup_size: 1024
    .name:           _ZN4vllm25paged_attention_v1_kernelI14__hip_bfloat16hLi256ELi8ELi128ELNS_18Fp8KVCacheDataTypeE1ELb0EEEvPT_PKS3_PKT0_S9_ifPKiSB_iPKfiiiSD_SD_iiiii
    .private_segment_fixed_size: 0
    .sgpr_count:     43
    .sgpr_spill_count: 0
    .symbol:         _ZN4vllm25paged_attention_v1_kernelI14__hip_bfloat16hLi256ELi8ELi128ELNS_18Fp8KVCacheDataTypeE1ELb0EEEvPT_PKS3_PKT0_S9_ifPKiSB_iPKfiiiSD_SD_iiiii.kd
    .uniform_work_group_size: 1
    .uses_dynamic_stack: false
    .vgpr_count:     83
    .vgpr_spill_count: 0
    .wavefront_size: 64
  - .agpr_count:     0
    .args:
      - .actual_access:  write_only
        .address_space:  global
        .offset:         0
        .size:           8
        .value_kind:     global_buffer
      - .actual_access:  read_only
        .address_space:  global
        .offset:         8
        .size:           8
        .value_kind:     global_buffer
      - .actual_access:  read_only
        .address_space:  global
        .offset:         16
        .size:           8
        .value_kind:     global_buffer
      - .actual_access:  read_only
        .address_space:  global
        .offset:         24
        .size:           8
        .value_kind:     global_buffer
      - .offset:         32
        .size:           4
        .value_kind:     by_value
      - .offset:         36
        .size:           4
        .value_kind:     by_value
      - .actual_access:  read_only
        .address_space:  global
        .offset:         40
        .size:           8
        .value_kind:     global_buffer
      - .actual_access:  read_only
        .address_space:  global
        .offset:         48
        .size:           8
        .value_kind:     global_buffer
      - .offset:         56
        .size:           4
        .value_kind:     by_value
      - .actual_access:  read_only
        .address_space:  global
        .offset:         64
        .size:           8
        .value_kind:     global_buffer
      - .offset:         72
        .size:           4
        .value_kind:     by_value
      - .offset:         76
        .size:           4
        .value_kind:     by_value
      - .offset:         80
        .size:           4
        .value_kind:     by_value
      - .address_space:  global
        .offset:         88
        .size:           8
        .value_kind:     global_buffer
      - .address_space:  global
        .offset:         96
        .size:           8
        .value_kind:     global_buffer
      - .offset:         104
        .size:           4
        .value_kind:     by_value
      - .offset:         108
        .size:           4
        .value_kind:     by_value
      - .offset:         112
        .size:           4
        .value_kind:     by_value
      - .offset:         116
        .size:           4
        .value_kind:     by_value
      - .offset:         120
        .size:           4
        .value_kind:     by_value
      - .offset:         128
        .size:           4
        .value_kind:     hidden_block_count_x
      - .offset:         132
        .size:           4
        .value_kind:     hidden_block_count_y
      - .offset:         136
        .size:           4
        .value_kind:     hidden_block_count_z
      - .offset:         140
        .size:           2
        .value_kind:     hidden_group_size_x
      - .offset:         142
        .size:           2
        .value_kind:     hidden_group_size_y
      - .offset:         144
        .size:           2
        .value_kind:     hidden_group_size_z
      - .offset:         146
        .size:           2
        .value_kind:     hidden_remainder_x
      - .offset:         148
        .size:           2
        .value_kind:     hidden_remainder_y
      - .offset:         150
        .size:           2
        .value_kind:     hidden_remainder_z
      - .offset:         168
        .size:           8
        .value_kind:     hidden_global_offset_x
      - .offset:         176
        .size:           8
        .value_kind:     hidden_global_offset_y
      - .offset:         184
        .size:           8
        .value_kind:     hidden_global_offset_z
      - .offset:         192
        .size:           2
        .value_kind:     hidden_grid_dims
      - .offset:         248
        .size:           4
        .value_kind:     hidden_dynamic_lds_size
    .group_segment_fixed_size: 80
    .kernarg_segment_align: 8
    .kernarg_segment_size: 384
    .language:       OpenCL C
    .language_version:
      - 2
      - 0
    .max_flat_workgroup_size: 1024
    .name:           _ZN4vllm25paged_attention_v1_kernelI14__hip_bfloat16hLi32ELi16ELi128ELNS_18Fp8KVCacheDataTypeE1ELb1EEEvPT_PKS3_PKT0_S9_ifPKiSB_iPKfiiiSD_SD_iiiii
    .private_segment_fixed_size: 0
    .sgpr_count:     55
    .sgpr_spill_count: 0
    .symbol:         _ZN4vllm25paged_attention_v1_kernelI14__hip_bfloat16hLi32ELi16ELi128ELNS_18Fp8KVCacheDataTypeE1ELb1EEEvPT_PKS3_PKT0_S9_ifPKiSB_iPKfiiiSD_SD_iiiii.kd
    .uniform_work_group_size: 1
    .uses_dynamic_stack: false
    .vgpr_count:     39
    .vgpr_spill_count: 0
    .wavefront_size: 64
  - .agpr_count:     0
    .args:
      - .actual_access:  write_only
        .address_space:  global
        .offset:         0
        .size:           8
        .value_kind:     global_buffer
      - .actual_access:  read_only
        .address_space:  global
        .offset:         8
        .size:           8
        .value_kind:     global_buffer
      - .actual_access:  read_only
        .address_space:  global
        .offset:         16
        .size:           8
        .value_kind:     global_buffer
      - .actual_access:  read_only
        .address_space:  global
        .offset:         24
        .size:           8
        .value_kind:     global_buffer
      - .offset:         32
        .size:           4
        .value_kind:     by_value
      - .offset:         36
        .size:           4
        .value_kind:     by_value
      - .actual_access:  read_only
        .address_space:  global
        .offset:         40
        .size:           8
        .value_kind:     global_buffer
      - .actual_access:  read_only
        .address_space:  global
        .offset:         48
        .size:           8
        .value_kind:     global_buffer
      - .offset:         56
        .size:           4
        .value_kind:     by_value
      - .actual_access:  read_only
        .address_space:  global
        .offset:         64
        .size:           8
        .value_kind:     global_buffer
      - .offset:         72
        .size:           4
        .value_kind:     by_value
      - .offset:         76
        .size:           4
        .value_kind:     by_value
      - .offset:         80
        .size:           4
        .value_kind:     by_value
      - .address_space:  global
        .offset:         88
        .size:           8
        .value_kind:     global_buffer
      - .address_space:  global
        .offset:         96
        .size:           8
        .value_kind:     global_buffer
      - .offset:         104
        .size:           4
        .value_kind:     by_value
      - .offset:         108
        .size:           4
        .value_kind:     by_value
      - .offset:         112
        .size:           4
        .value_kind:     by_value
      - .offset:         116
        .size:           4
        .value_kind:     by_value
      - .offset:         120
        .size:           4
        .value_kind:     by_value
      - .offset:         128
        .size:           4
        .value_kind:     hidden_block_count_x
      - .offset:         132
        .size:           4
        .value_kind:     hidden_block_count_y
      - .offset:         136
        .size:           4
        .value_kind:     hidden_block_count_z
      - .offset:         140
        .size:           2
        .value_kind:     hidden_group_size_x
      - .offset:         142
        .size:           2
        .value_kind:     hidden_group_size_y
      - .offset:         144
        .size:           2
        .value_kind:     hidden_group_size_z
      - .offset:         146
        .size:           2
        .value_kind:     hidden_remainder_x
      - .offset:         148
        .size:           2
        .value_kind:     hidden_remainder_y
      - .offset:         150
        .size:           2
        .value_kind:     hidden_remainder_z
      - .offset:         168
        .size:           8
        .value_kind:     hidden_global_offset_x
      - .offset:         176
        .size:           8
        .value_kind:     hidden_global_offset_y
      - .offset:         184
        .size:           8
        .value_kind:     hidden_global_offset_z
      - .offset:         192
        .size:           2
        .value_kind:     hidden_grid_dims
      - .offset:         248
        .size:           4
        .value_kind:     hidden_dynamic_lds_size
    .group_segment_fixed_size: 144
    .kernarg_segment_align: 8
    .kernarg_segment_size: 384
    .language:       OpenCL C
    .language_version:
      - 2
      - 0
    .max_flat_workgroup_size: 1024
    .name:           _ZN4vllm25paged_attention_v1_kernelI14__hip_bfloat16hLi64ELi16ELi128ELNS_18Fp8KVCacheDataTypeE1ELb1EEEvPT_PKS3_PKT0_S9_ifPKiSB_iPKfiiiSD_SD_iiiii
    .private_segment_fixed_size: 0
    .sgpr_count:     55
    .sgpr_spill_count: 0
    .symbol:         _ZN4vllm25paged_attention_v1_kernelI14__hip_bfloat16hLi64ELi16ELi128ELNS_18Fp8KVCacheDataTypeE1ELb1EEEvPT_PKS3_PKT0_S9_ifPKiSB_iPKfiiiSD_SD_iiiii.kd
    .uniform_work_group_size: 1
    .uses_dynamic_stack: false
    .vgpr_count:     55
    .vgpr_spill_count: 0
    .wavefront_size: 64
  - .agpr_count:     0
    .args:
      - .actual_access:  write_only
        .address_space:  global
        .offset:         0
        .size:           8
        .value_kind:     global_buffer
      - .actual_access:  read_only
        .address_space:  global
        .offset:         8
        .size:           8
        .value_kind:     global_buffer
      - .actual_access:  read_only
        .address_space:  global
        .offset:         16
        .size:           8
        .value_kind:     global_buffer
      - .actual_access:  read_only
        .address_space:  global
        .offset:         24
        .size:           8
        .value_kind:     global_buffer
      - .offset:         32
        .size:           4
        .value_kind:     by_value
      - .offset:         36
        .size:           4
        .value_kind:     by_value
      - .actual_access:  read_only
        .address_space:  global
        .offset:         40
        .size:           8
        .value_kind:     global_buffer
      - .actual_access:  read_only
        .address_space:  global
        .offset:         48
        .size:           8
        .value_kind:     global_buffer
      - .offset:         56
        .size:           4
        .value_kind:     by_value
      - .actual_access:  read_only
        .address_space:  global
        .offset:         64
        .size:           8
        .value_kind:     global_buffer
      - .offset:         72
        .size:           4
        .value_kind:     by_value
      - .offset:         76
        .size:           4
        .value_kind:     by_value
      - .offset:         80
        .size:           4
        .value_kind:     by_value
      - .address_space:  global
        .offset:         88
        .size:           8
        .value_kind:     global_buffer
      - .address_space:  global
        .offset:         96
        .size:           8
        .value_kind:     global_buffer
      - .offset:         104
        .size:           4
        .value_kind:     by_value
      - .offset:         108
        .size:           4
        .value_kind:     by_value
      - .offset:         112
        .size:           4
        .value_kind:     by_value
      - .offset:         116
        .size:           4
        .value_kind:     by_value
      - .offset:         120
        .size:           4
        .value_kind:     by_value
      - .offset:         128
        .size:           4
        .value_kind:     hidden_block_count_x
      - .offset:         132
        .size:           4
        .value_kind:     hidden_block_count_y
      - .offset:         136
        .size:           4
        .value_kind:     hidden_block_count_z
      - .offset:         140
        .size:           2
        .value_kind:     hidden_group_size_x
      - .offset:         142
        .size:           2
        .value_kind:     hidden_group_size_y
      - .offset:         144
        .size:           2
        .value_kind:     hidden_group_size_z
      - .offset:         146
        .size:           2
        .value_kind:     hidden_remainder_x
      - .offset:         148
        .size:           2
        .value_kind:     hidden_remainder_y
      - .offset:         150
        .size:           2
        .value_kind:     hidden_remainder_z
      - .offset:         168
        .size:           8
        .value_kind:     hidden_global_offset_x
      - .offset:         176
        .size:           8
        .value_kind:     hidden_global_offset_y
      - .offset:         184
        .size:           8
        .value_kind:     hidden_global_offset_z
      - .offset:         192
        .size:           2
        .value_kind:     hidden_grid_dims
      - .offset:         248
        .size:           4
        .value_kind:     hidden_dynamic_lds_size
    .group_segment_fixed_size: 176
    .kernarg_segment_align: 8
    .kernarg_segment_size: 384
    .language:       OpenCL C
    .language_version:
      - 2
      - 0
    .max_flat_workgroup_size: 1024
    .name:           _ZN4vllm25paged_attention_v1_kernelI14__hip_bfloat16hLi80ELi16ELi128ELNS_18Fp8KVCacheDataTypeE1ELb1EEEvPT_PKS3_PKT0_S9_ifPKiSB_iPKfiiiSD_SD_iiiii
    .private_segment_fixed_size: 0
    .sgpr_count:     55
    .sgpr_spill_count: 0
    .symbol:         _ZN4vllm25paged_attention_v1_kernelI14__hip_bfloat16hLi80ELi16ELi128ELNS_18Fp8KVCacheDataTypeE1ELb1EEEvPT_PKS3_PKT0_S9_ifPKiSB_iPKfiiiSD_SD_iiiii.kd
    .uniform_work_group_size: 1
    .uses_dynamic_stack: false
    .vgpr_count:     63
    .vgpr_spill_count: 0
    .wavefront_size: 64
  - .agpr_count:     0
    .args:
      - .actual_access:  write_only
        .address_space:  global
        .offset:         0
        .size:           8
        .value_kind:     global_buffer
      - .actual_access:  read_only
        .address_space:  global
        .offset:         8
        .size:           8
        .value_kind:     global_buffer
      - .actual_access:  read_only
        .address_space:  global
        .offset:         16
        .size:           8
        .value_kind:     global_buffer
      - .actual_access:  read_only
        .address_space:  global
        .offset:         24
        .size:           8
        .value_kind:     global_buffer
      - .offset:         32
        .size:           4
        .value_kind:     by_value
      - .offset:         36
        .size:           4
        .value_kind:     by_value
      - .actual_access:  read_only
        .address_space:  global
        .offset:         40
        .size:           8
        .value_kind:     global_buffer
      - .actual_access:  read_only
        .address_space:  global
        .offset:         48
        .size:           8
        .value_kind:     global_buffer
      - .offset:         56
        .size:           4
        .value_kind:     by_value
      - .actual_access:  read_only
        .address_space:  global
        .offset:         64
        .size:           8
        .value_kind:     global_buffer
      - .offset:         72
        .size:           4
        .value_kind:     by_value
      - .offset:         76
        .size:           4
        .value_kind:     by_value
      - .offset:         80
        .size:           4
        .value_kind:     by_value
      - .address_space:  global
        .offset:         88
        .size:           8
        .value_kind:     global_buffer
      - .address_space:  global
        .offset:         96
        .size:           8
        .value_kind:     global_buffer
      - .offset:         104
        .size:           4
        .value_kind:     by_value
      - .offset:         108
        .size:           4
        .value_kind:     by_value
      - .offset:         112
        .size:           4
        .value_kind:     by_value
      - .offset:         116
        .size:           4
        .value_kind:     by_value
      - .offset:         120
        .size:           4
        .value_kind:     by_value
      - .offset:         128
        .size:           4
        .value_kind:     hidden_block_count_x
      - .offset:         132
        .size:           4
        .value_kind:     hidden_block_count_y
      - .offset:         136
        .size:           4
        .value_kind:     hidden_block_count_z
      - .offset:         140
        .size:           2
        .value_kind:     hidden_group_size_x
      - .offset:         142
        .size:           2
        .value_kind:     hidden_group_size_y
      - .offset:         144
        .size:           2
        .value_kind:     hidden_group_size_z
      - .offset:         146
        .size:           2
        .value_kind:     hidden_remainder_x
      - .offset:         148
        .size:           2
        .value_kind:     hidden_remainder_y
      - .offset:         150
        .size:           2
        .value_kind:     hidden_remainder_z
      - .offset:         168
        .size:           8
        .value_kind:     hidden_global_offset_x
      - .offset:         176
        .size:           8
        .value_kind:     hidden_global_offset_y
      - .offset:         184
        .size:           8
        .value_kind:     hidden_global_offset_z
      - .offset:         192
        .size:           2
        .value_kind:     hidden_grid_dims
      - .offset:         248
        .size:           4
        .value_kind:     hidden_dynamic_lds_size
    .group_segment_fixed_size: 208
    .kernarg_segment_align: 8
    .kernarg_segment_size: 384
    .language:       OpenCL C
    .language_version:
      - 2
      - 0
    .max_flat_workgroup_size: 1024
    .name:           _ZN4vllm25paged_attention_v1_kernelI14__hip_bfloat16hLi96ELi16ELi128ELNS_18Fp8KVCacheDataTypeE1ELb1EEEvPT_PKS3_PKT0_S9_ifPKiSB_iPKfiiiSD_SD_iiiii
    .private_segment_fixed_size: 0
    .sgpr_count:     55
    .sgpr_spill_count: 0
    .symbol:         _ZN4vllm25paged_attention_v1_kernelI14__hip_bfloat16hLi96ELi16ELi128ELNS_18Fp8KVCacheDataTypeE1ELb1EEEvPT_PKS3_PKT0_S9_ifPKiSB_iPKfiiiSD_SD_iiiii.kd
    .uniform_work_group_size: 1
    .uses_dynamic_stack: false
    .vgpr_count:     71
    .vgpr_spill_count: 0
    .wavefront_size: 64
  - .agpr_count:     0
    .args:
      - .actual_access:  write_only
        .address_space:  global
        .offset:         0
        .size:           8
        .value_kind:     global_buffer
      - .actual_access:  read_only
        .address_space:  global
        .offset:         8
        .size:           8
        .value_kind:     global_buffer
      - .actual_access:  read_only
        .address_space:  global
        .offset:         16
        .size:           8
        .value_kind:     global_buffer
      - .actual_access:  read_only
        .address_space:  global
        .offset:         24
        .size:           8
        .value_kind:     global_buffer
      - .offset:         32
        .size:           4
        .value_kind:     by_value
      - .offset:         36
        .size:           4
        .value_kind:     by_value
      - .actual_access:  read_only
        .address_space:  global
        .offset:         40
        .size:           8
        .value_kind:     global_buffer
      - .actual_access:  read_only
        .address_space:  global
        .offset:         48
        .size:           8
        .value_kind:     global_buffer
      - .offset:         56
        .size:           4
        .value_kind:     by_value
      - .actual_access:  read_only
        .address_space:  global
        .offset:         64
        .size:           8
        .value_kind:     global_buffer
      - .offset:         72
        .size:           4
        .value_kind:     by_value
      - .offset:         76
        .size:           4
        .value_kind:     by_value
      - .offset:         80
        .size:           4
        .value_kind:     by_value
      - .address_space:  global
        .offset:         88
        .size:           8
        .value_kind:     global_buffer
      - .address_space:  global
        .offset:         96
        .size:           8
        .value_kind:     global_buffer
      - .offset:         104
        .size:           4
        .value_kind:     by_value
      - .offset:         108
        .size:           4
        .value_kind:     by_value
      - .offset:         112
        .size:           4
        .value_kind:     by_value
      - .offset:         116
        .size:           4
        .value_kind:     by_value
      - .offset:         120
        .size:           4
        .value_kind:     by_value
      - .offset:         128
        .size:           4
        .value_kind:     hidden_block_count_x
      - .offset:         132
        .size:           4
        .value_kind:     hidden_block_count_y
      - .offset:         136
        .size:           4
        .value_kind:     hidden_block_count_z
      - .offset:         140
        .size:           2
        .value_kind:     hidden_group_size_x
      - .offset:         142
        .size:           2
        .value_kind:     hidden_group_size_y
      - .offset:         144
        .size:           2
        .value_kind:     hidden_group_size_z
      - .offset:         146
        .size:           2
        .value_kind:     hidden_remainder_x
      - .offset:         148
        .size:           2
        .value_kind:     hidden_remainder_y
      - .offset:         150
        .size:           2
        .value_kind:     hidden_remainder_z
      - .offset:         168
        .size:           8
        .value_kind:     hidden_global_offset_x
      - .offset:         176
        .size:           8
        .value_kind:     hidden_global_offset_y
      - .offset:         184
        .size:           8
        .value_kind:     hidden_global_offset_z
      - .offset:         192
        .size:           2
        .value_kind:     hidden_grid_dims
      - .offset:         248
        .size:           4
        .value_kind:     hidden_dynamic_lds_size
    .group_segment_fixed_size: 240
    .kernarg_segment_align: 8
    .kernarg_segment_size: 384
    .language:       OpenCL C
    .language_version:
      - 2
      - 0
    .max_flat_workgroup_size: 1024
    .name:           _ZN4vllm25paged_attention_v1_kernelI14__hip_bfloat16hLi112ELi16ELi128ELNS_18Fp8KVCacheDataTypeE1ELb1EEEvPT_PKS3_PKT0_S9_ifPKiSB_iPKfiiiSD_SD_iiiii
    .private_segment_fixed_size: 0
    .sgpr_count:     55
    .sgpr_spill_count: 0
    .symbol:         _ZN4vllm25paged_attention_v1_kernelI14__hip_bfloat16hLi112ELi16ELi128ELNS_18Fp8KVCacheDataTypeE1ELb1EEEvPT_PKS3_PKT0_S9_ifPKiSB_iPKfiiiSD_SD_iiiii.kd
    .uniform_work_group_size: 1
    .uses_dynamic_stack: false
    .vgpr_count:     79
    .vgpr_spill_count: 0
    .wavefront_size: 64
  - .agpr_count:     0
    .args:
      - .actual_access:  write_only
        .address_space:  global
        .offset:         0
        .size:           8
        .value_kind:     global_buffer
      - .actual_access:  read_only
        .address_space:  global
        .offset:         8
        .size:           8
        .value_kind:     global_buffer
      - .actual_access:  read_only
        .address_space:  global
        .offset:         16
        .size:           8
        .value_kind:     global_buffer
      - .actual_access:  read_only
        .address_space:  global
        .offset:         24
        .size:           8
        .value_kind:     global_buffer
      - .offset:         32
        .size:           4
        .value_kind:     by_value
      - .offset:         36
        .size:           4
        .value_kind:     by_value
      - .actual_access:  read_only
        .address_space:  global
        .offset:         40
        .size:           8
        .value_kind:     global_buffer
      - .actual_access:  read_only
        .address_space:  global
        .offset:         48
        .size:           8
        .value_kind:     global_buffer
      - .offset:         56
        .size:           4
        .value_kind:     by_value
      - .actual_access:  read_only
        .address_space:  global
        .offset:         64
        .size:           8
        .value_kind:     global_buffer
      - .offset:         72
        .size:           4
        .value_kind:     by_value
      - .offset:         76
        .size:           4
        .value_kind:     by_value
      - .offset:         80
        .size:           4
        .value_kind:     by_value
      - .address_space:  global
        .offset:         88
        .size:           8
        .value_kind:     global_buffer
      - .address_space:  global
        .offset:         96
        .size:           8
        .value_kind:     global_buffer
      - .offset:         104
        .size:           4
        .value_kind:     by_value
      - .offset:         108
        .size:           4
        .value_kind:     by_value
      - .offset:         112
        .size:           4
        .value_kind:     by_value
      - .offset:         116
        .size:           4
        .value_kind:     by_value
      - .offset:         120
        .size:           4
        .value_kind:     by_value
      - .offset:         128
        .size:           4
        .value_kind:     hidden_block_count_x
      - .offset:         132
        .size:           4
        .value_kind:     hidden_block_count_y
      - .offset:         136
        .size:           4
        .value_kind:     hidden_block_count_z
      - .offset:         140
        .size:           2
        .value_kind:     hidden_group_size_x
      - .offset:         142
        .size:           2
        .value_kind:     hidden_group_size_y
      - .offset:         144
        .size:           2
        .value_kind:     hidden_group_size_z
      - .offset:         146
        .size:           2
        .value_kind:     hidden_remainder_x
      - .offset:         148
        .size:           2
        .value_kind:     hidden_remainder_y
      - .offset:         150
        .size:           2
        .value_kind:     hidden_remainder_z
      - .offset:         168
        .size:           8
        .value_kind:     hidden_global_offset_x
      - .offset:         176
        .size:           8
        .value_kind:     hidden_global_offset_y
      - .offset:         184
        .size:           8
        .value_kind:     hidden_global_offset_z
      - .offset:         192
        .size:           2
        .value_kind:     hidden_grid_dims
      - .offset:         248
        .size:           4
        .value_kind:     hidden_dynamic_lds_size
    .group_segment_fixed_size: 256
    .kernarg_segment_align: 8
    .kernarg_segment_size: 384
    .language:       OpenCL C
    .language_version:
      - 2
      - 0
    .max_flat_workgroup_size: 1024
    .name:           _ZN4vllm25paged_attention_v1_kernelI14__hip_bfloat16hLi120ELi16ELi128ELNS_18Fp8KVCacheDataTypeE1ELb1EEEvPT_PKS3_PKT0_S9_ifPKiSB_iPKfiiiSD_SD_iiiii
    .private_segment_fixed_size: 0
    .sgpr_count:     55
    .sgpr_spill_count: 0
    .symbol:         _ZN4vllm25paged_attention_v1_kernelI14__hip_bfloat16hLi120ELi16ELi128ELNS_18Fp8KVCacheDataTypeE1ELb1EEEvPT_PKS3_PKT0_S9_ifPKiSB_iPKfiiiSD_SD_iiiii.kd
    .uniform_work_group_size: 1
    .uses_dynamic_stack: false
    .vgpr_count:     82
    .vgpr_spill_count: 0
    .wavefront_size: 64
  - .agpr_count:     0
    .args:
      - .actual_access:  write_only
        .address_space:  global
        .offset:         0
        .size:           8
        .value_kind:     global_buffer
      - .actual_access:  read_only
        .address_space:  global
        .offset:         8
        .size:           8
        .value_kind:     global_buffer
      - .actual_access:  read_only
        .address_space:  global
        .offset:         16
        .size:           8
        .value_kind:     global_buffer
      - .actual_access:  read_only
        .address_space:  global
        .offset:         24
        .size:           8
        .value_kind:     global_buffer
      - .offset:         32
        .size:           4
        .value_kind:     by_value
      - .offset:         36
        .size:           4
        .value_kind:     by_value
      - .actual_access:  read_only
        .address_space:  global
        .offset:         40
        .size:           8
        .value_kind:     global_buffer
      - .actual_access:  read_only
        .address_space:  global
        .offset:         48
        .size:           8
        .value_kind:     global_buffer
      - .offset:         56
        .size:           4
        .value_kind:     by_value
      - .actual_access:  read_only
        .address_space:  global
        .offset:         64
        .size:           8
        .value_kind:     global_buffer
      - .offset:         72
        .size:           4
        .value_kind:     by_value
      - .offset:         76
        .size:           4
        .value_kind:     by_value
      - .offset:         80
        .size:           4
        .value_kind:     by_value
      - .address_space:  global
        .offset:         88
        .size:           8
        .value_kind:     global_buffer
      - .address_space:  global
        .offset:         96
        .size:           8
        .value_kind:     global_buffer
      - .offset:         104
        .size:           4
        .value_kind:     by_value
      - .offset:         108
        .size:           4
        .value_kind:     by_value
      - .offset:         112
        .size:           4
        .value_kind:     by_value
      - .offset:         116
        .size:           4
        .value_kind:     by_value
      - .offset:         120
        .size:           4
        .value_kind:     by_value
      - .offset:         128
        .size:           4
        .value_kind:     hidden_block_count_x
      - .offset:         132
        .size:           4
        .value_kind:     hidden_block_count_y
      - .offset:         136
        .size:           4
        .value_kind:     hidden_block_count_z
      - .offset:         140
        .size:           2
        .value_kind:     hidden_group_size_x
      - .offset:         142
        .size:           2
        .value_kind:     hidden_group_size_y
      - .offset:         144
        .size:           2
        .value_kind:     hidden_group_size_z
      - .offset:         146
        .size:           2
        .value_kind:     hidden_remainder_x
      - .offset:         148
        .size:           2
        .value_kind:     hidden_remainder_y
      - .offset:         150
        .size:           2
        .value_kind:     hidden_remainder_z
      - .offset:         168
        .size:           8
        .value_kind:     hidden_global_offset_x
      - .offset:         176
        .size:           8
        .value_kind:     hidden_global_offset_y
      - .offset:         184
        .size:           8
        .value_kind:     hidden_global_offset_z
      - .offset:         192
        .size:           2
        .value_kind:     hidden_grid_dims
      - .offset:         248
        .size:           4
        .value_kind:     hidden_dynamic_lds_size
    .group_segment_fixed_size: 272
    .kernarg_segment_align: 8
    .kernarg_segment_size: 384
    .language:       OpenCL C
    .language_version:
      - 2
      - 0
    .max_flat_workgroup_size: 1024
    .name:           _ZN4vllm25paged_attention_v1_kernelI14__hip_bfloat16hLi128ELi16ELi128ELNS_18Fp8KVCacheDataTypeE1ELb1EEEvPT_PKS3_PKT0_S9_ifPKiSB_iPKfiiiSD_SD_iiiii
    .private_segment_fixed_size: 0
    .sgpr_count:     57
    .sgpr_spill_count: 0
    .symbol:         _ZN4vllm25paged_attention_v1_kernelI14__hip_bfloat16hLi128ELi16ELi128ELNS_18Fp8KVCacheDataTypeE1ELb1EEEvPT_PKS3_PKT0_S9_ifPKiSB_iPKfiiiSD_SD_iiiii.kd
    .uniform_work_group_size: 1
    .uses_dynamic_stack: false
    .vgpr_count:     84
    .vgpr_spill_count: 0
    .wavefront_size: 64
  - .agpr_count:     0
    .args:
      - .actual_access:  write_only
        .address_space:  global
        .offset:         0
        .size:           8
        .value_kind:     global_buffer
      - .actual_access:  read_only
        .address_space:  global
        .offset:         8
        .size:           8
        .value_kind:     global_buffer
      - .actual_access:  read_only
        .address_space:  global
        .offset:         16
        .size:           8
        .value_kind:     global_buffer
      - .actual_access:  read_only
        .address_space:  global
        .offset:         24
        .size:           8
        .value_kind:     global_buffer
      - .offset:         32
        .size:           4
        .value_kind:     by_value
      - .offset:         36
        .size:           4
        .value_kind:     by_value
      - .actual_access:  read_only
        .address_space:  global
        .offset:         40
        .size:           8
        .value_kind:     global_buffer
      - .actual_access:  read_only
        .address_space:  global
        .offset:         48
        .size:           8
        .value_kind:     global_buffer
      - .offset:         56
        .size:           4
        .value_kind:     by_value
      - .actual_access:  read_only
        .address_space:  global
        .offset:         64
        .size:           8
        .value_kind:     global_buffer
      - .offset:         72
        .size:           4
        .value_kind:     by_value
      - .offset:         76
        .size:           4
        .value_kind:     by_value
      - .offset:         80
        .size:           4
        .value_kind:     by_value
      - .address_space:  global
        .offset:         88
        .size:           8
        .value_kind:     global_buffer
      - .address_space:  global
        .offset:         96
        .size:           8
        .value_kind:     global_buffer
      - .offset:         104
        .size:           4
        .value_kind:     by_value
      - .offset:         108
        .size:           4
        .value_kind:     by_value
      - .offset:         112
        .size:           4
        .value_kind:     by_value
      - .offset:         116
        .size:           4
        .value_kind:     by_value
      - .offset:         120
        .size:           4
        .value_kind:     by_value
      - .offset:         128
        .size:           4
        .value_kind:     hidden_block_count_x
      - .offset:         132
        .size:           4
        .value_kind:     hidden_block_count_y
      - .offset:         136
        .size:           4
        .value_kind:     hidden_block_count_z
      - .offset:         140
        .size:           2
        .value_kind:     hidden_group_size_x
      - .offset:         142
        .size:           2
        .value_kind:     hidden_group_size_y
      - .offset:         144
        .size:           2
        .value_kind:     hidden_group_size_z
      - .offset:         146
        .size:           2
        .value_kind:     hidden_remainder_x
      - .offset:         148
        .size:           2
        .value_kind:     hidden_remainder_y
      - .offset:         150
        .size:           2
        .value_kind:     hidden_remainder_z
      - .offset:         168
        .size:           8
        .value_kind:     hidden_global_offset_x
      - .offset:         176
        .size:           8
        .value_kind:     hidden_global_offset_y
      - .offset:         184
        .size:           8
        .value_kind:     hidden_global_offset_z
      - .offset:         192
        .size:           2
        .value_kind:     hidden_grid_dims
      - .offset:         248
        .size:           4
        .value_kind:     hidden_dynamic_lds_size
    .group_segment_fixed_size: 400
    .kernarg_segment_align: 8
    .kernarg_segment_size: 384
    .language:       OpenCL C
    .language_version:
      - 2
      - 0
    .max_flat_workgroup_size: 1024
    .name:           _ZN4vllm25paged_attention_v1_kernelI14__hip_bfloat16hLi192ELi16ELi128ELNS_18Fp8KVCacheDataTypeE1ELb1EEEvPT_PKS3_PKT0_S9_ifPKiSB_iPKfiiiSD_SD_iiiii
    .private_segment_fixed_size: 0
    .sgpr_count:     55
    .sgpr_spill_count: 0
    .symbol:         _ZN4vllm25paged_attention_v1_kernelI14__hip_bfloat16hLi192ELi16ELi128ELNS_18Fp8KVCacheDataTypeE1ELb1EEEvPT_PKS3_PKT0_S9_ifPKiSB_iPKfiiiSD_SD_iiiii.kd
    .uniform_work_group_size: 1
    .uses_dynamic_stack: false
    .vgpr_count:     99
    .vgpr_spill_count: 0
    .wavefront_size: 64
  - .agpr_count:     0
    .args:
      - .actual_access:  write_only
        .address_space:  global
        .offset:         0
        .size:           8
        .value_kind:     global_buffer
      - .actual_access:  read_only
        .address_space:  global
        .offset:         8
        .size:           8
        .value_kind:     global_buffer
      - .actual_access:  read_only
        .address_space:  global
        .offset:         16
        .size:           8
        .value_kind:     global_buffer
      - .actual_access:  read_only
        .address_space:  global
        .offset:         24
        .size:           8
        .value_kind:     global_buffer
      - .offset:         32
        .size:           4
        .value_kind:     by_value
      - .offset:         36
        .size:           4
        .value_kind:     by_value
      - .actual_access:  read_only
        .address_space:  global
        .offset:         40
        .size:           8
        .value_kind:     global_buffer
      - .actual_access:  read_only
        .address_space:  global
        .offset:         48
        .size:           8
        .value_kind:     global_buffer
      - .offset:         56
        .size:           4
        .value_kind:     by_value
      - .actual_access:  read_only
        .address_space:  global
        .offset:         64
        .size:           8
        .value_kind:     global_buffer
      - .offset:         72
        .size:           4
        .value_kind:     by_value
      - .offset:         76
        .size:           4
        .value_kind:     by_value
      - .offset:         80
        .size:           4
        .value_kind:     by_value
      - .address_space:  global
        .offset:         88
        .size:           8
        .value_kind:     global_buffer
      - .address_space:  global
        .offset:         96
        .size:           8
        .value_kind:     global_buffer
      - .offset:         104
        .size:           4
        .value_kind:     by_value
      - .offset:         108
        .size:           4
        .value_kind:     by_value
      - .offset:         112
        .size:           4
        .value_kind:     by_value
      - .offset:         116
        .size:           4
        .value_kind:     by_value
      - .offset:         120
        .size:           4
        .value_kind:     by_value
      - .offset:         128
        .size:           4
        .value_kind:     hidden_block_count_x
      - .offset:         132
        .size:           4
        .value_kind:     hidden_block_count_y
      - .offset:         136
        .size:           4
        .value_kind:     hidden_block_count_z
      - .offset:         140
        .size:           2
        .value_kind:     hidden_group_size_x
      - .offset:         142
        .size:           2
        .value_kind:     hidden_group_size_y
      - .offset:         144
        .size:           2
        .value_kind:     hidden_group_size_z
      - .offset:         146
        .size:           2
        .value_kind:     hidden_remainder_x
      - .offset:         148
        .size:           2
        .value_kind:     hidden_remainder_y
      - .offset:         150
        .size:           2
        .value_kind:     hidden_remainder_z
      - .offset:         168
        .size:           8
        .value_kind:     hidden_global_offset_x
      - .offset:         176
        .size:           8
        .value_kind:     hidden_global_offset_y
      - .offset:         184
        .size:           8
        .value_kind:     hidden_global_offset_z
      - .offset:         192
        .size:           2
        .value_kind:     hidden_grid_dims
      - .offset:         248
        .size:           4
        .value_kind:     hidden_dynamic_lds_size
    .group_segment_fixed_size: 528
    .kernarg_segment_align: 8
    .kernarg_segment_size: 384
    .language:       OpenCL C
    .language_version:
      - 2
      - 0
    .max_flat_workgroup_size: 1024
    .name:           _ZN4vllm25paged_attention_v1_kernelI14__hip_bfloat16hLi256ELi16ELi128ELNS_18Fp8KVCacheDataTypeE1ELb1EEEvPT_PKS3_PKT0_S9_ifPKiSB_iPKfiiiSD_SD_iiiii
    .private_segment_fixed_size: 0
    .sgpr_count:     55
    .sgpr_spill_count: 0
    .symbol:         _ZN4vllm25paged_attention_v1_kernelI14__hip_bfloat16hLi256ELi16ELi128ELNS_18Fp8KVCacheDataTypeE1ELb1EEEvPT_PKS3_PKT0_S9_ifPKiSB_iPKfiiiSD_SD_iiiii.kd
    .uniform_work_group_size: 1
    .uses_dynamic_stack: false
    .vgpr_count:     105
    .vgpr_spill_count: 0
    .wavefront_size: 64
  - .agpr_count:     0
    .args:
      - .actual_access:  write_only
        .address_space:  global
        .offset:         0
        .size:           8
        .value_kind:     global_buffer
      - .actual_access:  read_only
        .address_space:  global
        .offset:         8
        .size:           8
        .value_kind:     global_buffer
      - .actual_access:  read_only
        .address_space:  global
        .offset:         16
        .size:           8
        .value_kind:     global_buffer
      - .actual_access:  read_only
        .address_space:  global
        .offset:         24
        .size:           8
        .value_kind:     global_buffer
      - .offset:         32
        .size:           4
        .value_kind:     by_value
      - .offset:         36
        .size:           4
        .value_kind:     by_value
      - .actual_access:  read_only
        .address_space:  global
        .offset:         40
        .size:           8
        .value_kind:     global_buffer
      - .actual_access:  read_only
        .address_space:  global
        .offset:         48
        .size:           8
        .value_kind:     global_buffer
      - .offset:         56
        .size:           4
        .value_kind:     by_value
      - .actual_access:  read_only
        .address_space:  global
        .offset:         64
        .size:           8
        .value_kind:     global_buffer
      - .offset:         72
        .size:           4
        .value_kind:     by_value
      - .offset:         76
        .size:           4
        .value_kind:     by_value
      - .offset:         80
        .size:           4
        .value_kind:     by_value
      - .address_space:  global
        .offset:         88
        .size:           8
        .value_kind:     global_buffer
      - .address_space:  global
        .offset:         96
        .size:           8
        .value_kind:     global_buffer
      - .offset:         104
        .size:           4
        .value_kind:     by_value
      - .offset:         108
        .size:           4
        .value_kind:     by_value
      - .offset:         112
        .size:           4
        .value_kind:     by_value
      - .offset:         116
        .size:           4
        .value_kind:     by_value
      - .offset:         120
        .size:           4
        .value_kind:     by_value
      - .offset:         128
        .size:           4
        .value_kind:     hidden_block_count_x
      - .offset:         132
        .size:           4
        .value_kind:     hidden_block_count_y
      - .offset:         136
        .size:           4
        .value_kind:     hidden_block_count_z
      - .offset:         140
        .size:           2
        .value_kind:     hidden_group_size_x
      - .offset:         142
        .size:           2
        .value_kind:     hidden_group_size_y
      - .offset:         144
        .size:           2
        .value_kind:     hidden_group_size_z
      - .offset:         146
        .size:           2
        .value_kind:     hidden_remainder_x
      - .offset:         148
        .size:           2
        .value_kind:     hidden_remainder_y
      - .offset:         150
        .size:           2
        .value_kind:     hidden_remainder_z
      - .offset:         168
        .size:           8
        .value_kind:     hidden_global_offset_x
      - .offset:         176
        .size:           8
        .value_kind:     hidden_global_offset_y
      - .offset:         184
        .size:           8
        .value_kind:     hidden_global_offset_z
      - .offset:         192
        .size:           2
        .value_kind:     hidden_grid_dims
      - .offset:         248
        .size:           4
        .value_kind:     hidden_dynamic_lds_size
    .group_segment_fixed_size: 80
    .kernarg_segment_align: 8
    .kernarg_segment_size: 384
    .language:       OpenCL C
    .language_version:
      - 2
      - 0
    .max_flat_workgroup_size: 1024
    .name:           _ZN4vllm25paged_attention_v1_kernelI14__hip_bfloat16hLi32ELi16ELi128ELNS_18Fp8KVCacheDataTypeE1ELb0EEEvPT_PKS3_PKT0_S9_ifPKiSB_iPKfiiiSD_SD_iiiii
    .private_segment_fixed_size: 0
    .sgpr_count:     44
    .sgpr_spill_count: 0
    .symbol:         _ZN4vllm25paged_attention_v1_kernelI14__hip_bfloat16hLi32ELi16ELi128ELNS_18Fp8KVCacheDataTypeE1ELb0EEEvPT_PKS3_PKT0_S9_ifPKiSB_iPKfiiiSD_SD_iiiii.kd
    .uniform_work_group_size: 1
    .uses_dynamic_stack: false
    .vgpr_count:     32
    .vgpr_spill_count: 0
    .wavefront_size: 64
  - .agpr_count:     0
    .args:
      - .actual_access:  write_only
        .address_space:  global
        .offset:         0
        .size:           8
        .value_kind:     global_buffer
      - .actual_access:  read_only
        .address_space:  global
        .offset:         8
        .size:           8
        .value_kind:     global_buffer
      - .actual_access:  read_only
        .address_space:  global
        .offset:         16
        .size:           8
        .value_kind:     global_buffer
      - .actual_access:  read_only
        .address_space:  global
        .offset:         24
        .size:           8
        .value_kind:     global_buffer
      - .offset:         32
        .size:           4
        .value_kind:     by_value
      - .offset:         36
        .size:           4
        .value_kind:     by_value
      - .actual_access:  read_only
        .address_space:  global
        .offset:         40
        .size:           8
        .value_kind:     global_buffer
      - .actual_access:  read_only
        .address_space:  global
        .offset:         48
        .size:           8
        .value_kind:     global_buffer
      - .offset:         56
        .size:           4
        .value_kind:     by_value
      - .actual_access:  read_only
        .address_space:  global
        .offset:         64
        .size:           8
        .value_kind:     global_buffer
      - .offset:         72
        .size:           4
        .value_kind:     by_value
      - .offset:         76
        .size:           4
        .value_kind:     by_value
      - .offset:         80
        .size:           4
        .value_kind:     by_value
      - .address_space:  global
        .offset:         88
        .size:           8
        .value_kind:     global_buffer
      - .address_space:  global
        .offset:         96
        .size:           8
        .value_kind:     global_buffer
      - .offset:         104
        .size:           4
        .value_kind:     by_value
      - .offset:         108
        .size:           4
        .value_kind:     by_value
      - .offset:         112
        .size:           4
        .value_kind:     by_value
      - .offset:         116
        .size:           4
        .value_kind:     by_value
      - .offset:         120
        .size:           4
        .value_kind:     by_value
      - .offset:         128
        .size:           4
        .value_kind:     hidden_block_count_x
      - .offset:         132
        .size:           4
        .value_kind:     hidden_block_count_y
      - .offset:         136
        .size:           4
        .value_kind:     hidden_block_count_z
      - .offset:         140
        .size:           2
        .value_kind:     hidden_group_size_x
      - .offset:         142
        .size:           2
        .value_kind:     hidden_group_size_y
      - .offset:         144
        .size:           2
        .value_kind:     hidden_group_size_z
      - .offset:         146
        .size:           2
        .value_kind:     hidden_remainder_x
      - .offset:         148
        .size:           2
        .value_kind:     hidden_remainder_y
      - .offset:         150
        .size:           2
        .value_kind:     hidden_remainder_z
      - .offset:         168
        .size:           8
        .value_kind:     hidden_global_offset_x
      - .offset:         176
        .size:           8
        .value_kind:     hidden_global_offset_y
      - .offset:         184
        .size:           8
        .value_kind:     hidden_global_offset_z
      - .offset:         192
        .size:           2
        .value_kind:     hidden_grid_dims
      - .offset:         248
        .size:           4
        .value_kind:     hidden_dynamic_lds_size
    .group_segment_fixed_size: 144
    .kernarg_segment_align: 8
    .kernarg_segment_size: 384
    .language:       OpenCL C
    .language_version:
      - 2
      - 0
    .max_flat_workgroup_size: 1024
    .name:           _ZN4vllm25paged_attention_v1_kernelI14__hip_bfloat16hLi64ELi16ELi128ELNS_18Fp8KVCacheDataTypeE1ELb0EEEvPT_PKS3_PKT0_S9_ifPKiSB_iPKfiiiSD_SD_iiiii
    .private_segment_fixed_size: 0
    .sgpr_count:     44
    .sgpr_spill_count: 0
    .symbol:         _ZN4vllm25paged_attention_v1_kernelI14__hip_bfloat16hLi64ELi16ELi128ELNS_18Fp8KVCacheDataTypeE1ELb0EEEvPT_PKS3_PKT0_S9_ifPKiSB_iPKfiiiSD_SD_iiiii.kd
    .uniform_work_group_size: 1
    .uses_dynamic_stack: false
    .vgpr_count:     48
    .vgpr_spill_count: 0
    .wavefront_size: 64
  - .agpr_count:     0
    .args:
      - .actual_access:  write_only
        .address_space:  global
        .offset:         0
        .size:           8
        .value_kind:     global_buffer
      - .actual_access:  read_only
        .address_space:  global
        .offset:         8
        .size:           8
        .value_kind:     global_buffer
      - .actual_access:  read_only
        .address_space:  global
        .offset:         16
        .size:           8
        .value_kind:     global_buffer
      - .actual_access:  read_only
        .address_space:  global
        .offset:         24
        .size:           8
        .value_kind:     global_buffer
      - .offset:         32
        .size:           4
        .value_kind:     by_value
      - .offset:         36
        .size:           4
        .value_kind:     by_value
      - .actual_access:  read_only
        .address_space:  global
        .offset:         40
        .size:           8
        .value_kind:     global_buffer
      - .actual_access:  read_only
        .address_space:  global
        .offset:         48
        .size:           8
        .value_kind:     global_buffer
      - .offset:         56
        .size:           4
        .value_kind:     by_value
      - .actual_access:  read_only
        .address_space:  global
        .offset:         64
        .size:           8
        .value_kind:     global_buffer
      - .offset:         72
        .size:           4
        .value_kind:     by_value
      - .offset:         76
        .size:           4
        .value_kind:     by_value
      - .offset:         80
        .size:           4
        .value_kind:     by_value
      - .address_space:  global
        .offset:         88
        .size:           8
        .value_kind:     global_buffer
      - .address_space:  global
        .offset:         96
        .size:           8
        .value_kind:     global_buffer
      - .offset:         104
        .size:           4
        .value_kind:     by_value
      - .offset:         108
        .size:           4
        .value_kind:     by_value
      - .offset:         112
        .size:           4
        .value_kind:     by_value
      - .offset:         116
        .size:           4
        .value_kind:     by_value
      - .offset:         120
        .size:           4
        .value_kind:     by_value
      - .offset:         128
        .size:           4
        .value_kind:     hidden_block_count_x
      - .offset:         132
        .size:           4
        .value_kind:     hidden_block_count_y
      - .offset:         136
        .size:           4
        .value_kind:     hidden_block_count_z
      - .offset:         140
        .size:           2
        .value_kind:     hidden_group_size_x
      - .offset:         142
        .size:           2
        .value_kind:     hidden_group_size_y
      - .offset:         144
        .size:           2
        .value_kind:     hidden_group_size_z
      - .offset:         146
        .size:           2
        .value_kind:     hidden_remainder_x
      - .offset:         148
        .size:           2
        .value_kind:     hidden_remainder_y
      - .offset:         150
        .size:           2
        .value_kind:     hidden_remainder_z
      - .offset:         168
        .size:           8
        .value_kind:     hidden_global_offset_x
      - .offset:         176
        .size:           8
        .value_kind:     hidden_global_offset_y
      - .offset:         184
        .size:           8
        .value_kind:     hidden_global_offset_z
      - .offset:         192
        .size:           2
        .value_kind:     hidden_grid_dims
      - .offset:         248
        .size:           4
        .value_kind:     hidden_dynamic_lds_size
    .group_segment_fixed_size: 176
    .kernarg_segment_align: 8
    .kernarg_segment_size: 384
    .language:       OpenCL C
    .language_version:
      - 2
      - 0
    .max_flat_workgroup_size: 1024
    .name:           _ZN4vllm25paged_attention_v1_kernelI14__hip_bfloat16hLi80ELi16ELi128ELNS_18Fp8KVCacheDataTypeE1ELb0EEEvPT_PKS3_PKT0_S9_ifPKiSB_iPKfiiiSD_SD_iiiii
    .private_segment_fixed_size: 0
    .sgpr_count:     44
    .sgpr_spill_count: 0
    .symbol:         _ZN4vllm25paged_attention_v1_kernelI14__hip_bfloat16hLi80ELi16ELi128ELNS_18Fp8KVCacheDataTypeE1ELb0EEEvPT_PKS3_PKT0_S9_ifPKiSB_iPKfiiiSD_SD_iiiii.kd
    .uniform_work_group_size: 1
    .uses_dynamic_stack: false
    .vgpr_count:     56
    .vgpr_spill_count: 0
    .wavefront_size: 64
  - .agpr_count:     0
    .args:
      - .actual_access:  write_only
        .address_space:  global
        .offset:         0
        .size:           8
        .value_kind:     global_buffer
      - .actual_access:  read_only
        .address_space:  global
        .offset:         8
        .size:           8
        .value_kind:     global_buffer
      - .actual_access:  read_only
        .address_space:  global
        .offset:         16
        .size:           8
        .value_kind:     global_buffer
      - .actual_access:  read_only
        .address_space:  global
        .offset:         24
        .size:           8
        .value_kind:     global_buffer
      - .offset:         32
        .size:           4
        .value_kind:     by_value
      - .offset:         36
        .size:           4
        .value_kind:     by_value
      - .actual_access:  read_only
        .address_space:  global
        .offset:         40
        .size:           8
        .value_kind:     global_buffer
      - .actual_access:  read_only
        .address_space:  global
        .offset:         48
        .size:           8
        .value_kind:     global_buffer
      - .offset:         56
        .size:           4
        .value_kind:     by_value
      - .actual_access:  read_only
        .address_space:  global
        .offset:         64
        .size:           8
        .value_kind:     global_buffer
      - .offset:         72
        .size:           4
        .value_kind:     by_value
      - .offset:         76
        .size:           4
        .value_kind:     by_value
      - .offset:         80
        .size:           4
        .value_kind:     by_value
      - .address_space:  global
        .offset:         88
        .size:           8
        .value_kind:     global_buffer
      - .address_space:  global
        .offset:         96
        .size:           8
        .value_kind:     global_buffer
      - .offset:         104
        .size:           4
        .value_kind:     by_value
      - .offset:         108
        .size:           4
        .value_kind:     by_value
      - .offset:         112
        .size:           4
        .value_kind:     by_value
      - .offset:         116
        .size:           4
        .value_kind:     by_value
      - .offset:         120
        .size:           4
        .value_kind:     by_value
      - .offset:         128
        .size:           4
        .value_kind:     hidden_block_count_x
      - .offset:         132
        .size:           4
        .value_kind:     hidden_block_count_y
      - .offset:         136
        .size:           4
        .value_kind:     hidden_block_count_z
      - .offset:         140
        .size:           2
        .value_kind:     hidden_group_size_x
      - .offset:         142
        .size:           2
        .value_kind:     hidden_group_size_y
      - .offset:         144
        .size:           2
        .value_kind:     hidden_group_size_z
      - .offset:         146
        .size:           2
        .value_kind:     hidden_remainder_x
      - .offset:         148
        .size:           2
        .value_kind:     hidden_remainder_y
      - .offset:         150
        .size:           2
        .value_kind:     hidden_remainder_z
      - .offset:         168
        .size:           8
        .value_kind:     hidden_global_offset_x
      - .offset:         176
        .size:           8
        .value_kind:     hidden_global_offset_y
      - .offset:         184
        .size:           8
        .value_kind:     hidden_global_offset_z
      - .offset:         192
        .size:           2
        .value_kind:     hidden_grid_dims
      - .offset:         248
        .size:           4
        .value_kind:     hidden_dynamic_lds_size
    .group_segment_fixed_size: 208
    .kernarg_segment_align: 8
    .kernarg_segment_size: 384
    .language:       OpenCL C
    .language_version:
      - 2
      - 0
    .max_flat_workgroup_size: 1024
    .name:           _ZN4vllm25paged_attention_v1_kernelI14__hip_bfloat16hLi96ELi16ELi128ELNS_18Fp8KVCacheDataTypeE1ELb0EEEvPT_PKS3_PKT0_S9_ifPKiSB_iPKfiiiSD_SD_iiiii
    .private_segment_fixed_size: 0
    .sgpr_count:     44
    .sgpr_spill_count: 0
    .symbol:         _ZN4vllm25paged_attention_v1_kernelI14__hip_bfloat16hLi96ELi16ELi128ELNS_18Fp8KVCacheDataTypeE1ELb0EEEvPT_PKS3_PKT0_S9_ifPKiSB_iPKfiiiSD_SD_iiiii.kd
    .uniform_work_group_size: 1
    .uses_dynamic_stack: false
    .vgpr_count:     64
    .vgpr_spill_count: 0
    .wavefront_size: 64
  - .agpr_count:     0
    .args:
      - .actual_access:  write_only
        .address_space:  global
        .offset:         0
        .size:           8
        .value_kind:     global_buffer
      - .actual_access:  read_only
        .address_space:  global
        .offset:         8
        .size:           8
        .value_kind:     global_buffer
      - .actual_access:  read_only
        .address_space:  global
        .offset:         16
        .size:           8
        .value_kind:     global_buffer
      - .actual_access:  read_only
        .address_space:  global
        .offset:         24
        .size:           8
        .value_kind:     global_buffer
      - .offset:         32
        .size:           4
        .value_kind:     by_value
      - .offset:         36
        .size:           4
        .value_kind:     by_value
      - .actual_access:  read_only
        .address_space:  global
        .offset:         40
        .size:           8
        .value_kind:     global_buffer
      - .actual_access:  read_only
        .address_space:  global
        .offset:         48
        .size:           8
        .value_kind:     global_buffer
      - .offset:         56
        .size:           4
        .value_kind:     by_value
      - .actual_access:  read_only
        .address_space:  global
        .offset:         64
        .size:           8
        .value_kind:     global_buffer
      - .offset:         72
        .size:           4
        .value_kind:     by_value
      - .offset:         76
        .size:           4
        .value_kind:     by_value
      - .offset:         80
        .size:           4
        .value_kind:     by_value
      - .address_space:  global
        .offset:         88
        .size:           8
        .value_kind:     global_buffer
      - .address_space:  global
        .offset:         96
        .size:           8
        .value_kind:     global_buffer
      - .offset:         104
        .size:           4
        .value_kind:     by_value
      - .offset:         108
        .size:           4
        .value_kind:     by_value
      - .offset:         112
        .size:           4
        .value_kind:     by_value
      - .offset:         116
        .size:           4
        .value_kind:     by_value
      - .offset:         120
        .size:           4
        .value_kind:     by_value
      - .offset:         128
        .size:           4
        .value_kind:     hidden_block_count_x
      - .offset:         132
        .size:           4
        .value_kind:     hidden_block_count_y
      - .offset:         136
        .size:           4
        .value_kind:     hidden_block_count_z
      - .offset:         140
        .size:           2
        .value_kind:     hidden_group_size_x
      - .offset:         142
        .size:           2
        .value_kind:     hidden_group_size_y
      - .offset:         144
        .size:           2
        .value_kind:     hidden_group_size_z
      - .offset:         146
        .size:           2
        .value_kind:     hidden_remainder_x
      - .offset:         148
        .size:           2
        .value_kind:     hidden_remainder_y
      - .offset:         150
        .size:           2
        .value_kind:     hidden_remainder_z
      - .offset:         168
        .size:           8
        .value_kind:     hidden_global_offset_x
      - .offset:         176
        .size:           8
        .value_kind:     hidden_global_offset_y
      - .offset:         184
        .size:           8
        .value_kind:     hidden_global_offset_z
      - .offset:         192
        .size:           2
        .value_kind:     hidden_grid_dims
      - .offset:         248
        .size:           4
        .value_kind:     hidden_dynamic_lds_size
    .group_segment_fixed_size: 240
    .kernarg_segment_align: 8
    .kernarg_segment_size: 384
    .language:       OpenCL C
    .language_version:
      - 2
      - 0
    .max_flat_workgroup_size: 1024
    .name:           _ZN4vllm25paged_attention_v1_kernelI14__hip_bfloat16hLi112ELi16ELi128ELNS_18Fp8KVCacheDataTypeE1ELb0EEEvPT_PKS3_PKT0_S9_ifPKiSB_iPKfiiiSD_SD_iiiii
    .private_segment_fixed_size: 0
    .sgpr_count:     44
    .sgpr_spill_count: 0
    .symbol:         _ZN4vllm25paged_attention_v1_kernelI14__hip_bfloat16hLi112ELi16ELi128ELNS_18Fp8KVCacheDataTypeE1ELb0EEEvPT_PKS3_PKT0_S9_ifPKiSB_iPKfiiiSD_SD_iiiii.kd
    .uniform_work_group_size: 1
    .uses_dynamic_stack: false
    .vgpr_count:     63
    .vgpr_spill_count: 0
    .wavefront_size: 64
  - .agpr_count:     0
    .args:
      - .actual_access:  write_only
        .address_space:  global
        .offset:         0
        .size:           8
        .value_kind:     global_buffer
      - .actual_access:  read_only
        .address_space:  global
        .offset:         8
        .size:           8
        .value_kind:     global_buffer
      - .actual_access:  read_only
        .address_space:  global
        .offset:         16
        .size:           8
        .value_kind:     global_buffer
      - .actual_access:  read_only
        .address_space:  global
        .offset:         24
        .size:           8
        .value_kind:     global_buffer
      - .offset:         32
        .size:           4
        .value_kind:     by_value
      - .offset:         36
        .size:           4
        .value_kind:     by_value
      - .actual_access:  read_only
        .address_space:  global
        .offset:         40
        .size:           8
        .value_kind:     global_buffer
      - .actual_access:  read_only
        .address_space:  global
        .offset:         48
        .size:           8
        .value_kind:     global_buffer
      - .offset:         56
        .size:           4
        .value_kind:     by_value
      - .actual_access:  read_only
        .address_space:  global
        .offset:         64
        .size:           8
        .value_kind:     global_buffer
      - .offset:         72
        .size:           4
        .value_kind:     by_value
      - .offset:         76
        .size:           4
        .value_kind:     by_value
      - .offset:         80
        .size:           4
        .value_kind:     by_value
      - .address_space:  global
        .offset:         88
        .size:           8
        .value_kind:     global_buffer
      - .address_space:  global
        .offset:         96
        .size:           8
        .value_kind:     global_buffer
      - .offset:         104
        .size:           4
        .value_kind:     by_value
      - .offset:         108
        .size:           4
        .value_kind:     by_value
      - .offset:         112
        .size:           4
        .value_kind:     by_value
      - .offset:         116
        .size:           4
        .value_kind:     by_value
      - .offset:         120
        .size:           4
        .value_kind:     by_value
      - .offset:         128
        .size:           4
        .value_kind:     hidden_block_count_x
      - .offset:         132
        .size:           4
        .value_kind:     hidden_block_count_y
      - .offset:         136
        .size:           4
        .value_kind:     hidden_block_count_z
      - .offset:         140
        .size:           2
        .value_kind:     hidden_group_size_x
      - .offset:         142
        .size:           2
        .value_kind:     hidden_group_size_y
      - .offset:         144
        .size:           2
        .value_kind:     hidden_group_size_z
      - .offset:         146
        .size:           2
        .value_kind:     hidden_remainder_x
      - .offset:         148
        .size:           2
        .value_kind:     hidden_remainder_y
      - .offset:         150
        .size:           2
        .value_kind:     hidden_remainder_z
      - .offset:         168
        .size:           8
        .value_kind:     hidden_global_offset_x
      - .offset:         176
        .size:           8
        .value_kind:     hidden_global_offset_y
      - .offset:         184
        .size:           8
        .value_kind:     hidden_global_offset_z
      - .offset:         192
        .size:           2
        .value_kind:     hidden_grid_dims
      - .offset:         248
        .size:           4
        .value_kind:     hidden_dynamic_lds_size
    .group_segment_fixed_size: 256
    .kernarg_segment_align: 8
    .kernarg_segment_size: 384
    .language:       OpenCL C
    .language_version:
      - 2
      - 0
    .max_flat_workgroup_size: 1024
    .name:           _ZN4vllm25paged_attention_v1_kernelI14__hip_bfloat16hLi120ELi16ELi128ELNS_18Fp8KVCacheDataTypeE1ELb0EEEvPT_PKS3_PKT0_S9_ifPKiSB_iPKfiiiSD_SD_iiiii
    .private_segment_fixed_size: 0
    .sgpr_count:     44
    .sgpr_spill_count: 0
    .symbol:         _ZN4vllm25paged_attention_v1_kernelI14__hip_bfloat16hLi120ELi16ELi128ELNS_18Fp8KVCacheDataTypeE1ELb0EEEvPT_PKS3_PKT0_S9_ifPKiSB_iPKfiiiSD_SD_iiiii.kd
    .uniform_work_group_size: 1
    .uses_dynamic_stack: false
    .vgpr_count:     64
    .vgpr_spill_count: 0
    .wavefront_size: 64
  - .agpr_count:     0
    .args:
      - .actual_access:  write_only
        .address_space:  global
        .offset:         0
        .size:           8
        .value_kind:     global_buffer
      - .actual_access:  read_only
        .address_space:  global
        .offset:         8
        .size:           8
        .value_kind:     global_buffer
      - .actual_access:  read_only
        .address_space:  global
        .offset:         16
        .size:           8
        .value_kind:     global_buffer
      - .actual_access:  read_only
        .address_space:  global
        .offset:         24
        .size:           8
        .value_kind:     global_buffer
      - .offset:         32
        .size:           4
        .value_kind:     by_value
      - .offset:         36
        .size:           4
        .value_kind:     by_value
      - .actual_access:  read_only
        .address_space:  global
        .offset:         40
        .size:           8
        .value_kind:     global_buffer
      - .actual_access:  read_only
        .address_space:  global
        .offset:         48
        .size:           8
        .value_kind:     global_buffer
      - .offset:         56
        .size:           4
        .value_kind:     by_value
      - .actual_access:  read_only
        .address_space:  global
        .offset:         64
        .size:           8
        .value_kind:     global_buffer
      - .offset:         72
        .size:           4
        .value_kind:     by_value
      - .offset:         76
        .size:           4
        .value_kind:     by_value
      - .offset:         80
        .size:           4
        .value_kind:     by_value
      - .address_space:  global
        .offset:         88
        .size:           8
        .value_kind:     global_buffer
      - .address_space:  global
        .offset:         96
        .size:           8
        .value_kind:     global_buffer
      - .offset:         104
        .size:           4
        .value_kind:     by_value
      - .offset:         108
        .size:           4
        .value_kind:     by_value
      - .offset:         112
        .size:           4
        .value_kind:     by_value
      - .offset:         116
        .size:           4
        .value_kind:     by_value
      - .offset:         120
        .size:           4
        .value_kind:     by_value
      - .offset:         128
        .size:           4
        .value_kind:     hidden_block_count_x
      - .offset:         132
        .size:           4
        .value_kind:     hidden_block_count_y
      - .offset:         136
        .size:           4
        .value_kind:     hidden_block_count_z
      - .offset:         140
        .size:           2
        .value_kind:     hidden_group_size_x
      - .offset:         142
        .size:           2
        .value_kind:     hidden_group_size_y
      - .offset:         144
        .size:           2
        .value_kind:     hidden_group_size_z
      - .offset:         146
        .size:           2
        .value_kind:     hidden_remainder_x
      - .offset:         148
        .size:           2
        .value_kind:     hidden_remainder_y
      - .offset:         150
        .size:           2
        .value_kind:     hidden_remainder_z
      - .offset:         168
        .size:           8
        .value_kind:     hidden_global_offset_x
      - .offset:         176
        .size:           8
        .value_kind:     hidden_global_offset_y
      - .offset:         184
        .size:           8
        .value_kind:     hidden_global_offset_z
      - .offset:         192
        .size:           2
        .value_kind:     hidden_grid_dims
      - .offset:         248
        .size:           4
        .value_kind:     hidden_dynamic_lds_size
    .group_segment_fixed_size: 272
    .kernarg_segment_align: 8
    .kernarg_segment_size: 384
    .language:       OpenCL C
    .language_version:
      - 2
      - 0
    .max_flat_workgroup_size: 1024
    .name:           _ZN4vllm25paged_attention_v1_kernelI14__hip_bfloat16hLi128ELi16ELi128ELNS_18Fp8KVCacheDataTypeE1ELb0EEEvPT_PKS3_PKT0_S9_ifPKiSB_iPKfiiiSD_SD_iiiii
    .private_segment_fixed_size: 0
    .sgpr_count:     46
    .sgpr_spill_count: 0
    .symbol:         _ZN4vllm25paged_attention_v1_kernelI14__hip_bfloat16hLi128ELi16ELi128ELNS_18Fp8KVCacheDataTypeE1ELb0EEEvPT_PKS3_PKT0_S9_ifPKiSB_iPKfiiiSD_SD_iiiii.kd
    .uniform_work_group_size: 1
    .uses_dynamic_stack: false
    .vgpr_count:     78
    .vgpr_spill_count: 0
    .wavefront_size: 64
  - .agpr_count:     0
    .args:
      - .actual_access:  write_only
        .address_space:  global
        .offset:         0
        .size:           8
        .value_kind:     global_buffer
      - .actual_access:  read_only
        .address_space:  global
        .offset:         8
        .size:           8
        .value_kind:     global_buffer
      - .actual_access:  read_only
        .address_space:  global
        .offset:         16
        .size:           8
        .value_kind:     global_buffer
      - .actual_access:  read_only
        .address_space:  global
        .offset:         24
        .size:           8
        .value_kind:     global_buffer
      - .offset:         32
        .size:           4
        .value_kind:     by_value
      - .offset:         36
        .size:           4
        .value_kind:     by_value
      - .actual_access:  read_only
        .address_space:  global
        .offset:         40
        .size:           8
        .value_kind:     global_buffer
      - .actual_access:  read_only
        .address_space:  global
        .offset:         48
        .size:           8
        .value_kind:     global_buffer
      - .offset:         56
        .size:           4
        .value_kind:     by_value
      - .actual_access:  read_only
        .address_space:  global
        .offset:         64
        .size:           8
        .value_kind:     global_buffer
      - .offset:         72
        .size:           4
        .value_kind:     by_value
      - .offset:         76
        .size:           4
        .value_kind:     by_value
      - .offset:         80
        .size:           4
        .value_kind:     by_value
      - .address_space:  global
        .offset:         88
        .size:           8
        .value_kind:     global_buffer
      - .address_space:  global
        .offset:         96
        .size:           8
        .value_kind:     global_buffer
      - .offset:         104
        .size:           4
        .value_kind:     by_value
      - .offset:         108
        .size:           4
        .value_kind:     by_value
      - .offset:         112
        .size:           4
        .value_kind:     by_value
      - .offset:         116
        .size:           4
        .value_kind:     by_value
      - .offset:         120
        .size:           4
        .value_kind:     by_value
      - .offset:         128
        .size:           4
        .value_kind:     hidden_block_count_x
      - .offset:         132
        .size:           4
        .value_kind:     hidden_block_count_y
      - .offset:         136
        .size:           4
        .value_kind:     hidden_block_count_z
      - .offset:         140
        .size:           2
        .value_kind:     hidden_group_size_x
      - .offset:         142
        .size:           2
        .value_kind:     hidden_group_size_y
      - .offset:         144
        .size:           2
        .value_kind:     hidden_group_size_z
      - .offset:         146
        .size:           2
        .value_kind:     hidden_remainder_x
      - .offset:         148
        .size:           2
        .value_kind:     hidden_remainder_y
      - .offset:         150
        .size:           2
        .value_kind:     hidden_remainder_z
      - .offset:         168
        .size:           8
        .value_kind:     hidden_global_offset_x
      - .offset:         176
        .size:           8
        .value_kind:     hidden_global_offset_y
      - .offset:         184
        .size:           8
        .value_kind:     hidden_global_offset_z
      - .offset:         192
        .size:           2
        .value_kind:     hidden_grid_dims
      - .offset:         248
        .size:           4
        .value_kind:     hidden_dynamic_lds_size
    .group_segment_fixed_size: 400
    .kernarg_segment_align: 8
    .kernarg_segment_size: 384
    .language:       OpenCL C
    .language_version:
      - 2
      - 0
    .max_flat_workgroup_size: 1024
    .name:           _ZN4vllm25paged_attention_v1_kernelI14__hip_bfloat16hLi192ELi16ELi128ELNS_18Fp8KVCacheDataTypeE1ELb0EEEvPT_PKS3_PKT0_S9_ifPKiSB_iPKfiiiSD_SD_iiiii
    .private_segment_fixed_size: 0
    .sgpr_count:     44
    .sgpr_spill_count: 0
    .symbol:         _ZN4vllm25paged_attention_v1_kernelI14__hip_bfloat16hLi192ELi16ELi128ELNS_18Fp8KVCacheDataTypeE1ELb0EEEvPT_PKS3_PKT0_S9_ifPKiSB_iPKfiiiSD_SD_iiiii.kd
    .uniform_work_group_size: 1
    .uses_dynamic_stack: false
    .vgpr_count:     102
    .vgpr_spill_count: 0
    .wavefront_size: 64
  - .agpr_count:     0
    .args:
      - .actual_access:  write_only
        .address_space:  global
        .offset:         0
        .size:           8
        .value_kind:     global_buffer
      - .actual_access:  read_only
        .address_space:  global
        .offset:         8
        .size:           8
        .value_kind:     global_buffer
      - .actual_access:  read_only
        .address_space:  global
        .offset:         16
        .size:           8
        .value_kind:     global_buffer
      - .actual_access:  read_only
        .address_space:  global
        .offset:         24
        .size:           8
        .value_kind:     global_buffer
      - .offset:         32
        .size:           4
        .value_kind:     by_value
      - .offset:         36
        .size:           4
        .value_kind:     by_value
      - .actual_access:  read_only
        .address_space:  global
        .offset:         40
        .size:           8
        .value_kind:     global_buffer
      - .actual_access:  read_only
        .address_space:  global
        .offset:         48
        .size:           8
        .value_kind:     global_buffer
      - .offset:         56
        .size:           4
        .value_kind:     by_value
      - .actual_access:  read_only
        .address_space:  global
        .offset:         64
        .size:           8
        .value_kind:     global_buffer
      - .offset:         72
        .size:           4
        .value_kind:     by_value
      - .offset:         76
        .size:           4
        .value_kind:     by_value
      - .offset:         80
        .size:           4
        .value_kind:     by_value
      - .address_space:  global
        .offset:         88
        .size:           8
        .value_kind:     global_buffer
      - .address_space:  global
        .offset:         96
        .size:           8
        .value_kind:     global_buffer
      - .offset:         104
        .size:           4
        .value_kind:     by_value
      - .offset:         108
        .size:           4
        .value_kind:     by_value
      - .offset:         112
        .size:           4
        .value_kind:     by_value
      - .offset:         116
        .size:           4
        .value_kind:     by_value
      - .offset:         120
        .size:           4
        .value_kind:     by_value
      - .offset:         128
        .size:           4
        .value_kind:     hidden_block_count_x
      - .offset:         132
        .size:           4
        .value_kind:     hidden_block_count_y
      - .offset:         136
        .size:           4
        .value_kind:     hidden_block_count_z
      - .offset:         140
        .size:           2
        .value_kind:     hidden_group_size_x
      - .offset:         142
        .size:           2
        .value_kind:     hidden_group_size_y
      - .offset:         144
        .size:           2
        .value_kind:     hidden_group_size_z
      - .offset:         146
        .size:           2
        .value_kind:     hidden_remainder_x
      - .offset:         148
        .size:           2
        .value_kind:     hidden_remainder_y
      - .offset:         150
        .size:           2
        .value_kind:     hidden_remainder_z
      - .offset:         168
        .size:           8
        .value_kind:     hidden_global_offset_x
      - .offset:         176
        .size:           8
        .value_kind:     hidden_global_offset_y
      - .offset:         184
        .size:           8
        .value_kind:     hidden_global_offset_z
      - .offset:         192
        .size:           2
        .value_kind:     hidden_grid_dims
      - .offset:         248
        .size:           4
        .value_kind:     hidden_dynamic_lds_size
    .group_segment_fixed_size: 528
    .kernarg_segment_align: 8
    .kernarg_segment_size: 384
    .language:       OpenCL C
    .language_version:
      - 2
      - 0
    .max_flat_workgroup_size: 1024
    .name:           _ZN4vllm25paged_attention_v1_kernelI14__hip_bfloat16hLi256ELi16ELi128ELNS_18Fp8KVCacheDataTypeE1ELb0EEEvPT_PKS3_PKT0_S9_ifPKiSB_iPKfiiiSD_SD_iiiii
    .private_segment_fixed_size: 0
    .sgpr_count:     44
    .sgpr_spill_count: 0
    .symbol:         _ZN4vllm25paged_attention_v1_kernelI14__hip_bfloat16hLi256ELi16ELi128ELNS_18Fp8KVCacheDataTypeE1ELb0EEEvPT_PKS3_PKT0_S9_ifPKiSB_iPKfiiiSD_SD_iiiii.kd
    .uniform_work_group_size: 1
    .uses_dynamic_stack: false
    .vgpr_count:     126
    .vgpr_spill_count: 0
    .wavefront_size: 64
  - .agpr_count:     0
    .args:
      - .actual_access:  write_only
        .address_space:  global
        .offset:         0
        .size:           8
        .value_kind:     global_buffer
      - .actual_access:  read_only
        .address_space:  global
        .offset:         8
        .size:           8
        .value_kind:     global_buffer
      - .actual_access:  read_only
        .address_space:  global
        .offset:         16
        .size:           8
        .value_kind:     global_buffer
      - .actual_access:  read_only
        .address_space:  global
        .offset:         24
        .size:           8
        .value_kind:     global_buffer
      - .offset:         32
        .size:           4
        .value_kind:     by_value
      - .offset:         36
        .size:           4
        .value_kind:     by_value
      - .actual_access:  read_only
        .address_space:  global
        .offset:         40
        .size:           8
        .value_kind:     global_buffer
      - .actual_access:  read_only
        .address_space:  global
        .offset:         48
        .size:           8
        .value_kind:     global_buffer
      - .offset:         56
        .size:           4
        .value_kind:     by_value
      - .actual_access:  read_only
        .address_space:  global
        .offset:         64
        .size:           8
        .value_kind:     global_buffer
      - .offset:         72
        .size:           4
        .value_kind:     by_value
      - .offset:         76
        .size:           4
        .value_kind:     by_value
      - .offset:         80
        .size:           4
        .value_kind:     by_value
      - .address_space:  global
        .offset:         88
        .size:           8
        .value_kind:     global_buffer
      - .address_space:  global
        .offset:         96
        .size:           8
        .value_kind:     global_buffer
      - .offset:         104
        .size:           4
        .value_kind:     by_value
      - .offset:         108
        .size:           4
        .value_kind:     by_value
      - .offset:         112
        .size:           4
        .value_kind:     by_value
      - .offset:         116
        .size:           4
        .value_kind:     by_value
      - .offset:         120
        .size:           4
        .value_kind:     by_value
      - .offset:         128
        .size:           4
        .value_kind:     hidden_block_count_x
      - .offset:         132
        .size:           4
        .value_kind:     hidden_block_count_y
      - .offset:         136
        .size:           4
        .value_kind:     hidden_block_count_z
      - .offset:         140
        .size:           2
        .value_kind:     hidden_group_size_x
      - .offset:         142
        .size:           2
        .value_kind:     hidden_group_size_y
      - .offset:         144
        .size:           2
        .value_kind:     hidden_group_size_z
      - .offset:         146
        .size:           2
        .value_kind:     hidden_remainder_x
      - .offset:         148
        .size:           2
        .value_kind:     hidden_remainder_y
      - .offset:         150
        .size:           2
        .value_kind:     hidden_remainder_z
      - .offset:         168
        .size:           8
        .value_kind:     hidden_global_offset_x
      - .offset:         176
        .size:           8
        .value_kind:     hidden_global_offset_y
      - .offset:         184
        .size:           8
        .value_kind:     hidden_global_offset_z
      - .offset:         192
        .size:           2
        .value_kind:     hidden_grid_dims
      - .offset:         248
        .size:           4
        .value_kind:     hidden_dynamic_lds_size
    .group_segment_fixed_size: 80
    .kernarg_segment_align: 8
    .kernarg_segment_size: 384
    .language:       OpenCL C
    .language_version:
      - 2
      - 0
    .max_flat_workgroup_size: 1024
    .name:           _ZN4vllm25paged_attention_v1_kernelI14__hip_bfloat16hLi32ELi32ELi128ELNS_18Fp8KVCacheDataTypeE1ELb1EEEvPT_PKS3_PKT0_S9_ifPKiSB_iPKfiiiSD_SD_iiiii
    .private_segment_fixed_size: 0
    .sgpr_count:     54
    .sgpr_spill_count: 0
    .symbol:         _ZN4vllm25paged_attention_v1_kernelI14__hip_bfloat16hLi32ELi32ELi128ELNS_18Fp8KVCacheDataTypeE1ELb1EEEvPT_PKS3_PKT0_S9_ifPKiSB_iPKfiiiSD_SD_iiiii.kd
    .uniform_work_group_size: 1
    .uses_dynamic_stack: false
    .vgpr_count:     55
    .vgpr_spill_count: 0
    .wavefront_size: 64
  - .agpr_count:     0
    .args:
      - .actual_access:  write_only
        .address_space:  global
        .offset:         0
        .size:           8
        .value_kind:     global_buffer
      - .actual_access:  read_only
        .address_space:  global
        .offset:         8
        .size:           8
        .value_kind:     global_buffer
      - .actual_access:  read_only
        .address_space:  global
        .offset:         16
        .size:           8
        .value_kind:     global_buffer
      - .actual_access:  read_only
        .address_space:  global
        .offset:         24
        .size:           8
        .value_kind:     global_buffer
      - .offset:         32
        .size:           4
        .value_kind:     by_value
      - .offset:         36
        .size:           4
        .value_kind:     by_value
      - .actual_access:  read_only
        .address_space:  global
        .offset:         40
        .size:           8
        .value_kind:     global_buffer
      - .actual_access:  read_only
        .address_space:  global
        .offset:         48
        .size:           8
        .value_kind:     global_buffer
      - .offset:         56
        .size:           4
        .value_kind:     by_value
      - .actual_access:  read_only
        .address_space:  global
        .offset:         64
        .size:           8
        .value_kind:     global_buffer
      - .offset:         72
        .size:           4
        .value_kind:     by_value
      - .offset:         76
        .size:           4
        .value_kind:     by_value
      - .offset:         80
        .size:           4
        .value_kind:     by_value
      - .address_space:  global
        .offset:         88
        .size:           8
        .value_kind:     global_buffer
      - .address_space:  global
        .offset:         96
        .size:           8
        .value_kind:     global_buffer
      - .offset:         104
        .size:           4
        .value_kind:     by_value
      - .offset:         108
        .size:           4
        .value_kind:     by_value
      - .offset:         112
        .size:           4
        .value_kind:     by_value
      - .offset:         116
        .size:           4
        .value_kind:     by_value
      - .offset:         120
        .size:           4
        .value_kind:     by_value
      - .offset:         128
        .size:           4
        .value_kind:     hidden_block_count_x
      - .offset:         132
        .size:           4
        .value_kind:     hidden_block_count_y
      - .offset:         136
        .size:           4
        .value_kind:     hidden_block_count_z
      - .offset:         140
        .size:           2
        .value_kind:     hidden_group_size_x
      - .offset:         142
        .size:           2
        .value_kind:     hidden_group_size_y
      - .offset:         144
        .size:           2
        .value_kind:     hidden_group_size_z
      - .offset:         146
        .size:           2
        .value_kind:     hidden_remainder_x
      - .offset:         148
        .size:           2
        .value_kind:     hidden_remainder_y
      - .offset:         150
        .size:           2
        .value_kind:     hidden_remainder_z
      - .offset:         168
        .size:           8
        .value_kind:     hidden_global_offset_x
      - .offset:         176
        .size:           8
        .value_kind:     hidden_global_offset_y
      - .offset:         184
        .size:           8
        .value_kind:     hidden_global_offset_z
      - .offset:         192
        .size:           2
        .value_kind:     hidden_grid_dims
      - .offset:         248
        .size:           4
        .value_kind:     hidden_dynamic_lds_size
    .group_segment_fixed_size: 144
    .kernarg_segment_align: 8
    .kernarg_segment_size: 384
    .language:       OpenCL C
    .language_version:
      - 2
      - 0
    .max_flat_workgroup_size: 1024
    .name:           _ZN4vllm25paged_attention_v1_kernelI14__hip_bfloat16hLi64ELi32ELi128ELNS_18Fp8KVCacheDataTypeE1ELb1EEEvPT_PKS3_PKT0_S9_ifPKiSB_iPKfiiiSD_SD_iiiii
    .private_segment_fixed_size: 0
    .sgpr_count:     54
    .sgpr_spill_count: 0
    .symbol:         _ZN4vllm25paged_attention_v1_kernelI14__hip_bfloat16hLi64ELi32ELi128ELNS_18Fp8KVCacheDataTypeE1ELb1EEEvPT_PKS3_PKT0_S9_ifPKiSB_iPKfiiiSD_SD_iiiii.kd
    .uniform_work_group_size: 1
    .uses_dynamic_stack: false
    .vgpr_count:     84
    .vgpr_spill_count: 0
    .wavefront_size: 64
  - .agpr_count:     0
    .args:
      - .actual_access:  write_only
        .address_space:  global
        .offset:         0
        .size:           8
        .value_kind:     global_buffer
      - .actual_access:  read_only
        .address_space:  global
        .offset:         8
        .size:           8
        .value_kind:     global_buffer
      - .actual_access:  read_only
        .address_space:  global
        .offset:         16
        .size:           8
        .value_kind:     global_buffer
      - .actual_access:  read_only
        .address_space:  global
        .offset:         24
        .size:           8
        .value_kind:     global_buffer
      - .offset:         32
        .size:           4
        .value_kind:     by_value
      - .offset:         36
        .size:           4
        .value_kind:     by_value
      - .actual_access:  read_only
        .address_space:  global
        .offset:         40
        .size:           8
        .value_kind:     global_buffer
      - .actual_access:  read_only
        .address_space:  global
        .offset:         48
        .size:           8
        .value_kind:     global_buffer
      - .offset:         56
        .size:           4
        .value_kind:     by_value
      - .actual_access:  read_only
        .address_space:  global
        .offset:         64
        .size:           8
        .value_kind:     global_buffer
      - .offset:         72
        .size:           4
        .value_kind:     by_value
      - .offset:         76
        .size:           4
        .value_kind:     by_value
      - .offset:         80
        .size:           4
        .value_kind:     by_value
      - .address_space:  global
        .offset:         88
        .size:           8
        .value_kind:     global_buffer
      - .address_space:  global
        .offset:         96
        .size:           8
        .value_kind:     global_buffer
      - .offset:         104
        .size:           4
        .value_kind:     by_value
      - .offset:         108
        .size:           4
        .value_kind:     by_value
      - .offset:         112
        .size:           4
        .value_kind:     by_value
      - .offset:         116
        .size:           4
        .value_kind:     by_value
      - .offset:         120
        .size:           4
        .value_kind:     by_value
      - .offset:         128
        .size:           4
        .value_kind:     hidden_block_count_x
      - .offset:         132
        .size:           4
        .value_kind:     hidden_block_count_y
      - .offset:         136
        .size:           4
        .value_kind:     hidden_block_count_z
      - .offset:         140
        .size:           2
        .value_kind:     hidden_group_size_x
      - .offset:         142
        .size:           2
        .value_kind:     hidden_group_size_y
      - .offset:         144
        .size:           2
        .value_kind:     hidden_group_size_z
      - .offset:         146
        .size:           2
        .value_kind:     hidden_remainder_x
      - .offset:         148
        .size:           2
        .value_kind:     hidden_remainder_y
      - .offset:         150
        .size:           2
        .value_kind:     hidden_remainder_z
      - .offset:         168
        .size:           8
        .value_kind:     hidden_global_offset_x
      - .offset:         176
        .size:           8
        .value_kind:     hidden_global_offset_y
      - .offset:         184
        .size:           8
        .value_kind:     hidden_global_offset_z
      - .offset:         192
        .size:           2
        .value_kind:     hidden_grid_dims
      - .offset:         248
        .size:           4
        .value_kind:     hidden_dynamic_lds_size
    .group_segment_fixed_size: 176
    .kernarg_segment_align: 8
    .kernarg_segment_size: 384
    .language:       OpenCL C
    .language_version:
      - 2
      - 0
    .max_flat_workgroup_size: 1024
    .name:           _ZN4vllm25paged_attention_v1_kernelI14__hip_bfloat16hLi80ELi32ELi128ELNS_18Fp8KVCacheDataTypeE1ELb1EEEvPT_PKS3_PKT0_S9_ifPKiSB_iPKfiiiSD_SD_iiiii
    .private_segment_fixed_size: 0
    .sgpr_count:     54
    .sgpr_spill_count: 0
    .symbol:         _ZN4vllm25paged_attention_v1_kernelI14__hip_bfloat16hLi80ELi32ELi128ELNS_18Fp8KVCacheDataTypeE1ELb1EEEvPT_PKS3_PKT0_S9_ifPKiSB_iPKfiiiSD_SD_iiiii.kd
    .uniform_work_group_size: 1
    .uses_dynamic_stack: false
    .vgpr_count:     90
    .vgpr_spill_count: 0
    .wavefront_size: 64
  - .agpr_count:     0
    .args:
      - .actual_access:  write_only
        .address_space:  global
        .offset:         0
        .size:           8
        .value_kind:     global_buffer
      - .actual_access:  read_only
        .address_space:  global
        .offset:         8
        .size:           8
        .value_kind:     global_buffer
      - .actual_access:  read_only
        .address_space:  global
        .offset:         16
        .size:           8
        .value_kind:     global_buffer
      - .actual_access:  read_only
        .address_space:  global
        .offset:         24
        .size:           8
        .value_kind:     global_buffer
      - .offset:         32
        .size:           4
        .value_kind:     by_value
      - .offset:         36
        .size:           4
        .value_kind:     by_value
      - .actual_access:  read_only
        .address_space:  global
        .offset:         40
        .size:           8
        .value_kind:     global_buffer
      - .actual_access:  read_only
        .address_space:  global
        .offset:         48
        .size:           8
        .value_kind:     global_buffer
      - .offset:         56
        .size:           4
        .value_kind:     by_value
      - .actual_access:  read_only
        .address_space:  global
        .offset:         64
        .size:           8
        .value_kind:     global_buffer
      - .offset:         72
        .size:           4
        .value_kind:     by_value
      - .offset:         76
        .size:           4
        .value_kind:     by_value
      - .offset:         80
        .size:           4
        .value_kind:     by_value
      - .address_space:  global
        .offset:         88
        .size:           8
        .value_kind:     global_buffer
      - .address_space:  global
        .offset:         96
        .size:           8
        .value_kind:     global_buffer
      - .offset:         104
        .size:           4
        .value_kind:     by_value
      - .offset:         108
        .size:           4
        .value_kind:     by_value
      - .offset:         112
        .size:           4
        .value_kind:     by_value
      - .offset:         116
        .size:           4
        .value_kind:     by_value
      - .offset:         120
        .size:           4
        .value_kind:     by_value
      - .offset:         128
        .size:           4
        .value_kind:     hidden_block_count_x
      - .offset:         132
        .size:           4
        .value_kind:     hidden_block_count_y
      - .offset:         136
        .size:           4
        .value_kind:     hidden_block_count_z
      - .offset:         140
        .size:           2
        .value_kind:     hidden_group_size_x
      - .offset:         142
        .size:           2
        .value_kind:     hidden_group_size_y
      - .offset:         144
        .size:           2
        .value_kind:     hidden_group_size_z
      - .offset:         146
        .size:           2
        .value_kind:     hidden_remainder_x
      - .offset:         148
        .size:           2
        .value_kind:     hidden_remainder_y
      - .offset:         150
        .size:           2
        .value_kind:     hidden_remainder_z
      - .offset:         168
        .size:           8
        .value_kind:     hidden_global_offset_x
      - .offset:         176
        .size:           8
        .value_kind:     hidden_global_offset_y
      - .offset:         184
        .size:           8
        .value_kind:     hidden_global_offset_z
      - .offset:         192
        .size:           2
        .value_kind:     hidden_grid_dims
      - .offset:         248
        .size:           4
        .value_kind:     hidden_dynamic_lds_size
    .group_segment_fixed_size: 208
    .kernarg_segment_align: 8
    .kernarg_segment_size: 384
    .language:       OpenCL C
    .language_version:
      - 2
      - 0
    .max_flat_workgroup_size: 1024
    .name:           _ZN4vllm25paged_attention_v1_kernelI14__hip_bfloat16hLi96ELi32ELi128ELNS_18Fp8KVCacheDataTypeE1ELb1EEEvPT_PKS3_PKT0_S9_ifPKiSB_iPKfiiiSD_SD_iiiii
    .private_segment_fixed_size: 0
    .sgpr_count:     54
    .sgpr_spill_count: 0
    .symbol:         _ZN4vllm25paged_attention_v1_kernelI14__hip_bfloat16hLi96ELi32ELi128ELNS_18Fp8KVCacheDataTypeE1ELb1EEEvPT_PKS3_PKT0_S9_ifPKiSB_iPKfiiiSD_SD_iiiii.kd
    .uniform_work_group_size: 1
    .uses_dynamic_stack: false
    .vgpr_count:     97
    .vgpr_spill_count: 0
    .wavefront_size: 64
  - .agpr_count:     0
    .args:
      - .actual_access:  write_only
        .address_space:  global
        .offset:         0
        .size:           8
        .value_kind:     global_buffer
      - .actual_access:  read_only
        .address_space:  global
        .offset:         8
        .size:           8
        .value_kind:     global_buffer
      - .actual_access:  read_only
        .address_space:  global
        .offset:         16
        .size:           8
        .value_kind:     global_buffer
      - .actual_access:  read_only
        .address_space:  global
        .offset:         24
        .size:           8
        .value_kind:     global_buffer
      - .offset:         32
        .size:           4
        .value_kind:     by_value
      - .offset:         36
        .size:           4
        .value_kind:     by_value
      - .actual_access:  read_only
        .address_space:  global
        .offset:         40
        .size:           8
        .value_kind:     global_buffer
      - .actual_access:  read_only
        .address_space:  global
        .offset:         48
        .size:           8
        .value_kind:     global_buffer
      - .offset:         56
        .size:           4
        .value_kind:     by_value
      - .actual_access:  read_only
        .address_space:  global
        .offset:         64
        .size:           8
        .value_kind:     global_buffer
      - .offset:         72
        .size:           4
        .value_kind:     by_value
      - .offset:         76
        .size:           4
        .value_kind:     by_value
      - .offset:         80
        .size:           4
        .value_kind:     by_value
      - .address_space:  global
        .offset:         88
        .size:           8
        .value_kind:     global_buffer
      - .address_space:  global
        .offset:         96
        .size:           8
        .value_kind:     global_buffer
      - .offset:         104
        .size:           4
        .value_kind:     by_value
      - .offset:         108
        .size:           4
        .value_kind:     by_value
      - .offset:         112
        .size:           4
        .value_kind:     by_value
      - .offset:         116
        .size:           4
        .value_kind:     by_value
      - .offset:         120
        .size:           4
        .value_kind:     by_value
      - .offset:         128
        .size:           4
        .value_kind:     hidden_block_count_x
      - .offset:         132
        .size:           4
        .value_kind:     hidden_block_count_y
      - .offset:         136
        .size:           4
        .value_kind:     hidden_block_count_z
      - .offset:         140
        .size:           2
        .value_kind:     hidden_group_size_x
      - .offset:         142
        .size:           2
        .value_kind:     hidden_group_size_y
      - .offset:         144
        .size:           2
        .value_kind:     hidden_group_size_z
      - .offset:         146
        .size:           2
        .value_kind:     hidden_remainder_x
      - .offset:         148
        .size:           2
        .value_kind:     hidden_remainder_y
      - .offset:         150
        .size:           2
        .value_kind:     hidden_remainder_z
      - .offset:         168
        .size:           8
        .value_kind:     hidden_global_offset_x
      - .offset:         176
        .size:           8
        .value_kind:     hidden_global_offset_y
      - .offset:         184
        .size:           8
        .value_kind:     hidden_global_offset_z
      - .offset:         192
        .size:           2
        .value_kind:     hidden_grid_dims
      - .offset:         248
        .size:           4
        .value_kind:     hidden_dynamic_lds_size
    .group_segment_fixed_size: 240
    .kernarg_segment_align: 8
    .kernarg_segment_size: 384
    .language:       OpenCL C
    .language_version:
      - 2
      - 0
    .max_flat_workgroup_size: 1024
    .name:           _ZN4vllm25paged_attention_v1_kernelI14__hip_bfloat16hLi112ELi32ELi128ELNS_18Fp8KVCacheDataTypeE1ELb1EEEvPT_PKS3_PKT0_S9_ifPKiSB_iPKfiiiSD_SD_iiiii
    .private_segment_fixed_size: 0
    .sgpr_count:     54
    .sgpr_spill_count: 0
    .symbol:         _ZN4vllm25paged_attention_v1_kernelI14__hip_bfloat16hLi112ELi32ELi128ELNS_18Fp8KVCacheDataTypeE1ELb1EEEvPT_PKS3_PKT0_S9_ifPKiSB_iPKfiiiSD_SD_iiiii.kd
    .uniform_work_group_size: 1
    .uses_dynamic_stack: false
    .vgpr_count:     106
    .vgpr_spill_count: 0
    .wavefront_size: 64
  - .agpr_count:     0
    .args:
      - .actual_access:  write_only
        .address_space:  global
        .offset:         0
        .size:           8
        .value_kind:     global_buffer
      - .actual_access:  read_only
        .address_space:  global
        .offset:         8
        .size:           8
        .value_kind:     global_buffer
      - .actual_access:  read_only
        .address_space:  global
        .offset:         16
        .size:           8
        .value_kind:     global_buffer
      - .actual_access:  read_only
        .address_space:  global
        .offset:         24
        .size:           8
        .value_kind:     global_buffer
      - .offset:         32
        .size:           4
        .value_kind:     by_value
      - .offset:         36
        .size:           4
        .value_kind:     by_value
      - .actual_access:  read_only
        .address_space:  global
        .offset:         40
        .size:           8
        .value_kind:     global_buffer
      - .actual_access:  read_only
        .address_space:  global
        .offset:         48
        .size:           8
        .value_kind:     global_buffer
      - .offset:         56
        .size:           4
        .value_kind:     by_value
      - .actual_access:  read_only
        .address_space:  global
        .offset:         64
        .size:           8
        .value_kind:     global_buffer
      - .offset:         72
        .size:           4
        .value_kind:     by_value
      - .offset:         76
        .size:           4
        .value_kind:     by_value
      - .offset:         80
        .size:           4
        .value_kind:     by_value
      - .address_space:  global
        .offset:         88
        .size:           8
        .value_kind:     global_buffer
      - .address_space:  global
        .offset:         96
        .size:           8
        .value_kind:     global_buffer
      - .offset:         104
        .size:           4
        .value_kind:     by_value
      - .offset:         108
        .size:           4
        .value_kind:     by_value
      - .offset:         112
        .size:           4
        .value_kind:     by_value
      - .offset:         116
        .size:           4
        .value_kind:     by_value
      - .offset:         120
        .size:           4
        .value_kind:     by_value
      - .offset:         128
        .size:           4
        .value_kind:     hidden_block_count_x
      - .offset:         132
        .size:           4
        .value_kind:     hidden_block_count_y
      - .offset:         136
        .size:           4
        .value_kind:     hidden_block_count_z
      - .offset:         140
        .size:           2
        .value_kind:     hidden_group_size_x
      - .offset:         142
        .size:           2
        .value_kind:     hidden_group_size_y
      - .offset:         144
        .size:           2
        .value_kind:     hidden_group_size_z
      - .offset:         146
        .size:           2
        .value_kind:     hidden_remainder_x
      - .offset:         148
        .size:           2
        .value_kind:     hidden_remainder_y
      - .offset:         150
        .size:           2
        .value_kind:     hidden_remainder_z
      - .offset:         168
        .size:           8
        .value_kind:     hidden_global_offset_x
      - .offset:         176
        .size:           8
        .value_kind:     hidden_global_offset_y
      - .offset:         184
        .size:           8
        .value_kind:     hidden_global_offset_z
      - .offset:         192
        .size:           2
        .value_kind:     hidden_grid_dims
      - .offset:         248
        .size:           4
        .value_kind:     hidden_dynamic_lds_size
    .group_segment_fixed_size: 256
    .kernarg_segment_align: 8
    .kernarg_segment_size: 384
    .language:       OpenCL C
    .language_version:
      - 2
      - 0
    .max_flat_workgroup_size: 1024
    .name:           _ZN4vllm25paged_attention_v1_kernelI14__hip_bfloat16hLi120ELi32ELi128ELNS_18Fp8KVCacheDataTypeE1ELb1EEEvPT_PKS3_PKT0_S9_ifPKiSB_iPKfiiiSD_SD_iiiii
    .private_segment_fixed_size: 0
    .sgpr_count:     54
    .sgpr_spill_count: 0
    .symbol:         _ZN4vllm25paged_attention_v1_kernelI14__hip_bfloat16hLi120ELi32ELi128ELNS_18Fp8KVCacheDataTypeE1ELb1EEEvPT_PKS3_PKT0_S9_ifPKiSB_iPKfiiiSD_SD_iiiii.kd
    .uniform_work_group_size: 1
    .uses_dynamic_stack: false
    .vgpr_count:     106
    .vgpr_spill_count: 0
    .wavefront_size: 64
  - .agpr_count:     0
    .args:
      - .actual_access:  write_only
        .address_space:  global
        .offset:         0
        .size:           8
        .value_kind:     global_buffer
      - .actual_access:  read_only
        .address_space:  global
        .offset:         8
        .size:           8
        .value_kind:     global_buffer
      - .actual_access:  read_only
        .address_space:  global
        .offset:         16
        .size:           8
        .value_kind:     global_buffer
      - .actual_access:  read_only
        .address_space:  global
        .offset:         24
        .size:           8
        .value_kind:     global_buffer
      - .offset:         32
        .size:           4
        .value_kind:     by_value
      - .offset:         36
        .size:           4
        .value_kind:     by_value
      - .actual_access:  read_only
        .address_space:  global
        .offset:         40
        .size:           8
        .value_kind:     global_buffer
      - .actual_access:  read_only
        .address_space:  global
        .offset:         48
        .size:           8
        .value_kind:     global_buffer
      - .offset:         56
        .size:           4
        .value_kind:     by_value
      - .actual_access:  read_only
        .address_space:  global
        .offset:         64
        .size:           8
        .value_kind:     global_buffer
      - .offset:         72
        .size:           4
        .value_kind:     by_value
      - .offset:         76
        .size:           4
        .value_kind:     by_value
      - .offset:         80
        .size:           4
        .value_kind:     by_value
      - .address_space:  global
        .offset:         88
        .size:           8
        .value_kind:     global_buffer
      - .address_space:  global
        .offset:         96
        .size:           8
        .value_kind:     global_buffer
      - .offset:         104
        .size:           4
        .value_kind:     by_value
      - .offset:         108
        .size:           4
        .value_kind:     by_value
      - .offset:         112
        .size:           4
        .value_kind:     by_value
      - .offset:         116
        .size:           4
        .value_kind:     by_value
      - .offset:         120
        .size:           4
        .value_kind:     by_value
      - .offset:         128
        .size:           4
        .value_kind:     hidden_block_count_x
      - .offset:         132
        .size:           4
        .value_kind:     hidden_block_count_y
      - .offset:         136
        .size:           4
        .value_kind:     hidden_block_count_z
      - .offset:         140
        .size:           2
        .value_kind:     hidden_group_size_x
      - .offset:         142
        .size:           2
        .value_kind:     hidden_group_size_y
      - .offset:         144
        .size:           2
        .value_kind:     hidden_group_size_z
      - .offset:         146
        .size:           2
        .value_kind:     hidden_remainder_x
      - .offset:         148
        .size:           2
        .value_kind:     hidden_remainder_y
      - .offset:         150
        .size:           2
        .value_kind:     hidden_remainder_z
      - .offset:         168
        .size:           8
        .value_kind:     hidden_global_offset_x
      - .offset:         176
        .size:           8
        .value_kind:     hidden_global_offset_y
      - .offset:         184
        .size:           8
        .value_kind:     hidden_global_offset_z
      - .offset:         192
        .size:           2
        .value_kind:     hidden_grid_dims
      - .offset:         248
        .size:           4
        .value_kind:     hidden_dynamic_lds_size
    .group_segment_fixed_size: 272
    .kernarg_segment_align: 8
    .kernarg_segment_size: 384
    .language:       OpenCL C
    .language_version:
      - 2
      - 0
    .max_flat_workgroup_size: 1024
    .name:           _ZN4vllm25paged_attention_v1_kernelI14__hip_bfloat16hLi128ELi32ELi128ELNS_18Fp8KVCacheDataTypeE1ELb1EEEvPT_PKS3_PKT0_S9_ifPKiSB_iPKfiiiSD_SD_iiiii
    .private_segment_fixed_size: 0
    .sgpr_count:     54
    .sgpr_spill_count: 0
    .symbol:         _ZN4vllm25paged_attention_v1_kernelI14__hip_bfloat16hLi128ELi32ELi128ELNS_18Fp8KVCacheDataTypeE1ELb1EEEvPT_PKS3_PKT0_S9_ifPKiSB_iPKfiiiSD_SD_iiiii.kd
    .uniform_work_group_size: 1
    .uses_dynamic_stack: false
    .vgpr_count:     106
    .vgpr_spill_count: 0
    .wavefront_size: 64
  - .agpr_count:     0
    .args:
      - .actual_access:  write_only
        .address_space:  global
        .offset:         0
        .size:           8
        .value_kind:     global_buffer
      - .actual_access:  read_only
        .address_space:  global
        .offset:         8
        .size:           8
        .value_kind:     global_buffer
      - .actual_access:  read_only
        .address_space:  global
        .offset:         16
        .size:           8
        .value_kind:     global_buffer
      - .actual_access:  read_only
        .address_space:  global
        .offset:         24
        .size:           8
        .value_kind:     global_buffer
      - .offset:         32
        .size:           4
        .value_kind:     by_value
      - .offset:         36
        .size:           4
        .value_kind:     by_value
      - .actual_access:  read_only
        .address_space:  global
        .offset:         40
        .size:           8
        .value_kind:     global_buffer
      - .actual_access:  read_only
        .address_space:  global
        .offset:         48
        .size:           8
        .value_kind:     global_buffer
      - .offset:         56
        .size:           4
        .value_kind:     by_value
      - .actual_access:  read_only
        .address_space:  global
        .offset:         64
        .size:           8
        .value_kind:     global_buffer
      - .offset:         72
        .size:           4
        .value_kind:     by_value
      - .offset:         76
        .size:           4
        .value_kind:     by_value
      - .offset:         80
        .size:           4
        .value_kind:     by_value
      - .address_space:  global
        .offset:         88
        .size:           8
        .value_kind:     global_buffer
      - .address_space:  global
        .offset:         96
        .size:           8
        .value_kind:     global_buffer
      - .offset:         104
        .size:           4
        .value_kind:     by_value
      - .offset:         108
        .size:           4
        .value_kind:     by_value
      - .offset:         112
        .size:           4
        .value_kind:     by_value
      - .offset:         116
        .size:           4
        .value_kind:     by_value
      - .offset:         120
        .size:           4
        .value_kind:     by_value
      - .offset:         128
        .size:           4
        .value_kind:     hidden_block_count_x
      - .offset:         132
        .size:           4
        .value_kind:     hidden_block_count_y
      - .offset:         136
        .size:           4
        .value_kind:     hidden_block_count_z
      - .offset:         140
        .size:           2
        .value_kind:     hidden_group_size_x
      - .offset:         142
        .size:           2
        .value_kind:     hidden_group_size_y
      - .offset:         144
        .size:           2
        .value_kind:     hidden_group_size_z
      - .offset:         146
        .size:           2
        .value_kind:     hidden_remainder_x
      - .offset:         148
        .size:           2
        .value_kind:     hidden_remainder_y
      - .offset:         150
        .size:           2
        .value_kind:     hidden_remainder_z
      - .offset:         168
        .size:           8
        .value_kind:     hidden_global_offset_x
      - .offset:         176
        .size:           8
        .value_kind:     hidden_global_offset_y
      - .offset:         184
        .size:           8
        .value_kind:     hidden_global_offset_z
      - .offset:         192
        .size:           2
        .value_kind:     hidden_grid_dims
      - .offset:         248
        .size:           4
        .value_kind:     hidden_dynamic_lds_size
    .group_segment_fixed_size: 400
    .kernarg_segment_align: 8
    .kernarg_segment_size: 384
    .language:       OpenCL C
    .language_version:
      - 2
      - 0
    .max_flat_workgroup_size: 1024
    .name:           _ZN4vllm25paged_attention_v1_kernelI14__hip_bfloat16hLi192ELi32ELi128ELNS_18Fp8KVCacheDataTypeE1ELb1EEEvPT_PKS3_PKT0_S9_ifPKiSB_iPKfiiiSD_SD_iiiii
    .private_segment_fixed_size: 60
    .sgpr_count:     62
    .sgpr_spill_count: 0
    .symbol:         _ZN4vllm25paged_attention_v1_kernelI14__hip_bfloat16hLi192ELi32ELi128ELNS_18Fp8KVCacheDataTypeE1ELb1EEEvPT_PKS3_PKT0_S9_ifPKiSB_iPKfiiiSD_SD_iiiii.kd
    .uniform_work_group_size: 1
    .uses_dynamic_stack: false
    .vgpr_count:     128
    .vgpr_spill_count: 19
    .wavefront_size: 64
  - .agpr_count:     0
    .args:
      - .actual_access:  write_only
        .address_space:  global
        .offset:         0
        .size:           8
        .value_kind:     global_buffer
      - .actual_access:  read_only
        .address_space:  global
        .offset:         8
        .size:           8
        .value_kind:     global_buffer
      - .actual_access:  read_only
        .address_space:  global
        .offset:         16
        .size:           8
        .value_kind:     global_buffer
      - .actual_access:  read_only
        .address_space:  global
        .offset:         24
        .size:           8
        .value_kind:     global_buffer
      - .offset:         32
        .size:           4
        .value_kind:     by_value
      - .offset:         36
        .size:           4
        .value_kind:     by_value
      - .actual_access:  read_only
        .address_space:  global
        .offset:         40
        .size:           8
        .value_kind:     global_buffer
      - .actual_access:  read_only
        .address_space:  global
        .offset:         48
        .size:           8
        .value_kind:     global_buffer
      - .offset:         56
        .size:           4
        .value_kind:     by_value
      - .actual_access:  read_only
        .address_space:  global
        .offset:         64
        .size:           8
        .value_kind:     global_buffer
      - .offset:         72
        .size:           4
        .value_kind:     by_value
      - .offset:         76
        .size:           4
        .value_kind:     by_value
      - .offset:         80
        .size:           4
        .value_kind:     by_value
      - .address_space:  global
        .offset:         88
        .size:           8
        .value_kind:     global_buffer
      - .address_space:  global
        .offset:         96
        .size:           8
        .value_kind:     global_buffer
      - .offset:         104
        .size:           4
        .value_kind:     by_value
      - .offset:         108
        .size:           4
        .value_kind:     by_value
      - .offset:         112
        .size:           4
        .value_kind:     by_value
      - .offset:         116
        .size:           4
        .value_kind:     by_value
      - .offset:         120
        .size:           4
        .value_kind:     by_value
      - .offset:         128
        .size:           4
        .value_kind:     hidden_block_count_x
      - .offset:         132
        .size:           4
        .value_kind:     hidden_block_count_y
      - .offset:         136
        .size:           4
        .value_kind:     hidden_block_count_z
      - .offset:         140
        .size:           2
        .value_kind:     hidden_group_size_x
      - .offset:         142
        .size:           2
        .value_kind:     hidden_group_size_y
      - .offset:         144
        .size:           2
        .value_kind:     hidden_group_size_z
      - .offset:         146
        .size:           2
        .value_kind:     hidden_remainder_x
      - .offset:         148
        .size:           2
        .value_kind:     hidden_remainder_y
      - .offset:         150
        .size:           2
        .value_kind:     hidden_remainder_z
      - .offset:         168
        .size:           8
        .value_kind:     hidden_global_offset_x
      - .offset:         176
        .size:           8
        .value_kind:     hidden_global_offset_y
      - .offset:         184
        .size:           8
        .value_kind:     hidden_global_offset_z
      - .offset:         192
        .size:           2
        .value_kind:     hidden_grid_dims
      - .offset:         248
        .size:           4
        .value_kind:     hidden_dynamic_lds_size
    .group_segment_fixed_size: 528
    .kernarg_segment_align: 8
    .kernarg_segment_size: 384
    .language:       OpenCL C
    .language_version:
      - 2
      - 0
    .max_flat_workgroup_size: 1024
    .name:           _ZN4vllm25paged_attention_v1_kernelI14__hip_bfloat16hLi256ELi32ELi128ELNS_18Fp8KVCacheDataTypeE1ELb1EEEvPT_PKS3_PKT0_S9_ifPKiSB_iPKfiiiSD_SD_iiiii
    .private_segment_fixed_size: 216
    .sgpr_count:     72
    .sgpr_spill_count: 0
    .symbol:         _ZN4vllm25paged_attention_v1_kernelI14__hip_bfloat16hLi256ELi32ELi128ELNS_18Fp8KVCacheDataTypeE1ELb1EEEvPT_PKS3_PKT0_S9_ifPKiSB_iPKfiiiSD_SD_iiiii.kd
    .uniform_work_group_size: 1
    .uses_dynamic_stack: false
    .vgpr_count:     128
    .vgpr_spill_count: 96
    .wavefront_size: 64
  - .agpr_count:     0
    .args:
      - .actual_access:  write_only
        .address_space:  global
        .offset:         0
        .size:           8
        .value_kind:     global_buffer
      - .actual_access:  read_only
        .address_space:  global
        .offset:         8
        .size:           8
        .value_kind:     global_buffer
      - .actual_access:  read_only
        .address_space:  global
        .offset:         16
        .size:           8
        .value_kind:     global_buffer
      - .actual_access:  read_only
        .address_space:  global
        .offset:         24
        .size:           8
        .value_kind:     global_buffer
      - .offset:         32
        .size:           4
        .value_kind:     by_value
      - .offset:         36
        .size:           4
        .value_kind:     by_value
      - .actual_access:  read_only
        .address_space:  global
        .offset:         40
        .size:           8
        .value_kind:     global_buffer
      - .actual_access:  read_only
        .address_space:  global
        .offset:         48
        .size:           8
        .value_kind:     global_buffer
      - .offset:         56
        .size:           4
        .value_kind:     by_value
      - .actual_access:  read_only
        .address_space:  global
        .offset:         64
        .size:           8
        .value_kind:     global_buffer
      - .offset:         72
        .size:           4
        .value_kind:     by_value
      - .offset:         76
        .size:           4
        .value_kind:     by_value
      - .offset:         80
        .size:           4
        .value_kind:     by_value
      - .address_space:  global
        .offset:         88
        .size:           8
        .value_kind:     global_buffer
      - .address_space:  global
        .offset:         96
        .size:           8
        .value_kind:     global_buffer
      - .offset:         104
        .size:           4
        .value_kind:     by_value
      - .offset:         108
        .size:           4
        .value_kind:     by_value
      - .offset:         112
        .size:           4
        .value_kind:     by_value
      - .offset:         116
        .size:           4
        .value_kind:     by_value
      - .offset:         120
        .size:           4
        .value_kind:     by_value
      - .offset:         128
        .size:           4
        .value_kind:     hidden_block_count_x
      - .offset:         132
        .size:           4
        .value_kind:     hidden_block_count_y
      - .offset:         136
        .size:           4
        .value_kind:     hidden_block_count_z
      - .offset:         140
        .size:           2
        .value_kind:     hidden_group_size_x
      - .offset:         142
        .size:           2
        .value_kind:     hidden_group_size_y
      - .offset:         144
        .size:           2
        .value_kind:     hidden_group_size_z
      - .offset:         146
        .size:           2
        .value_kind:     hidden_remainder_x
      - .offset:         148
        .size:           2
        .value_kind:     hidden_remainder_y
      - .offset:         150
        .size:           2
        .value_kind:     hidden_remainder_z
      - .offset:         168
        .size:           8
        .value_kind:     hidden_global_offset_x
      - .offset:         176
        .size:           8
        .value_kind:     hidden_global_offset_y
      - .offset:         184
        .size:           8
        .value_kind:     hidden_global_offset_z
      - .offset:         192
        .size:           2
        .value_kind:     hidden_grid_dims
      - .offset:         248
        .size:           4
        .value_kind:     hidden_dynamic_lds_size
    .group_segment_fixed_size: 80
    .kernarg_segment_align: 8
    .kernarg_segment_size: 384
    .language:       OpenCL C
    .language_version:
      - 2
      - 0
    .max_flat_workgroup_size: 1024
    .name:           _ZN4vllm25paged_attention_v1_kernelI14__hip_bfloat16hLi32ELi32ELi128ELNS_18Fp8KVCacheDataTypeE1ELb0EEEvPT_PKS3_PKT0_S9_ifPKiSB_iPKfiiiSD_SD_iiiii
    .private_segment_fixed_size: 0
    .sgpr_count:     43
    .sgpr_spill_count: 0
    .symbol:         _ZN4vllm25paged_attention_v1_kernelI14__hip_bfloat16hLi32ELi32ELi128ELNS_18Fp8KVCacheDataTypeE1ELb0EEEvPT_PKS3_PKT0_S9_ifPKiSB_iPKfiiiSD_SD_iiiii.kd
    .uniform_work_group_size: 1
    .uses_dynamic_stack: false
    .vgpr_count:     49
    .vgpr_spill_count: 0
    .wavefront_size: 64
  - .agpr_count:     0
    .args:
      - .actual_access:  write_only
        .address_space:  global
        .offset:         0
        .size:           8
        .value_kind:     global_buffer
      - .actual_access:  read_only
        .address_space:  global
        .offset:         8
        .size:           8
        .value_kind:     global_buffer
      - .actual_access:  read_only
        .address_space:  global
        .offset:         16
        .size:           8
        .value_kind:     global_buffer
      - .actual_access:  read_only
        .address_space:  global
        .offset:         24
        .size:           8
        .value_kind:     global_buffer
      - .offset:         32
        .size:           4
        .value_kind:     by_value
      - .offset:         36
        .size:           4
        .value_kind:     by_value
      - .actual_access:  read_only
        .address_space:  global
        .offset:         40
        .size:           8
        .value_kind:     global_buffer
      - .actual_access:  read_only
        .address_space:  global
        .offset:         48
        .size:           8
        .value_kind:     global_buffer
      - .offset:         56
        .size:           4
        .value_kind:     by_value
      - .actual_access:  read_only
        .address_space:  global
        .offset:         64
        .size:           8
        .value_kind:     global_buffer
      - .offset:         72
        .size:           4
        .value_kind:     by_value
      - .offset:         76
        .size:           4
        .value_kind:     by_value
      - .offset:         80
        .size:           4
        .value_kind:     by_value
      - .address_space:  global
        .offset:         88
        .size:           8
        .value_kind:     global_buffer
      - .address_space:  global
        .offset:         96
        .size:           8
        .value_kind:     global_buffer
      - .offset:         104
        .size:           4
        .value_kind:     by_value
      - .offset:         108
        .size:           4
        .value_kind:     by_value
      - .offset:         112
        .size:           4
        .value_kind:     by_value
      - .offset:         116
        .size:           4
        .value_kind:     by_value
      - .offset:         120
        .size:           4
        .value_kind:     by_value
      - .offset:         128
        .size:           4
        .value_kind:     hidden_block_count_x
      - .offset:         132
        .size:           4
        .value_kind:     hidden_block_count_y
      - .offset:         136
        .size:           4
        .value_kind:     hidden_block_count_z
      - .offset:         140
        .size:           2
        .value_kind:     hidden_group_size_x
      - .offset:         142
        .size:           2
        .value_kind:     hidden_group_size_y
      - .offset:         144
        .size:           2
        .value_kind:     hidden_group_size_z
      - .offset:         146
        .size:           2
        .value_kind:     hidden_remainder_x
      - .offset:         148
        .size:           2
        .value_kind:     hidden_remainder_y
      - .offset:         150
        .size:           2
        .value_kind:     hidden_remainder_z
      - .offset:         168
        .size:           8
        .value_kind:     hidden_global_offset_x
      - .offset:         176
        .size:           8
        .value_kind:     hidden_global_offset_y
      - .offset:         184
        .size:           8
        .value_kind:     hidden_global_offset_z
      - .offset:         192
        .size:           2
        .value_kind:     hidden_grid_dims
      - .offset:         248
        .size:           4
        .value_kind:     hidden_dynamic_lds_size
    .group_segment_fixed_size: 144
    .kernarg_segment_align: 8
    .kernarg_segment_size: 384
    .language:       OpenCL C
    .language_version:
      - 2
      - 0
    .max_flat_workgroup_size: 1024
    .name:           _ZN4vllm25paged_attention_v1_kernelI14__hip_bfloat16hLi64ELi32ELi128ELNS_18Fp8KVCacheDataTypeE1ELb0EEEvPT_PKS3_PKT0_S9_ifPKiSB_iPKfiiiSD_SD_iiiii
    .private_segment_fixed_size: 0
    .sgpr_count:     43
    .sgpr_spill_count: 0
    .symbol:         _ZN4vllm25paged_attention_v1_kernelI14__hip_bfloat16hLi64ELi32ELi128ELNS_18Fp8KVCacheDataTypeE1ELb0EEEvPT_PKS3_PKT0_S9_ifPKiSB_iPKfiiiSD_SD_iiiii.kd
    .uniform_work_group_size: 1
    .uses_dynamic_stack: false
    .vgpr_count:     79
    .vgpr_spill_count: 0
    .wavefront_size: 64
  - .agpr_count:     0
    .args:
      - .actual_access:  write_only
        .address_space:  global
        .offset:         0
        .size:           8
        .value_kind:     global_buffer
      - .actual_access:  read_only
        .address_space:  global
        .offset:         8
        .size:           8
        .value_kind:     global_buffer
      - .actual_access:  read_only
        .address_space:  global
        .offset:         16
        .size:           8
        .value_kind:     global_buffer
      - .actual_access:  read_only
        .address_space:  global
        .offset:         24
        .size:           8
        .value_kind:     global_buffer
      - .offset:         32
        .size:           4
        .value_kind:     by_value
      - .offset:         36
        .size:           4
        .value_kind:     by_value
      - .actual_access:  read_only
        .address_space:  global
        .offset:         40
        .size:           8
        .value_kind:     global_buffer
      - .actual_access:  read_only
        .address_space:  global
        .offset:         48
        .size:           8
        .value_kind:     global_buffer
      - .offset:         56
        .size:           4
        .value_kind:     by_value
      - .actual_access:  read_only
        .address_space:  global
        .offset:         64
        .size:           8
        .value_kind:     global_buffer
      - .offset:         72
        .size:           4
        .value_kind:     by_value
      - .offset:         76
        .size:           4
        .value_kind:     by_value
      - .offset:         80
        .size:           4
        .value_kind:     by_value
      - .address_space:  global
        .offset:         88
        .size:           8
        .value_kind:     global_buffer
      - .address_space:  global
        .offset:         96
        .size:           8
        .value_kind:     global_buffer
      - .offset:         104
        .size:           4
        .value_kind:     by_value
      - .offset:         108
        .size:           4
        .value_kind:     by_value
      - .offset:         112
        .size:           4
        .value_kind:     by_value
      - .offset:         116
        .size:           4
        .value_kind:     by_value
      - .offset:         120
        .size:           4
        .value_kind:     by_value
      - .offset:         128
        .size:           4
        .value_kind:     hidden_block_count_x
      - .offset:         132
        .size:           4
        .value_kind:     hidden_block_count_y
      - .offset:         136
        .size:           4
        .value_kind:     hidden_block_count_z
      - .offset:         140
        .size:           2
        .value_kind:     hidden_group_size_x
      - .offset:         142
        .size:           2
        .value_kind:     hidden_group_size_y
      - .offset:         144
        .size:           2
        .value_kind:     hidden_group_size_z
      - .offset:         146
        .size:           2
        .value_kind:     hidden_remainder_x
      - .offset:         148
        .size:           2
        .value_kind:     hidden_remainder_y
      - .offset:         150
        .size:           2
        .value_kind:     hidden_remainder_z
      - .offset:         168
        .size:           8
        .value_kind:     hidden_global_offset_x
      - .offset:         176
        .size:           8
        .value_kind:     hidden_global_offset_y
      - .offset:         184
        .size:           8
        .value_kind:     hidden_global_offset_z
      - .offset:         192
        .size:           2
        .value_kind:     hidden_grid_dims
      - .offset:         248
        .size:           4
        .value_kind:     hidden_dynamic_lds_size
    .group_segment_fixed_size: 176
    .kernarg_segment_align: 8
    .kernarg_segment_size: 384
    .language:       OpenCL C
    .language_version:
      - 2
      - 0
    .max_flat_workgroup_size: 1024
    .name:           _ZN4vllm25paged_attention_v1_kernelI14__hip_bfloat16hLi80ELi32ELi128ELNS_18Fp8KVCacheDataTypeE1ELb0EEEvPT_PKS3_PKT0_S9_ifPKiSB_iPKfiiiSD_SD_iiiii
    .private_segment_fixed_size: 0
    .sgpr_count:     43
    .sgpr_spill_count: 0
    .symbol:         _ZN4vllm25paged_attention_v1_kernelI14__hip_bfloat16hLi80ELi32ELi128ELNS_18Fp8KVCacheDataTypeE1ELb0EEEvPT_PKS3_PKT0_S9_ifPKiSB_iPKfiiiSD_SD_iiiii.kd
    .uniform_work_group_size: 1
    .uses_dynamic_stack: false
    .vgpr_count:     87
    .vgpr_spill_count: 0
    .wavefront_size: 64
  - .agpr_count:     0
    .args:
      - .actual_access:  write_only
        .address_space:  global
        .offset:         0
        .size:           8
        .value_kind:     global_buffer
      - .actual_access:  read_only
        .address_space:  global
        .offset:         8
        .size:           8
        .value_kind:     global_buffer
      - .actual_access:  read_only
        .address_space:  global
        .offset:         16
        .size:           8
        .value_kind:     global_buffer
      - .actual_access:  read_only
        .address_space:  global
        .offset:         24
        .size:           8
        .value_kind:     global_buffer
      - .offset:         32
        .size:           4
        .value_kind:     by_value
      - .offset:         36
        .size:           4
        .value_kind:     by_value
      - .actual_access:  read_only
        .address_space:  global
        .offset:         40
        .size:           8
        .value_kind:     global_buffer
      - .actual_access:  read_only
        .address_space:  global
        .offset:         48
        .size:           8
        .value_kind:     global_buffer
      - .offset:         56
        .size:           4
        .value_kind:     by_value
      - .actual_access:  read_only
        .address_space:  global
        .offset:         64
        .size:           8
        .value_kind:     global_buffer
      - .offset:         72
        .size:           4
        .value_kind:     by_value
      - .offset:         76
        .size:           4
        .value_kind:     by_value
      - .offset:         80
        .size:           4
        .value_kind:     by_value
      - .address_space:  global
        .offset:         88
        .size:           8
        .value_kind:     global_buffer
      - .address_space:  global
        .offset:         96
        .size:           8
        .value_kind:     global_buffer
      - .offset:         104
        .size:           4
        .value_kind:     by_value
      - .offset:         108
        .size:           4
        .value_kind:     by_value
      - .offset:         112
        .size:           4
        .value_kind:     by_value
      - .offset:         116
        .size:           4
        .value_kind:     by_value
      - .offset:         120
        .size:           4
        .value_kind:     by_value
      - .offset:         128
        .size:           4
        .value_kind:     hidden_block_count_x
      - .offset:         132
        .size:           4
        .value_kind:     hidden_block_count_y
      - .offset:         136
        .size:           4
        .value_kind:     hidden_block_count_z
      - .offset:         140
        .size:           2
        .value_kind:     hidden_group_size_x
      - .offset:         142
        .size:           2
        .value_kind:     hidden_group_size_y
      - .offset:         144
        .size:           2
        .value_kind:     hidden_group_size_z
      - .offset:         146
        .size:           2
        .value_kind:     hidden_remainder_x
      - .offset:         148
        .size:           2
        .value_kind:     hidden_remainder_y
      - .offset:         150
        .size:           2
        .value_kind:     hidden_remainder_z
      - .offset:         168
        .size:           8
        .value_kind:     hidden_global_offset_x
      - .offset:         176
        .size:           8
        .value_kind:     hidden_global_offset_y
      - .offset:         184
        .size:           8
        .value_kind:     hidden_global_offset_z
      - .offset:         192
        .size:           2
        .value_kind:     hidden_grid_dims
      - .offset:         248
        .size:           4
        .value_kind:     hidden_dynamic_lds_size
    .group_segment_fixed_size: 208
    .kernarg_segment_align: 8
    .kernarg_segment_size: 384
    .language:       OpenCL C
    .language_version:
      - 2
      - 0
    .max_flat_workgroup_size: 1024
    .name:           _ZN4vllm25paged_attention_v1_kernelI14__hip_bfloat16hLi96ELi32ELi128ELNS_18Fp8KVCacheDataTypeE1ELb0EEEvPT_PKS3_PKT0_S9_ifPKiSB_iPKfiiiSD_SD_iiiii
    .private_segment_fixed_size: 0
    .sgpr_count:     43
    .sgpr_spill_count: 0
    .symbol:         _ZN4vllm25paged_attention_v1_kernelI14__hip_bfloat16hLi96ELi32ELi128ELNS_18Fp8KVCacheDataTypeE1ELb0EEEvPT_PKS3_PKT0_S9_ifPKiSB_iPKfiiiSD_SD_iiiii.kd
    .uniform_work_group_size: 1
    .uses_dynamic_stack: false
    .vgpr_count:     97
    .vgpr_spill_count: 0
    .wavefront_size: 64
  - .agpr_count:     0
    .args:
      - .actual_access:  write_only
        .address_space:  global
        .offset:         0
        .size:           8
        .value_kind:     global_buffer
      - .actual_access:  read_only
        .address_space:  global
        .offset:         8
        .size:           8
        .value_kind:     global_buffer
      - .actual_access:  read_only
        .address_space:  global
        .offset:         16
        .size:           8
        .value_kind:     global_buffer
      - .actual_access:  read_only
        .address_space:  global
        .offset:         24
        .size:           8
        .value_kind:     global_buffer
      - .offset:         32
        .size:           4
        .value_kind:     by_value
      - .offset:         36
        .size:           4
        .value_kind:     by_value
      - .actual_access:  read_only
        .address_space:  global
        .offset:         40
        .size:           8
        .value_kind:     global_buffer
      - .actual_access:  read_only
        .address_space:  global
        .offset:         48
        .size:           8
        .value_kind:     global_buffer
      - .offset:         56
        .size:           4
        .value_kind:     by_value
      - .actual_access:  read_only
        .address_space:  global
        .offset:         64
        .size:           8
        .value_kind:     global_buffer
      - .offset:         72
        .size:           4
        .value_kind:     by_value
      - .offset:         76
        .size:           4
        .value_kind:     by_value
      - .offset:         80
        .size:           4
        .value_kind:     by_value
      - .address_space:  global
        .offset:         88
        .size:           8
        .value_kind:     global_buffer
      - .address_space:  global
        .offset:         96
        .size:           8
        .value_kind:     global_buffer
      - .offset:         104
        .size:           4
        .value_kind:     by_value
      - .offset:         108
        .size:           4
        .value_kind:     by_value
      - .offset:         112
        .size:           4
        .value_kind:     by_value
      - .offset:         116
        .size:           4
        .value_kind:     by_value
      - .offset:         120
        .size:           4
        .value_kind:     by_value
      - .offset:         128
        .size:           4
        .value_kind:     hidden_block_count_x
      - .offset:         132
        .size:           4
        .value_kind:     hidden_block_count_y
      - .offset:         136
        .size:           4
        .value_kind:     hidden_block_count_z
      - .offset:         140
        .size:           2
        .value_kind:     hidden_group_size_x
      - .offset:         142
        .size:           2
        .value_kind:     hidden_group_size_y
      - .offset:         144
        .size:           2
        .value_kind:     hidden_group_size_z
      - .offset:         146
        .size:           2
        .value_kind:     hidden_remainder_x
      - .offset:         148
        .size:           2
        .value_kind:     hidden_remainder_y
      - .offset:         150
        .size:           2
        .value_kind:     hidden_remainder_z
      - .offset:         168
        .size:           8
        .value_kind:     hidden_global_offset_x
      - .offset:         176
        .size:           8
        .value_kind:     hidden_global_offset_y
      - .offset:         184
        .size:           8
        .value_kind:     hidden_global_offset_z
      - .offset:         192
        .size:           2
        .value_kind:     hidden_grid_dims
      - .offset:         248
        .size:           4
        .value_kind:     hidden_dynamic_lds_size
    .group_segment_fixed_size: 240
    .kernarg_segment_align: 8
    .kernarg_segment_size: 384
    .language:       OpenCL C
    .language_version:
      - 2
      - 0
    .max_flat_workgroup_size: 1024
    .name:           _ZN4vllm25paged_attention_v1_kernelI14__hip_bfloat16hLi112ELi32ELi128ELNS_18Fp8KVCacheDataTypeE1ELb0EEEvPT_PKS3_PKT0_S9_ifPKiSB_iPKfiiiSD_SD_iiiii
    .private_segment_fixed_size: 0
    .sgpr_count:     43
    .sgpr_spill_count: 0
    .symbol:         _ZN4vllm25paged_attention_v1_kernelI14__hip_bfloat16hLi112ELi32ELi128ELNS_18Fp8KVCacheDataTypeE1ELb0EEEvPT_PKS3_PKT0_S9_ifPKiSB_iPKfiiiSD_SD_iiiii.kd
    .uniform_work_group_size: 1
    .uses_dynamic_stack: false
    .vgpr_count:     105
    .vgpr_spill_count: 0
    .wavefront_size: 64
  - .agpr_count:     0
    .args:
      - .actual_access:  write_only
        .address_space:  global
        .offset:         0
        .size:           8
        .value_kind:     global_buffer
      - .actual_access:  read_only
        .address_space:  global
        .offset:         8
        .size:           8
        .value_kind:     global_buffer
      - .actual_access:  read_only
        .address_space:  global
        .offset:         16
        .size:           8
        .value_kind:     global_buffer
      - .actual_access:  read_only
        .address_space:  global
        .offset:         24
        .size:           8
        .value_kind:     global_buffer
      - .offset:         32
        .size:           4
        .value_kind:     by_value
      - .offset:         36
        .size:           4
        .value_kind:     by_value
      - .actual_access:  read_only
        .address_space:  global
        .offset:         40
        .size:           8
        .value_kind:     global_buffer
      - .actual_access:  read_only
        .address_space:  global
        .offset:         48
        .size:           8
        .value_kind:     global_buffer
      - .offset:         56
        .size:           4
        .value_kind:     by_value
      - .actual_access:  read_only
        .address_space:  global
        .offset:         64
        .size:           8
        .value_kind:     global_buffer
      - .offset:         72
        .size:           4
        .value_kind:     by_value
      - .offset:         76
        .size:           4
        .value_kind:     by_value
      - .offset:         80
        .size:           4
        .value_kind:     by_value
      - .address_space:  global
        .offset:         88
        .size:           8
        .value_kind:     global_buffer
      - .address_space:  global
        .offset:         96
        .size:           8
        .value_kind:     global_buffer
      - .offset:         104
        .size:           4
        .value_kind:     by_value
      - .offset:         108
        .size:           4
        .value_kind:     by_value
      - .offset:         112
        .size:           4
        .value_kind:     by_value
      - .offset:         116
        .size:           4
        .value_kind:     by_value
      - .offset:         120
        .size:           4
        .value_kind:     by_value
      - .offset:         128
        .size:           4
        .value_kind:     hidden_block_count_x
      - .offset:         132
        .size:           4
        .value_kind:     hidden_block_count_y
      - .offset:         136
        .size:           4
        .value_kind:     hidden_block_count_z
      - .offset:         140
        .size:           2
        .value_kind:     hidden_group_size_x
      - .offset:         142
        .size:           2
        .value_kind:     hidden_group_size_y
      - .offset:         144
        .size:           2
        .value_kind:     hidden_group_size_z
      - .offset:         146
        .size:           2
        .value_kind:     hidden_remainder_x
      - .offset:         148
        .size:           2
        .value_kind:     hidden_remainder_y
      - .offset:         150
        .size:           2
        .value_kind:     hidden_remainder_z
      - .offset:         168
        .size:           8
        .value_kind:     hidden_global_offset_x
      - .offset:         176
        .size:           8
        .value_kind:     hidden_global_offset_y
      - .offset:         184
        .size:           8
        .value_kind:     hidden_global_offset_z
      - .offset:         192
        .size:           2
        .value_kind:     hidden_grid_dims
      - .offset:         248
        .size:           4
        .value_kind:     hidden_dynamic_lds_size
    .group_segment_fixed_size: 256
    .kernarg_segment_align: 8
    .kernarg_segment_size: 384
    .language:       OpenCL C
    .language_version:
      - 2
      - 0
    .max_flat_workgroup_size: 1024
    .name:           _ZN4vllm25paged_attention_v1_kernelI14__hip_bfloat16hLi120ELi32ELi128ELNS_18Fp8KVCacheDataTypeE1ELb0EEEvPT_PKS3_PKT0_S9_ifPKiSB_iPKfiiiSD_SD_iiiii
    .private_segment_fixed_size: 0
    .sgpr_count:     43
    .sgpr_spill_count: 0
    .symbol:         _ZN4vllm25paged_attention_v1_kernelI14__hip_bfloat16hLi120ELi32ELi128ELNS_18Fp8KVCacheDataTypeE1ELb0EEEvPT_PKS3_PKT0_S9_ifPKiSB_iPKfiiiSD_SD_iiiii.kd
    .uniform_work_group_size: 1
    .uses_dynamic_stack: false
    .vgpr_count:     105
    .vgpr_spill_count: 0
    .wavefront_size: 64
  - .agpr_count:     0
    .args:
      - .actual_access:  write_only
        .address_space:  global
        .offset:         0
        .size:           8
        .value_kind:     global_buffer
      - .actual_access:  read_only
        .address_space:  global
        .offset:         8
        .size:           8
        .value_kind:     global_buffer
      - .actual_access:  read_only
        .address_space:  global
        .offset:         16
        .size:           8
        .value_kind:     global_buffer
      - .actual_access:  read_only
        .address_space:  global
        .offset:         24
        .size:           8
        .value_kind:     global_buffer
      - .offset:         32
        .size:           4
        .value_kind:     by_value
      - .offset:         36
        .size:           4
        .value_kind:     by_value
      - .actual_access:  read_only
        .address_space:  global
        .offset:         40
        .size:           8
        .value_kind:     global_buffer
      - .actual_access:  read_only
        .address_space:  global
        .offset:         48
        .size:           8
        .value_kind:     global_buffer
      - .offset:         56
        .size:           4
        .value_kind:     by_value
      - .actual_access:  read_only
        .address_space:  global
        .offset:         64
        .size:           8
        .value_kind:     global_buffer
      - .offset:         72
        .size:           4
        .value_kind:     by_value
      - .offset:         76
        .size:           4
        .value_kind:     by_value
      - .offset:         80
        .size:           4
        .value_kind:     by_value
      - .address_space:  global
        .offset:         88
        .size:           8
        .value_kind:     global_buffer
      - .address_space:  global
        .offset:         96
        .size:           8
        .value_kind:     global_buffer
      - .offset:         104
        .size:           4
        .value_kind:     by_value
      - .offset:         108
        .size:           4
        .value_kind:     by_value
      - .offset:         112
        .size:           4
        .value_kind:     by_value
      - .offset:         116
        .size:           4
        .value_kind:     by_value
      - .offset:         120
        .size:           4
        .value_kind:     by_value
      - .offset:         128
        .size:           4
        .value_kind:     hidden_block_count_x
      - .offset:         132
        .size:           4
        .value_kind:     hidden_block_count_y
      - .offset:         136
        .size:           4
        .value_kind:     hidden_block_count_z
      - .offset:         140
        .size:           2
        .value_kind:     hidden_group_size_x
      - .offset:         142
        .size:           2
        .value_kind:     hidden_group_size_y
      - .offset:         144
        .size:           2
        .value_kind:     hidden_group_size_z
      - .offset:         146
        .size:           2
        .value_kind:     hidden_remainder_x
      - .offset:         148
        .size:           2
        .value_kind:     hidden_remainder_y
      - .offset:         150
        .size:           2
        .value_kind:     hidden_remainder_z
      - .offset:         168
        .size:           8
        .value_kind:     hidden_global_offset_x
      - .offset:         176
        .size:           8
        .value_kind:     hidden_global_offset_y
      - .offset:         184
        .size:           8
        .value_kind:     hidden_global_offset_z
      - .offset:         192
        .size:           2
        .value_kind:     hidden_grid_dims
      - .offset:         248
        .size:           4
        .value_kind:     hidden_dynamic_lds_size
    .group_segment_fixed_size: 272
    .kernarg_segment_align: 8
    .kernarg_segment_size: 384
    .language:       OpenCL C
    .language_version:
      - 2
      - 0
    .max_flat_workgroup_size: 1024
    .name:           _ZN4vllm25paged_attention_v1_kernelI14__hip_bfloat16hLi128ELi32ELi128ELNS_18Fp8KVCacheDataTypeE1ELb0EEEvPT_PKS3_PKT0_S9_ifPKiSB_iPKfiiiSD_SD_iiiii
    .private_segment_fixed_size: 0
    .sgpr_count:     43
    .sgpr_spill_count: 0
    .symbol:         _ZN4vllm25paged_attention_v1_kernelI14__hip_bfloat16hLi128ELi32ELi128ELNS_18Fp8KVCacheDataTypeE1ELb0EEEvPT_PKS3_PKT0_S9_ifPKiSB_iPKfiiiSD_SD_iiiii.kd
    .uniform_work_group_size: 1
    .uses_dynamic_stack: false
    .vgpr_count:     120
    .vgpr_spill_count: 0
    .wavefront_size: 64
  - .agpr_count:     0
    .args:
      - .actual_access:  write_only
        .address_space:  global
        .offset:         0
        .size:           8
        .value_kind:     global_buffer
      - .actual_access:  read_only
        .address_space:  global
        .offset:         8
        .size:           8
        .value_kind:     global_buffer
      - .actual_access:  read_only
        .address_space:  global
        .offset:         16
        .size:           8
        .value_kind:     global_buffer
      - .actual_access:  read_only
        .address_space:  global
        .offset:         24
        .size:           8
        .value_kind:     global_buffer
      - .offset:         32
        .size:           4
        .value_kind:     by_value
      - .offset:         36
        .size:           4
        .value_kind:     by_value
      - .actual_access:  read_only
        .address_space:  global
        .offset:         40
        .size:           8
        .value_kind:     global_buffer
      - .actual_access:  read_only
        .address_space:  global
        .offset:         48
        .size:           8
        .value_kind:     global_buffer
      - .offset:         56
        .size:           4
        .value_kind:     by_value
      - .actual_access:  read_only
        .address_space:  global
        .offset:         64
        .size:           8
        .value_kind:     global_buffer
      - .offset:         72
        .size:           4
        .value_kind:     by_value
      - .offset:         76
        .size:           4
        .value_kind:     by_value
      - .offset:         80
        .size:           4
        .value_kind:     by_value
      - .address_space:  global
        .offset:         88
        .size:           8
        .value_kind:     global_buffer
      - .address_space:  global
        .offset:         96
        .size:           8
        .value_kind:     global_buffer
      - .offset:         104
        .size:           4
        .value_kind:     by_value
      - .offset:         108
        .size:           4
        .value_kind:     by_value
      - .offset:         112
        .size:           4
        .value_kind:     by_value
      - .offset:         116
        .size:           4
        .value_kind:     by_value
      - .offset:         120
        .size:           4
        .value_kind:     by_value
      - .offset:         128
        .size:           4
        .value_kind:     hidden_block_count_x
      - .offset:         132
        .size:           4
        .value_kind:     hidden_block_count_y
      - .offset:         136
        .size:           4
        .value_kind:     hidden_block_count_z
      - .offset:         140
        .size:           2
        .value_kind:     hidden_group_size_x
      - .offset:         142
        .size:           2
        .value_kind:     hidden_group_size_y
      - .offset:         144
        .size:           2
        .value_kind:     hidden_group_size_z
      - .offset:         146
        .size:           2
        .value_kind:     hidden_remainder_x
      - .offset:         148
        .size:           2
        .value_kind:     hidden_remainder_y
      - .offset:         150
        .size:           2
        .value_kind:     hidden_remainder_z
      - .offset:         168
        .size:           8
        .value_kind:     hidden_global_offset_x
      - .offset:         176
        .size:           8
        .value_kind:     hidden_global_offset_y
      - .offset:         184
        .size:           8
        .value_kind:     hidden_global_offset_z
      - .offset:         192
        .size:           2
        .value_kind:     hidden_grid_dims
      - .offset:         248
        .size:           4
        .value_kind:     hidden_dynamic_lds_size
    .group_segment_fixed_size: 400
    .kernarg_segment_align: 8
    .kernarg_segment_size: 384
    .language:       OpenCL C
    .language_version:
      - 2
      - 0
    .max_flat_workgroup_size: 1024
    .name:           _ZN4vllm25paged_attention_v1_kernelI14__hip_bfloat16hLi192ELi32ELi128ELNS_18Fp8KVCacheDataTypeE1ELb0EEEvPT_PKS3_PKT0_S9_ifPKiSB_iPKfiiiSD_SD_iiiii
    .private_segment_fixed_size: 76
    .sgpr_count:     51
    .sgpr_spill_count: 0
    .symbol:         _ZN4vllm25paged_attention_v1_kernelI14__hip_bfloat16hLi192ELi32ELi128ELNS_18Fp8KVCacheDataTypeE1ELb0EEEvPT_PKS3_PKT0_S9_ifPKiSB_iPKfiiiSD_SD_iiiii.kd
    .uniform_work_group_size: 1
    .uses_dynamic_stack: false
    .vgpr_count:     128
    .vgpr_spill_count: 31
    .wavefront_size: 64
  - .agpr_count:     0
    .args:
      - .actual_access:  write_only
        .address_space:  global
        .offset:         0
        .size:           8
        .value_kind:     global_buffer
      - .actual_access:  read_only
        .address_space:  global
        .offset:         8
        .size:           8
        .value_kind:     global_buffer
      - .actual_access:  read_only
        .address_space:  global
        .offset:         16
        .size:           8
        .value_kind:     global_buffer
      - .actual_access:  read_only
        .address_space:  global
        .offset:         24
        .size:           8
        .value_kind:     global_buffer
      - .offset:         32
        .size:           4
        .value_kind:     by_value
      - .offset:         36
        .size:           4
        .value_kind:     by_value
      - .actual_access:  read_only
        .address_space:  global
        .offset:         40
        .size:           8
        .value_kind:     global_buffer
      - .actual_access:  read_only
        .address_space:  global
        .offset:         48
        .size:           8
        .value_kind:     global_buffer
      - .offset:         56
        .size:           4
        .value_kind:     by_value
      - .actual_access:  read_only
        .address_space:  global
        .offset:         64
        .size:           8
        .value_kind:     global_buffer
      - .offset:         72
        .size:           4
        .value_kind:     by_value
      - .offset:         76
        .size:           4
        .value_kind:     by_value
      - .offset:         80
        .size:           4
        .value_kind:     by_value
      - .address_space:  global
        .offset:         88
        .size:           8
        .value_kind:     global_buffer
      - .address_space:  global
        .offset:         96
        .size:           8
        .value_kind:     global_buffer
      - .offset:         104
        .size:           4
        .value_kind:     by_value
      - .offset:         108
        .size:           4
        .value_kind:     by_value
      - .offset:         112
        .size:           4
        .value_kind:     by_value
      - .offset:         116
        .size:           4
        .value_kind:     by_value
      - .offset:         120
        .size:           4
        .value_kind:     by_value
      - .offset:         128
        .size:           4
        .value_kind:     hidden_block_count_x
      - .offset:         132
        .size:           4
        .value_kind:     hidden_block_count_y
      - .offset:         136
        .size:           4
        .value_kind:     hidden_block_count_z
      - .offset:         140
        .size:           2
        .value_kind:     hidden_group_size_x
      - .offset:         142
        .size:           2
        .value_kind:     hidden_group_size_y
      - .offset:         144
        .size:           2
        .value_kind:     hidden_group_size_z
      - .offset:         146
        .size:           2
        .value_kind:     hidden_remainder_x
      - .offset:         148
        .size:           2
        .value_kind:     hidden_remainder_y
      - .offset:         150
        .size:           2
        .value_kind:     hidden_remainder_z
      - .offset:         168
        .size:           8
        .value_kind:     hidden_global_offset_x
      - .offset:         176
        .size:           8
        .value_kind:     hidden_global_offset_y
      - .offset:         184
        .size:           8
        .value_kind:     hidden_global_offset_z
      - .offset:         192
        .size:           2
        .value_kind:     hidden_grid_dims
      - .offset:         248
        .size:           4
        .value_kind:     hidden_dynamic_lds_size
    .group_segment_fixed_size: 528
    .kernarg_segment_align: 8
    .kernarg_segment_size: 384
    .language:       OpenCL C
    .language_version:
      - 2
      - 0
    .max_flat_workgroup_size: 1024
    .name:           _ZN4vllm25paged_attention_v1_kernelI14__hip_bfloat16hLi256ELi32ELi128ELNS_18Fp8KVCacheDataTypeE1ELb0EEEvPT_PKS3_PKT0_S9_ifPKiSB_iPKfiiiSD_SD_iiiii
    .private_segment_fixed_size: 244
    .sgpr_count:     61
    .sgpr_spill_count: 0
    .symbol:         _ZN4vllm25paged_attention_v1_kernelI14__hip_bfloat16hLi256ELi32ELi128ELNS_18Fp8KVCacheDataTypeE1ELb0EEEvPT_PKS3_PKT0_S9_ifPKiSB_iPKfiiiSD_SD_iiiii.kd
    .uniform_work_group_size: 1
    .uses_dynamic_stack: false
    .vgpr_count:     128
    .vgpr_spill_count: 146
    .wavefront_size: 64
amdhsa.target:   amdgcn-amd-amdhsa--gfx950
amdhsa.version:
  - 1
  - 2
...

	.end_amdgpu_metadata
